;; amdgpu-corpus repo=ROCm/rocSOLVER kind=compiled arch=gfx1030 opt=O3
	.amdgcn_target "amdgcn-amd-amdhsa--gfx1030"
	.amdhsa_code_object_version 6
	.section	.text._ZN9rocsolver6v33100L18trti2_kernel_smallILi1E19rocblas_complex_numIdEPS3_EEv13rocblas_fill_17rocblas_diagonal_T1_iil,"axG",@progbits,_ZN9rocsolver6v33100L18trti2_kernel_smallILi1E19rocblas_complex_numIdEPS3_EEv13rocblas_fill_17rocblas_diagonal_T1_iil,comdat
	.globl	_ZN9rocsolver6v33100L18trti2_kernel_smallILi1E19rocblas_complex_numIdEPS3_EEv13rocblas_fill_17rocblas_diagonal_T1_iil ; -- Begin function _ZN9rocsolver6v33100L18trti2_kernel_smallILi1E19rocblas_complex_numIdEPS3_EEv13rocblas_fill_17rocblas_diagonal_T1_iil
	.p2align	8
	.type	_ZN9rocsolver6v33100L18trti2_kernel_smallILi1E19rocblas_complex_numIdEPS3_EEv13rocblas_fill_17rocblas_diagonal_T1_iil,@function
_ZN9rocsolver6v33100L18trti2_kernel_smallILi1E19rocblas_complex_numIdEPS3_EEv13rocblas_fill_17rocblas_diagonal_T1_iil: ; @_ZN9rocsolver6v33100L18trti2_kernel_smallILi1E19rocblas_complex_numIdEPS3_EEv13rocblas_fill_17rocblas_diagonal_T1_iil
; %bb.0:
	s_mov_b32 s0, exec_lo
	v_cmpx_eq_u32_e32 0, v0
	s_cbranch_execz .LBB0_7
; %bb.1:
	s_clause 0x2
	s_load_dwordx2 s[0:1], s[4:5], 0x18
	s_load_dword s2, s[4:5], 0x10
	s_load_dwordx2 s[8:9], s[4:5], 0x8
	s_ashr_i32 s3, s6, 31
	s_waitcnt lgkmcnt(0)
	s_mul_hi_u32 s7, s0, s6
	s_mul_i32 s3, s0, s3
	s_mul_i32 s1, s1, s6
	s_add_i32 s3, s7, s3
	s_mul_i32 s0, s0, s6
	s_add_i32 s1, s3, s1
	s_ashr_i32 s3, s2, 31
	s_lshl_b64 s[0:1], s[0:1], 4
	s_add_u32 s6, s8, s0
	s_addc_u32 s7, s9, s1
	s_lshl_b64 s[0:1], s[2:3], 4
	s_add_u32 s6, s6, s0
	s_addc_u32 s7, s7, s1
	s_load_dwordx4 s[0:3], s[6:7], 0x0
	s_load_dword s4, s[4:5], 0x4
	s_waitcnt lgkmcnt(0)
	v_mov_b32_e32 v2, s2
	v_mov_b32_e32 v0, s0
	v_mov_b32_e32 v3, s3
	v_mov_b32_e32 v1, s1
	s_cmpk_eq_i32 s4, 0x84
	s_cbranch_scc1 .LBB0_6
; %bb.2:
	v_cmp_ngt_f64_e64 s4, |s[0:1]|, |s[2:3]|
	s_and_b32 vcc_lo, exec_lo, s4
	s_cbranch_vccz .LBB0_4
; %bb.3:
	v_div_scale_f64 v[0:1], null, s[2:3], s[2:3], s[0:1]
	v_div_scale_f64 v[6:7], vcc_lo, s[0:1], s[2:3], s[0:1]
	v_rcp_f64_e32 v[2:3], v[0:1]
	v_fma_f64 v[4:5], -v[0:1], v[2:3], 1.0
	v_fma_f64 v[2:3], v[2:3], v[4:5], v[2:3]
	v_fma_f64 v[4:5], -v[0:1], v[2:3], 1.0
	v_fma_f64 v[2:3], v[2:3], v[4:5], v[2:3]
	v_mul_f64 v[4:5], v[6:7], v[2:3]
	v_fma_f64 v[0:1], -v[0:1], v[4:5], v[6:7]
	v_div_fmas_f64 v[0:1], v[0:1], v[2:3], v[4:5]
	v_div_fixup_f64 v[0:1], v[0:1], s[2:3], s[0:1]
	v_fma_f64 v[2:3], s[0:1], v[0:1], s[2:3]
	v_div_scale_f64 v[4:5], null, v[2:3], v[2:3], 1.0
	v_rcp_f64_e32 v[6:7], v[4:5]
	v_fma_f64 v[8:9], -v[4:5], v[6:7], 1.0
	v_fma_f64 v[6:7], v[6:7], v[8:9], v[6:7]
	v_fma_f64 v[8:9], -v[4:5], v[6:7], 1.0
	v_fma_f64 v[6:7], v[6:7], v[8:9], v[6:7]
	v_div_scale_f64 v[8:9], vcc_lo, 1.0, v[2:3], 1.0
	v_mul_f64 v[10:11], v[8:9], v[6:7]
	v_fma_f64 v[4:5], -v[4:5], v[10:11], v[8:9]
	v_div_fmas_f64 v[4:5], v[4:5], v[6:7], v[10:11]
	v_div_fixup_f64 v[2:3], v[4:5], v[2:3], 1.0
	v_mul_f64 v[0:1], v[0:1], v[2:3]
	v_xor_b32_e32 v3, 0x80000000, v3
	s_cbranch_execz .LBB0_5
	s_branch .LBB0_6
.LBB0_4:
                                        ; implicit-def: $vgpr0_vgpr1
.LBB0_5:
	v_div_scale_f64 v[0:1], null, s[0:1], s[0:1], s[2:3]
	v_div_scale_f64 v[6:7], vcc_lo, s[2:3], s[0:1], s[2:3]
	v_rcp_f64_e32 v[2:3], v[0:1]
	v_fma_f64 v[4:5], -v[0:1], v[2:3], 1.0
	v_fma_f64 v[2:3], v[2:3], v[4:5], v[2:3]
	v_fma_f64 v[4:5], -v[0:1], v[2:3], 1.0
	v_fma_f64 v[2:3], v[2:3], v[4:5], v[2:3]
	v_mul_f64 v[4:5], v[6:7], v[2:3]
	v_fma_f64 v[0:1], -v[0:1], v[4:5], v[6:7]
	v_div_fmas_f64 v[0:1], v[0:1], v[2:3], v[4:5]
	v_div_fixup_f64 v[2:3], v[0:1], s[0:1], s[2:3]
	v_fma_f64 v[0:1], s[2:3], v[2:3], s[0:1]
	v_div_scale_f64 v[4:5], null, v[0:1], v[0:1], 1.0
	v_rcp_f64_e32 v[6:7], v[4:5]
	v_fma_f64 v[8:9], -v[4:5], v[6:7], 1.0
	v_fma_f64 v[6:7], v[6:7], v[8:9], v[6:7]
	v_fma_f64 v[8:9], -v[4:5], v[6:7], 1.0
	v_fma_f64 v[6:7], v[6:7], v[8:9], v[6:7]
	v_div_scale_f64 v[8:9], vcc_lo, 1.0, v[0:1], 1.0
	v_mul_f64 v[10:11], v[8:9], v[6:7]
	v_fma_f64 v[4:5], -v[4:5], v[10:11], v[8:9]
	v_div_fmas_f64 v[4:5], v[4:5], v[6:7], v[10:11]
	v_div_fixup_f64 v[0:1], v[4:5], v[0:1], 1.0
	v_mul_f64 v[2:3], v[2:3], -v[0:1]
.LBB0_6:
	v_mov_b32_e32 v4, 0
	global_store_dwordx4 v4, v[0:3], s[6:7]
.LBB0_7:
	s_endpgm
	.section	.rodata,"a",@progbits
	.p2align	6, 0x0
	.amdhsa_kernel _ZN9rocsolver6v33100L18trti2_kernel_smallILi1E19rocblas_complex_numIdEPS3_EEv13rocblas_fill_17rocblas_diagonal_T1_iil
		.amdhsa_group_segment_fixed_size 0
		.amdhsa_private_segment_fixed_size 0
		.amdhsa_kernarg_size 32
		.amdhsa_user_sgpr_count 6
		.amdhsa_user_sgpr_private_segment_buffer 1
		.amdhsa_user_sgpr_dispatch_ptr 0
		.amdhsa_user_sgpr_queue_ptr 0
		.amdhsa_user_sgpr_kernarg_segment_ptr 1
		.amdhsa_user_sgpr_dispatch_id 0
		.amdhsa_user_sgpr_flat_scratch_init 0
		.amdhsa_user_sgpr_private_segment_size 0
		.amdhsa_wavefront_size32 1
		.amdhsa_uses_dynamic_stack 0
		.amdhsa_system_sgpr_private_segment_wavefront_offset 0
		.amdhsa_system_sgpr_workgroup_id_x 1
		.amdhsa_system_sgpr_workgroup_id_y 0
		.amdhsa_system_sgpr_workgroup_id_z 0
		.amdhsa_system_sgpr_workgroup_info 0
		.amdhsa_system_vgpr_workitem_id 0
		.amdhsa_next_free_vgpr 12
		.amdhsa_next_free_sgpr 10
		.amdhsa_reserve_vcc 1
		.amdhsa_reserve_flat_scratch 0
		.amdhsa_float_round_mode_32 0
		.amdhsa_float_round_mode_16_64 0
		.amdhsa_float_denorm_mode_32 3
		.amdhsa_float_denorm_mode_16_64 3
		.amdhsa_dx10_clamp 1
		.amdhsa_ieee_mode 1
		.amdhsa_fp16_overflow 0
		.amdhsa_workgroup_processor_mode 1
		.amdhsa_memory_ordered 1
		.amdhsa_forward_progress 1
		.amdhsa_shared_vgpr_count 0
		.amdhsa_exception_fp_ieee_invalid_op 0
		.amdhsa_exception_fp_denorm_src 0
		.amdhsa_exception_fp_ieee_div_zero 0
		.amdhsa_exception_fp_ieee_overflow 0
		.amdhsa_exception_fp_ieee_underflow 0
		.amdhsa_exception_fp_ieee_inexact 0
		.amdhsa_exception_int_div_zero 0
	.end_amdhsa_kernel
	.section	.text._ZN9rocsolver6v33100L18trti2_kernel_smallILi1E19rocblas_complex_numIdEPS3_EEv13rocblas_fill_17rocblas_diagonal_T1_iil,"axG",@progbits,_ZN9rocsolver6v33100L18trti2_kernel_smallILi1E19rocblas_complex_numIdEPS3_EEv13rocblas_fill_17rocblas_diagonal_T1_iil,comdat
.Lfunc_end0:
	.size	_ZN9rocsolver6v33100L18trti2_kernel_smallILi1E19rocblas_complex_numIdEPS3_EEv13rocblas_fill_17rocblas_diagonal_T1_iil, .Lfunc_end0-_ZN9rocsolver6v33100L18trti2_kernel_smallILi1E19rocblas_complex_numIdEPS3_EEv13rocblas_fill_17rocblas_diagonal_T1_iil
                                        ; -- End function
	.set _ZN9rocsolver6v33100L18trti2_kernel_smallILi1E19rocblas_complex_numIdEPS3_EEv13rocblas_fill_17rocblas_diagonal_T1_iil.num_vgpr, 12
	.set _ZN9rocsolver6v33100L18trti2_kernel_smallILi1E19rocblas_complex_numIdEPS3_EEv13rocblas_fill_17rocblas_diagonal_T1_iil.num_agpr, 0
	.set _ZN9rocsolver6v33100L18trti2_kernel_smallILi1E19rocblas_complex_numIdEPS3_EEv13rocblas_fill_17rocblas_diagonal_T1_iil.numbered_sgpr, 10
	.set _ZN9rocsolver6v33100L18trti2_kernel_smallILi1E19rocblas_complex_numIdEPS3_EEv13rocblas_fill_17rocblas_diagonal_T1_iil.num_named_barrier, 0
	.set _ZN9rocsolver6v33100L18trti2_kernel_smallILi1E19rocblas_complex_numIdEPS3_EEv13rocblas_fill_17rocblas_diagonal_T1_iil.private_seg_size, 0
	.set _ZN9rocsolver6v33100L18trti2_kernel_smallILi1E19rocblas_complex_numIdEPS3_EEv13rocblas_fill_17rocblas_diagonal_T1_iil.uses_vcc, 1
	.set _ZN9rocsolver6v33100L18trti2_kernel_smallILi1E19rocblas_complex_numIdEPS3_EEv13rocblas_fill_17rocblas_diagonal_T1_iil.uses_flat_scratch, 0
	.set _ZN9rocsolver6v33100L18trti2_kernel_smallILi1E19rocblas_complex_numIdEPS3_EEv13rocblas_fill_17rocblas_diagonal_T1_iil.has_dyn_sized_stack, 0
	.set _ZN9rocsolver6v33100L18trti2_kernel_smallILi1E19rocblas_complex_numIdEPS3_EEv13rocblas_fill_17rocblas_diagonal_T1_iil.has_recursion, 0
	.set _ZN9rocsolver6v33100L18trti2_kernel_smallILi1E19rocblas_complex_numIdEPS3_EEv13rocblas_fill_17rocblas_diagonal_T1_iil.has_indirect_call, 0
	.section	.AMDGPU.csdata,"",@progbits
; Kernel info:
; codeLenInByte = 560
; TotalNumSgprs: 12
; NumVgprs: 12
; ScratchSize: 0
; MemoryBound: 0
; FloatMode: 240
; IeeeMode: 1
; LDSByteSize: 0 bytes/workgroup (compile time only)
; SGPRBlocks: 0
; VGPRBlocks: 1
; NumSGPRsForWavesPerEU: 12
; NumVGPRsForWavesPerEU: 12
; Occupancy: 16
; WaveLimiterHint : 0
; COMPUTE_PGM_RSRC2:SCRATCH_EN: 0
; COMPUTE_PGM_RSRC2:USER_SGPR: 6
; COMPUTE_PGM_RSRC2:TRAP_HANDLER: 0
; COMPUTE_PGM_RSRC2:TGID_X_EN: 1
; COMPUTE_PGM_RSRC2:TGID_Y_EN: 0
; COMPUTE_PGM_RSRC2:TGID_Z_EN: 0
; COMPUTE_PGM_RSRC2:TIDIG_COMP_CNT: 0
	.section	.text._ZN9rocsolver6v33100L18trti2_kernel_smallILi2E19rocblas_complex_numIdEPS3_EEv13rocblas_fill_17rocblas_diagonal_T1_iil,"axG",@progbits,_ZN9rocsolver6v33100L18trti2_kernel_smallILi2E19rocblas_complex_numIdEPS3_EEv13rocblas_fill_17rocblas_diagonal_T1_iil,comdat
	.globl	_ZN9rocsolver6v33100L18trti2_kernel_smallILi2E19rocblas_complex_numIdEPS3_EEv13rocblas_fill_17rocblas_diagonal_T1_iil ; -- Begin function _ZN9rocsolver6v33100L18trti2_kernel_smallILi2E19rocblas_complex_numIdEPS3_EEv13rocblas_fill_17rocblas_diagonal_T1_iil
	.p2align	8
	.type	_ZN9rocsolver6v33100L18trti2_kernel_smallILi2E19rocblas_complex_numIdEPS3_EEv13rocblas_fill_17rocblas_diagonal_T1_iil,@function
_ZN9rocsolver6v33100L18trti2_kernel_smallILi2E19rocblas_complex_numIdEPS3_EEv13rocblas_fill_17rocblas_diagonal_T1_iil: ; @_ZN9rocsolver6v33100L18trti2_kernel_smallILi2E19rocblas_complex_numIdEPS3_EEv13rocblas_fill_17rocblas_diagonal_T1_iil
; %bb.0:
	s_add_u32 s0, s0, s7
	s_addc_u32 s1, s1, 0
	s_mov_b32 s7, exec_lo
	v_cmpx_gt_u32_e32 2, v0
	s_cbranch_execz .LBB1_21
; %bb.1:
	s_load_dwordx8 s[8:15], s[4:5], 0x0
	s_ashr_i32 s4, s6, 31
	v_lshlrev_b32_e32 v15, 4, v0
	s_waitcnt lgkmcnt(0)
	s_mul_hi_u32 s5, s14, s6
	s_mul_i32 s4, s14, s4
	s_mul_i32 s7, s15, s6
	s_add_i32 s5, s5, s4
	s_mul_i32 s4, s14, s6
	s_add_i32 s5, s5, s7
	s_ashr_i32 s7, s12, 31
	s_lshl_b64 s[4:5], s[4:5], 4
	s_mov_b32 s6, s12
	s_add_u32 s10, s10, s4
	s_addc_u32 s11, s11, s5
	s_lshl_b64 s[4:5], s[6:7], 4
	s_mov_b32 s6, s13
	s_add_u32 s4, s10, s4
	s_addc_u32 s5, s11, s5
	v_add_co_u32 v7, s10, s4, v15
	s_ashr_i32 s7, s13, 31
	v_add_co_ci_u32_e64 v8, null, s5, 0, s10
	s_lshl_b64 s[6:7], s[6:7], 4
	s_cmpk_lg_i32 s9, 0x84
	v_add_co_u32 v5, vcc_lo, v7, s6
	v_add_co_ci_u32_e64 v6, null, s7, v8, vcc_lo
	s_clause 0x1
	global_load_dwordx4 v[1:4], v15, s[4:5]
	global_load_dwordx4 v[9:12], v[5:6], off
	s_cselect_b32 s4, -1, 0
	s_cmpk_eq_i32 s9, 0x84
	s_waitcnt vmcnt(1)
	buffer_store_dword v4, off, s[0:3], 0 offset:12
	buffer_store_dword v3, off, s[0:3], 0 offset:8
	;; [unrolled: 1-line block ×3, first 2 shown]
	buffer_store_dword v1, off, s[0:3], 0
	s_waitcnt vmcnt(0)
	buffer_store_dword v12, off, s[0:3], 0 offset:28
	buffer_store_dword v11, off, s[0:3], 0 offset:24
	;; [unrolled: 1-line block ×4, first 2 shown]
	s_cbranch_scc1 .LBB1_7
; %bb.2:
	v_lshl_add_u32 v16, v0, 4, 0
                                        ; implicit-def: $vgpr11_vgpr12
                                        ; implicit-def: $vgpr3_vgpr4
	s_clause 0x3
	buffer_load_dword v9, v16, s[0:3], 0 offen
	buffer_load_dword v10, v16, s[0:3], 0 offen offset:4
	buffer_load_dword v13, v16, s[0:3], 0 offen offset:8
	;; [unrolled: 1-line block ×3, first 2 shown]
	s_waitcnt vmcnt(0)
	v_cmp_ngt_f64_e64 s5, |v[9:10]|, |v[13:14]|
	s_and_saveexec_b32 s6, s5
	s_xor_b32 s5, exec_lo, s6
	s_cbranch_execz .LBB1_4
; %bb.3:
	v_div_scale_f64 v[1:2], null, v[13:14], v[13:14], v[9:10]
	v_div_scale_f64 v[17:18], vcc_lo, v[9:10], v[13:14], v[9:10]
	v_rcp_f64_e32 v[3:4], v[1:2]
	v_fma_f64 v[11:12], -v[1:2], v[3:4], 1.0
	v_fma_f64 v[3:4], v[3:4], v[11:12], v[3:4]
	v_fma_f64 v[11:12], -v[1:2], v[3:4], 1.0
	v_fma_f64 v[3:4], v[3:4], v[11:12], v[3:4]
	v_mul_f64 v[11:12], v[17:18], v[3:4]
	v_fma_f64 v[1:2], -v[1:2], v[11:12], v[17:18]
	v_div_fmas_f64 v[1:2], v[1:2], v[3:4], v[11:12]
	v_div_fixup_f64 v[1:2], v[1:2], v[13:14], v[9:10]
	v_fma_f64 v[3:4], v[9:10], v[1:2], v[13:14]
	v_div_scale_f64 v[9:10], null, v[3:4], v[3:4], 1.0
	v_div_scale_f64 v[17:18], vcc_lo, 1.0, v[3:4], 1.0
	v_rcp_f64_e32 v[11:12], v[9:10]
	v_fma_f64 v[13:14], -v[9:10], v[11:12], 1.0
	v_fma_f64 v[11:12], v[11:12], v[13:14], v[11:12]
	v_fma_f64 v[13:14], -v[9:10], v[11:12], 1.0
	v_fma_f64 v[11:12], v[11:12], v[13:14], v[11:12]
	v_mul_f64 v[13:14], v[17:18], v[11:12]
	v_fma_f64 v[9:10], -v[9:10], v[13:14], v[17:18]
	v_div_fmas_f64 v[9:10], v[9:10], v[11:12], v[13:14]
                                        ; implicit-def: $vgpr13_vgpr14
	v_div_fixup_f64 v[3:4], v[9:10], v[3:4], 1.0
                                        ; implicit-def: $vgpr9_vgpr10
	v_mul_f64 v[11:12], v[1:2], v[3:4]
	v_xor_b32_e32 v4, 0x80000000, v4
	v_xor_b32_e32 v2, 0x80000000, v12
	v_mov_b32_e32 v1, v11
.LBB1_4:
	s_andn2_saveexec_b32 s5, s5
	s_cbranch_execz .LBB1_6
; %bb.5:
	v_div_scale_f64 v[1:2], null, v[9:10], v[9:10], v[13:14]
	v_div_scale_f64 v[17:18], vcc_lo, v[13:14], v[9:10], v[13:14]
	v_rcp_f64_e32 v[3:4], v[1:2]
	v_fma_f64 v[11:12], -v[1:2], v[3:4], 1.0
	v_fma_f64 v[3:4], v[3:4], v[11:12], v[3:4]
	v_fma_f64 v[11:12], -v[1:2], v[3:4], 1.0
	v_fma_f64 v[3:4], v[3:4], v[11:12], v[3:4]
	v_mul_f64 v[11:12], v[17:18], v[3:4]
	v_fma_f64 v[1:2], -v[1:2], v[11:12], v[17:18]
	v_div_fmas_f64 v[1:2], v[1:2], v[3:4], v[11:12]
	v_div_fixup_f64 v[1:2], v[1:2], v[9:10], v[13:14]
	v_fma_f64 v[3:4], v[13:14], v[1:2], v[9:10]
	v_div_scale_f64 v[9:10], null, v[3:4], v[3:4], 1.0
	v_rcp_f64_e32 v[11:12], v[9:10]
	v_fma_f64 v[13:14], -v[9:10], v[11:12], 1.0
	v_fma_f64 v[11:12], v[11:12], v[13:14], v[11:12]
	v_fma_f64 v[13:14], -v[9:10], v[11:12], 1.0
	v_fma_f64 v[11:12], v[11:12], v[13:14], v[11:12]
	v_div_scale_f64 v[13:14], vcc_lo, 1.0, v[3:4], 1.0
	v_mul_f64 v[17:18], v[13:14], v[11:12]
	v_fma_f64 v[9:10], -v[9:10], v[17:18], v[13:14]
	v_div_fmas_f64 v[9:10], v[9:10], v[11:12], v[17:18]
	v_div_fixup_f64 v[11:12], v[9:10], v[3:4], 1.0
	v_mul_f64 v[3:4], v[1:2], -v[11:12]
	v_xor_b32_e32 v2, 0x80000000, v12
	v_mov_b32_e32 v1, v11
.LBB1_6:
	s_or_b32 exec_lo, exec_lo, s5
	buffer_store_dword v4, v16, s[0:3], 0 offen offset:12
	v_xor_b32_e32 v4, 0x80000000, v4
	buffer_store_dword v12, v16, s[0:3], 0 offen offset:4
	buffer_store_dword v11, v16, s[0:3], 0 offen
	buffer_store_dword v3, v16, s[0:3], 0 offen offset:8
	s_branch .LBB1_8
.LBB1_7:
	v_mov_b32_e32 v1, 0
	v_mov_b32_e32 v3, 0
	;; [unrolled: 1-line block ×4, first 2 shown]
.LBB1_8:
	v_add_nc_u32_e32 v10, 32, v15
	v_mov_b32_e32 v9, v15
	s_mov_b32 s5, 16
	s_cmpk_eq_i32 s8, 0x79
	s_mov_b32 s6, -1
	ds_write_b128 v15, v[1:4]
	s_cbranch_scc1 .LBB1_14
; %bb.9:
	s_clause 0x3
	buffer_load_dword v1, off, s[0:3], 0
	buffer_load_dword v2, off, s[0:3], 0 offset:4
	buffer_load_dword v3, off, s[0:3], 0 offset:8
	;; [unrolled: 1-line block ×3, first 2 shown]
	s_mov_b32 s6, exec_lo
	s_waitcnt vmcnt(0)
	ds_write_b128 v10, v[1:4]
	s_waitcnt lgkmcnt(0)
	s_waitcnt_vscnt null, 0x0
	s_barrier
	buffer_gl0_inv
	v_cmpx_eq_u32_e32 1, v0
	s_cbranch_execz .LBB1_13
; %bb.10:
	ds_read_b128 v[1:4], v10
	s_andn2_b32 vcc_lo, exec_lo, s4
	s_cbranch_vccnz .LBB1_12
; %bb.11:
	s_clause 0x3
	buffer_load_dword v11, v9, s[0:3], 0 offen offset:8
	buffer_load_dword v12, v9, s[0:3], 0 offen offset:12
	buffer_load_dword v13, v9, s[0:3], 0 offen
	buffer_load_dword v14, v9, s[0:3], 0 offen offset:4
	s_waitcnt vmcnt(2) lgkmcnt(0)
	v_mul_f64 v[15:16], v[3:4], v[11:12]
	v_mul_f64 v[11:12], v[1:2], v[11:12]
	s_waitcnt vmcnt(0)
	v_fma_f64 v[1:2], v[1:2], v[13:14], -v[15:16]
	v_fma_f64 v[3:4], v[3:4], v[13:14], v[11:12]
.LBB1_12:
	v_mov_b32_e32 v11, 0
	ds_read_b128 v[11:14], v11
	s_waitcnt lgkmcnt(0)
	v_mul_f64 v[15:16], v[3:4], v[13:14]
	v_mul_f64 v[13:14], v[1:2], v[13:14]
	v_fma_f64 v[1:2], v[1:2], v[11:12], -v[15:16]
	v_fma_f64 v[3:4], v[3:4], v[11:12], v[13:14]
	buffer_store_dword v2, off, s[0:3], 0 offset:4
	buffer_store_dword v1, off, s[0:3], 0
	buffer_store_dword v4, off, s[0:3], 0 offset:12
	buffer_store_dword v3, off, s[0:3], 0 offset:8
.LBB1_13:
	s_or_b32 exec_lo, exec_lo, s6
	s_mov_b32 s6, 0
.LBB1_14:
	s_andn2_b32 vcc_lo, exec_lo, s6
	s_cbranch_vccnz .LBB1_20
; %bb.15:
	v_mov_b32_e32 v4, s5
	s_mov_b32 s6, exec_lo
	s_clause 0x3
	buffer_load_dword v1, v4, s[0:3], 0 offen
	buffer_load_dword v2, v4, s[0:3], 0 offen offset:4
	buffer_load_dword v3, v4, s[0:3], 0 offen offset:8
	;; [unrolled: 1-line block ×3, first 2 shown]
	s_waitcnt vmcnt(0)
	ds_write_b128 v10, v[1:4]
	s_waitcnt lgkmcnt(0)
	s_waitcnt_vscnt null, 0x0
	s_barrier
	buffer_gl0_inv
	v_cmpx_eq_u32_e32 0, v0
	s_cbranch_execz .LBB1_19
; %bb.16:
	ds_read_b128 v[0:3], v10
	s_andn2_b32 vcc_lo, exec_lo, s4
	s_cbranch_vccnz .LBB1_18
; %bb.17:
	s_clause 0x3
	buffer_load_dword v10, v9, s[0:3], 0 offen offset:8
	buffer_load_dword v11, v9, s[0:3], 0 offen offset:12
	buffer_load_dword v12, v9, s[0:3], 0 offen
	buffer_load_dword v13, v9, s[0:3], 0 offen offset:4
	s_waitcnt vmcnt(2) lgkmcnt(0)
	v_mul_f64 v[14:15], v[2:3], v[10:11]
	v_mul_f64 v[9:10], v[0:1], v[10:11]
	s_waitcnt vmcnt(0)
	v_fma_f64 v[0:1], v[0:1], v[12:13], -v[14:15]
	v_fma_f64 v[2:3], v[2:3], v[12:13], v[9:10]
.LBB1_18:
	v_mov_b32_e32 v4, 0
	ds_read_b128 v[9:12], v4 offset:16
	s_waitcnt lgkmcnt(0)
	v_mul_f64 v[13:14], v[2:3], v[11:12]
	v_mul_f64 v[11:12], v[0:1], v[11:12]
	v_fma_f64 v[0:1], v[0:1], v[9:10], -v[13:14]
	v_fma_f64 v[2:3], v[2:3], v[9:10], v[11:12]
	buffer_store_dword v1, off, s[0:3], 0 offset:20
	buffer_store_dword v0, off, s[0:3], 0 offset:16
	;; [unrolled: 1-line block ×4, first 2 shown]
.LBB1_19:
	s_or_b32 exec_lo, exec_lo, s6
.LBB1_20:
	v_mov_b32_e32 v4, s5
	s_clause 0x7
	buffer_load_dword v0, off, s[0:3], 0
	buffer_load_dword v1, off, s[0:3], 0 offset:4
	buffer_load_dword v2, off, s[0:3], 0 offset:8
	;; [unrolled: 1-line block ×3, first 2 shown]
	buffer_load_dword v9, v4, s[0:3], 0 offen
	buffer_load_dword v10, v4, s[0:3], 0 offen offset:4
	buffer_load_dword v11, v4, s[0:3], 0 offen offset:8
	buffer_load_dword v12, v4, s[0:3], 0 offen offset:12
	s_waitcnt vmcnt(4)
	global_store_dwordx4 v[7:8], v[0:3], off
	s_waitcnt vmcnt(0)
	global_store_dwordx4 v[5:6], v[9:12], off
.LBB1_21:
	s_endpgm
	.section	.rodata,"a",@progbits
	.p2align	6, 0x0
	.amdhsa_kernel _ZN9rocsolver6v33100L18trti2_kernel_smallILi2E19rocblas_complex_numIdEPS3_EEv13rocblas_fill_17rocblas_diagonal_T1_iil
		.amdhsa_group_segment_fixed_size 64
		.amdhsa_private_segment_fixed_size 48
		.amdhsa_kernarg_size 32
		.amdhsa_user_sgpr_count 6
		.amdhsa_user_sgpr_private_segment_buffer 1
		.amdhsa_user_sgpr_dispatch_ptr 0
		.amdhsa_user_sgpr_queue_ptr 0
		.amdhsa_user_sgpr_kernarg_segment_ptr 1
		.amdhsa_user_sgpr_dispatch_id 0
		.amdhsa_user_sgpr_flat_scratch_init 0
		.amdhsa_user_sgpr_private_segment_size 0
		.amdhsa_wavefront_size32 1
		.amdhsa_uses_dynamic_stack 0
		.amdhsa_system_sgpr_private_segment_wavefront_offset 1
		.amdhsa_system_sgpr_workgroup_id_x 1
		.amdhsa_system_sgpr_workgroup_id_y 0
		.amdhsa_system_sgpr_workgroup_id_z 0
		.amdhsa_system_sgpr_workgroup_info 0
		.amdhsa_system_vgpr_workitem_id 0
		.amdhsa_next_free_vgpr 19
		.amdhsa_next_free_sgpr 16
		.amdhsa_reserve_vcc 1
		.amdhsa_reserve_flat_scratch 0
		.amdhsa_float_round_mode_32 0
		.amdhsa_float_round_mode_16_64 0
		.amdhsa_float_denorm_mode_32 3
		.amdhsa_float_denorm_mode_16_64 3
		.amdhsa_dx10_clamp 1
		.amdhsa_ieee_mode 1
		.amdhsa_fp16_overflow 0
		.amdhsa_workgroup_processor_mode 1
		.amdhsa_memory_ordered 1
		.amdhsa_forward_progress 1
		.amdhsa_shared_vgpr_count 0
		.amdhsa_exception_fp_ieee_invalid_op 0
		.amdhsa_exception_fp_denorm_src 0
		.amdhsa_exception_fp_ieee_div_zero 0
		.amdhsa_exception_fp_ieee_overflow 0
		.amdhsa_exception_fp_ieee_underflow 0
		.amdhsa_exception_fp_ieee_inexact 0
		.amdhsa_exception_int_div_zero 0
	.end_amdhsa_kernel
	.section	.text._ZN9rocsolver6v33100L18trti2_kernel_smallILi2E19rocblas_complex_numIdEPS3_EEv13rocblas_fill_17rocblas_diagonal_T1_iil,"axG",@progbits,_ZN9rocsolver6v33100L18trti2_kernel_smallILi2E19rocblas_complex_numIdEPS3_EEv13rocblas_fill_17rocblas_diagonal_T1_iil,comdat
.Lfunc_end1:
	.size	_ZN9rocsolver6v33100L18trti2_kernel_smallILi2E19rocblas_complex_numIdEPS3_EEv13rocblas_fill_17rocblas_diagonal_T1_iil, .Lfunc_end1-_ZN9rocsolver6v33100L18trti2_kernel_smallILi2E19rocblas_complex_numIdEPS3_EEv13rocblas_fill_17rocblas_diagonal_T1_iil
                                        ; -- End function
	.set _ZN9rocsolver6v33100L18trti2_kernel_smallILi2E19rocblas_complex_numIdEPS3_EEv13rocblas_fill_17rocblas_diagonal_T1_iil.num_vgpr, 19
	.set _ZN9rocsolver6v33100L18trti2_kernel_smallILi2E19rocblas_complex_numIdEPS3_EEv13rocblas_fill_17rocblas_diagonal_T1_iil.num_agpr, 0
	.set _ZN9rocsolver6v33100L18trti2_kernel_smallILi2E19rocblas_complex_numIdEPS3_EEv13rocblas_fill_17rocblas_diagonal_T1_iil.numbered_sgpr, 16
	.set _ZN9rocsolver6v33100L18trti2_kernel_smallILi2E19rocblas_complex_numIdEPS3_EEv13rocblas_fill_17rocblas_diagonal_T1_iil.num_named_barrier, 0
	.set _ZN9rocsolver6v33100L18trti2_kernel_smallILi2E19rocblas_complex_numIdEPS3_EEv13rocblas_fill_17rocblas_diagonal_T1_iil.private_seg_size, 48
	.set _ZN9rocsolver6v33100L18trti2_kernel_smallILi2E19rocblas_complex_numIdEPS3_EEv13rocblas_fill_17rocblas_diagonal_T1_iil.uses_vcc, 1
	.set _ZN9rocsolver6v33100L18trti2_kernel_smallILi2E19rocblas_complex_numIdEPS3_EEv13rocblas_fill_17rocblas_diagonal_T1_iil.uses_flat_scratch, 0
	.set _ZN9rocsolver6v33100L18trti2_kernel_smallILi2E19rocblas_complex_numIdEPS3_EEv13rocblas_fill_17rocblas_diagonal_T1_iil.has_dyn_sized_stack, 0
	.set _ZN9rocsolver6v33100L18trti2_kernel_smallILi2E19rocblas_complex_numIdEPS3_EEv13rocblas_fill_17rocblas_diagonal_T1_iil.has_recursion, 0
	.set _ZN9rocsolver6v33100L18trti2_kernel_smallILi2E19rocblas_complex_numIdEPS3_EEv13rocblas_fill_17rocblas_diagonal_T1_iil.has_indirect_call, 0
	.section	.AMDGPU.csdata,"",@progbits
; Kernel info:
; codeLenInByte = 1452
; TotalNumSgprs: 18
; NumVgprs: 19
; ScratchSize: 48
; MemoryBound: 0
; FloatMode: 240
; IeeeMode: 1
; LDSByteSize: 64 bytes/workgroup (compile time only)
; SGPRBlocks: 0
; VGPRBlocks: 2
; NumSGPRsForWavesPerEU: 18
; NumVGPRsForWavesPerEU: 19
; Occupancy: 16
; WaveLimiterHint : 0
; COMPUTE_PGM_RSRC2:SCRATCH_EN: 1
; COMPUTE_PGM_RSRC2:USER_SGPR: 6
; COMPUTE_PGM_RSRC2:TRAP_HANDLER: 0
; COMPUTE_PGM_RSRC2:TGID_X_EN: 1
; COMPUTE_PGM_RSRC2:TGID_Y_EN: 0
; COMPUTE_PGM_RSRC2:TGID_Z_EN: 0
; COMPUTE_PGM_RSRC2:TIDIG_COMP_CNT: 0
	.section	.text._ZN9rocsolver6v33100L18trti2_kernel_smallILi3E19rocblas_complex_numIdEPS3_EEv13rocblas_fill_17rocblas_diagonal_T1_iil,"axG",@progbits,_ZN9rocsolver6v33100L18trti2_kernel_smallILi3E19rocblas_complex_numIdEPS3_EEv13rocblas_fill_17rocblas_diagonal_T1_iil,comdat
	.globl	_ZN9rocsolver6v33100L18trti2_kernel_smallILi3E19rocblas_complex_numIdEPS3_EEv13rocblas_fill_17rocblas_diagonal_T1_iil ; -- Begin function _ZN9rocsolver6v33100L18trti2_kernel_smallILi3E19rocblas_complex_numIdEPS3_EEv13rocblas_fill_17rocblas_diagonal_T1_iil
	.p2align	8
	.type	_ZN9rocsolver6v33100L18trti2_kernel_smallILi3E19rocblas_complex_numIdEPS3_EEv13rocblas_fill_17rocblas_diagonal_T1_iil,@function
_ZN9rocsolver6v33100L18trti2_kernel_smallILi3E19rocblas_complex_numIdEPS3_EEv13rocblas_fill_17rocblas_diagonal_T1_iil: ; @_ZN9rocsolver6v33100L18trti2_kernel_smallILi3E19rocblas_complex_numIdEPS3_EEv13rocblas_fill_17rocblas_diagonal_T1_iil
; %bb.0:
	s_add_u32 s0, s0, s7
	s_addc_u32 s1, s1, 0
	s_mov_b32 s7, exec_lo
	v_cmpx_gt_u32_e32 3, v0
	s_cbranch_execz .LBB2_35
; %bb.1:
	s_load_dwordx8 s[8:15], s[4:5], 0x0
	s_ashr_i32 s7, s6, 31
	v_lshlrev_b32_e32 v17, 4, v0
	s_waitcnt lgkmcnt(0)
	s_ashr_i32 s5, s12, 31
	s_mov_b32 s4, s12
	s_mul_hi_u32 s12, s14, s6
	s_mul_i32 s7, s14, s7
	s_mul_i32 s15, s15, s6
	s_add_i32 s7, s12, s7
	v_add3_u32 v1, s13, s13, v0
	s_mul_i32 s6, s14, s6
	s_add_i32 s7, s7, s15
	s_mov_b32 s12, s13
	s_lshl_b64 s[6:7], s[6:7], 4
	v_ashrrev_i32_e32 v2, 31, v1
	s_add_u32 s6, s10, s6
	s_addc_u32 s7, s11, s7
	s_lshl_b64 s[4:5], s[4:5], 4
	s_add_u32 s4, s6, s4
	s_addc_u32 s5, s7, s5
	v_add_co_u32 v5, s6, s4, v17
	v_lshlrev_b64 v[7:8], 4, v[1:2]
	s_ashr_i32 s13, s13, 31
	v_add_co_ci_u32_e64 v6, null, s5, 0, s6
	s_lshl_b64 s[6:7], s[12:13], 4
	global_load_dwordx4 v[1:4], v17, s[4:5]
	v_add_co_u32 v9, vcc_lo, v5, s6
	v_add_co_ci_u32_e64 v10, null, s7, v6, vcc_lo
	v_add_co_u32 v7, vcc_lo, s4, v7
	v_add_co_ci_u32_e64 v8, null, s5, v8, vcc_lo
	s_clause 0x1
	global_load_dwordx4 v[11:14], v[9:10], off
	global_load_dwordx4 v[18:21], v[7:8], off
	s_cmpk_lg_i32 s9, 0x84
	s_waitcnt vmcnt(2)
	buffer_store_dword v4, off, s[0:3], 0 offset:12
	buffer_store_dword v3, off, s[0:3], 0 offset:8
	;; [unrolled: 1-line block ×3, first 2 shown]
	buffer_store_dword v1, off, s[0:3], 0
	s_waitcnt vmcnt(1)
	buffer_store_dword v14, off, s[0:3], 0 offset:28
	buffer_store_dword v13, off, s[0:3], 0 offset:24
	;; [unrolled: 1-line block ×4, first 2 shown]
	s_waitcnt vmcnt(0)
	buffer_store_dword v21, off, s[0:3], 0 offset:44
	buffer_store_dword v20, off, s[0:3], 0 offset:40
	;; [unrolled: 1-line block ×4, first 2 shown]
	s_cselect_b32 s7, -1, 0
	s_cmpk_eq_i32 s9, 0x84
	s_cbranch_scc1 .LBB2_7
; %bb.2:
	v_lshl_add_u32 v18, v0, 4, 0
                                        ; implicit-def: $vgpr13_vgpr14
                                        ; implicit-def: $vgpr3_vgpr4
	s_clause 0x3
	buffer_load_dword v11, v18, s[0:3], 0 offen
	buffer_load_dword v12, v18, s[0:3], 0 offen offset:4
	buffer_load_dword v15, v18, s[0:3], 0 offen offset:8
	;; [unrolled: 1-line block ×3, first 2 shown]
	s_waitcnt vmcnt(0)
	v_cmp_ngt_f64_e64 s4, |v[11:12]|, |v[15:16]|
	s_and_saveexec_b32 s5, s4
	s_xor_b32 s4, exec_lo, s5
	s_cbranch_execz .LBB2_4
; %bb.3:
	v_div_scale_f64 v[1:2], null, v[15:16], v[15:16], v[11:12]
	v_div_scale_f64 v[19:20], vcc_lo, v[11:12], v[15:16], v[11:12]
	v_rcp_f64_e32 v[3:4], v[1:2]
	v_fma_f64 v[13:14], -v[1:2], v[3:4], 1.0
	v_fma_f64 v[3:4], v[3:4], v[13:14], v[3:4]
	v_fma_f64 v[13:14], -v[1:2], v[3:4], 1.0
	v_fma_f64 v[3:4], v[3:4], v[13:14], v[3:4]
	v_mul_f64 v[13:14], v[19:20], v[3:4]
	v_fma_f64 v[1:2], -v[1:2], v[13:14], v[19:20]
	v_div_fmas_f64 v[1:2], v[1:2], v[3:4], v[13:14]
	v_div_fixup_f64 v[1:2], v[1:2], v[15:16], v[11:12]
	v_fma_f64 v[3:4], v[11:12], v[1:2], v[15:16]
	v_div_scale_f64 v[11:12], null, v[3:4], v[3:4], 1.0
	v_div_scale_f64 v[19:20], vcc_lo, 1.0, v[3:4], 1.0
	v_rcp_f64_e32 v[13:14], v[11:12]
	v_fma_f64 v[15:16], -v[11:12], v[13:14], 1.0
	v_fma_f64 v[13:14], v[13:14], v[15:16], v[13:14]
	v_fma_f64 v[15:16], -v[11:12], v[13:14], 1.0
	v_fma_f64 v[13:14], v[13:14], v[15:16], v[13:14]
	v_mul_f64 v[15:16], v[19:20], v[13:14]
	v_fma_f64 v[11:12], -v[11:12], v[15:16], v[19:20]
	v_div_fmas_f64 v[11:12], v[11:12], v[13:14], v[15:16]
                                        ; implicit-def: $vgpr15_vgpr16
	v_div_fixup_f64 v[3:4], v[11:12], v[3:4], 1.0
                                        ; implicit-def: $vgpr11_vgpr12
	v_mul_f64 v[13:14], v[1:2], v[3:4]
	v_xor_b32_e32 v4, 0x80000000, v4
	v_xor_b32_e32 v2, 0x80000000, v14
	v_mov_b32_e32 v1, v13
.LBB2_4:
	s_andn2_saveexec_b32 s4, s4
	s_cbranch_execz .LBB2_6
; %bb.5:
	v_div_scale_f64 v[1:2], null, v[11:12], v[11:12], v[15:16]
	v_div_scale_f64 v[19:20], vcc_lo, v[15:16], v[11:12], v[15:16]
	v_rcp_f64_e32 v[3:4], v[1:2]
	v_fma_f64 v[13:14], -v[1:2], v[3:4], 1.0
	v_fma_f64 v[3:4], v[3:4], v[13:14], v[3:4]
	v_fma_f64 v[13:14], -v[1:2], v[3:4], 1.0
	v_fma_f64 v[3:4], v[3:4], v[13:14], v[3:4]
	v_mul_f64 v[13:14], v[19:20], v[3:4]
	v_fma_f64 v[1:2], -v[1:2], v[13:14], v[19:20]
	v_div_fmas_f64 v[1:2], v[1:2], v[3:4], v[13:14]
	v_div_fixup_f64 v[1:2], v[1:2], v[11:12], v[15:16]
	v_fma_f64 v[3:4], v[15:16], v[1:2], v[11:12]
	v_div_scale_f64 v[11:12], null, v[3:4], v[3:4], 1.0
	v_rcp_f64_e32 v[13:14], v[11:12]
	v_fma_f64 v[15:16], -v[11:12], v[13:14], 1.0
	v_fma_f64 v[13:14], v[13:14], v[15:16], v[13:14]
	v_fma_f64 v[15:16], -v[11:12], v[13:14], 1.0
	v_fma_f64 v[13:14], v[13:14], v[15:16], v[13:14]
	v_div_scale_f64 v[15:16], vcc_lo, 1.0, v[3:4], 1.0
	v_mul_f64 v[19:20], v[15:16], v[13:14]
	v_fma_f64 v[11:12], -v[11:12], v[19:20], v[15:16]
	v_div_fmas_f64 v[11:12], v[11:12], v[13:14], v[19:20]
	v_div_fixup_f64 v[13:14], v[11:12], v[3:4], 1.0
	v_mul_f64 v[3:4], v[1:2], -v[13:14]
	v_xor_b32_e32 v2, 0x80000000, v14
	v_mov_b32_e32 v1, v13
.LBB2_6:
	s_or_b32 exec_lo, exec_lo, s4
	buffer_store_dword v4, v18, s[0:3], 0 offen offset:12
	v_xor_b32_e32 v4, 0x80000000, v4
	buffer_store_dword v14, v18, s[0:3], 0 offen offset:4
	buffer_store_dword v13, v18, s[0:3], 0 offen
	buffer_store_dword v3, v18, s[0:3], 0 offen offset:8
	s_branch .LBB2_8
.LBB2_7:
	v_mov_b32_e32 v1, 0
	v_mov_b32_e32 v3, 0
	;; [unrolled: 1-line block ×4, first 2 shown]
.LBB2_8:
	v_add_nc_u32_e32 v12, 48, v17
	v_mov_b32_e32 v11, v17
	s_mov_b32 s6, 16
	s_mov_b32 s5, 32
	s_cmpk_eq_i32 s8, 0x79
	ds_write_b128 v17, v[1:4]
	s_cbranch_scc1 .LBB2_20
; %bb.9:
	v_mov_b32_e32 v4, s6
	v_cmp_eq_u32_e64 s4, 2, v0
	s_clause 0x3
	buffer_load_dword v1, v4, s[0:3], 0 offen
	buffer_load_dword v2, v4, s[0:3], 0 offen offset:4
	buffer_load_dword v3, v4, s[0:3], 0 offen offset:8
	;; [unrolled: 1-line block ×3, first 2 shown]
	s_waitcnt vmcnt(0)
	ds_write_b128 v12, v[1:4]
	s_waitcnt lgkmcnt(0)
	s_waitcnt_vscnt null, 0x0
	s_barrier
	buffer_gl0_inv
	s_and_saveexec_b32 s8, s4
	s_cbranch_execz .LBB2_13
; %bb.10:
	ds_read_b128 v[1:4], v12
	s_andn2_b32 vcc_lo, exec_lo, s7
	s_cbranch_vccnz .LBB2_12
; %bb.11:
	s_clause 0x3
	buffer_load_dword v13, v11, s[0:3], 0 offen offset:8
	buffer_load_dword v14, v11, s[0:3], 0 offen offset:12
	buffer_load_dword v15, v11, s[0:3], 0 offen
	buffer_load_dword v16, v11, s[0:3], 0 offen offset:4
	s_waitcnt vmcnt(2) lgkmcnt(0)
	v_mul_f64 v[17:18], v[3:4], v[13:14]
	v_mul_f64 v[13:14], v[1:2], v[13:14]
	s_waitcnt vmcnt(0)
	v_fma_f64 v[1:2], v[1:2], v[15:16], -v[17:18]
	v_fma_f64 v[3:4], v[3:4], v[15:16], v[13:14]
.LBB2_12:
	v_mov_b32_e32 v13, 0
	ds_read_b128 v[13:16], v13 offset:16
	s_waitcnt lgkmcnt(0)
	v_mul_f64 v[17:18], v[3:4], v[15:16]
	v_mul_f64 v[15:16], v[1:2], v[15:16]
	v_fma_f64 v[1:2], v[1:2], v[13:14], -v[17:18]
	v_fma_f64 v[3:4], v[3:4], v[13:14], v[15:16]
	buffer_store_dword v2, off, s[0:3], 0 offset:20
	buffer_store_dword v1, off, s[0:3], 0 offset:16
	;; [unrolled: 1-line block ×4, first 2 shown]
.LBB2_13:
	s_or_b32 exec_lo, exec_lo, s8
	s_clause 0x3
	buffer_load_dword v1, off, s[0:3], 0
	buffer_load_dword v2, off, s[0:3], 0 offset:4
	buffer_load_dword v3, off, s[0:3], 0 offset:8
	;; [unrolled: 1-line block ×3, first 2 shown]
	s_mov_b32 s9, 0
	s_mov_b32 s8, 0
	s_mov_b32 s10, exec_lo
                                        ; implicit-def: $sgpr11
	s_waitcnt vmcnt(0)
	ds_write_b128 v12, v[1:4]
	s_waitcnt lgkmcnt(0)
	s_waitcnt_vscnt null, 0x0
	s_barrier
	buffer_gl0_inv
                                        ; implicit-def: $vgpr1_vgpr2
	v_cmpx_ne_u32_e32 0, v0
	s_cbranch_execz .LBB2_19
; %bb.14:
	ds_read_b128 v[1:4], v12
	s_andn2_b32 vcc_lo, exec_lo, s7
	s_cbranch_vccnz .LBB2_16
; %bb.15:
	s_clause 0x3
	buffer_load_dword v13, v11, s[0:3], 0 offen offset:8
	buffer_load_dword v14, v11, s[0:3], 0 offen offset:12
	buffer_load_dword v15, v11, s[0:3], 0 offen
	buffer_load_dword v16, v11, s[0:3], 0 offen offset:4
	s_waitcnt vmcnt(2) lgkmcnt(0)
	v_mul_f64 v[17:18], v[3:4], v[13:14]
	v_mul_f64 v[13:14], v[1:2], v[13:14]
	s_waitcnt vmcnt(0)
	v_fma_f64 v[1:2], v[1:2], v[15:16], -v[17:18]
	v_fma_f64 v[3:4], v[3:4], v[15:16], v[13:14]
.LBB2_16:
	s_and_saveexec_b32 s8, s4
	s_cbranch_execz .LBB2_18
; %bb.17:
	s_clause 0x3
	buffer_load_dword v17, off, s[0:3], 0 offset:24
	buffer_load_dword v18, off, s[0:3], 0 offset:28
	;; [unrolled: 1-line block ×4, first 2 shown]
	v_mov_b32_e32 v13, 0
	ds_read_b128 v[13:16], v13 offset:64
	s_waitcnt vmcnt(2) lgkmcnt(0)
	v_mul_f64 v[21:22], v[15:16], v[17:18]
	v_mul_f64 v[17:18], v[13:14], v[17:18]
	s_waitcnt vmcnt(0)
	v_fma_f64 v[13:14], v[13:14], v[19:20], -v[21:22]
	v_fma_f64 v[15:16], v[15:16], v[19:20], v[17:18]
	v_add_f64 v[1:2], v[1:2], v[13:14]
	v_add_f64 v[3:4], v[3:4], v[15:16]
.LBB2_18:
	s_or_b32 exec_lo, exec_lo, s8
	v_mov_b32_e32 v13, 0
	s_mov_b32 s8, exec_lo
	s_or_b32 s11, 0, 8
	ds_read_b128 v[13:16], v13
	s_waitcnt lgkmcnt(0)
	v_mul_f64 v[17:18], v[3:4], v[15:16]
	v_mul_f64 v[15:16], v[1:2], v[15:16]
	v_fma_f64 v[17:18], v[1:2], v[13:14], -v[17:18]
	v_fma_f64 v[1:2], v[3:4], v[13:14], v[15:16]
	buffer_store_dword v18, off, s[0:3], 0 offset:4
	buffer_store_dword v17, off, s[0:3], 0
.LBB2_19:
	s_or_b32 exec_lo, exec_lo, s10
	s_and_b32 vcc_lo, exec_lo, s9
	s_cbranch_vccnz .LBB2_21
	s_branch .LBB2_32
.LBB2_20:
	s_mov_b32 s8, 0
                                        ; implicit-def: $vgpr1_vgpr2
                                        ; implicit-def: $sgpr11
	s_cbranch_execz .LBB2_32
.LBB2_21:
	v_mov_b32_e32 v4, s6
	v_cmp_eq_u32_e64 s4, 0, v0
	v_cndmask_b32_e64 v13, 0, 1, s7
	s_clause 0x3
	buffer_load_dword v1, v4, s[0:3], 0 offen
	buffer_load_dword v2, v4, s[0:3], 0 offen offset:4
	buffer_load_dword v3, v4, s[0:3], 0 offen offset:8
	;; [unrolled: 1-line block ×3, first 2 shown]
	s_waitcnt vmcnt(0)
	ds_write_b128 v12, v[1:4]
	s_waitcnt lgkmcnt(0)
	s_waitcnt_vscnt null, 0x0
	s_barrier
	buffer_gl0_inv
	s_and_saveexec_b32 s9, s4
	s_cbranch_execz .LBB2_25
; %bb.22:
	ds_read_b128 v[1:4], v12
	s_andn2_b32 vcc_lo, exec_lo, s7
	s_cbranch_vccnz .LBB2_24
; %bb.23:
	s_clause 0x3
	buffer_load_dword v14, v11, s[0:3], 0 offen offset:8
	buffer_load_dword v15, v11, s[0:3], 0 offen offset:12
	buffer_load_dword v16, v11, s[0:3], 0 offen
	buffer_load_dword v17, v11, s[0:3], 0 offen offset:4
	s_waitcnt vmcnt(2) lgkmcnt(0)
	v_mul_f64 v[18:19], v[3:4], v[14:15]
	v_mul_f64 v[14:15], v[1:2], v[14:15]
	s_waitcnt vmcnt(0)
	v_fma_f64 v[1:2], v[1:2], v[16:17], -v[18:19]
	v_fma_f64 v[3:4], v[3:4], v[16:17], v[14:15]
.LBB2_24:
	v_mov_b32_e32 v14, 0
	ds_read_b128 v[14:17], v14 offset:16
	s_waitcnt lgkmcnt(0)
	v_mul_f64 v[18:19], v[3:4], v[16:17]
	v_mul_f64 v[16:17], v[1:2], v[16:17]
	v_fma_f64 v[1:2], v[1:2], v[14:15], -v[18:19]
	v_fma_f64 v[3:4], v[3:4], v[14:15], v[16:17]
	buffer_store_dword v2, off, s[0:3], 0 offset:20
	buffer_store_dword v1, off, s[0:3], 0 offset:16
	;; [unrolled: 1-line block ×4, first 2 shown]
.LBB2_25:
	s_or_b32 exec_lo, exec_lo, s9
	v_mov_b32_e32 v4, s5
	s_mov_b32 s7, exec_lo
                                        ; implicit-def: $sgpr11
	s_clause 0x3
	buffer_load_dword v1, v4, s[0:3], 0 offen
	buffer_load_dword v2, v4, s[0:3], 0 offen offset:4
	buffer_load_dword v3, v4, s[0:3], 0 offen offset:8
	;; [unrolled: 1-line block ×3, first 2 shown]
	s_waitcnt vmcnt(0)
	ds_write_b128 v12, v[1:4]
	s_waitcnt lgkmcnt(0)
	s_waitcnt_vscnt null, 0x0
	s_barrier
	buffer_gl0_inv
                                        ; implicit-def: $vgpr1_vgpr2
	v_cmpx_ne_u32_e32 2, v0
	s_cbranch_execz .LBB2_31
; %bb.26:
	ds_read_b128 v[0:3], v12
	v_cmp_ne_u32_e32 vcc_lo, 1, v13
	s_cbranch_vccnz .LBB2_28
; %bb.27:
	s_clause 0x3
	buffer_load_dword v12, v11, s[0:3], 0 offen offset:8
	buffer_load_dword v13, v11, s[0:3], 0 offen offset:12
	buffer_load_dword v14, v11, s[0:3], 0 offen
	buffer_load_dword v15, v11, s[0:3], 0 offen offset:4
	s_waitcnt vmcnt(2) lgkmcnt(0)
	v_mul_f64 v[16:17], v[2:3], v[12:13]
	v_mul_f64 v[11:12], v[0:1], v[12:13]
	s_waitcnt vmcnt(0)
	v_fma_f64 v[0:1], v[0:1], v[14:15], -v[16:17]
	v_fma_f64 v[2:3], v[2:3], v[14:15], v[11:12]
.LBB2_28:
	s_and_saveexec_b32 s9, s4
	s_cbranch_execz .LBB2_30
; %bb.29:
	s_clause 0x3
	buffer_load_dword v15, off, s[0:3], 0 offset:24
	buffer_load_dword v16, off, s[0:3], 0 offset:28
	;; [unrolled: 1-line block ×4, first 2 shown]
	v_mov_b32_e32 v4, 0
	ds_read_b128 v[11:14], v4 offset:64
	s_waitcnt vmcnt(2) lgkmcnt(0)
	v_mul_f64 v[19:20], v[13:14], v[15:16]
	v_mul_f64 v[15:16], v[11:12], v[15:16]
	s_waitcnt vmcnt(0)
	v_fma_f64 v[11:12], v[11:12], v[17:18], -v[19:20]
	v_fma_f64 v[13:14], v[13:14], v[17:18], v[15:16]
	v_add_f64 v[0:1], v[0:1], v[11:12]
	v_add_f64 v[2:3], v[2:3], v[13:14]
.LBB2_30:
	s_or_b32 exec_lo, exec_lo, s9
	v_mov_b32_e32 v4, 0
	s_mov_b32 s11, 40
	s_or_b32 s8, s8, exec_lo
	ds_read_b128 v[11:14], v4 offset:32
	s_waitcnt lgkmcnt(0)
	v_mul_f64 v[15:16], v[2:3], v[13:14]
	v_mul_f64 v[13:14], v[0:1], v[13:14]
	v_fma_f64 v[15:16], v[0:1], v[11:12], -v[15:16]
	v_fma_f64 v[1:2], v[2:3], v[11:12], v[13:14]
	buffer_store_dword v16, off, s[0:3], 0 offset:36
	buffer_store_dword v15, off, s[0:3], 0 offset:32
.LBB2_31:
	s_or_b32 exec_lo, exec_lo, s7
.LBB2_32:
	s_and_saveexec_b32 s4, s8
	s_cbranch_execz .LBB2_34
; %bb.33:
	v_mov_b32_e32 v0, s11
	buffer_store_dword v2, v0, s[0:3], 0 offen offset:4
	buffer_store_dword v1, v0, s[0:3], 0 offen
.LBB2_34:
	s_or_b32 exec_lo, exec_lo, s4
	v_mov_b32_e32 v4, s6
	v_mov_b32_e32 v18, s5
	s_clause 0xb
	buffer_load_dword v0, off, s[0:3], 0
	buffer_load_dword v1, off, s[0:3], 0 offset:4
	buffer_load_dword v2, off, s[0:3], 0 offset:8
	;; [unrolled: 1-line block ×3, first 2 shown]
	buffer_load_dword v11, v4, s[0:3], 0 offen
	buffer_load_dword v12, v4, s[0:3], 0 offen offset:4
	buffer_load_dword v13, v4, s[0:3], 0 offen offset:8
	;; [unrolled: 1-line block ×3, first 2 shown]
	buffer_load_dword v15, v18, s[0:3], 0 offen
	buffer_load_dword v16, v18, s[0:3], 0 offen offset:4
	buffer_load_dword v17, v18, s[0:3], 0 offen offset:8
	;; [unrolled: 1-line block ×3, first 2 shown]
	s_waitcnt vmcnt(8)
	global_store_dwordx4 v[5:6], v[0:3], off
	s_waitcnt vmcnt(4)
	global_store_dwordx4 v[9:10], v[11:14], off
	;; [unrolled: 2-line block ×3, first 2 shown]
.LBB2_35:
	s_endpgm
	.section	.rodata,"a",@progbits
	.p2align	6, 0x0
	.amdhsa_kernel _ZN9rocsolver6v33100L18trti2_kernel_smallILi3E19rocblas_complex_numIdEPS3_EEv13rocblas_fill_17rocblas_diagonal_T1_iil
		.amdhsa_group_segment_fixed_size 96
		.amdhsa_private_segment_fixed_size 64
		.amdhsa_kernarg_size 32
		.amdhsa_user_sgpr_count 6
		.amdhsa_user_sgpr_private_segment_buffer 1
		.amdhsa_user_sgpr_dispatch_ptr 0
		.amdhsa_user_sgpr_queue_ptr 0
		.amdhsa_user_sgpr_kernarg_segment_ptr 1
		.amdhsa_user_sgpr_dispatch_id 0
		.amdhsa_user_sgpr_flat_scratch_init 0
		.amdhsa_user_sgpr_private_segment_size 0
		.amdhsa_wavefront_size32 1
		.amdhsa_uses_dynamic_stack 0
		.amdhsa_system_sgpr_private_segment_wavefront_offset 1
		.amdhsa_system_sgpr_workgroup_id_x 1
		.amdhsa_system_sgpr_workgroup_id_y 0
		.amdhsa_system_sgpr_workgroup_id_z 0
		.amdhsa_system_sgpr_workgroup_info 0
		.amdhsa_system_vgpr_workitem_id 0
		.amdhsa_next_free_vgpr 23
		.amdhsa_next_free_sgpr 16
		.amdhsa_reserve_vcc 1
		.amdhsa_reserve_flat_scratch 0
		.amdhsa_float_round_mode_32 0
		.amdhsa_float_round_mode_16_64 0
		.amdhsa_float_denorm_mode_32 3
		.amdhsa_float_denorm_mode_16_64 3
		.amdhsa_dx10_clamp 1
		.amdhsa_ieee_mode 1
		.amdhsa_fp16_overflow 0
		.amdhsa_workgroup_processor_mode 1
		.amdhsa_memory_ordered 1
		.amdhsa_forward_progress 1
		.amdhsa_shared_vgpr_count 0
		.amdhsa_exception_fp_ieee_invalid_op 0
		.amdhsa_exception_fp_denorm_src 0
		.amdhsa_exception_fp_ieee_div_zero 0
		.amdhsa_exception_fp_ieee_overflow 0
		.amdhsa_exception_fp_ieee_underflow 0
		.amdhsa_exception_fp_ieee_inexact 0
		.amdhsa_exception_int_div_zero 0
	.end_amdhsa_kernel
	.section	.text._ZN9rocsolver6v33100L18trti2_kernel_smallILi3E19rocblas_complex_numIdEPS3_EEv13rocblas_fill_17rocblas_diagonal_T1_iil,"axG",@progbits,_ZN9rocsolver6v33100L18trti2_kernel_smallILi3E19rocblas_complex_numIdEPS3_EEv13rocblas_fill_17rocblas_diagonal_T1_iil,comdat
.Lfunc_end2:
	.size	_ZN9rocsolver6v33100L18trti2_kernel_smallILi3E19rocblas_complex_numIdEPS3_EEv13rocblas_fill_17rocblas_diagonal_T1_iil, .Lfunc_end2-_ZN9rocsolver6v33100L18trti2_kernel_smallILi3E19rocblas_complex_numIdEPS3_EEv13rocblas_fill_17rocblas_diagonal_T1_iil
                                        ; -- End function
	.set _ZN9rocsolver6v33100L18trti2_kernel_smallILi3E19rocblas_complex_numIdEPS3_EEv13rocblas_fill_17rocblas_diagonal_T1_iil.num_vgpr, 23
	.set _ZN9rocsolver6v33100L18trti2_kernel_smallILi3E19rocblas_complex_numIdEPS3_EEv13rocblas_fill_17rocblas_diagonal_T1_iil.num_agpr, 0
	.set _ZN9rocsolver6v33100L18trti2_kernel_smallILi3E19rocblas_complex_numIdEPS3_EEv13rocblas_fill_17rocblas_diagonal_T1_iil.numbered_sgpr, 16
	.set _ZN9rocsolver6v33100L18trti2_kernel_smallILi3E19rocblas_complex_numIdEPS3_EEv13rocblas_fill_17rocblas_diagonal_T1_iil.num_named_barrier, 0
	.set _ZN9rocsolver6v33100L18trti2_kernel_smallILi3E19rocblas_complex_numIdEPS3_EEv13rocblas_fill_17rocblas_diagonal_T1_iil.private_seg_size, 64
	.set _ZN9rocsolver6v33100L18trti2_kernel_smallILi3E19rocblas_complex_numIdEPS3_EEv13rocblas_fill_17rocblas_diagonal_T1_iil.uses_vcc, 1
	.set _ZN9rocsolver6v33100L18trti2_kernel_smallILi3E19rocblas_complex_numIdEPS3_EEv13rocblas_fill_17rocblas_diagonal_T1_iil.uses_flat_scratch, 0
	.set _ZN9rocsolver6v33100L18trti2_kernel_smallILi3E19rocblas_complex_numIdEPS3_EEv13rocblas_fill_17rocblas_diagonal_T1_iil.has_dyn_sized_stack, 0
	.set _ZN9rocsolver6v33100L18trti2_kernel_smallILi3E19rocblas_complex_numIdEPS3_EEv13rocblas_fill_17rocblas_diagonal_T1_iil.has_recursion, 0
	.set _ZN9rocsolver6v33100L18trti2_kernel_smallILi3E19rocblas_complex_numIdEPS3_EEv13rocblas_fill_17rocblas_diagonal_T1_iil.has_indirect_call, 0
	.section	.AMDGPU.csdata,"",@progbits
; Kernel info:
; codeLenInByte = 2380
; TotalNumSgprs: 18
; NumVgprs: 23
; ScratchSize: 64
; MemoryBound: 0
; FloatMode: 240
; IeeeMode: 1
; LDSByteSize: 96 bytes/workgroup (compile time only)
; SGPRBlocks: 0
; VGPRBlocks: 2
; NumSGPRsForWavesPerEU: 18
; NumVGPRsForWavesPerEU: 23
; Occupancy: 16
; WaveLimiterHint : 0
; COMPUTE_PGM_RSRC2:SCRATCH_EN: 1
; COMPUTE_PGM_RSRC2:USER_SGPR: 6
; COMPUTE_PGM_RSRC2:TRAP_HANDLER: 0
; COMPUTE_PGM_RSRC2:TGID_X_EN: 1
; COMPUTE_PGM_RSRC2:TGID_Y_EN: 0
; COMPUTE_PGM_RSRC2:TGID_Z_EN: 0
; COMPUTE_PGM_RSRC2:TIDIG_COMP_CNT: 0
	.section	.text._ZN9rocsolver6v33100L18trti2_kernel_smallILi4E19rocblas_complex_numIdEPS3_EEv13rocblas_fill_17rocblas_diagonal_T1_iil,"axG",@progbits,_ZN9rocsolver6v33100L18trti2_kernel_smallILi4E19rocblas_complex_numIdEPS3_EEv13rocblas_fill_17rocblas_diagonal_T1_iil,comdat
	.globl	_ZN9rocsolver6v33100L18trti2_kernel_smallILi4E19rocblas_complex_numIdEPS3_EEv13rocblas_fill_17rocblas_diagonal_T1_iil ; -- Begin function _ZN9rocsolver6v33100L18trti2_kernel_smallILi4E19rocblas_complex_numIdEPS3_EEv13rocblas_fill_17rocblas_diagonal_T1_iil
	.p2align	8
	.type	_ZN9rocsolver6v33100L18trti2_kernel_smallILi4E19rocblas_complex_numIdEPS3_EEv13rocblas_fill_17rocblas_diagonal_T1_iil,@function
_ZN9rocsolver6v33100L18trti2_kernel_smallILi4E19rocblas_complex_numIdEPS3_EEv13rocblas_fill_17rocblas_diagonal_T1_iil: ; @_ZN9rocsolver6v33100L18trti2_kernel_smallILi4E19rocblas_complex_numIdEPS3_EEv13rocblas_fill_17rocblas_diagonal_T1_iil
; %bb.0:
	s_add_u32 s0, s0, s7
	s_addc_u32 s1, s1, 0
	s_mov_b32 s7, exec_lo
	v_cmpx_gt_u32_e32 4, v0
	s_cbranch_execz .LBB3_51
; %bb.1:
	s_load_dwordx8 s[8:15], s[4:5], 0x0
	s_ashr_i32 s7, s6, 31
	v_lshlrev_b32_e32 v19, 4, v0
	s_waitcnt lgkmcnt(0)
	s_ashr_i32 s5, s12, 31
	s_mov_b32 s4, s12
	s_mul_hi_u32 s12, s14, s6
	s_mul_i32 s7, s14, s7
	v_add3_u32 v1, s13, s13, v0
	s_mul_i32 s15, s15, s6
	s_add_i32 s7, s12, s7
	s_mul_i32 s6, s14, s6
	s_add_i32 s7, s7, s15
	v_add_nc_u32_e32 v7, s13, v1
	s_lshl_b64 s[6:7], s[6:7], 4
	v_ashrrev_i32_e32 v2, 31, v1
	s_add_u32 s6, s10, s6
	s_addc_u32 s7, s11, s7
	s_lshl_b64 s[4:5], s[4:5], 4
	v_ashrrev_i32_e32 v8, 31, v7
	s_add_u32 s4, s6, s4
	s_addc_u32 s5, s7, s5
	v_add_co_u32 v5, s6, s4, v19
	s_mov_b32 s12, s13
	v_lshlrev_b64 v[11:12], 4, v[1:2]
	s_ashr_i32 s13, s13, 31
	v_add_co_ci_u32_e64 v6, null, s5, 0, s6
	s_lshl_b64 s[6:7], s[12:13], 4
	v_lshlrev_b64 v[7:8], 4, v[7:8]
	v_add_co_u32 v9, vcc_lo, v5, s6
	v_add_co_ci_u32_e64 v10, null, s7, v6, vcc_lo
	v_add_co_u32 v11, vcc_lo, s4, v11
	v_add_co_ci_u32_e64 v12, null, s5, v12, vcc_lo
	;; [unrolled: 2-line block ×3, first 2 shown]
	s_clause 0x3
	global_load_dwordx4 v[1:4], v19, s[4:5]
	global_load_dwordx4 v[13:16], v[9:10], off
	global_load_dwordx4 v[20:23], v[11:12], off
	;; [unrolled: 1-line block ×3, first 2 shown]
	s_cmpk_lg_i32 s9, 0x84
	s_waitcnt vmcnt(3)
	buffer_store_dword v4, off, s[0:3], 0 offset:12
	buffer_store_dword v3, off, s[0:3], 0 offset:8
	;; [unrolled: 1-line block ×3, first 2 shown]
	buffer_store_dword v1, off, s[0:3], 0
	s_waitcnt vmcnt(2)
	buffer_store_dword v16, off, s[0:3], 0 offset:28
	buffer_store_dword v15, off, s[0:3], 0 offset:24
	buffer_store_dword v14, off, s[0:3], 0 offset:20
	buffer_store_dword v13, off, s[0:3], 0 offset:16
	s_waitcnt vmcnt(1)
	buffer_store_dword v23, off, s[0:3], 0 offset:44
	buffer_store_dword v22, off, s[0:3], 0 offset:40
	buffer_store_dword v21, off, s[0:3], 0 offset:36
	buffer_store_dword v20, off, s[0:3], 0 offset:32
	;; [unrolled: 5-line block ×3, first 2 shown]
	s_cselect_b32 s10, -1, 0
	s_cmpk_eq_i32 s9, 0x84
	s_cbranch_scc1 .LBB3_7
; %bb.2:
	v_lshl_add_u32 v20, v0, 4, 0
                                        ; implicit-def: $vgpr15_vgpr16
                                        ; implicit-def: $vgpr3_vgpr4
	s_clause 0x3
	buffer_load_dword v13, v20, s[0:3], 0 offen
	buffer_load_dword v14, v20, s[0:3], 0 offen offset:4
	buffer_load_dword v17, v20, s[0:3], 0 offen offset:8
	;; [unrolled: 1-line block ×3, first 2 shown]
	s_waitcnt vmcnt(0)
	v_cmp_ngt_f64_e64 s4, |v[13:14]|, |v[17:18]|
	s_and_saveexec_b32 s5, s4
	s_xor_b32 s4, exec_lo, s5
	s_cbranch_execz .LBB3_4
; %bb.3:
	v_div_scale_f64 v[1:2], null, v[17:18], v[17:18], v[13:14]
	v_div_scale_f64 v[21:22], vcc_lo, v[13:14], v[17:18], v[13:14]
	v_rcp_f64_e32 v[3:4], v[1:2]
	v_fma_f64 v[15:16], -v[1:2], v[3:4], 1.0
	v_fma_f64 v[3:4], v[3:4], v[15:16], v[3:4]
	v_fma_f64 v[15:16], -v[1:2], v[3:4], 1.0
	v_fma_f64 v[3:4], v[3:4], v[15:16], v[3:4]
	v_mul_f64 v[15:16], v[21:22], v[3:4]
	v_fma_f64 v[1:2], -v[1:2], v[15:16], v[21:22]
	v_div_fmas_f64 v[1:2], v[1:2], v[3:4], v[15:16]
	v_div_fixup_f64 v[1:2], v[1:2], v[17:18], v[13:14]
	v_fma_f64 v[3:4], v[13:14], v[1:2], v[17:18]
	v_div_scale_f64 v[13:14], null, v[3:4], v[3:4], 1.0
	v_div_scale_f64 v[21:22], vcc_lo, 1.0, v[3:4], 1.0
	v_rcp_f64_e32 v[15:16], v[13:14]
	v_fma_f64 v[17:18], -v[13:14], v[15:16], 1.0
	v_fma_f64 v[15:16], v[15:16], v[17:18], v[15:16]
	v_fma_f64 v[17:18], -v[13:14], v[15:16], 1.0
	v_fma_f64 v[15:16], v[15:16], v[17:18], v[15:16]
	v_mul_f64 v[17:18], v[21:22], v[15:16]
	v_fma_f64 v[13:14], -v[13:14], v[17:18], v[21:22]
	v_div_fmas_f64 v[13:14], v[13:14], v[15:16], v[17:18]
                                        ; implicit-def: $vgpr17_vgpr18
	v_div_fixup_f64 v[3:4], v[13:14], v[3:4], 1.0
                                        ; implicit-def: $vgpr13_vgpr14
	v_mul_f64 v[15:16], v[1:2], v[3:4]
	v_xor_b32_e32 v4, 0x80000000, v4
	v_xor_b32_e32 v2, 0x80000000, v16
	v_mov_b32_e32 v1, v15
.LBB3_4:
	s_andn2_saveexec_b32 s4, s4
	s_cbranch_execz .LBB3_6
; %bb.5:
	v_div_scale_f64 v[1:2], null, v[13:14], v[13:14], v[17:18]
	v_div_scale_f64 v[21:22], vcc_lo, v[17:18], v[13:14], v[17:18]
	v_rcp_f64_e32 v[3:4], v[1:2]
	v_fma_f64 v[15:16], -v[1:2], v[3:4], 1.0
	v_fma_f64 v[3:4], v[3:4], v[15:16], v[3:4]
	v_fma_f64 v[15:16], -v[1:2], v[3:4], 1.0
	v_fma_f64 v[3:4], v[3:4], v[15:16], v[3:4]
	v_mul_f64 v[15:16], v[21:22], v[3:4]
	v_fma_f64 v[1:2], -v[1:2], v[15:16], v[21:22]
	v_div_fmas_f64 v[1:2], v[1:2], v[3:4], v[15:16]
	v_div_fixup_f64 v[1:2], v[1:2], v[13:14], v[17:18]
	v_fma_f64 v[3:4], v[17:18], v[1:2], v[13:14]
	v_div_scale_f64 v[13:14], null, v[3:4], v[3:4], 1.0
	v_rcp_f64_e32 v[15:16], v[13:14]
	v_fma_f64 v[17:18], -v[13:14], v[15:16], 1.0
	v_fma_f64 v[15:16], v[15:16], v[17:18], v[15:16]
	v_fma_f64 v[17:18], -v[13:14], v[15:16], 1.0
	v_fma_f64 v[15:16], v[15:16], v[17:18], v[15:16]
	v_div_scale_f64 v[17:18], vcc_lo, 1.0, v[3:4], 1.0
	v_mul_f64 v[21:22], v[17:18], v[15:16]
	v_fma_f64 v[13:14], -v[13:14], v[21:22], v[17:18]
	v_div_fmas_f64 v[13:14], v[13:14], v[15:16], v[21:22]
	v_div_fixup_f64 v[15:16], v[13:14], v[3:4], 1.0
	v_mul_f64 v[3:4], v[1:2], -v[15:16]
	v_xor_b32_e32 v2, 0x80000000, v16
	v_mov_b32_e32 v1, v15
.LBB3_6:
	s_or_b32 exec_lo, exec_lo, s4
	buffer_store_dword v4, v20, s[0:3], 0 offen offset:12
	v_xor_b32_e32 v4, 0x80000000, v4
	buffer_store_dword v16, v20, s[0:3], 0 offen offset:4
	buffer_store_dword v15, v20, s[0:3], 0 offen
	buffer_store_dword v3, v20, s[0:3], 0 offen offset:8
	s_branch .LBB3_8
.LBB3_7:
	v_mov_b32_e32 v1, 0
	v_mov_b32_e32 v3, 0
	;; [unrolled: 1-line block ×4, first 2 shown]
.LBB3_8:
	v_add_nc_u32_e32 v13, 64, v19
	v_mov_b32_e32 v14, v19
	s_mov_b32 s9, 16
	s_mov_b32 s7, 32
	s_mov_b32 s6, 48
	s_cmpk_eq_i32 s8, 0x79
	ds_write_b128 v19, v[1:4]
	s_cbranch_scc1 .LBB3_28
; %bb.9:
	v_mov_b32_e32 v4, s7
	v_cmp_eq_u32_e64 s5, 3, v0
	s_clause 0x3
	buffer_load_dword v1, v4, s[0:3], 0 offen
	buffer_load_dword v2, v4, s[0:3], 0 offen offset:4
	buffer_load_dword v3, v4, s[0:3], 0 offen offset:8
	;; [unrolled: 1-line block ×3, first 2 shown]
	s_waitcnt vmcnt(0)
	ds_write_b128 v13, v[1:4]
	s_waitcnt lgkmcnt(0)
	s_waitcnt_vscnt null, 0x0
	s_barrier
	buffer_gl0_inv
	s_and_saveexec_b32 s4, s5
	s_cbranch_execz .LBB3_13
; %bb.10:
	ds_read_b128 v[1:4], v13
	s_andn2_b32 vcc_lo, exec_lo, s10
	s_cbranch_vccnz .LBB3_12
; %bb.11:
	s_clause 0x3
	buffer_load_dword v15, v14, s[0:3], 0 offen offset:8
	buffer_load_dword v16, v14, s[0:3], 0 offen offset:12
	buffer_load_dword v17, v14, s[0:3], 0 offen
	buffer_load_dword v18, v14, s[0:3], 0 offen offset:4
	s_waitcnt vmcnt(2) lgkmcnt(0)
	v_mul_f64 v[19:20], v[3:4], v[15:16]
	v_mul_f64 v[15:16], v[1:2], v[15:16]
	s_waitcnt vmcnt(0)
	v_fma_f64 v[1:2], v[1:2], v[17:18], -v[19:20]
	v_fma_f64 v[3:4], v[3:4], v[17:18], v[15:16]
.LBB3_12:
	v_mov_b32_e32 v15, 0
	ds_read_b128 v[15:18], v15 offset:32
	s_waitcnt lgkmcnt(0)
	v_mul_f64 v[19:20], v[3:4], v[17:18]
	v_mul_f64 v[17:18], v[1:2], v[17:18]
	v_fma_f64 v[1:2], v[1:2], v[15:16], -v[19:20]
	v_fma_f64 v[3:4], v[3:4], v[15:16], v[17:18]
	buffer_store_dword v2, off, s[0:3], 0 offset:36
	buffer_store_dword v1, off, s[0:3], 0 offset:32
	;; [unrolled: 1-line block ×4, first 2 shown]
.LBB3_13:
	s_or_b32 exec_lo, exec_lo, s4
	v_mov_b32_e32 v4, s9
	v_cmp_lt_u32_e64 s4, 1, v0
	s_clause 0x3
	buffer_load_dword v1, v4, s[0:3], 0 offen
	buffer_load_dword v2, v4, s[0:3], 0 offen offset:4
	buffer_load_dword v3, v4, s[0:3], 0 offen offset:8
	buffer_load_dword v4, v4, s[0:3], 0 offen offset:12
	s_waitcnt vmcnt(0)
	ds_write_b128 v13, v[1:4]
	s_waitcnt lgkmcnt(0)
	s_waitcnt_vscnt null, 0x0
	s_barrier
	buffer_gl0_inv
	s_and_saveexec_b32 s8, s4
	s_cbranch_execz .LBB3_19
; %bb.14:
	ds_read_b128 v[1:4], v13
	s_andn2_b32 vcc_lo, exec_lo, s10
	s_cbranch_vccnz .LBB3_16
; %bb.15:
	s_clause 0x3
	buffer_load_dword v15, v14, s[0:3], 0 offen offset:8
	buffer_load_dword v16, v14, s[0:3], 0 offen offset:12
	buffer_load_dword v17, v14, s[0:3], 0 offen
	buffer_load_dword v18, v14, s[0:3], 0 offen offset:4
	s_waitcnt vmcnt(2) lgkmcnt(0)
	v_mul_f64 v[19:20], v[3:4], v[15:16]
	v_mul_f64 v[15:16], v[1:2], v[15:16]
	s_waitcnt vmcnt(0)
	v_fma_f64 v[1:2], v[1:2], v[17:18], -v[19:20]
	v_fma_f64 v[3:4], v[3:4], v[17:18], v[15:16]
.LBB3_16:
	s_and_saveexec_b32 s11, s5
	s_cbranch_execz .LBB3_18
; %bb.17:
	s_clause 0x3
	buffer_load_dword v19, off, s[0:3], 0 offset:40
	buffer_load_dword v20, off, s[0:3], 0 offset:44
	buffer_load_dword v21, off, s[0:3], 0 offset:32
	buffer_load_dword v22, off, s[0:3], 0 offset:36
	v_mov_b32_e32 v15, 0
	ds_read_b128 v[15:18], v15 offset:96
	s_waitcnt vmcnt(2) lgkmcnt(0)
	v_mul_f64 v[23:24], v[15:16], v[19:20]
	v_mul_f64 v[19:20], v[17:18], v[19:20]
	s_waitcnt vmcnt(0)
	v_fma_f64 v[17:18], v[17:18], v[21:22], v[23:24]
	v_fma_f64 v[15:16], v[15:16], v[21:22], -v[19:20]
	v_add_f64 v[3:4], v[3:4], v[17:18]
	v_add_f64 v[1:2], v[1:2], v[15:16]
.LBB3_18:
	s_or_b32 exec_lo, exec_lo, s11
	v_mov_b32_e32 v15, 0
	ds_read_b128 v[15:18], v15 offset:16
	s_waitcnt lgkmcnt(0)
	v_mul_f64 v[19:20], v[3:4], v[17:18]
	v_mul_f64 v[17:18], v[1:2], v[17:18]
	v_fma_f64 v[1:2], v[1:2], v[15:16], -v[19:20]
	v_fma_f64 v[3:4], v[3:4], v[15:16], v[17:18]
	buffer_store_dword v2, off, s[0:3], 0 offset:20
	buffer_store_dword v1, off, s[0:3], 0 offset:16
	;; [unrolled: 1-line block ×4, first 2 shown]
.LBB3_19:
	s_or_b32 exec_lo, exec_lo, s8
	s_clause 0x3
	buffer_load_dword v1, off, s[0:3], 0
	buffer_load_dword v2, off, s[0:3], 0 offset:4
	buffer_load_dword v3, off, s[0:3], 0 offset:8
	;; [unrolled: 1-line block ×3, first 2 shown]
	s_mov_b32 s5, 0
	s_mov_b32 s8, 0
	s_mov_b32 s11, exec_lo
                                        ; implicit-def: $sgpr12
	s_waitcnt vmcnt(0)
	ds_write_b128 v13, v[1:4]
	s_waitcnt lgkmcnt(0)
	s_waitcnt_vscnt null, 0x0
	s_barrier
	buffer_gl0_inv
                                        ; implicit-def: $vgpr1_vgpr2
	v_cmpx_ne_u32_e32 0, v0
	s_cbranch_execz .LBB3_27
; %bb.20:
	ds_read_b128 v[1:4], v13
	s_andn2_b32 vcc_lo, exec_lo, s10
	s_cbranch_vccnz .LBB3_22
; %bb.21:
	s_clause 0x3
	buffer_load_dword v15, v14, s[0:3], 0 offen offset:8
	buffer_load_dword v16, v14, s[0:3], 0 offen offset:12
	buffer_load_dword v17, v14, s[0:3], 0 offen
	buffer_load_dword v18, v14, s[0:3], 0 offen offset:4
	s_waitcnt vmcnt(2) lgkmcnt(0)
	v_mul_f64 v[19:20], v[3:4], v[15:16]
	v_mul_f64 v[15:16], v[1:2], v[15:16]
	s_waitcnt vmcnt(0)
	v_fma_f64 v[1:2], v[1:2], v[17:18], -v[19:20]
	v_fma_f64 v[3:4], v[3:4], v[17:18], v[15:16]
.LBB3_22:
	s_and_saveexec_b32 s8, s4
	s_cbranch_execz .LBB3_26
; %bb.23:
	v_add_nc_u32_e32 v15, -1, v0
	s_movk_i32 s12, 0x50
	s_mov_b32 s4, 0
	s_mov_b32 s13, s9
	.p2align	6
.LBB3_24:                               ; =>This Inner Loop Header: Depth=1
	v_mov_b32_e32 v16, s13
	v_add_nc_u32_e32 v15, -1, v15
	s_add_i32 s13, s13, 16
	s_clause 0x3
	buffer_load_dword v20, v16, s[0:3], 0 offen offset:8
	buffer_load_dword v21, v16, s[0:3], 0 offen offset:12
	buffer_load_dword v22, v16, s[0:3], 0 offen
	buffer_load_dword v23, v16, s[0:3], 0 offen offset:4
	v_mov_b32_e32 v16, s12
	v_cmp_eq_u32_e32 vcc_lo, 0, v15
	s_add_i32 s12, s12, 16
	ds_read_b128 v[16:19], v16
	s_or_b32 s4, vcc_lo, s4
	s_waitcnt vmcnt(2) lgkmcnt(0)
	v_mul_f64 v[24:25], v[18:19], v[20:21]
	v_mul_f64 v[20:21], v[16:17], v[20:21]
	s_waitcnt vmcnt(0)
	v_fma_f64 v[16:17], v[16:17], v[22:23], -v[24:25]
	v_fma_f64 v[18:19], v[18:19], v[22:23], v[20:21]
	v_add_f64 v[1:2], v[1:2], v[16:17]
	v_add_f64 v[3:4], v[3:4], v[18:19]
	s_andn2_b32 exec_lo, exec_lo, s4
	s_cbranch_execnz .LBB3_24
; %bb.25:
	s_or_b32 exec_lo, exec_lo, s4
.LBB3_26:
	s_or_b32 exec_lo, exec_lo, s8
	v_mov_b32_e32 v15, 0
	s_mov_b32 s8, exec_lo
	s_or_b32 s12, 0, 8
	ds_read_b128 v[15:18], v15
	s_waitcnt lgkmcnt(0)
	v_mul_f64 v[19:20], v[3:4], v[17:18]
	v_mul_f64 v[17:18], v[1:2], v[17:18]
	v_fma_f64 v[19:20], v[1:2], v[15:16], -v[19:20]
	v_fma_f64 v[1:2], v[3:4], v[15:16], v[17:18]
	buffer_store_dword v20, off, s[0:3], 0 offset:4
	buffer_store_dword v19, off, s[0:3], 0
.LBB3_27:
	s_or_b32 exec_lo, exec_lo, s11
	s_and_b32 vcc_lo, exec_lo, s5
	s_cbranch_vccnz .LBB3_29
	s_branch .LBB3_48
.LBB3_28:
	s_mov_b32 s8, 0
                                        ; implicit-def: $vgpr1_vgpr2
                                        ; implicit-def: $sgpr12
	s_cbranch_execz .LBB3_48
.LBB3_29:
	v_mov_b32_e32 v4, s9
	v_cmp_eq_u32_e64 s4, 0, v0
	v_cndmask_b32_e64 v15, 0, 1, s10
	s_clause 0x3
	buffer_load_dword v1, v4, s[0:3], 0 offen
	buffer_load_dword v2, v4, s[0:3], 0 offen offset:4
	buffer_load_dword v3, v4, s[0:3], 0 offen offset:8
	;; [unrolled: 1-line block ×3, first 2 shown]
	s_waitcnt vmcnt(0)
	ds_write_b128 v13, v[1:4]
	s_waitcnt lgkmcnt(0)
	s_waitcnt_vscnt null, 0x0
	s_barrier
	buffer_gl0_inv
	s_and_saveexec_b32 s5, s4
	s_cbranch_execz .LBB3_33
; %bb.30:
	ds_read_b128 v[1:4], v13
	s_andn2_b32 vcc_lo, exec_lo, s10
	s_cbranch_vccnz .LBB3_32
; %bb.31:
	s_clause 0x3
	buffer_load_dword v16, v14, s[0:3], 0 offen offset:8
	buffer_load_dword v17, v14, s[0:3], 0 offen offset:12
	buffer_load_dword v18, v14, s[0:3], 0 offen
	buffer_load_dword v19, v14, s[0:3], 0 offen offset:4
	s_waitcnt vmcnt(2) lgkmcnt(0)
	v_mul_f64 v[20:21], v[3:4], v[16:17]
	v_mul_f64 v[16:17], v[1:2], v[16:17]
	s_waitcnt vmcnt(0)
	v_fma_f64 v[1:2], v[1:2], v[18:19], -v[20:21]
	v_fma_f64 v[3:4], v[3:4], v[18:19], v[16:17]
.LBB3_32:
	v_mov_b32_e32 v16, 0
	ds_read_b128 v[16:19], v16 offset:16
	s_waitcnt lgkmcnt(0)
	v_mul_f64 v[20:21], v[3:4], v[18:19]
	v_mul_f64 v[18:19], v[1:2], v[18:19]
	v_fma_f64 v[1:2], v[1:2], v[16:17], -v[20:21]
	v_fma_f64 v[3:4], v[3:4], v[16:17], v[18:19]
	buffer_store_dword v2, off, s[0:3], 0 offset:20
	buffer_store_dword v1, off, s[0:3], 0 offset:16
	;; [unrolled: 1-line block ×4, first 2 shown]
.LBB3_33:
	s_or_b32 exec_lo, exec_lo, s5
	v_mov_b32_e32 v4, s7
	v_cmp_gt_u32_e64 s5, 2, v0
	s_clause 0x3
	buffer_load_dword v1, v4, s[0:3], 0 offen
	buffer_load_dword v2, v4, s[0:3], 0 offen offset:4
	buffer_load_dword v3, v4, s[0:3], 0 offen offset:8
	;; [unrolled: 1-line block ×3, first 2 shown]
	s_waitcnt vmcnt(0)
	ds_write_b128 v13, v[1:4]
	s_waitcnt lgkmcnt(0)
	s_waitcnt_vscnt null, 0x0
	s_barrier
	buffer_gl0_inv
	s_and_saveexec_b32 s10, s5
	s_cbranch_execz .LBB3_39
; %bb.34:
	ds_read_b128 v[1:4], v13
	v_cmp_ne_u32_e32 vcc_lo, 1, v15
	s_cbranch_vccnz .LBB3_36
; %bb.35:
	s_clause 0x3
	buffer_load_dword v16, v14, s[0:3], 0 offen offset:8
	buffer_load_dword v17, v14, s[0:3], 0 offen offset:12
	buffer_load_dword v18, v14, s[0:3], 0 offen
	buffer_load_dword v19, v14, s[0:3], 0 offen offset:4
	s_waitcnt vmcnt(2) lgkmcnt(0)
	v_mul_f64 v[20:21], v[3:4], v[16:17]
	v_mul_f64 v[16:17], v[1:2], v[16:17]
	s_waitcnt vmcnt(0)
	v_fma_f64 v[1:2], v[1:2], v[18:19], -v[20:21]
	v_fma_f64 v[3:4], v[3:4], v[18:19], v[16:17]
.LBB3_36:
	s_and_saveexec_b32 s11, s4
	s_cbranch_execz .LBB3_38
; %bb.37:
	s_clause 0x3
	buffer_load_dword v20, off, s[0:3], 0 offset:24
	buffer_load_dword v21, off, s[0:3], 0 offset:28
	;; [unrolled: 1-line block ×4, first 2 shown]
	v_mov_b32_e32 v16, 0
	ds_read_b128 v[16:19], v16 offset:80
	s_waitcnt vmcnt(2) lgkmcnt(0)
	v_mul_f64 v[24:25], v[18:19], v[20:21]
	v_mul_f64 v[20:21], v[16:17], v[20:21]
	s_waitcnt vmcnt(0)
	v_fma_f64 v[16:17], v[16:17], v[22:23], -v[24:25]
	v_fma_f64 v[18:19], v[18:19], v[22:23], v[20:21]
	v_add_f64 v[1:2], v[1:2], v[16:17]
	v_add_f64 v[3:4], v[3:4], v[18:19]
.LBB3_38:
	s_or_b32 exec_lo, exec_lo, s11
	v_mov_b32_e32 v16, 0
	ds_read_b128 v[16:19], v16 offset:32
	s_waitcnt lgkmcnt(0)
	v_mul_f64 v[20:21], v[3:4], v[18:19]
	v_mul_f64 v[18:19], v[1:2], v[18:19]
	v_fma_f64 v[1:2], v[1:2], v[16:17], -v[20:21]
	v_fma_f64 v[3:4], v[3:4], v[16:17], v[18:19]
	buffer_store_dword v2, off, s[0:3], 0 offset:36
	buffer_store_dword v1, off, s[0:3], 0 offset:32
	buffer_store_dword v4, off, s[0:3], 0 offset:44
	buffer_store_dword v3, off, s[0:3], 0 offset:40
.LBB3_39:
	s_or_b32 exec_lo, exec_lo, s10
	v_mov_b32_e32 v4, s6
	s_mov_b32 s10, exec_lo
                                        ; implicit-def: $sgpr12
	s_clause 0x3
	buffer_load_dword v1, v4, s[0:3], 0 offen
	buffer_load_dword v2, v4, s[0:3], 0 offen offset:4
	buffer_load_dword v3, v4, s[0:3], 0 offen offset:8
	;; [unrolled: 1-line block ×3, first 2 shown]
	s_waitcnt vmcnt(0)
	ds_write_b128 v13, v[1:4]
	s_waitcnt lgkmcnt(0)
	s_waitcnt_vscnt null, 0x0
	s_barrier
	buffer_gl0_inv
                                        ; implicit-def: $vgpr1_vgpr2
	v_cmpx_ne_u32_e32 3, v0
	s_cbranch_execz .LBB3_47
; %bb.40:
	ds_read_b128 v[0:3], v13
	v_cmp_ne_u32_e32 vcc_lo, 1, v15
	s_cbranch_vccnz .LBB3_42
; %bb.41:
	s_clause 0x3
	buffer_load_dword v15, v14, s[0:3], 0 offen offset:8
	buffer_load_dword v16, v14, s[0:3], 0 offen offset:12
	buffer_load_dword v17, v14, s[0:3], 0 offen
	buffer_load_dword v18, v14, s[0:3], 0 offen offset:4
	s_waitcnt vmcnt(2) lgkmcnt(0)
	v_mul_f64 v[19:20], v[2:3], v[15:16]
	v_mul_f64 v[15:16], v[0:1], v[15:16]
	s_waitcnt vmcnt(0)
	v_fma_f64 v[0:1], v[0:1], v[17:18], -v[19:20]
	v_fma_f64 v[2:3], v[2:3], v[17:18], v[15:16]
.LBB3_42:
	s_and_saveexec_b32 s11, s5
	s_cbranch_execz .LBB3_46
; %bb.43:
	s_clause 0x3
	buffer_load_dword v17, v14, s[0:3], 0 offen offset:24
	buffer_load_dword v18, v14, s[0:3], 0 offen offset:28
	buffer_load_dword v19, v14, s[0:3], 0 offen offset:16
	buffer_load_dword v20, v14, s[0:3], 0 offen offset:20
	ds_read_b128 v[13:16], v13 offset:16
	s_waitcnt vmcnt(2) lgkmcnt(0)
	v_mul_f64 v[21:22], v[15:16], v[17:18]
	v_mul_f64 v[17:18], v[13:14], v[17:18]
	s_waitcnt vmcnt(0)
	v_fma_f64 v[13:14], v[13:14], v[19:20], -v[21:22]
	v_fma_f64 v[15:16], v[15:16], v[19:20], v[17:18]
	v_add_f64 v[0:1], v[0:1], v[13:14]
	v_add_f64 v[2:3], v[2:3], v[15:16]
	s_and_saveexec_b32 s5, s4
	s_cbranch_execz .LBB3_45
; %bb.44:
	s_clause 0x3
	buffer_load_dword v17, off, s[0:3], 0 offset:40
	buffer_load_dword v18, off, s[0:3], 0 offset:44
	;; [unrolled: 1-line block ×4, first 2 shown]
	v_mov_b32_e32 v4, 0
	ds_read_b128 v[13:16], v4 offset:96
	s_waitcnt vmcnt(2) lgkmcnt(0)
	v_mul_f64 v[21:22], v[13:14], v[17:18]
	v_mul_f64 v[17:18], v[15:16], v[17:18]
	s_waitcnt vmcnt(0)
	v_fma_f64 v[15:16], v[15:16], v[19:20], v[21:22]
	v_fma_f64 v[13:14], v[13:14], v[19:20], -v[17:18]
	v_add_f64 v[2:3], v[2:3], v[15:16]
	v_add_f64 v[0:1], v[0:1], v[13:14]
.LBB3_45:
	s_or_b32 exec_lo, exec_lo, s5
.LBB3_46:
	s_or_b32 exec_lo, exec_lo, s11
	v_mov_b32_e32 v4, 0
	s_mov_b32 s12, 56
	s_or_b32 s8, s8, exec_lo
	ds_read_b128 v[13:16], v4 offset:48
	s_waitcnt lgkmcnt(0)
	v_mul_f64 v[17:18], v[2:3], v[15:16]
	v_mul_f64 v[15:16], v[0:1], v[15:16]
	v_fma_f64 v[17:18], v[0:1], v[13:14], -v[17:18]
	v_fma_f64 v[1:2], v[2:3], v[13:14], v[15:16]
	buffer_store_dword v18, off, s[0:3], 0 offset:52
	buffer_store_dword v17, off, s[0:3], 0 offset:48
.LBB3_47:
	s_or_b32 exec_lo, exec_lo, s10
.LBB3_48:
	s_and_saveexec_b32 s4, s8
	s_cbranch_execz .LBB3_50
; %bb.49:
	v_mov_b32_e32 v0, s12
	buffer_store_dword v2, v0, s[0:3], 0 offen offset:4
	buffer_store_dword v1, v0, s[0:3], 0 offen
.LBB3_50:
	s_or_b32 exec_lo, exec_lo, s4
	v_mov_b32_e32 v20, s7
	v_mov_b32_e32 v4, s9
	s_clause 0x7
	buffer_load_dword v0, off, s[0:3], 0
	buffer_load_dword v1, off, s[0:3], 0 offset:4
	buffer_load_dword v2, off, s[0:3], 0 offset:8
	buffer_load_dword v3, off, s[0:3], 0 offset:12
	buffer_load_dword v13, v4, s[0:3], 0 offen
	buffer_load_dword v14, v4, s[0:3], 0 offen offset:4
	buffer_load_dword v15, v4, s[0:3], 0 offen offset:8
	;; [unrolled: 1-line block ×3, first 2 shown]
	v_mov_b32_e32 v4, s6
	s_clause 0x7
	buffer_load_dword v17, v20, s[0:3], 0 offen
	buffer_load_dword v18, v20, s[0:3], 0 offen offset:4
	buffer_load_dword v19, v20, s[0:3], 0 offen offset:8
	;; [unrolled: 1-line block ×3, first 2 shown]
	buffer_load_dword v21, v4, s[0:3], 0 offen
	buffer_load_dword v22, v4, s[0:3], 0 offen offset:4
	buffer_load_dword v23, v4, s[0:3], 0 offen offset:8
	;; [unrolled: 1-line block ×3, first 2 shown]
	s_waitcnt vmcnt(12)
	global_store_dwordx4 v[5:6], v[0:3], off
	s_waitcnt vmcnt(8)
	global_store_dwordx4 v[9:10], v[13:16], off
	s_waitcnt vmcnt(4)
	global_store_dwordx4 v[11:12], v[17:20], off
	s_waitcnt vmcnt(0)
	global_store_dwordx4 v[7:8], v[21:24], off
.LBB3_51:
	s_endpgm
	.section	.rodata,"a",@progbits
	.p2align	6, 0x0
	.amdhsa_kernel _ZN9rocsolver6v33100L18trti2_kernel_smallILi4E19rocblas_complex_numIdEPS3_EEv13rocblas_fill_17rocblas_diagonal_T1_iil
		.amdhsa_group_segment_fixed_size 128
		.amdhsa_private_segment_fixed_size 80
		.amdhsa_kernarg_size 32
		.amdhsa_user_sgpr_count 6
		.amdhsa_user_sgpr_private_segment_buffer 1
		.amdhsa_user_sgpr_dispatch_ptr 0
		.amdhsa_user_sgpr_queue_ptr 0
		.amdhsa_user_sgpr_kernarg_segment_ptr 1
		.amdhsa_user_sgpr_dispatch_id 0
		.amdhsa_user_sgpr_flat_scratch_init 0
		.amdhsa_user_sgpr_private_segment_size 0
		.amdhsa_wavefront_size32 1
		.amdhsa_uses_dynamic_stack 0
		.amdhsa_system_sgpr_private_segment_wavefront_offset 1
		.amdhsa_system_sgpr_workgroup_id_x 1
		.amdhsa_system_sgpr_workgroup_id_y 0
		.amdhsa_system_sgpr_workgroup_id_z 0
		.amdhsa_system_sgpr_workgroup_info 0
		.amdhsa_system_vgpr_workitem_id 0
		.amdhsa_next_free_vgpr 28
		.amdhsa_next_free_sgpr 16
		.amdhsa_reserve_vcc 1
		.amdhsa_reserve_flat_scratch 0
		.amdhsa_float_round_mode_32 0
		.amdhsa_float_round_mode_16_64 0
		.amdhsa_float_denorm_mode_32 3
		.amdhsa_float_denorm_mode_16_64 3
		.amdhsa_dx10_clamp 1
		.amdhsa_ieee_mode 1
		.amdhsa_fp16_overflow 0
		.amdhsa_workgroup_processor_mode 1
		.amdhsa_memory_ordered 1
		.amdhsa_forward_progress 1
		.amdhsa_shared_vgpr_count 0
		.amdhsa_exception_fp_ieee_invalid_op 0
		.amdhsa_exception_fp_denorm_src 0
		.amdhsa_exception_fp_ieee_div_zero 0
		.amdhsa_exception_fp_ieee_overflow 0
		.amdhsa_exception_fp_ieee_underflow 0
		.amdhsa_exception_fp_ieee_inexact 0
		.amdhsa_exception_int_div_zero 0
	.end_amdhsa_kernel
	.section	.text._ZN9rocsolver6v33100L18trti2_kernel_smallILi4E19rocblas_complex_numIdEPS3_EEv13rocblas_fill_17rocblas_diagonal_T1_iil,"axG",@progbits,_ZN9rocsolver6v33100L18trti2_kernel_smallILi4E19rocblas_complex_numIdEPS3_EEv13rocblas_fill_17rocblas_diagonal_T1_iil,comdat
.Lfunc_end3:
	.size	_ZN9rocsolver6v33100L18trti2_kernel_smallILi4E19rocblas_complex_numIdEPS3_EEv13rocblas_fill_17rocblas_diagonal_T1_iil, .Lfunc_end3-_ZN9rocsolver6v33100L18trti2_kernel_smallILi4E19rocblas_complex_numIdEPS3_EEv13rocblas_fill_17rocblas_diagonal_T1_iil
                                        ; -- End function
	.set _ZN9rocsolver6v33100L18trti2_kernel_smallILi4E19rocblas_complex_numIdEPS3_EEv13rocblas_fill_17rocblas_diagonal_T1_iil.num_vgpr, 28
	.set _ZN9rocsolver6v33100L18trti2_kernel_smallILi4E19rocblas_complex_numIdEPS3_EEv13rocblas_fill_17rocblas_diagonal_T1_iil.num_agpr, 0
	.set _ZN9rocsolver6v33100L18trti2_kernel_smallILi4E19rocblas_complex_numIdEPS3_EEv13rocblas_fill_17rocblas_diagonal_T1_iil.numbered_sgpr, 16
	.set _ZN9rocsolver6v33100L18trti2_kernel_smallILi4E19rocblas_complex_numIdEPS3_EEv13rocblas_fill_17rocblas_diagonal_T1_iil.num_named_barrier, 0
	.set _ZN9rocsolver6v33100L18trti2_kernel_smallILi4E19rocblas_complex_numIdEPS3_EEv13rocblas_fill_17rocblas_diagonal_T1_iil.private_seg_size, 80
	.set _ZN9rocsolver6v33100L18trti2_kernel_smallILi4E19rocblas_complex_numIdEPS3_EEv13rocblas_fill_17rocblas_diagonal_T1_iil.uses_vcc, 1
	.set _ZN9rocsolver6v33100L18trti2_kernel_smallILi4E19rocblas_complex_numIdEPS3_EEv13rocblas_fill_17rocblas_diagonal_T1_iil.uses_flat_scratch, 0
	.set _ZN9rocsolver6v33100L18trti2_kernel_smallILi4E19rocblas_complex_numIdEPS3_EEv13rocblas_fill_17rocblas_diagonal_T1_iil.has_dyn_sized_stack, 0
	.set _ZN9rocsolver6v33100L18trti2_kernel_smallILi4E19rocblas_complex_numIdEPS3_EEv13rocblas_fill_17rocblas_diagonal_T1_iil.has_recursion, 0
	.set _ZN9rocsolver6v33100L18trti2_kernel_smallILi4E19rocblas_complex_numIdEPS3_EEv13rocblas_fill_17rocblas_diagonal_T1_iil.has_indirect_call, 0
	.section	.AMDGPU.csdata,"",@progbits
; Kernel info:
; codeLenInByte = 3460
; TotalNumSgprs: 18
; NumVgprs: 28
; ScratchSize: 80
; MemoryBound: 0
; FloatMode: 240
; IeeeMode: 1
; LDSByteSize: 128 bytes/workgroup (compile time only)
; SGPRBlocks: 0
; VGPRBlocks: 3
; NumSGPRsForWavesPerEU: 18
; NumVGPRsForWavesPerEU: 28
; Occupancy: 16
; WaveLimiterHint : 0
; COMPUTE_PGM_RSRC2:SCRATCH_EN: 1
; COMPUTE_PGM_RSRC2:USER_SGPR: 6
; COMPUTE_PGM_RSRC2:TRAP_HANDLER: 0
; COMPUTE_PGM_RSRC2:TGID_X_EN: 1
; COMPUTE_PGM_RSRC2:TGID_Y_EN: 0
; COMPUTE_PGM_RSRC2:TGID_Z_EN: 0
; COMPUTE_PGM_RSRC2:TIDIG_COMP_CNT: 0
	.section	.text._ZN9rocsolver6v33100L18trti2_kernel_smallILi5E19rocblas_complex_numIdEPS3_EEv13rocblas_fill_17rocblas_diagonal_T1_iil,"axG",@progbits,_ZN9rocsolver6v33100L18trti2_kernel_smallILi5E19rocblas_complex_numIdEPS3_EEv13rocblas_fill_17rocblas_diagonal_T1_iil,comdat
	.globl	_ZN9rocsolver6v33100L18trti2_kernel_smallILi5E19rocblas_complex_numIdEPS3_EEv13rocblas_fill_17rocblas_diagonal_T1_iil ; -- Begin function _ZN9rocsolver6v33100L18trti2_kernel_smallILi5E19rocblas_complex_numIdEPS3_EEv13rocblas_fill_17rocblas_diagonal_T1_iil
	.p2align	8
	.type	_ZN9rocsolver6v33100L18trti2_kernel_smallILi5E19rocblas_complex_numIdEPS3_EEv13rocblas_fill_17rocblas_diagonal_T1_iil,@function
_ZN9rocsolver6v33100L18trti2_kernel_smallILi5E19rocblas_complex_numIdEPS3_EEv13rocblas_fill_17rocblas_diagonal_T1_iil: ; @_ZN9rocsolver6v33100L18trti2_kernel_smallILi5E19rocblas_complex_numIdEPS3_EEv13rocblas_fill_17rocblas_diagonal_T1_iil
; %bb.0:
	s_add_u32 s0, s0, s7
	s_addc_u32 s1, s1, 0
	s_mov_b32 s7, exec_lo
	v_cmpx_gt_u32_e32 5, v0
	s_cbranch_execz .LBB4_67
; %bb.1:
	s_load_dwordx8 s[8:15], s[4:5], 0x0
	s_ashr_i32 s7, s6, 31
	v_lshlrev_b32_e32 v21, 4, v0
	s_waitcnt lgkmcnt(0)
	v_add3_u32 v1, s13, s13, v0
	s_ashr_i32 s5, s12, 31
	s_mov_b32 s4, s12
	s_mul_hi_u32 s12, s14, s6
	s_mul_i32 s7, s14, s7
	s_mul_i32 s15, s15, s6
	s_add_i32 s7, s12, s7
	v_add_nc_u32_e32 v7, s13, v1
	s_mul_i32 s6, s14, s6
	s_add_i32 s7, s7, s15
	v_ashrrev_i32_e32 v2, 31, v1
	s_lshl_b64 s[6:7], s[6:7], 4
	v_add_nc_u32_e32 v11, s13, v7
	s_add_u32 s6, s10, s6
	s_addc_u32 s7, s11, s7
	s_lshl_b64 s[4:5], s[4:5], 4
	v_ashrrev_i32_e32 v8, 31, v7
	s_add_u32 s4, s6, s4
	s_addc_u32 s5, s7, s5
	v_add_co_u32 v5, s6, s4, v21
	v_ashrrev_i32_e32 v12, 31, v11
	s_mov_b32 s12, s13
	v_lshlrev_b64 v[9:10], 4, v[1:2]
	s_ashr_i32 s13, s13, 31
	v_add_co_ci_u32_e64 v6, null, s5, 0, s6
	s_lshl_b64 s[6:7], s[12:13], 4
	v_lshlrev_b64 v[13:14], 4, v[7:8]
	v_add_co_u32 v7, vcc_lo, v5, s6
	v_lshlrev_b64 v[11:12], 4, v[11:12]
	v_add_co_ci_u32_e64 v8, null, s7, v6, vcc_lo
	v_add_co_u32 v9, vcc_lo, s4, v9
	v_add_co_ci_u32_e64 v10, null, s5, v10, vcc_lo
	v_add_co_u32 v13, vcc_lo, s4, v13
	v_add_co_ci_u32_e64 v14, null, s5, v14, vcc_lo
	v_add_co_u32 v11, vcc_lo, s4, v11
	v_add_co_ci_u32_e64 v12, null, s5, v12, vcc_lo
	s_clause 0x4
	global_load_dwordx4 v[1:4], v21, s[4:5]
	global_load_dwordx4 v[15:18], v[7:8], off
	global_load_dwordx4 v[22:25], v[9:10], off
	;; [unrolled: 1-line block ×4, first 2 shown]
	s_cmpk_lg_i32 s9, 0x84
	s_waitcnt vmcnt(4)
	buffer_store_dword v4, off, s[0:3], 0 offset:12
	buffer_store_dword v3, off, s[0:3], 0 offset:8
	;; [unrolled: 1-line block ×3, first 2 shown]
	buffer_store_dword v1, off, s[0:3], 0
	s_waitcnt vmcnt(3)
	buffer_store_dword v18, off, s[0:3], 0 offset:28
	buffer_store_dword v17, off, s[0:3], 0 offset:24
	buffer_store_dword v16, off, s[0:3], 0 offset:20
	buffer_store_dword v15, off, s[0:3], 0 offset:16
	s_waitcnt vmcnt(2)
	buffer_store_dword v25, off, s[0:3], 0 offset:44
	buffer_store_dword v24, off, s[0:3], 0 offset:40
	buffer_store_dword v23, off, s[0:3], 0 offset:36
	buffer_store_dword v22, off, s[0:3], 0 offset:32
	;; [unrolled: 5-line block ×4, first 2 shown]
	s_cselect_b32 s11, -1, 0
	s_cmpk_eq_i32 s9, 0x84
	s_cbranch_scc1 .LBB4_7
; %bb.2:
	v_lshl_add_u32 v22, v0, 4, 0
                                        ; implicit-def: $vgpr17_vgpr18
                                        ; implicit-def: $vgpr3_vgpr4
	s_clause 0x3
	buffer_load_dword v15, v22, s[0:3], 0 offen
	buffer_load_dword v16, v22, s[0:3], 0 offen offset:4
	buffer_load_dword v19, v22, s[0:3], 0 offen offset:8
	;; [unrolled: 1-line block ×3, first 2 shown]
	s_waitcnt vmcnt(0)
	v_cmp_ngt_f64_e64 s4, |v[15:16]|, |v[19:20]|
	s_and_saveexec_b32 s5, s4
	s_xor_b32 s4, exec_lo, s5
	s_cbranch_execz .LBB4_4
; %bb.3:
	v_div_scale_f64 v[1:2], null, v[19:20], v[19:20], v[15:16]
	v_div_scale_f64 v[23:24], vcc_lo, v[15:16], v[19:20], v[15:16]
	v_rcp_f64_e32 v[3:4], v[1:2]
	v_fma_f64 v[17:18], -v[1:2], v[3:4], 1.0
	v_fma_f64 v[3:4], v[3:4], v[17:18], v[3:4]
	v_fma_f64 v[17:18], -v[1:2], v[3:4], 1.0
	v_fma_f64 v[3:4], v[3:4], v[17:18], v[3:4]
	v_mul_f64 v[17:18], v[23:24], v[3:4]
	v_fma_f64 v[1:2], -v[1:2], v[17:18], v[23:24]
	v_div_fmas_f64 v[1:2], v[1:2], v[3:4], v[17:18]
	v_div_fixup_f64 v[1:2], v[1:2], v[19:20], v[15:16]
	v_fma_f64 v[3:4], v[15:16], v[1:2], v[19:20]
	v_div_scale_f64 v[15:16], null, v[3:4], v[3:4], 1.0
	v_div_scale_f64 v[23:24], vcc_lo, 1.0, v[3:4], 1.0
	v_rcp_f64_e32 v[17:18], v[15:16]
	v_fma_f64 v[19:20], -v[15:16], v[17:18], 1.0
	v_fma_f64 v[17:18], v[17:18], v[19:20], v[17:18]
	v_fma_f64 v[19:20], -v[15:16], v[17:18], 1.0
	v_fma_f64 v[17:18], v[17:18], v[19:20], v[17:18]
	v_mul_f64 v[19:20], v[23:24], v[17:18]
	v_fma_f64 v[15:16], -v[15:16], v[19:20], v[23:24]
	v_div_fmas_f64 v[15:16], v[15:16], v[17:18], v[19:20]
                                        ; implicit-def: $vgpr19_vgpr20
	v_div_fixup_f64 v[3:4], v[15:16], v[3:4], 1.0
                                        ; implicit-def: $vgpr15_vgpr16
	v_mul_f64 v[17:18], v[1:2], v[3:4]
	v_xor_b32_e32 v4, 0x80000000, v4
	v_xor_b32_e32 v2, 0x80000000, v18
	v_mov_b32_e32 v1, v17
.LBB4_4:
	s_andn2_saveexec_b32 s4, s4
	s_cbranch_execz .LBB4_6
; %bb.5:
	v_div_scale_f64 v[1:2], null, v[15:16], v[15:16], v[19:20]
	v_div_scale_f64 v[23:24], vcc_lo, v[19:20], v[15:16], v[19:20]
	v_rcp_f64_e32 v[3:4], v[1:2]
	v_fma_f64 v[17:18], -v[1:2], v[3:4], 1.0
	v_fma_f64 v[3:4], v[3:4], v[17:18], v[3:4]
	v_fma_f64 v[17:18], -v[1:2], v[3:4], 1.0
	v_fma_f64 v[3:4], v[3:4], v[17:18], v[3:4]
	v_mul_f64 v[17:18], v[23:24], v[3:4]
	v_fma_f64 v[1:2], -v[1:2], v[17:18], v[23:24]
	v_div_fmas_f64 v[1:2], v[1:2], v[3:4], v[17:18]
	v_div_fixup_f64 v[1:2], v[1:2], v[15:16], v[19:20]
	v_fma_f64 v[3:4], v[19:20], v[1:2], v[15:16]
	v_div_scale_f64 v[15:16], null, v[3:4], v[3:4], 1.0
	v_rcp_f64_e32 v[17:18], v[15:16]
	v_fma_f64 v[19:20], -v[15:16], v[17:18], 1.0
	v_fma_f64 v[17:18], v[17:18], v[19:20], v[17:18]
	v_fma_f64 v[19:20], -v[15:16], v[17:18], 1.0
	v_fma_f64 v[17:18], v[17:18], v[19:20], v[17:18]
	v_div_scale_f64 v[19:20], vcc_lo, 1.0, v[3:4], 1.0
	v_mul_f64 v[23:24], v[19:20], v[17:18]
	v_fma_f64 v[15:16], -v[15:16], v[23:24], v[19:20]
	v_div_fmas_f64 v[15:16], v[15:16], v[17:18], v[23:24]
	v_div_fixup_f64 v[17:18], v[15:16], v[3:4], 1.0
	v_mul_f64 v[3:4], v[1:2], -v[17:18]
	v_xor_b32_e32 v2, 0x80000000, v18
	v_mov_b32_e32 v1, v17
.LBB4_6:
	s_or_b32 exec_lo, exec_lo, s4
	buffer_store_dword v4, v22, s[0:3], 0 offen offset:12
	v_xor_b32_e32 v4, 0x80000000, v4
	buffer_store_dword v18, v22, s[0:3], 0 offen offset:4
	buffer_store_dword v17, v22, s[0:3], 0 offen
	buffer_store_dword v3, v22, s[0:3], 0 offen offset:8
	s_branch .LBB4_8
.LBB4_7:
	v_mov_b32_e32 v1, 0
	v_mov_b32_e32 v3, 0
	;; [unrolled: 1-line block ×4, first 2 shown]
.LBB4_8:
	v_add_nc_u32_e32 v16, 0x50, v21
	v_mov_b32_e32 v15, v21
	s_mov_b32 s10, 16
	s_mov_b32 s9, 32
	;; [unrolled: 1-line block ×4, first 2 shown]
	s_cmpk_eq_i32 s8, 0x79
	ds_write_b128 v21, v[1:4]
	s_cbranch_scc1 .LBB4_36
; %bb.9:
	v_mov_b32_e32 v4, s7
	v_cmp_eq_u32_e64 s4, 4, v0
	s_clause 0x3
	buffer_load_dword v1, v4, s[0:3], 0 offen
	buffer_load_dword v2, v4, s[0:3], 0 offen offset:4
	buffer_load_dword v3, v4, s[0:3], 0 offen offset:8
	;; [unrolled: 1-line block ×3, first 2 shown]
	s_waitcnt vmcnt(0)
	ds_write_b128 v16, v[1:4]
	s_waitcnt lgkmcnt(0)
	s_waitcnt_vscnt null, 0x0
	s_barrier
	buffer_gl0_inv
	s_and_saveexec_b32 s5, s4
	s_cbranch_execz .LBB4_13
; %bb.10:
	ds_read_b128 v[1:4], v16
	s_andn2_b32 vcc_lo, exec_lo, s11
	s_cbranch_vccnz .LBB4_12
; %bb.11:
	s_clause 0x3
	buffer_load_dword v17, v15, s[0:3], 0 offen offset:8
	buffer_load_dword v18, v15, s[0:3], 0 offen offset:12
	buffer_load_dword v19, v15, s[0:3], 0 offen
	buffer_load_dword v20, v15, s[0:3], 0 offen offset:4
	s_waitcnt vmcnt(2) lgkmcnt(0)
	v_mul_f64 v[22:23], v[3:4], v[17:18]
	v_mul_f64 v[17:18], v[1:2], v[17:18]
	s_waitcnt vmcnt(0)
	v_fma_f64 v[1:2], v[1:2], v[19:20], -v[22:23]
	v_fma_f64 v[3:4], v[3:4], v[19:20], v[17:18]
.LBB4_12:
	v_mov_b32_e32 v17, 0
	ds_read_b128 v[17:20], v17 offset:48
	s_waitcnt lgkmcnt(0)
	v_mul_f64 v[22:23], v[3:4], v[19:20]
	v_mul_f64 v[19:20], v[1:2], v[19:20]
	v_fma_f64 v[1:2], v[1:2], v[17:18], -v[22:23]
	v_fma_f64 v[3:4], v[3:4], v[17:18], v[19:20]
	buffer_store_dword v2, off, s[0:3], 0 offset:52
	buffer_store_dword v1, off, s[0:3], 0 offset:48
	;; [unrolled: 1-line block ×4, first 2 shown]
.LBB4_13:
	s_or_b32 exec_lo, exec_lo, s5
	v_mov_b32_e32 v4, s9
	v_cmp_lt_u32_e64 s5, 2, v0
	s_clause 0x3
	buffer_load_dword v1, v4, s[0:3], 0 offen
	buffer_load_dword v2, v4, s[0:3], 0 offen offset:4
	buffer_load_dword v3, v4, s[0:3], 0 offen offset:8
	;; [unrolled: 1-line block ×3, first 2 shown]
	s_waitcnt vmcnt(0)
	ds_write_b128 v16, v[1:4]
	s_waitcnt lgkmcnt(0)
	s_waitcnt_vscnt null, 0x0
	s_barrier
	buffer_gl0_inv
	s_and_saveexec_b32 s8, s5
	s_cbranch_execz .LBB4_19
; %bb.14:
	ds_read_b128 v[1:4], v16
	s_andn2_b32 vcc_lo, exec_lo, s11
	s_cbranch_vccnz .LBB4_16
; %bb.15:
	s_clause 0x3
	buffer_load_dword v17, v15, s[0:3], 0 offen offset:8
	buffer_load_dword v18, v15, s[0:3], 0 offen offset:12
	buffer_load_dword v19, v15, s[0:3], 0 offen
	buffer_load_dword v20, v15, s[0:3], 0 offen offset:4
	s_waitcnt vmcnt(2) lgkmcnt(0)
	v_mul_f64 v[22:23], v[3:4], v[17:18]
	v_mul_f64 v[17:18], v[1:2], v[17:18]
	s_waitcnt vmcnt(0)
	v_fma_f64 v[1:2], v[1:2], v[19:20], -v[22:23]
	v_fma_f64 v[3:4], v[3:4], v[19:20], v[17:18]
.LBB4_16:
	s_and_saveexec_b32 s12, s4
	s_cbranch_execz .LBB4_18
; %bb.17:
	s_clause 0x3
	buffer_load_dword v22, off, s[0:3], 0 offset:56
	buffer_load_dword v23, off, s[0:3], 0 offset:60
	;; [unrolled: 1-line block ×4, first 2 shown]
	v_mov_b32_e32 v17, 0
	ds_read_b128 v[17:20], v17 offset:128
	s_waitcnt vmcnt(2) lgkmcnt(0)
	v_mul_f64 v[26:27], v[17:18], v[22:23]
	v_mul_f64 v[22:23], v[19:20], v[22:23]
	s_waitcnt vmcnt(0)
	v_fma_f64 v[19:20], v[19:20], v[24:25], v[26:27]
	v_fma_f64 v[17:18], v[17:18], v[24:25], -v[22:23]
	v_add_f64 v[3:4], v[3:4], v[19:20]
	v_add_f64 v[1:2], v[1:2], v[17:18]
.LBB4_18:
	s_or_b32 exec_lo, exec_lo, s12
	v_mov_b32_e32 v17, 0
	ds_read_b128 v[17:20], v17 offset:32
	s_waitcnt lgkmcnt(0)
	v_mul_f64 v[22:23], v[3:4], v[19:20]
	v_mul_f64 v[19:20], v[1:2], v[19:20]
	v_fma_f64 v[1:2], v[1:2], v[17:18], -v[22:23]
	v_fma_f64 v[3:4], v[3:4], v[17:18], v[19:20]
	buffer_store_dword v2, off, s[0:3], 0 offset:36
	buffer_store_dword v1, off, s[0:3], 0 offset:32
	buffer_store_dword v4, off, s[0:3], 0 offset:44
	buffer_store_dword v3, off, s[0:3], 0 offset:40
.LBB4_19:
	s_or_b32 exec_lo, exec_lo, s8
	v_mov_b32_e32 v4, s10
	v_cmp_lt_u32_e64 s4, 1, v0
	s_clause 0x3
	buffer_load_dword v1, v4, s[0:3], 0 offen
	buffer_load_dword v2, v4, s[0:3], 0 offen offset:4
	buffer_load_dword v3, v4, s[0:3], 0 offen offset:8
	;; [unrolled: 1-line block ×3, first 2 shown]
	s_waitcnt vmcnt(0)
	ds_write_b128 v16, v[1:4]
	s_waitcnt lgkmcnt(0)
	s_waitcnt_vscnt null, 0x0
	s_barrier
	buffer_gl0_inv
	s_and_saveexec_b32 s8, s4
	s_cbranch_execz .LBB4_27
; %bb.20:
	ds_read_b128 v[1:4], v16
	s_andn2_b32 vcc_lo, exec_lo, s11
	s_cbranch_vccnz .LBB4_22
; %bb.21:
	s_clause 0x3
	buffer_load_dword v17, v15, s[0:3], 0 offen offset:8
	buffer_load_dword v18, v15, s[0:3], 0 offen offset:12
	buffer_load_dword v19, v15, s[0:3], 0 offen
	buffer_load_dword v20, v15, s[0:3], 0 offen offset:4
	s_waitcnt vmcnt(2) lgkmcnt(0)
	v_mul_f64 v[22:23], v[3:4], v[17:18]
	v_mul_f64 v[17:18], v[1:2], v[17:18]
	s_waitcnt vmcnt(0)
	v_fma_f64 v[1:2], v[1:2], v[19:20], -v[22:23]
	v_fma_f64 v[3:4], v[3:4], v[19:20], v[17:18]
.LBB4_22:
	s_and_saveexec_b32 s12, s5
	s_cbranch_execz .LBB4_26
; %bb.23:
	v_add_nc_u32_e32 v17, -2, v0
	s_movk_i32 s13, 0x70
	s_mov_b32 s5, 0
	s_mov_b32 s14, s9
	.p2align	6
.LBB4_24:                               ; =>This Inner Loop Header: Depth=1
	v_mov_b32_e32 v20, s14
	v_add_nc_u32_e32 v17, -1, v17
	s_add_i32 s14, s14, 16
	s_clause 0x3
	buffer_load_dword v18, v20, s[0:3], 0 offen offset:8
	buffer_load_dword v19, v20, s[0:3], 0 offen offset:12
	buffer_load_dword v26, v20, s[0:3], 0 offen
	buffer_load_dword v27, v20, s[0:3], 0 offen offset:4
	v_mov_b32_e32 v20, s13
	v_cmp_eq_u32_e32 vcc_lo, 0, v17
	s_add_i32 s13, s13, 16
	ds_read_b128 v[22:25], v20
	s_or_b32 s5, vcc_lo, s5
	s_waitcnt vmcnt(2) lgkmcnt(0)
	v_mul_f64 v[28:29], v[24:25], v[18:19]
	v_mul_f64 v[18:19], v[22:23], v[18:19]
	s_waitcnt vmcnt(0)
	v_fma_f64 v[22:23], v[22:23], v[26:27], -v[28:29]
	v_fma_f64 v[18:19], v[24:25], v[26:27], v[18:19]
	v_add_f64 v[1:2], v[1:2], v[22:23]
	v_add_f64 v[3:4], v[3:4], v[18:19]
	s_andn2_b32 exec_lo, exec_lo, s5
	s_cbranch_execnz .LBB4_24
; %bb.25:
	s_or_b32 exec_lo, exec_lo, s5
.LBB4_26:
	s_or_b32 exec_lo, exec_lo, s12
	v_mov_b32_e32 v17, 0
	ds_read_b128 v[17:20], v17 offset:16
	s_waitcnt lgkmcnt(0)
	v_mul_f64 v[22:23], v[3:4], v[19:20]
	v_mul_f64 v[19:20], v[1:2], v[19:20]
	v_fma_f64 v[1:2], v[1:2], v[17:18], -v[22:23]
	v_fma_f64 v[3:4], v[3:4], v[17:18], v[19:20]
	buffer_store_dword v2, off, s[0:3], 0 offset:20
	buffer_store_dword v1, off, s[0:3], 0 offset:16
	;; [unrolled: 1-line block ×4, first 2 shown]
.LBB4_27:
	s_or_b32 exec_lo, exec_lo, s8
	s_clause 0x3
	buffer_load_dword v1, off, s[0:3], 0
	buffer_load_dword v2, off, s[0:3], 0 offset:4
	buffer_load_dword v3, off, s[0:3], 0 offset:8
	;; [unrolled: 1-line block ×3, first 2 shown]
	s_mov_b32 s5, 0
	s_mov_b32 s8, 0
	s_mov_b32 s12, exec_lo
                                        ; implicit-def: $sgpr13
	s_waitcnt vmcnt(0)
	ds_write_b128 v16, v[1:4]
	s_waitcnt lgkmcnt(0)
	s_waitcnt_vscnt null, 0x0
	s_barrier
	buffer_gl0_inv
                                        ; implicit-def: $vgpr1_vgpr2
	v_cmpx_ne_u32_e32 0, v0
	s_cbranch_execz .LBB4_35
; %bb.28:
	ds_read_b128 v[1:4], v16
	s_andn2_b32 vcc_lo, exec_lo, s11
	s_cbranch_vccnz .LBB4_30
; %bb.29:
	s_clause 0x3
	buffer_load_dword v17, v15, s[0:3], 0 offen offset:8
	buffer_load_dword v18, v15, s[0:3], 0 offen offset:12
	buffer_load_dword v19, v15, s[0:3], 0 offen
	buffer_load_dword v20, v15, s[0:3], 0 offen offset:4
	s_waitcnt vmcnt(2) lgkmcnt(0)
	v_mul_f64 v[22:23], v[3:4], v[17:18]
	v_mul_f64 v[17:18], v[1:2], v[17:18]
	s_waitcnt vmcnt(0)
	v_fma_f64 v[1:2], v[1:2], v[19:20], -v[22:23]
	v_fma_f64 v[3:4], v[3:4], v[19:20], v[17:18]
.LBB4_30:
	s_and_saveexec_b32 s8, s4
	s_cbranch_execz .LBB4_34
; %bb.31:
	v_add_nc_u32_e32 v17, -1, v0
	s_movk_i32 s13, 0x60
	s_mov_b32 s4, 0
	s_mov_b32 s14, s10
	.p2align	6
.LBB4_32:                               ; =>This Inner Loop Header: Depth=1
	v_mov_b32_e32 v20, s14
	v_add_nc_u32_e32 v17, -1, v17
	s_add_i32 s14, s14, 16
	s_clause 0x3
	buffer_load_dword v18, v20, s[0:3], 0 offen offset:8
	buffer_load_dword v19, v20, s[0:3], 0 offen offset:12
	buffer_load_dword v26, v20, s[0:3], 0 offen
	buffer_load_dword v27, v20, s[0:3], 0 offen offset:4
	v_mov_b32_e32 v20, s13
	v_cmp_eq_u32_e32 vcc_lo, 0, v17
	s_add_i32 s13, s13, 16
	ds_read_b128 v[22:25], v20
	s_or_b32 s4, vcc_lo, s4
	s_waitcnt vmcnt(2) lgkmcnt(0)
	v_mul_f64 v[28:29], v[24:25], v[18:19]
	v_mul_f64 v[18:19], v[22:23], v[18:19]
	s_waitcnt vmcnt(0)
	v_fma_f64 v[22:23], v[22:23], v[26:27], -v[28:29]
	v_fma_f64 v[18:19], v[24:25], v[26:27], v[18:19]
	v_add_f64 v[1:2], v[1:2], v[22:23]
	v_add_f64 v[3:4], v[3:4], v[18:19]
	s_andn2_b32 exec_lo, exec_lo, s4
	s_cbranch_execnz .LBB4_32
; %bb.33:
	s_or_b32 exec_lo, exec_lo, s4
.LBB4_34:
	s_or_b32 exec_lo, exec_lo, s8
	v_mov_b32_e32 v17, 0
	s_mov_b32 s8, exec_lo
	s_or_b32 s13, 0, 8
	ds_read_b128 v[17:20], v17
	s_waitcnt lgkmcnt(0)
	v_mul_f64 v[22:23], v[3:4], v[19:20]
	v_mul_f64 v[19:20], v[1:2], v[19:20]
	v_fma_f64 v[22:23], v[1:2], v[17:18], -v[22:23]
	v_fma_f64 v[1:2], v[3:4], v[17:18], v[19:20]
	buffer_store_dword v23, off, s[0:3], 0 offset:4
	buffer_store_dword v22, off, s[0:3], 0
.LBB4_35:
	s_or_b32 exec_lo, exec_lo, s12
	s_and_b32 vcc_lo, exec_lo, s5
	s_cbranch_vccnz .LBB4_37
	s_branch .LBB4_64
.LBB4_36:
	s_mov_b32 s8, 0
                                        ; implicit-def: $vgpr1_vgpr2
                                        ; implicit-def: $sgpr13
	s_cbranch_execz .LBB4_64
.LBB4_37:
	v_mov_b32_e32 v4, s10
	v_cmp_eq_u32_e64 s4, 0, v0
	v_cndmask_b32_e64 v17, 0, 1, s11
	s_clause 0x3
	buffer_load_dword v1, v4, s[0:3], 0 offen
	buffer_load_dword v2, v4, s[0:3], 0 offen offset:4
	buffer_load_dword v3, v4, s[0:3], 0 offen offset:8
	buffer_load_dword v4, v4, s[0:3], 0 offen offset:12
	s_waitcnt vmcnt(0)
	ds_write_b128 v16, v[1:4]
	s_waitcnt lgkmcnt(0)
	s_waitcnt_vscnt null, 0x0
	s_barrier
	buffer_gl0_inv
	s_and_saveexec_b32 s5, s4
	s_cbranch_execz .LBB4_41
; %bb.38:
	ds_read_b128 v[1:4], v16
	s_andn2_b32 vcc_lo, exec_lo, s11
	s_cbranch_vccnz .LBB4_40
; %bb.39:
	s_clause 0x3
	buffer_load_dword v18, v15, s[0:3], 0 offen offset:8
	buffer_load_dword v19, v15, s[0:3], 0 offen offset:12
	buffer_load_dword v22, v15, s[0:3], 0 offen
	buffer_load_dword v23, v15, s[0:3], 0 offen offset:4
	s_waitcnt vmcnt(2) lgkmcnt(0)
	v_mul_f64 v[24:25], v[3:4], v[18:19]
	v_mul_f64 v[18:19], v[1:2], v[18:19]
	s_waitcnt vmcnt(0)
	v_fma_f64 v[1:2], v[1:2], v[22:23], -v[24:25]
	v_fma_f64 v[3:4], v[3:4], v[22:23], v[18:19]
.LBB4_40:
	v_mov_b32_e32 v18, 0
	ds_read_b128 v[22:25], v18 offset:16
	s_waitcnt lgkmcnt(0)
	v_mul_f64 v[18:19], v[3:4], v[24:25]
	v_mul_f64 v[24:25], v[1:2], v[24:25]
	v_fma_f64 v[1:2], v[1:2], v[22:23], -v[18:19]
	v_fma_f64 v[3:4], v[3:4], v[22:23], v[24:25]
	buffer_store_dword v2, off, s[0:3], 0 offset:20
	buffer_store_dword v1, off, s[0:3], 0 offset:16
	;; [unrolled: 1-line block ×4, first 2 shown]
.LBB4_41:
	s_or_b32 exec_lo, exec_lo, s5
	v_mov_b32_e32 v4, s9
	s_mov_b32 s5, exec_lo
	s_clause 0x3
	buffer_load_dword v1, v4, s[0:3], 0 offen
	buffer_load_dword v2, v4, s[0:3], 0 offen offset:4
	buffer_load_dword v3, v4, s[0:3], 0 offen offset:8
	;; [unrolled: 1-line block ×3, first 2 shown]
	s_waitcnt vmcnt(0)
	ds_write_b128 v16, v[1:4]
	s_waitcnt lgkmcnt(0)
	s_waitcnt_vscnt null, 0x0
	s_barrier
	buffer_gl0_inv
	v_cmpx_gt_u32_e32 2, v0
	s_cbranch_execz .LBB4_47
; %bb.42:
	ds_read_b128 v[1:4], v16
	v_cmp_ne_u32_e32 vcc_lo, 1, v17
	s_cbranch_vccnz .LBB4_44
; %bb.43:
	s_clause 0x3
	buffer_load_dword v18, v15, s[0:3], 0 offen offset:8
	buffer_load_dword v19, v15, s[0:3], 0 offen offset:12
	buffer_load_dword v22, v15, s[0:3], 0 offen
	buffer_load_dword v23, v15, s[0:3], 0 offen offset:4
	s_waitcnt vmcnt(2) lgkmcnt(0)
	v_mul_f64 v[24:25], v[3:4], v[18:19]
	v_mul_f64 v[18:19], v[1:2], v[18:19]
	s_waitcnt vmcnt(0)
	v_fma_f64 v[1:2], v[1:2], v[22:23], -v[24:25]
	v_fma_f64 v[3:4], v[3:4], v[22:23], v[18:19]
.LBB4_44:
	s_and_saveexec_b32 s11, s4
	s_cbranch_execz .LBB4_46
; %bb.45:
	s_clause 0x3
	buffer_load_dword v18, off, s[0:3], 0 offset:24
	buffer_load_dword v19, off, s[0:3], 0 offset:28
	;; [unrolled: 1-line block ×4, first 2 shown]
	v_mov_b32_e32 v20, 0
	ds_read_b128 v[22:25], v20 offset:96
	s_waitcnt vmcnt(2) lgkmcnt(0)
	v_mul_f64 v[28:29], v[24:25], v[18:19]
	v_mul_f64 v[18:19], v[22:23], v[18:19]
	s_waitcnt vmcnt(0)
	v_fma_f64 v[22:23], v[22:23], v[26:27], -v[28:29]
	v_fma_f64 v[18:19], v[24:25], v[26:27], v[18:19]
	v_add_f64 v[1:2], v[1:2], v[22:23]
	v_add_f64 v[3:4], v[3:4], v[18:19]
.LBB4_46:
	s_or_b32 exec_lo, exec_lo, s11
	v_mov_b32_e32 v18, 0
	ds_read_b128 v[22:25], v18 offset:32
	s_waitcnt lgkmcnt(0)
	v_mul_f64 v[18:19], v[3:4], v[24:25]
	v_mul_f64 v[24:25], v[1:2], v[24:25]
	v_fma_f64 v[1:2], v[1:2], v[22:23], -v[18:19]
	v_fma_f64 v[3:4], v[3:4], v[22:23], v[24:25]
	buffer_store_dword v2, off, s[0:3], 0 offset:36
	buffer_store_dword v1, off, s[0:3], 0 offset:32
	;; [unrolled: 1-line block ×4, first 2 shown]
.LBB4_47:
	s_or_b32 exec_lo, exec_lo, s5
	v_mov_b32_e32 v4, s7
	v_cmp_gt_u32_e64 s5, 3, v0
	s_clause 0x3
	buffer_load_dword v1, v4, s[0:3], 0 offen
	buffer_load_dword v2, v4, s[0:3], 0 offen offset:4
	buffer_load_dword v3, v4, s[0:3], 0 offen offset:8
	buffer_load_dword v4, v4, s[0:3], 0 offen offset:12
	s_waitcnt vmcnt(0)
	ds_write_b128 v16, v[1:4]
	s_waitcnt lgkmcnt(0)
	s_waitcnt_vscnt null, 0x0
	s_barrier
	buffer_gl0_inv
	s_and_saveexec_b32 s11, s5
	s_cbranch_execz .LBB4_55
; %bb.48:
	ds_read_b128 v[1:4], v16
	v_cmp_ne_u32_e32 vcc_lo, 1, v17
	s_cbranch_vccnz .LBB4_50
; %bb.49:
	s_clause 0x3
	buffer_load_dword v18, v15, s[0:3], 0 offen offset:8
	buffer_load_dword v19, v15, s[0:3], 0 offen offset:12
	buffer_load_dword v22, v15, s[0:3], 0 offen
	buffer_load_dword v23, v15, s[0:3], 0 offen offset:4
	s_waitcnt vmcnt(2) lgkmcnt(0)
	v_mul_f64 v[24:25], v[3:4], v[18:19]
	v_mul_f64 v[18:19], v[1:2], v[18:19]
	s_waitcnt vmcnt(0)
	v_fma_f64 v[1:2], v[1:2], v[22:23], -v[24:25]
	v_fma_f64 v[3:4], v[3:4], v[22:23], v[18:19]
.LBB4_50:
	s_mov_b32 s12, exec_lo
	v_cmpx_ne_u32_e32 2, v0
	s_cbranch_execz .LBB4_54
; %bb.51:
	s_clause 0x3
	buffer_load_dword v18, v15, s[0:3], 0 offen offset:24
	buffer_load_dword v19, v15, s[0:3], 0 offen offset:28
	;; [unrolled: 1-line block ×4, first 2 shown]
	ds_read_b128 v[22:25], v16 offset:16
	s_waitcnt vmcnt(2) lgkmcnt(0)
	v_mul_f64 v[28:29], v[24:25], v[18:19]
	v_mul_f64 v[18:19], v[22:23], v[18:19]
	s_waitcnt vmcnt(0)
	v_fma_f64 v[22:23], v[22:23], v[26:27], -v[28:29]
	v_fma_f64 v[18:19], v[24:25], v[26:27], v[18:19]
	v_add_f64 v[1:2], v[1:2], v[22:23]
	v_add_f64 v[3:4], v[3:4], v[18:19]
	s_and_saveexec_b32 s13, s4
	s_cbranch_execz .LBB4_53
; %bb.52:
	s_clause 0x3
	buffer_load_dword v18, off, s[0:3], 0 offset:40
	buffer_load_dword v19, off, s[0:3], 0 offset:44
	;; [unrolled: 1-line block ×4, first 2 shown]
	v_mov_b32_e32 v20, 0
	ds_read_b128 v[22:25], v20 offset:112
	s_waitcnt vmcnt(2) lgkmcnt(0)
	v_mul_f64 v[28:29], v[22:23], v[18:19]
	v_mul_f64 v[18:19], v[24:25], v[18:19]
	s_waitcnt vmcnt(0)
	v_fma_f64 v[24:25], v[24:25], v[26:27], v[28:29]
	v_fma_f64 v[18:19], v[22:23], v[26:27], -v[18:19]
	v_add_f64 v[3:4], v[3:4], v[24:25]
	v_add_f64 v[1:2], v[1:2], v[18:19]
.LBB4_53:
	s_or_b32 exec_lo, exec_lo, s13
.LBB4_54:
	s_or_b32 exec_lo, exec_lo, s12
	v_mov_b32_e32 v18, 0
	ds_read_b128 v[22:25], v18 offset:48
	s_waitcnt lgkmcnt(0)
	v_mul_f64 v[18:19], v[3:4], v[24:25]
	v_mul_f64 v[24:25], v[1:2], v[24:25]
	v_fma_f64 v[1:2], v[1:2], v[22:23], -v[18:19]
	v_fma_f64 v[3:4], v[3:4], v[22:23], v[24:25]
	buffer_store_dword v2, off, s[0:3], 0 offset:52
	buffer_store_dword v1, off, s[0:3], 0 offset:48
	;; [unrolled: 1-line block ×4, first 2 shown]
.LBB4_55:
	s_or_b32 exec_lo, exec_lo, s11
	v_mov_b32_e32 v4, s6
	s_mov_b32 s4, exec_lo
                                        ; implicit-def: $sgpr13
	s_clause 0x3
	buffer_load_dword v1, v4, s[0:3], 0 offen
	buffer_load_dword v2, v4, s[0:3], 0 offen offset:4
	buffer_load_dword v3, v4, s[0:3], 0 offen offset:8
	buffer_load_dword v4, v4, s[0:3], 0 offen offset:12
	s_waitcnt vmcnt(0)
	ds_write_b128 v16, v[1:4]
	s_waitcnt lgkmcnt(0)
	s_waitcnt_vscnt null, 0x0
	s_barrier
	buffer_gl0_inv
                                        ; implicit-def: $vgpr1_vgpr2
	v_cmpx_ne_u32_e32 4, v0
	s_cbranch_execz .LBB4_63
; %bb.56:
	ds_read_b128 v[1:4], v16
	v_cmp_ne_u32_e32 vcc_lo, 1, v17
	s_cbranch_vccnz .LBB4_58
; %bb.57:
	s_clause 0x3
	buffer_load_dword v16, v15, s[0:3], 0 offen offset:8
	buffer_load_dword v17, v15, s[0:3], 0 offen offset:12
	buffer_load_dword v18, v15, s[0:3], 0 offen
	buffer_load_dword v19, v15, s[0:3], 0 offen offset:4
	s_waitcnt vmcnt(2) lgkmcnt(0)
	v_mul_f64 v[22:23], v[3:4], v[16:17]
	v_mul_f64 v[15:16], v[1:2], v[16:17]
	s_waitcnt vmcnt(0)
	v_fma_f64 v[1:2], v[1:2], v[18:19], -v[22:23]
	v_fma_f64 v[3:4], v[3:4], v[18:19], v[15:16]
.LBB4_58:
	s_and_saveexec_b32 s11, s5
	s_cbranch_execz .LBB4_62
; %bb.59:
	v_add_nc_u32_e32 v15, 0x60, v21
	v_add3_u32 v16, 0, v21, 16
	s_mov_b32 s5, 0
	.p2align	6
.LBB4_60:                               ; =>This Inner Loop Header: Depth=1
	s_clause 0x3
	buffer_load_dword v21, v16, s[0:3], 0 offen offset:8
	buffer_load_dword v22, v16, s[0:3], 0 offen offset:12
	buffer_load_dword v23, v16, s[0:3], 0 offen
	buffer_load_dword v24, v16, s[0:3], 0 offen offset:4
	ds_read_b128 v[17:20], v15
	v_add_nc_u32_e32 v0, 1, v0
	v_add_nc_u32_e32 v15, 16, v15
	;; [unrolled: 1-line block ×3, first 2 shown]
	v_cmp_lt_u32_e32 vcc_lo, 2, v0
	s_or_b32 s5, vcc_lo, s5
	s_waitcnt vmcnt(2) lgkmcnt(0)
	v_mul_f64 v[25:26], v[19:20], v[21:22]
	v_mul_f64 v[21:22], v[17:18], v[21:22]
	s_waitcnt vmcnt(0)
	v_fma_f64 v[17:18], v[17:18], v[23:24], -v[25:26]
	v_fma_f64 v[19:20], v[19:20], v[23:24], v[21:22]
	v_add_f64 v[1:2], v[1:2], v[17:18]
	v_add_f64 v[3:4], v[3:4], v[19:20]
	s_andn2_b32 exec_lo, exec_lo, s5
	s_cbranch_execnz .LBB4_60
; %bb.61:
	s_or_b32 exec_lo, exec_lo, s5
.LBB4_62:
	s_or_b32 exec_lo, exec_lo, s11
	v_mov_b32_e32 v0, 0
	s_movk_i32 s13, 0x48
	s_or_b32 s8, s8, exec_lo
	ds_read_b128 v[15:18], v0 offset:64
	s_waitcnt lgkmcnt(0)
	v_mul_f64 v[19:20], v[3:4], v[17:18]
	v_mul_f64 v[17:18], v[1:2], v[17:18]
	v_fma_f64 v[19:20], v[1:2], v[15:16], -v[19:20]
	v_fma_f64 v[1:2], v[3:4], v[15:16], v[17:18]
	buffer_store_dword v20, off, s[0:3], 0 offset:68
	buffer_store_dword v19, off, s[0:3], 0 offset:64
.LBB4_63:
	s_or_b32 exec_lo, exec_lo, s4
.LBB4_64:
	s_and_saveexec_b32 s4, s8
	s_cbranch_execz .LBB4_66
; %bb.65:
	v_mov_b32_e32 v0, s13
	buffer_store_dword v2, v0, s[0:3], 0 offen offset:4
	buffer_store_dword v1, v0, s[0:3], 0 offen
.LBB4_66:
	s_or_b32 exec_lo, exec_lo, s4
	v_mov_b32_e32 v22, s9
	v_mov_b32_e32 v4, s10
	s_clause 0x7
	buffer_load_dword v0, off, s[0:3], 0
	buffer_load_dword v1, off, s[0:3], 0 offset:4
	buffer_load_dword v2, off, s[0:3], 0 offset:8
	buffer_load_dword v3, off, s[0:3], 0 offset:12
	buffer_load_dword v15, v4, s[0:3], 0 offen
	buffer_load_dword v16, v4, s[0:3], 0 offen offset:4
	buffer_load_dword v17, v4, s[0:3], 0 offen offset:8
	buffer_load_dword v18, v4, s[0:3], 0 offen offset:12
	v_mov_b32_e32 v4, s7
	v_mov_b32_e32 v30, s6
	s_clause 0xb
	buffer_load_dword v19, v22, s[0:3], 0 offen
	buffer_load_dword v20, v22, s[0:3], 0 offen offset:4
	buffer_load_dword v21, v22, s[0:3], 0 offen offset:8
	buffer_load_dword v22, v22, s[0:3], 0 offen offset:12
	buffer_load_dword v23, v4, s[0:3], 0 offen
	buffer_load_dword v24, v4, s[0:3], 0 offen offset:4
	buffer_load_dword v25, v4, s[0:3], 0 offen offset:8
	buffer_load_dword v26, v4, s[0:3], 0 offen offset:12
	;; [unrolled: 4-line block ×3, first 2 shown]
	s_waitcnt vmcnt(16)
	global_store_dwordx4 v[5:6], v[0:3], off
	s_waitcnt vmcnt(12)
	global_store_dwordx4 v[7:8], v[15:18], off
	;; [unrolled: 2-line block ×5, first 2 shown]
.LBB4_67:
	s_endpgm
	.section	.rodata,"a",@progbits
	.p2align	6, 0x0
	.amdhsa_kernel _ZN9rocsolver6v33100L18trti2_kernel_smallILi5E19rocblas_complex_numIdEPS3_EEv13rocblas_fill_17rocblas_diagonal_T1_iil
		.amdhsa_group_segment_fixed_size 160
		.amdhsa_private_segment_fixed_size 96
		.amdhsa_kernarg_size 32
		.amdhsa_user_sgpr_count 6
		.amdhsa_user_sgpr_private_segment_buffer 1
		.amdhsa_user_sgpr_dispatch_ptr 0
		.amdhsa_user_sgpr_queue_ptr 0
		.amdhsa_user_sgpr_kernarg_segment_ptr 1
		.amdhsa_user_sgpr_dispatch_id 0
		.amdhsa_user_sgpr_flat_scratch_init 0
		.amdhsa_user_sgpr_private_segment_size 0
		.amdhsa_wavefront_size32 1
		.amdhsa_uses_dynamic_stack 0
		.amdhsa_system_sgpr_private_segment_wavefront_offset 1
		.amdhsa_system_sgpr_workgroup_id_x 1
		.amdhsa_system_sgpr_workgroup_id_y 0
		.amdhsa_system_sgpr_workgroup_id_z 0
		.amdhsa_system_sgpr_workgroup_info 0
		.amdhsa_system_vgpr_workitem_id 0
		.amdhsa_next_free_vgpr 34
		.amdhsa_next_free_sgpr 16
		.amdhsa_reserve_vcc 1
		.amdhsa_reserve_flat_scratch 0
		.amdhsa_float_round_mode_32 0
		.amdhsa_float_round_mode_16_64 0
		.amdhsa_float_denorm_mode_32 3
		.amdhsa_float_denorm_mode_16_64 3
		.amdhsa_dx10_clamp 1
		.amdhsa_ieee_mode 1
		.amdhsa_fp16_overflow 0
		.amdhsa_workgroup_processor_mode 1
		.amdhsa_memory_ordered 1
		.amdhsa_forward_progress 1
		.amdhsa_shared_vgpr_count 0
		.amdhsa_exception_fp_ieee_invalid_op 0
		.amdhsa_exception_fp_denorm_src 0
		.amdhsa_exception_fp_ieee_div_zero 0
		.amdhsa_exception_fp_ieee_overflow 0
		.amdhsa_exception_fp_ieee_underflow 0
		.amdhsa_exception_fp_ieee_inexact 0
		.amdhsa_exception_int_div_zero 0
	.end_amdhsa_kernel
	.section	.text._ZN9rocsolver6v33100L18trti2_kernel_smallILi5E19rocblas_complex_numIdEPS3_EEv13rocblas_fill_17rocblas_diagonal_T1_iil,"axG",@progbits,_ZN9rocsolver6v33100L18trti2_kernel_smallILi5E19rocblas_complex_numIdEPS3_EEv13rocblas_fill_17rocblas_diagonal_T1_iil,comdat
.Lfunc_end4:
	.size	_ZN9rocsolver6v33100L18trti2_kernel_smallILi5E19rocblas_complex_numIdEPS3_EEv13rocblas_fill_17rocblas_diagonal_T1_iil, .Lfunc_end4-_ZN9rocsolver6v33100L18trti2_kernel_smallILi5E19rocblas_complex_numIdEPS3_EEv13rocblas_fill_17rocblas_diagonal_T1_iil
                                        ; -- End function
	.set _ZN9rocsolver6v33100L18trti2_kernel_smallILi5E19rocblas_complex_numIdEPS3_EEv13rocblas_fill_17rocblas_diagonal_T1_iil.num_vgpr, 34
	.set _ZN9rocsolver6v33100L18trti2_kernel_smallILi5E19rocblas_complex_numIdEPS3_EEv13rocblas_fill_17rocblas_diagonal_T1_iil.num_agpr, 0
	.set _ZN9rocsolver6v33100L18trti2_kernel_smallILi5E19rocblas_complex_numIdEPS3_EEv13rocblas_fill_17rocblas_diagonal_T1_iil.numbered_sgpr, 16
	.set _ZN9rocsolver6v33100L18trti2_kernel_smallILi5E19rocblas_complex_numIdEPS3_EEv13rocblas_fill_17rocblas_diagonal_T1_iil.num_named_barrier, 0
	.set _ZN9rocsolver6v33100L18trti2_kernel_smallILi5E19rocblas_complex_numIdEPS3_EEv13rocblas_fill_17rocblas_diagonal_T1_iil.private_seg_size, 96
	.set _ZN9rocsolver6v33100L18trti2_kernel_smallILi5E19rocblas_complex_numIdEPS3_EEv13rocblas_fill_17rocblas_diagonal_T1_iil.uses_vcc, 1
	.set _ZN9rocsolver6v33100L18trti2_kernel_smallILi5E19rocblas_complex_numIdEPS3_EEv13rocblas_fill_17rocblas_diagonal_T1_iil.uses_flat_scratch, 0
	.set _ZN9rocsolver6v33100L18trti2_kernel_smallILi5E19rocblas_complex_numIdEPS3_EEv13rocblas_fill_17rocblas_diagonal_T1_iil.has_dyn_sized_stack, 0
	.set _ZN9rocsolver6v33100L18trti2_kernel_smallILi5E19rocblas_complex_numIdEPS3_EEv13rocblas_fill_17rocblas_diagonal_T1_iil.has_recursion, 0
	.set _ZN9rocsolver6v33100L18trti2_kernel_smallILi5E19rocblas_complex_numIdEPS3_EEv13rocblas_fill_17rocblas_diagonal_T1_iil.has_indirect_call, 0
	.section	.AMDGPU.csdata,"",@progbits
; Kernel info:
; codeLenInByte = 4460
; TotalNumSgprs: 18
; NumVgprs: 34
; ScratchSize: 96
; MemoryBound: 0
; FloatMode: 240
; IeeeMode: 1
; LDSByteSize: 160 bytes/workgroup (compile time only)
; SGPRBlocks: 0
; VGPRBlocks: 4
; NumSGPRsForWavesPerEU: 18
; NumVGPRsForWavesPerEU: 34
; Occupancy: 16
; WaveLimiterHint : 0
; COMPUTE_PGM_RSRC2:SCRATCH_EN: 1
; COMPUTE_PGM_RSRC2:USER_SGPR: 6
; COMPUTE_PGM_RSRC2:TRAP_HANDLER: 0
; COMPUTE_PGM_RSRC2:TGID_X_EN: 1
; COMPUTE_PGM_RSRC2:TGID_Y_EN: 0
; COMPUTE_PGM_RSRC2:TGID_Z_EN: 0
; COMPUTE_PGM_RSRC2:TIDIG_COMP_CNT: 0
	.section	.text._ZN9rocsolver6v33100L18trti2_kernel_smallILi6E19rocblas_complex_numIdEPS3_EEv13rocblas_fill_17rocblas_diagonal_T1_iil,"axG",@progbits,_ZN9rocsolver6v33100L18trti2_kernel_smallILi6E19rocblas_complex_numIdEPS3_EEv13rocblas_fill_17rocblas_diagonal_T1_iil,comdat
	.globl	_ZN9rocsolver6v33100L18trti2_kernel_smallILi6E19rocblas_complex_numIdEPS3_EEv13rocblas_fill_17rocblas_diagonal_T1_iil ; -- Begin function _ZN9rocsolver6v33100L18trti2_kernel_smallILi6E19rocblas_complex_numIdEPS3_EEv13rocblas_fill_17rocblas_diagonal_T1_iil
	.p2align	8
	.type	_ZN9rocsolver6v33100L18trti2_kernel_smallILi6E19rocblas_complex_numIdEPS3_EEv13rocblas_fill_17rocblas_diagonal_T1_iil,@function
_ZN9rocsolver6v33100L18trti2_kernel_smallILi6E19rocblas_complex_numIdEPS3_EEv13rocblas_fill_17rocblas_diagonal_T1_iil: ; @_ZN9rocsolver6v33100L18trti2_kernel_smallILi6E19rocblas_complex_numIdEPS3_EEv13rocblas_fill_17rocblas_diagonal_T1_iil
; %bb.0:
	s_add_u32 s0, s0, s7
	s_addc_u32 s1, s1, 0
	s_mov_b32 s7, exec_lo
	v_cmpx_gt_u32_e32 6, v0
	s_cbranch_execz .LBB5_83
; %bb.1:
	s_load_dwordx8 s[8:15], s[4:5], 0x0
	s_ashr_i32 s7, s6, 31
	v_lshlrev_b32_e32 v23, 4, v0
	s_waitcnt lgkmcnt(0)
	v_add3_u32 v1, s13, s13, v0
	s_ashr_i32 s5, s12, 31
	s_mov_b32 s4, s12
	s_mul_hi_u32 s12, s14, s6
	s_mul_i32 s7, s14, s7
	v_add_nc_u32_e32 v7, s13, v1
	s_mul_i32 s15, s15, s6
	s_add_i32 s7, s12, s7
	s_mul_i32 s6, s14, s6
	s_add_i32 s7, s7, s15
	v_add_nc_u32_e32 v13, s13, v7
	v_ashrrev_i32_e32 v2, 31, v1
	s_lshl_b64 s[6:7], s[6:7], 4
	v_ashrrev_i32_e32 v8, 31, v7
	s_add_u32 s6, s10, s6
	v_add_nc_u32_e32 v15, s13, v13
	s_addc_u32 s7, s11, s7
	s_lshl_b64 s[4:5], s[4:5], 4
	v_lshlrev_b64 v[9:10], 4, v[1:2]
	s_add_u32 s4, s6, s4
	v_ashrrev_i32_e32 v14, 31, v13
	s_addc_u32 s5, s7, s5
	v_add_co_u32 v5, s6, s4, v23
	v_ashrrev_i32_e32 v16, 31, v15
	s_mov_b32 s14, s13
	s_ashr_i32 s15, s13, 31
	v_lshlrev_b64 v[11:12], 4, v[7:8]
	v_add_co_ci_u32_e64 v6, null, s5, 0, s6
	s_lshl_b64 s[6:7], s[14:15], 4
	v_add_co_u32 v7, vcc_lo, s4, v9
	v_lshlrev_b64 v[13:14], 4, v[13:14]
	v_add_co_ci_u32_e64 v8, null, s5, v10, vcc_lo
	v_add_co_u32 v9, vcc_lo, v5, s6
	v_lshlrev_b64 v[21:22], 4, v[15:16]
	v_add_co_ci_u32_e64 v10, null, s7, v6, vcc_lo
	v_add_co_u32 v11, vcc_lo, s4, v11
	v_add_co_ci_u32_e64 v12, null, s5, v12, vcc_lo
	v_add_co_u32 v15, vcc_lo, s4, v13
	;; [unrolled: 2-line block ×3, first 2 shown]
	v_add_co_ci_u32_e64 v14, null, s5, v22, vcc_lo
	s_clause 0x5
	global_load_dwordx4 v[1:4], v23, s[4:5]
	global_load_dwordx4 v[17:20], v[9:10], off
	global_load_dwordx4 v[24:27], v[7:8], off
	;; [unrolled: 1-line block ×5, first 2 shown]
	s_cmpk_lg_i32 s9, 0x84
	s_movk_i32 s4, 0x50
	s_cselect_b32 s12, -1, 0
	s_cmpk_eq_i32 s9, 0x84
	s_waitcnt vmcnt(5)
	buffer_store_dword v4, off, s[0:3], 0 offset:12
	buffer_store_dword v3, off, s[0:3], 0 offset:8
	;; [unrolled: 1-line block ×3, first 2 shown]
	buffer_store_dword v1, off, s[0:3], 0
	s_waitcnt vmcnt(4)
	buffer_store_dword v20, off, s[0:3], 0 offset:28
	buffer_store_dword v19, off, s[0:3], 0 offset:24
	buffer_store_dword v18, off, s[0:3], 0 offset:20
	buffer_store_dword v17, off, s[0:3], 0 offset:16
	s_waitcnt vmcnt(3)
	buffer_store_dword v27, off, s[0:3], 0 offset:44
	buffer_store_dword v26, off, s[0:3], 0 offset:40
	buffer_store_dword v25, off, s[0:3], 0 offset:36
	buffer_store_dword v24, off, s[0:3], 0 offset:32
	;; [unrolled: 5-line block ×5, first 2 shown]
	s_cbranch_scc1 .LBB5_7
; %bb.2:
	v_lshl_add_u32 v24, v0, 4, 0
                                        ; implicit-def: $vgpr19_vgpr20
                                        ; implicit-def: $vgpr3_vgpr4
	s_clause 0x3
	buffer_load_dword v17, v24, s[0:3], 0 offen
	buffer_load_dword v18, v24, s[0:3], 0 offen offset:4
	buffer_load_dword v21, v24, s[0:3], 0 offen offset:8
	;; [unrolled: 1-line block ×3, first 2 shown]
	s_waitcnt vmcnt(0)
	v_cmp_ngt_f64_e64 s5, |v[17:18]|, |v[21:22]|
	s_and_saveexec_b32 s6, s5
	s_xor_b32 s5, exec_lo, s6
	s_cbranch_execz .LBB5_4
; %bb.3:
	v_div_scale_f64 v[1:2], null, v[21:22], v[21:22], v[17:18]
	v_div_scale_f64 v[25:26], vcc_lo, v[17:18], v[21:22], v[17:18]
	v_rcp_f64_e32 v[3:4], v[1:2]
	v_fma_f64 v[19:20], -v[1:2], v[3:4], 1.0
	v_fma_f64 v[3:4], v[3:4], v[19:20], v[3:4]
	v_fma_f64 v[19:20], -v[1:2], v[3:4], 1.0
	v_fma_f64 v[3:4], v[3:4], v[19:20], v[3:4]
	v_mul_f64 v[19:20], v[25:26], v[3:4]
	v_fma_f64 v[1:2], -v[1:2], v[19:20], v[25:26]
	v_div_fmas_f64 v[1:2], v[1:2], v[3:4], v[19:20]
	v_div_fixup_f64 v[1:2], v[1:2], v[21:22], v[17:18]
	v_fma_f64 v[3:4], v[17:18], v[1:2], v[21:22]
	v_div_scale_f64 v[17:18], null, v[3:4], v[3:4], 1.0
	v_div_scale_f64 v[25:26], vcc_lo, 1.0, v[3:4], 1.0
	v_rcp_f64_e32 v[19:20], v[17:18]
	v_fma_f64 v[21:22], -v[17:18], v[19:20], 1.0
	v_fma_f64 v[19:20], v[19:20], v[21:22], v[19:20]
	v_fma_f64 v[21:22], -v[17:18], v[19:20], 1.0
	v_fma_f64 v[19:20], v[19:20], v[21:22], v[19:20]
	v_mul_f64 v[21:22], v[25:26], v[19:20]
	v_fma_f64 v[17:18], -v[17:18], v[21:22], v[25:26]
	v_div_fmas_f64 v[17:18], v[17:18], v[19:20], v[21:22]
                                        ; implicit-def: $vgpr21_vgpr22
	v_div_fixup_f64 v[3:4], v[17:18], v[3:4], 1.0
                                        ; implicit-def: $vgpr17_vgpr18
	v_mul_f64 v[19:20], v[1:2], v[3:4]
	v_xor_b32_e32 v4, 0x80000000, v4
	v_xor_b32_e32 v2, 0x80000000, v20
	v_mov_b32_e32 v1, v19
.LBB5_4:
	s_andn2_saveexec_b32 s5, s5
	s_cbranch_execz .LBB5_6
; %bb.5:
	v_div_scale_f64 v[1:2], null, v[17:18], v[17:18], v[21:22]
	v_div_scale_f64 v[25:26], vcc_lo, v[21:22], v[17:18], v[21:22]
	v_rcp_f64_e32 v[3:4], v[1:2]
	v_fma_f64 v[19:20], -v[1:2], v[3:4], 1.0
	v_fma_f64 v[3:4], v[3:4], v[19:20], v[3:4]
	v_fma_f64 v[19:20], -v[1:2], v[3:4], 1.0
	v_fma_f64 v[3:4], v[3:4], v[19:20], v[3:4]
	v_mul_f64 v[19:20], v[25:26], v[3:4]
	v_fma_f64 v[1:2], -v[1:2], v[19:20], v[25:26]
	v_div_fmas_f64 v[1:2], v[1:2], v[3:4], v[19:20]
	v_div_fixup_f64 v[1:2], v[1:2], v[17:18], v[21:22]
	v_fma_f64 v[3:4], v[21:22], v[1:2], v[17:18]
	v_div_scale_f64 v[17:18], null, v[3:4], v[3:4], 1.0
	v_rcp_f64_e32 v[19:20], v[17:18]
	v_fma_f64 v[21:22], -v[17:18], v[19:20], 1.0
	v_fma_f64 v[19:20], v[19:20], v[21:22], v[19:20]
	v_fma_f64 v[21:22], -v[17:18], v[19:20], 1.0
	v_fma_f64 v[19:20], v[19:20], v[21:22], v[19:20]
	v_div_scale_f64 v[21:22], vcc_lo, 1.0, v[3:4], 1.0
	v_mul_f64 v[25:26], v[21:22], v[19:20]
	v_fma_f64 v[17:18], -v[17:18], v[25:26], v[21:22]
	v_div_fmas_f64 v[17:18], v[17:18], v[19:20], v[25:26]
	v_div_fixup_f64 v[19:20], v[17:18], v[3:4], 1.0
	v_mul_f64 v[3:4], v[1:2], -v[19:20]
	v_xor_b32_e32 v2, 0x80000000, v20
	v_mov_b32_e32 v1, v19
.LBB5_6:
	s_or_b32 exec_lo, exec_lo, s5
	buffer_store_dword v4, v24, s[0:3], 0 offen offset:12
	v_xor_b32_e32 v4, 0x80000000, v4
	buffer_store_dword v20, v24, s[0:3], 0 offen offset:4
	buffer_store_dword v19, v24, s[0:3], 0 offen
	buffer_store_dword v3, v24, s[0:3], 0 offen offset:8
	s_branch .LBB5_8
.LBB5_7:
	v_mov_b32_e32 v1, 0
	v_mov_b32_e32 v3, 0
	;; [unrolled: 1-line block ×4, first 2 shown]
.LBB5_8:
	v_add_nc_u32_e32 v18, 0x60, v23
	v_mov_b32_e32 v17, v23
	s_mov_b32 s11, 16
	s_mov_b32 s10, 32
	;; [unrolled: 1-line block ×5, first 2 shown]
	s_cmpk_eq_i32 s8, 0x79
	ds_write_b128 v23, v[1:4]
	s_cbranch_scc1 .LBB5_44
; %bb.9:
	v_mov_b32_e32 v4, s7
	v_cmp_eq_u32_e64 s5, 5, v0
	s_clause 0x3
	buffer_load_dword v1, v4, s[0:3], 0 offen
	buffer_load_dword v2, v4, s[0:3], 0 offen offset:4
	buffer_load_dword v3, v4, s[0:3], 0 offen offset:8
	;; [unrolled: 1-line block ×3, first 2 shown]
	s_waitcnt vmcnt(0)
	ds_write_b128 v18, v[1:4]
	s_waitcnt lgkmcnt(0)
	s_waitcnt_vscnt null, 0x0
	s_barrier
	buffer_gl0_inv
	s_and_saveexec_b32 s4, s5
	s_cbranch_execz .LBB5_13
; %bb.10:
	ds_read_b128 v[1:4], v18
	s_andn2_b32 vcc_lo, exec_lo, s12
	s_cbranch_vccnz .LBB5_12
; %bb.11:
	s_clause 0x3
	buffer_load_dword v19, v17, s[0:3], 0 offen offset:8
	buffer_load_dword v20, v17, s[0:3], 0 offen offset:12
	buffer_load_dword v21, v17, s[0:3], 0 offen
	buffer_load_dword v22, v17, s[0:3], 0 offen offset:4
	s_waitcnt vmcnt(2) lgkmcnt(0)
	v_mul_f64 v[24:25], v[3:4], v[19:20]
	v_mul_f64 v[19:20], v[1:2], v[19:20]
	s_waitcnt vmcnt(0)
	v_fma_f64 v[1:2], v[1:2], v[21:22], -v[24:25]
	v_fma_f64 v[3:4], v[3:4], v[21:22], v[19:20]
.LBB5_12:
	v_mov_b32_e32 v19, 0
	ds_read_b128 v[19:22], v19 offset:64
	s_waitcnt lgkmcnt(0)
	v_mul_f64 v[24:25], v[3:4], v[21:22]
	v_mul_f64 v[21:22], v[1:2], v[21:22]
	v_fma_f64 v[1:2], v[1:2], v[19:20], -v[24:25]
	v_fma_f64 v[3:4], v[3:4], v[19:20], v[21:22]
	buffer_store_dword v2, off, s[0:3], 0 offset:68
	buffer_store_dword v1, off, s[0:3], 0 offset:64
	;; [unrolled: 1-line block ×4, first 2 shown]
.LBB5_13:
	s_or_b32 exec_lo, exec_lo, s4
	v_mov_b32_e32 v4, s9
	v_cmp_lt_u32_e64 s4, 3, v0
	s_clause 0x3
	buffer_load_dword v1, v4, s[0:3], 0 offen
	buffer_load_dword v2, v4, s[0:3], 0 offen offset:4
	buffer_load_dword v3, v4, s[0:3], 0 offen offset:8
	;; [unrolled: 1-line block ×3, first 2 shown]
	s_waitcnt vmcnt(0)
	ds_write_b128 v18, v[1:4]
	s_waitcnt lgkmcnt(0)
	s_waitcnt_vscnt null, 0x0
	s_barrier
	buffer_gl0_inv
	s_and_saveexec_b32 s8, s4
	s_cbranch_execz .LBB5_19
; %bb.14:
	ds_read_b128 v[1:4], v18
	s_andn2_b32 vcc_lo, exec_lo, s12
	s_cbranch_vccnz .LBB5_16
; %bb.15:
	s_clause 0x3
	buffer_load_dword v19, v17, s[0:3], 0 offen offset:8
	buffer_load_dword v20, v17, s[0:3], 0 offen offset:12
	buffer_load_dword v21, v17, s[0:3], 0 offen
	buffer_load_dword v22, v17, s[0:3], 0 offen offset:4
	s_waitcnt vmcnt(2) lgkmcnt(0)
	v_mul_f64 v[24:25], v[3:4], v[19:20]
	v_mul_f64 v[19:20], v[1:2], v[19:20]
	s_waitcnt vmcnt(0)
	v_fma_f64 v[1:2], v[1:2], v[21:22], -v[24:25]
	v_fma_f64 v[3:4], v[3:4], v[21:22], v[19:20]
.LBB5_16:
	s_and_saveexec_b32 s13, s5
	s_cbranch_execz .LBB5_18
; %bb.17:
	s_clause 0x3
	buffer_load_dword v24, off, s[0:3], 0 offset:72
	buffer_load_dword v25, off, s[0:3], 0 offset:76
	;; [unrolled: 1-line block ×4, first 2 shown]
	v_mov_b32_e32 v19, 0
	ds_read_b128 v[19:22], v19 offset:160
	s_waitcnt vmcnt(2) lgkmcnt(0)
	v_mul_f64 v[28:29], v[19:20], v[24:25]
	v_mul_f64 v[24:25], v[21:22], v[24:25]
	s_waitcnt vmcnt(0)
	v_fma_f64 v[21:22], v[21:22], v[26:27], v[28:29]
	v_fma_f64 v[19:20], v[19:20], v[26:27], -v[24:25]
	v_add_f64 v[3:4], v[3:4], v[21:22]
	v_add_f64 v[1:2], v[1:2], v[19:20]
.LBB5_18:
	s_or_b32 exec_lo, exec_lo, s13
	v_mov_b32_e32 v19, 0
	ds_read_b128 v[19:22], v19 offset:48
	s_waitcnt lgkmcnt(0)
	v_mul_f64 v[24:25], v[3:4], v[21:22]
	v_mul_f64 v[21:22], v[1:2], v[21:22]
	v_fma_f64 v[1:2], v[1:2], v[19:20], -v[24:25]
	v_fma_f64 v[3:4], v[3:4], v[19:20], v[21:22]
	buffer_store_dword v2, off, s[0:3], 0 offset:52
	buffer_store_dword v1, off, s[0:3], 0 offset:48
	buffer_store_dword v4, off, s[0:3], 0 offset:60
	buffer_store_dword v3, off, s[0:3], 0 offset:56
.LBB5_19:
	s_or_b32 exec_lo, exec_lo, s8
	v_mov_b32_e32 v4, s10
	v_cmp_lt_u32_e64 s5, 2, v0
	s_clause 0x3
	buffer_load_dword v1, v4, s[0:3], 0 offen
	buffer_load_dword v2, v4, s[0:3], 0 offen offset:4
	buffer_load_dword v3, v4, s[0:3], 0 offen offset:8
	;; [unrolled: 1-line block ×3, first 2 shown]
	s_waitcnt vmcnt(0)
	ds_write_b128 v18, v[1:4]
	s_waitcnt lgkmcnt(0)
	s_waitcnt_vscnt null, 0x0
	s_barrier
	buffer_gl0_inv
	s_and_saveexec_b32 s8, s5
	s_cbranch_execz .LBB5_27
; %bb.20:
	ds_read_b128 v[1:4], v18
	s_andn2_b32 vcc_lo, exec_lo, s12
	s_cbranch_vccnz .LBB5_22
; %bb.21:
	s_clause 0x3
	buffer_load_dword v19, v17, s[0:3], 0 offen offset:8
	buffer_load_dword v20, v17, s[0:3], 0 offen offset:12
	buffer_load_dword v21, v17, s[0:3], 0 offen
	buffer_load_dword v22, v17, s[0:3], 0 offen offset:4
	s_waitcnt vmcnt(2) lgkmcnt(0)
	v_mul_f64 v[24:25], v[3:4], v[19:20]
	v_mul_f64 v[19:20], v[1:2], v[19:20]
	s_waitcnt vmcnt(0)
	v_fma_f64 v[1:2], v[1:2], v[21:22], -v[24:25]
	v_fma_f64 v[3:4], v[3:4], v[21:22], v[19:20]
.LBB5_22:
	s_and_saveexec_b32 s13, s4
	s_cbranch_execz .LBB5_26
; %bb.23:
	v_add_nc_u32_e32 v19, -3, v0
	s_movk_i32 s14, 0x90
	s_mov_b32 s4, 0
	s_mov_b32 s15, s9
	.p2align	6
.LBB5_24:                               ; =>This Inner Loop Header: Depth=1
	v_mov_b32_e32 v22, s15
	v_add_nc_u32_e32 v19, -1, v19
	s_add_i32 s15, s15, 16
	s_clause 0x3
	buffer_load_dword v20, v22, s[0:3], 0 offen offset:8
	buffer_load_dword v21, v22, s[0:3], 0 offen offset:12
	buffer_load_dword v28, v22, s[0:3], 0 offen
	buffer_load_dword v29, v22, s[0:3], 0 offen offset:4
	v_mov_b32_e32 v22, s14
	v_cmp_eq_u32_e32 vcc_lo, 0, v19
	s_add_i32 s14, s14, 16
	ds_read_b128 v[24:27], v22
	s_or_b32 s4, vcc_lo, s4
	s_waitcnt vmcnt(2) lgkmcnt(0)
	v_mul_f64 v[30:31], v[26:27], v[20:21]
	v_mul_f64 v[20:21], v[24:25], v[20:21]
	s_waitcnt vmcnt(0)
	v_fma_f64 v[24:25], v[24:25], v[28:29], -v[30:31]
	v_fma_f64 v[20:21], v[26:27], v[28:29], v[20:21]
	v_add_f64 v[1:2], v[1:2], v[24:25]
	v_add_f64 v[3:4], v[3:4], v[20:21]
	s_andn2_b32 exec_lo, exec_lo, s4
	s_cbranch_execnz .LBB5_24
; %bb.25:
	s_or_b32 exec_lo, exec_lo, s4
.LBB5_26:
	s_or_b32 exec_lo, exec_lo, s13
	v_mov_b32_e32 v19, 0
	ds_read_b128 v[19:22], v19 offset:32
	s_waitcnt lgkmcnt(0)
	v_mul_f64 v[24:25], v[3:4], v[21:22]
	v_mul_f64 v[21:22], v[1:2], v[21:22]
	v_fma_f64 v[1:2], v[1:2], v[19:20], -v[24:25]
	v_fma_f64 v[3:4], v[3:4], v[19:20], v[21:22]
	buffer_store_dword v2, off, s[0:3], 0 offset:36
	buffer_store_dword v1, off, s[0:3], 0 offset:32
	;; [unrolled: 1-line block ×4, first 2 shown]
.LBB5_27:
	s_or_b32 exec_lo, exec_lo, s8
	v_mov_b32_e32 v4, s11
	v_cmp_lt_u32_e64 s4, 1, v0
	s_clause 0x3
	buffer_load_dword v1, v4, s[0:3], 0 offen
	buffer_load_dword v2, v4, s[0:3], 0 offen offset:4
	buffer_load_dword v3, v4, s[0:3], 0 offen offset:8
	;; [unrolled: 1-line block ×3, first 2 shown]
	s_waitcnt vmcnt(0)
	ds_write_b128 v18, v[1:4]
	s_waitcnt lgkmcnt(0)
	s_waitcnt_vscnt null, 0x0
	s_barrier
	buffer_gl0_inv
	s_and_saveexec_b32 s8, s4
	s_cbranch_execz .LBB5_35
; %bb.28:
	ds_read_b128 v[1:4], v18
	s_andn2_b32 vcc_lo, exec_lo, s12
	s_cbranch_vccnz .LBB5_30
; %bb.29:
	s_clause 0x3
	buffer_load_dword v19, v17, s[0:3], 0 offen offset:8
	buffer_load_dword v20, v17, s[0:3], 0 offen offset:12
	buffer_load_dword v21, v17, s[0:3], 0 offen
	buffer_load_dword v22, v17, s[0:3], 0 offen offset:4
	s_waitcnt vmcnt(2) lgkmcnt(0)
	v_mul_f64 v[24:25], v[3:4], v[19:20]
	v_mul_f64 v[19:20], v[1:2], v[19:20]
	s_waitcnt vmcnt(0)
	v_fma_f64 v[1:2], v[1:2], v[21:22], -v[24:25]
	v_fma_f64 v[3:4], v[3:4], v[21:22], v[19:20]
.LBB5_30:
	s_and_saveexec_b32 s13, s5
	s_cbranch_execz .LBB5_34
; %bb.31:
	v_add_nc_u32_e32 v19, -2, v0
	s_movk_i32 s14, 0x80
	s_mov_b32 s5, 0
	s_mov_b32 s15, s10
	.p2align	6
.LBB5_32:                               ; =>This Inner Loop Header: Depth=1
	v_mov_b32_e32 v22, s15
	v_add_nc_u32_e32 v19, -1, v19
	s_add_i32 s15, s15, 16
	s_clause 0x3
	buffer_load_dword v20, v22, s[0:3], 0 offen offset:8
	buffer_load_dword v21, v22, s[0:3], 0 offen offset:12
	buffer_load_dword v28, v22, s[0:3], 0 offen
	buffer_load_dword v29, v22, s[0:3], 0 offen offset:4
	v_mov_b32_e32 v22, s14
	v_cmp_eq_u32_e32 vcc_lo, 0, v19
	s_add_i32 s14, s14, 16
	ds_read_b128 v[24:27], v22
	s_or_b32 s5, vcc_lo, s5
	s_waitcnt vmcnt(2) lgkmcnt(0)
	v_mul_f64 v[30:31], v[26:27], v[20:21]
	v_mul_f64 v[20:21], v[24:25], v[20:21]
	s_waitcnt vmcnt(0)
	v_fma_f64 v[24:25], v[24:25], v[28:29], -v[30:31]
	v_fma_f64 v[20:21], v[26:27], v[28:29], v[20:21]
	v_add_f64 v[1:2], v[1:2], v[24:25]
	v_add_f64 v[3:4], v[3:4], v[20:21]
	s_andn2_b32 exec_lo, exec_lo, s5
	s_cbranch_execnz .LBB5_32
; %bb.33:
	s_or_b32 exec_lo, exec_lo, s5
.LBB5_34:
	s_or_b32 exec_lo, exec_lo, s13
	v_mov_b32_e32 v19, 0
	ds_read_b128 v[19:22], v19 offset:16
	s_waitcnt lgkmcnt(0)
	v_mul_f64 v[24:25], v[3:4], v[21:22]
	v_mul_f64 v[21:22], v[1:2], v[21:22]
	v_fma_f64 v[1:2], v[1:2], v[19:20], -v[24:25]
	v_fma_f64 v[3:4], v[3:4], v[19:20], v[21:22]
	buffer_store_dword v2, off, s[0:3], 0 offset:20
	buffer_store_dword v1, off, s[0:3], 0 offset:16
	;; [unrolled: 1-line block ×4, first 2 shown]
.LBB5_35:
	s_or_b32 exec_lo, exec_lo, s8
	s_clause 0x3
	buffer_load_dword v1, off, s[0:3], 0
	buffer_load_dword v2, off, s[0:3], 0 offset:4
	buffer_load_dword v3, off, s[0:3], 0 offset:8
	;; [unrolled: 1-line block ×3, first 2 shown]
	s_mov_b32 s8, 0
	s_mov_b32 s5, 0
	s_mov_b32 s13, exec_lo
                                        ; implicit-def: $sgpr14
	s_waitcnt vmcnt(0)
	ds_write_b128 v18, v[1:4]
	s_waitcnt lgkmcnt(0)
	s_waitcnt_vscnt null, 0x0
	s_barrier
	buffer_gl0_inv
                                        ; implicit-def: $vgpr1_vgpr2
	v_cmpx_ne_u32_e32 0, v0
	s_cbranch_execz .LBB5_43
; %bb.36:
	ds_read_b128 v[1:4], v18
	s_andn2_b32 vcc_lo, exec_lo, s12
	s_cbranch_vccnz .LBB5_38
; %bb.37:
	s_clause 0x3
	buffer_load_dword v19, v17, s[0:3], 0 offen offset:8
	buffer_load_dword v20, v17, s[0:3], 0 offen offset:12
	buffer_load_dword v21, v17, s[0:3], 0 offen
	buffer_load_dword v22, v17, s[0:3], 0 offen offset:4
	s_waitcnt vmcnt(2) lgkmcnt(0)
	v_mul_f64 v[24:25], v[3:4], v[19:20]
	v_mul_f64 v[19:20], v[1:2], v[19:20]
	s_waitcnt vmcnt(0)
	v_fma_f64 v[1:2], v[1:2], v[21:22], -v[24:25]
	v_fma_f64 v[3:4], v[3:4], v[21:22], v[19:20]
.LBB5_38:
	s_and_saveexec_b32 s5, s4
	s_cbranch_execz .LBB5_42
; %bb.39:
	v_add_nc_u32_e32 v19, -1, v0
	s_movk_i32 s14, 0x70
	s_mov_b32 s4, 0
	s_mov_b32 s15, s11
	.p2align	6
.LBB5_40:                               ; =>This Inner Loop Header: Depth=1
	v_mov_b32_e32 v22, s15
	v_add_nc_u32_e32 v19, -1, v19
	s_add_i32 s15, s15, 16
	s_clause 0x3
	buffer_load_dword v20, v22, s[0:3], 0 offen offset:8
	buffer_load_dword v21, v22, s[0:3], 0 offen offset:12
	buffer_load_dword v28, v22, s[0:3], 0 offen
	buffer_load_dword v29, v22, s[0:3], 0 offen offset:4
	v_mov_b32_e32 v22, s14
	v_cmp_eq_u32_e32 vcc_lo, 0, v19
	s_add_i32 s14, s14, 16
	ds_read_b128 v[24:27], v22
	s_or_b32 s4, vcc_lo, s4
	s_waitcnt vmcnt(2) lgkmcnt(0)
	v_mul_f64 v[30:31], v[26:27], v[20:21]
	v_mul_f64 v[20:21], v[24:25], v[20:21]
	s_waitcnt vmcnt(0)
	v_fma_f64 v[24:25], v[24:25], v[28:29], -v[30:31]
	v_fma_f64 v[20:21], v[26:27], v[28:29], v[20:21]
	v_add_f64 v[1:2], v[1:2], v[24:25]
	v_add_f64 v[3:4], v[3:4], v[20:21]
	s_andn2_b32 exec_lo, exec_lo, s4
	s_cbranch_execnz .LBB5_40
; %bb.41:
	s_or_b32 exec_lo, exec_lo, s4
.LBB5_42:
	s_or_b32 exec_lo, exec_lo, s5
	v_mov_b32_e32 v19, 0
	s_mov_b32 s5, exec_lo
	s_or_b32 s14, 0, 8
	ds_read_b128 v[19:22], v19
	s_waitcnt lgkmcnt(0)
	v_mul_f64 v[24:25], v[3:4], v[21:22]
	v_mul_f64 v[21:22], v[1:2], v[21:22]
	v_fma_f64 v[24:25], v[1:2], v[19:20], -v[24:25]
	v_fma_f64 v[1:2], v[3:4], v[19:20], v[21:22]
	buffer_store_dword v25, off, s[0:3], 0 offset:4
	buffer_store_dword v24, off, s[0:3], 0
.LBB5_43:
	s_or_b32 exec_lo, exec_lo, s13
	s_and_b32 vcc_lo, exec_lo, s8
	s_cbranch_vccnz .LBB5_45
	s_branch .LBB5_80
.LBB5_44:
	s_mov_b32 s5, 0
                                        ; implicit-def: $vgpr1_vgpr2
                                        ; implicit-def: $sgpr14
	s_cbranch_execz .LBB5_80
.LBB5_45:
	v_mov_b32_e32 v4, s11
	v_cmp_eq_u32_e64 s4, 0, v0
	v_cndmask_b32_e64 v19, 0, 1, s12
	s_clause 0x3
	buffer_load_dword v1, v4, s[0:3], 0 offen
	buffer_load_dword v2, v4, s[0:3], 0 offen offset:4
	buffer_load_dword v3, v4, s[0:3], 0 offen offset:8
	buffer_load_dword v4, v4, s[0:3], 0 offen offset:12
	s_waitcnt vmcnt(0)
	ds_write_b128 v18, v[1:4]
	s_waitcnt lgkmcnt(0)
	s_waitcnt_vscnt null, 0x0
	s_barrier
	buffer_gl0_inv
	s_and_saveexec_b32 s8, s4
	s_cbranch_execz .LBB5_49
; %bb.46:
	ds_read_b128 v[1:4], v18
	s_andn2_b32 vcc_lo, exec_lo, s12
	s_cbranch_vccnz .LBB5_48
; %bb.47:
	s_clause 0x3
	buffer_load_dword v20, v17, s[0:3], 0 offen offset:8
	buffer_load_dword v21, v17, s[0:3], 0 offen offset:12
	buffer_load_dword v24, v17, s[0:3], 0 offen
	buffer_load_dword v25, v17, s[0:3], 0 offen offset:4
	s_waitcnt vmcnt(2) lgkmcnt(0)
	v_mul_f64 v[26:27], v[3:4], v[20:21]
	v_mul_f64 v[20:21], v[1:2], v[20:21]
	s_waitcnt vmcnt(0)
	v_fma_f64 v[1:2], v[1:2], v[24:25], -v[26:27]
	v_fma_f64 v[3:4], v[3:4], v[24:25], v[20:21]
.LBB5_48:
	v_mov_b32_e32 v20, 0
	ds_read_b128 v[24:27], v20 offset:16
	s_waitcnt lgkmcnt(0)
	v_mul_f64 v[20:21], v[3:4], v[26:27]
	v_mul_f64 v[26:27], v[1:2], v[26:27]
	v_fma_f64 v[1:2], v[1:2], v[24:25], -v[20:21]
	v_fma_f64 v[3:4], v[3:4], v[24:25], v[26:27]
	buffer_store_dword v2, off, s[0:3], 0 offset:20
	buffer_store_dword v1, off, s[0:3], 0 offset:16
	;; [unrolled: 1-line block ×4, first 2 shown]
.LBB5_49:
	s_or_b32 exec_lo, exec_lo, s8
	v_mov_b32_e32 v4, s10
	s_mov_b32 s8, exec_lo
	s_clause 0x3
	buffer_load_dword v1, v4, s[0:3], 0 offen
	buffer_load_dword v2, v4, s[0:3], 0 offen offset:4
	buffer_load_dword v3, v4, s[0:3], 0 offen offset:8
	;; [unrolled: 1-line block ×3, first 2 shown]
	s_waitcnt vmcnt(0)
	ds_write_b128 v18, v[1:4]
	s_waitcnt lgkmcnt(0)
	s_waitcnt_vscnt null, 0x0
	s_barrier
	buffer_gl0_inv
	v_cmpx_gt_u32_e32 2, v0
	s_cbranch_execz .LBB5_55
; %bb.50:
	ds_read_b128 v[1:4], v18
	v_cmp_ne_u32_e32 vcc_lo, 1, v19
	s_cbranch_vccnz .LBB5_52
; %bb.51:
	s_clause 0x3
	buffer_load_dword v20, v17, s[0:3], 0 offen offset:8
	buffer_load_dword v21, v17, s[0:3], 0 offen offset:12
	buffer_load_dword v24, v17, s[0:3], 0 offen
	buffer_load_dword v25, v17, s[0:3], 0 offen offset:4
	s_waitcnt vmcnt(2) lgkmcnt(0)
	v_mul_f64 v[26:27], v[3:4], v[20:21]
	v_mul_f64 v[20:21], v[1:2], v[20:21]
	s_waitcnt vmcnt(0)
	v_fma_f64 v[1:2], v[1:2], v[24:25], -v[26:27]
	v_fma_f64 v[3:4], v[3:4], v[24:25], v[20:21]
.LBB5_52:
	s_and_saveexec_b32 s12, s4
	s_cbranch_execz .LBB5_54
; %bb.53:
	s_clause 0x3
	buffer_load_dword v20, off, s[0:3], 0 offset:24
	buffer_load_dword v21, off, s[0:3], 0 offset:28
	;; [unrolled: 1-line block ×4, first 2 shown]
	v_mov_b32_e32 v22, 0
	ds_read_b128 v[24:27], v22 offset:112
	s_waitcnt vmcnt(2) lgkmcnt(0)
	v_mul_f64 v[30:31], v[26:27], v[20:21]
	v_mul_f64 v[20:21], v[24:25], v[20:21]
	s_waitcnt vmcnt(0)
	v_fma_f64 v[24:25], v[24:25], v[28:29], -v[30:31]
	v_fma_f64 v[20:21], v[26:27], v[28:29], v[20:21]
	v_add_f64 v[1:2], v[1:2], v[24:25]
	v_add_f64 v[3:4], v[3:4], v[20:21]
.LBB5_54:
	s_or_b32 exec_lo, exec_lo, s12
	v_mov_b32_e32 v20, 0
	ds_read_b128 v[24:27], v20 offset:32
	s_waitcnt lgkmcnt(0)
	v_mul_f64 v[20:21], v[3:4], v[26:27]
	v_mul_f64 v[26:27], v[1:2], v[26:27]
	v_fma_f64 v[1:2], v[1:2], v[24:25], -v[20:21]
	v_fma_f64 v[3:4], v[3:4], v[24:25], v[26:27]
	buffer_store_dword v2, off, s[0:3], 0 offset:36
	buffer_store_dword v1, off, s[0:3], 0 offset:32
	;; [unrolled: 1-line block ×4, first 2 shown]
.LBB5_55:
	s_or_b32 exec_lo, exec_lo, s8
	v_mov_b32_e32 v4, s9
	s_mov_b32 s8, exec_lo
	s_clause 0x3
	buffer_load_dword v1, v4, s[0:3], 0 offen
	buffer_load_dword v2, v4, s[0:3], 0 offen offset:4
	buffer_load_dword v3, v4, s[0:3], 0 offen offset:8
	buffer_load_dword v4, v4, s[0:3], 0 offen offset:12
	s_waitcnt vmcnt(0)
	ds_write_b128 v18, v[1:4]
	s_waitcnt lgkmcnt(0)
	s_waitcnt_vscnt null, 0x0
	s_barrier
	buffer_gl0_inv
	v_cmpx_gt_u32_e32 3, v0
	s_cbranch_execz .LBB5_63
; %bb.56:
	ds_read_b128 v[1:4], v18
	v_cmp_ne_u32_e32 vcc_lo, 1, v19
	s_cbranch_vccnz .LBB5_58
; %bb.57:
	s_clause 0x3
	buffer_load_dword v20, v17, s[0:3], 0 offen offset:8
	buffer_load_dword v21, v17, s[0:3], 0 offen offset:12
	buffer_load_dword v24, v17, s[0:3], 0 offen
	buffer_load_dword v25, v17, s[0:3], 0 offen offset:4
	s_waitcnt vmcnt(2) lgkmcnt(0)
	v_mul_f64 v[26:27], v[3:4], v[20:21]
	v_mul_f64 v[20:21], v[1:2], v[20:21]
	s_waitcnt vmcnt(0)
	v_fma_f64 v[1:2], v[1:2], v[24:25], -v[26:27]
	v_fma_f64 v[3:4], v[3:4], v[24:25], v[20:21]
.LBB5_58:
	s_mov_b32 s12, exec_lo
	v_cmpx_ne_u32_e32 2, v0
	s_cbranch_execz .LBB5_62
; %bb.59:
	s_clause 0x3
	buffer_load_dword v20, v17, s[0:3], 0 offen offset:24
	buffer_load_dword v21, v17, s[0:3], 0 offen offset:28
	;; [unrolled: 1-line block ×4, first 2 shown]
	ds_read_b128 v[24:27], v18 offset:16
	s_waitcnt vmcnt(2) lgkmcnt(0)
	v_mul_f64 v[30:31], v[26:27], v[20:21]
	v_mul_f64 v[20:21], v[24:25], v[20:21]
	s_waitcnt vmcnt(0)
	v_fma_f64 v[24:25], v[24:25], v[28:29], -v[30:31]
	v_fma_f64 v[20:21], v[26:27], v[28:29], v[20:21]
	v_add_f64 v[1:2], v[1:2], v[24:25]
	v_add_f64 v[3:4], v[3:4], v[20:21]
	s_and_saveexec_b32 s13, s4
	s_cbranch_execz .LBB5_61
; %bb.60:
	s_clause 0x3
	buffer_load_dword v20, off, s[0:3], 0 offset:40
	buffer_load_dword v21, off, s[0:3], 0 offset:44
	;; [unrolled: 1-line block ×4, first 2 shown]
	v_mov_b32_e32 v22, 0
	ds_read_b128 v[24:27], v22 offset:128
	s_waitcnt vmcnt(2) lgkmcnt(0)
	v_mul_f64 v[30:31], v[24:25], v[20:21]
	v_mul_f64 v[20:21], v[26:27], v[20:21]
	s_waitcnt vmcnt(0)
	v_fma_f64 v[26:27], v[26:27], v[28:29], v[30:31]
	v_fma_f64 v[20:21], v[24:25], v[28:29], -v[20:21]
	v_add_f64 v[3:4], v[3:4], v[26:27]
	v_add_f64 v[1:2], v[1:2], v[20:21]
.LBB5_61:
	s_or_b32 exec_lo, exec_lo, s13
.LBB5_62:
	s_or_b32 exec_lo, exec_lo, s12
	v_mov_b32_e32 v20, 0
	ds_read_b128 v[24:27], v20 offset:48
	s_waitcnt lgkmcnt(0)
	v_mul_f64 v[20:21], v[3:4], v[26:27]
	v_mul_f64 v[26:27], v[1:2], v[26:27]
	v_fma_f64 v[1:2], v[1:2], v[24:25], -v[20:21]
	v_fma_f64 v[3:4], v[3:4], v[24:25], v[26:27]
	buffer_store_dword v2, off, s[0:3], 0 offset:52
	buffer_store_dword v1, off, s[0:3], 0 offset:48
	;; [unrolled: 1-line block ×4, first 2 shown]
.LBB5_63:
	s_or_b32 exec_lo, exec_lo, s8
	v_mov_b32_e32 v4, s7
	v_cmp_gt_u32_e64 s4, 4, v0
	s_clause 0x3
	buffer_load_dword v1, v4, s[0:3], 0 offen
	buffer_load_dword v2, v4, s[0:3], 0 offen offset:4
	buffer_load_dword v3, v4, s[0:3], 0 offen offset:8
	;; [unrolled: 1-line block ×3, first 2 shown]
	s_waitcnt vmcnt(0)
	ds_write_b128 v18, v[1:4]
	s_waitcnt lgkmcnt(0)
	s_waitcnt_vscnt null, 0x0
	s_barrier
	buffer_gl0_inv
	s_and_saveexec_b32 s8, s4
	s_cbranch_execz .LBB5_71
; %bb.64:
	ds_read_b128 v[1:4], v18
	v_cmp_ne_u32_e32 vcc_lo, 1, v19
	s_cbranch_vccnz .LBB5_66
; %bb.65:
	s_clause 0x3
	buffer_load_dword v20, v17, s[0:3], 0 offen offset:8
	buffer_load_dword v21, v17, s[0:3], 0 offen offset:12
	buffer_load_dword v24, v17, s[0:3], 0 offen
	buffer_load_dword v25, v17, s[0:3], 0 offen offset:4
	s_waitcnt vmcnt(2) lgkmcnt(0)
	v_mul_f64 v[26:27], v[3:4], v[20:21]
	v_mul_f64 v[20:21], v[1:2], v[20:21]
	s_waitcnt vmcnt(0)
	v_fma_f64 v[1:2], v[1:2], v[24:25], -v[26:27]
	v_fma_f64 v[3:4], v[3:4], v[24:25], v[20:21]
.LBB5_66:
	s_mov_b32 s12, exec_lo
	v_cmpx_ne_u32_e32 3, v0
	s_cbranch_execz .LBB5_70
; %bb.67:
	v_add_nc_u32_e32 v20, 0x70, v23
	v_add3_u32 v21, 0, v23, 16
	v_mov_b32_e32 v22, v0
	s_mov_b32 s13, 0
	.p2align	6
.LBB5_68:                               ; =>This Inner Loop Header: Depth=1
	s_clause 0x3
	buffer_load_dword v28, v21, s[0:3], 0 offen offset:8
	buffer_load_dword v29, v21, s[0:3], 0 offen offset:12
	buffer_load_dword v30, v21, s[0:3], 0 offen
	buffer_load_dword v31, v21, s[0:3], 0 offen offset:4
	ds_read_b128 v[24:27], v20
	v_add_nc_u32_e32 v22, 1, v22
	v_add_nc_u32_e32 v20, 16, v20
	;; [unrolled: 1-line block ×3, first 2 shown]
	v_cmp_lt_u32_e32 vcc_lo, 2, v22
	s_or_b32 s13, vcc_lo, s13
	s_waitcnt vmcnt(2) lgkmcnt(0)
	v_mul_f64 v[32:33], v[26:27], v[28:29]
	v_mul_f64 v[28:29], v[24:25], v[28:29]
	s_waitcnt vmcnt(0)
	v_fma_f64 v[24:25], v[24:25], v[30:31], -v[32:33]
	v_fma_f64 v[26:27], v[26:27], v[30:31], v[28:29]
	v_add_f64 v[1:2], v[1:2], v[24:25]
	v_add_f64 v[3:4], v[3:4], v[26:27]
	s_andn2_b32 exec_lo, exec_lo, s13
	s_cbranch_execnz .LBB5_68
; %bb.69:
	s_or_b32 exec_lo, exec_lo, s13
.LBB5_70:
	s_or_b32 exec_lo, exec_lo, s12
	v_mov_b32_e32 v20, 0
	ds_read_b128 v[24:27], v20 offset:64
	s_waitcnt lgkmcnt(0)
	v_mul_f64 v[20:21], v[3:4], v[26:27]
	v_mul_f64 v[26:27], v[1:2], v[26:27]
	v_fma_f64 v[1:2], v[1:2], v[24:25], -v[20:21]
	v_fma_f64 v[3:4], v[3:4], v[24:25], v[26:27]
	buffer_store_dword v2, off, s[0:3], 0 offset:68
	buffer_store_dword v1, off, s[0:3], 0 offset:64
	buffer_store_dword v4, off, s[0:3], 0 offset:76
	buffer_store_dword v3, off, s[0:3], 0 offset:72
.LBB5_71:
	s_or_b32 exec_lo, exec_lo, s8
	v_mov_b32_e32 v4, s6
	s_mov_b32 s8, exec_lo
                                        ; implicit-def: $sgpr14
	s_clause 0x3
	buffer_load_dword v1, v4, s[0:3], 0 offen
	buffer_load_dword v2, v4, s[0:3], 0 offen offset:4
	buffer_load_dword v3, v4, s[0:3], 0 offen offset:8
	buffer_load_dword v4, v4, s[0:3], 0 offen offset:12
	s_waitcnt vmcnt(0)
	ds_write_b128 v18, v[1:4]
	s_waitcnt lgkmcnt(0)
	s_waitcnt_vscnt null, 0x0
	s_barrier
	buffer_gl0_inv
                                        ; implicit-def: $vgpr1_vgpr2
	v_cmpx_ne_u32_e32 5, v0
	s_cbranch_execz .LBB5_79
; %bb.72:
	ds_read_b128 v[1:4], v18
	v_cmp_ne_u32_e32 vcc_lo, 1, v19
	s_cbranch_vccnz .LBB5_74
; %bb.73:
	s_clause 0x3
	buffer_load_dword v18, v17, s[0:3], 0 offen offset:8
	buffer_load_dword v19, v17, s[0:3], 0 offen offset:12
	buffer_load_dword v20, v17, s[0:3], 0 offen
	buffer_load_dword v21, v17, s[0:3], 0 offen offset:4
	s_waitcnt vmcnt(2) lgkmcnt(0)
	v_mul_f64 v[24:25], v[3:4], v[18:19]
	v_mul_f64 v[17:18], v[1:2], v[18:19]
	s_waitcnt vmcnt(0)
	v_fma_f64 v[1:2], v[1:2], v[20:21], -v[24:25]
	v_fma_f64 v[3:4], v[3:4], v[20:21], v[17:18]
.LBB5_74:
	s_and_saveexec_b32 s12, s4
	s_cbranch_execz .LBB5_78
; %bb.75:
	v_add_nc_u32_e32 v17, 0x70, v23
	v_add3_u32 v18, 0, v23, 16
	s_mov_b32 s4, 0
	.p2align	6
.LBB5_76:                               ; =>This Inner Loop Header: Depth=1
	s_clause 0x3
	buffer_load_dword v23, v18, s[0:3], 0 offen offset:8
	buffer_load_dword v24, v18, s[0:3], 0 offen offset:12
	buffer_load_dword v25, v18, s[0:3], 0 offen
	buffer_load_dword v26, v18, s[0:3], 0 offen offset:4
	ds_read_b128 v[19:22], v17
	v_add_nc_u32_e32 v0, 1, v0
	v_add_nc_u32_e32 v17, 16, v17
	;; [unrolled: 1-line block ×3, first 2 shown]
	v_cmp_lt_u32_e32 vcc_lo, 3, v0
	s_or_b32 s4, vcc_lo, s4
	s_waitcnt vmcnt(2) lgkmcnt(0)
	v_mul_f64 v[27:28], v[21:22], v[23:24]
	v_mul_f64 v[23:24], v[19:20], v[23:24]
	s_waitcnt vmcnt(0)
	v_fma_f64 v[19:20], v[19:20], v[25:26], -v[27:28]
	v_fma_f64 v[21:22], v[21:22], v[25:26], v[23:24]
	v_add_f64 v[1:2], v[1:2], v[19:20]
	v_add_f64 v[3:4], v[3:4], v[21:22]
	s_andn2_b32 exec_lo, exec_lo, s4
	s_cbranch_execnz .LBB5_76
; %bb.77:
	s_or_b32 exec_lo, exec_lo, s4
.LBB5_78:
	s_or_b32 exec_lo, exec_lo, s12
	v_mov_b32_e32 v0, 0
	s_movk_i32 s14, 0x58
	s_or_b32 s5, s5, exec_lo
	ds_read_b128 v[17:20], v0 offset:80
	s_waitcnt lgkmcnt(0)
	v_mul_f64 v[21:22], v[3:4], v[19:20]
	v_mul_f64 v[19:20], v[1:2], v[19:20]
	v_fma_f64 v[21:22], v[1:2], v[17:18], -v[21:22]
	v_fma_f64 v[1:2], v[3:4], v[17:18], v[19:20]
	buffer_store_dword v22, off, s[0:3], 0 offset:84
	buffer_store_dword v21, off, s[0:3], 0 offset:80
.LBB5_79:
	s_or_b32 exec_lo, exec_lo, s8
.LBB5_80:
	s_and_saveexec_b32 s4, s5
	s_cbranch_execz .LBB5_82
; %bb.81:
	v_mov_b32_e32 v0, s14
	buffer_store_dword v2, v0, s[0:3], 0 offen offset:4
	buffer_store_dword v1, v0, s[0:3], 0 offen
.LBB5_82:
	s_or_b32 exec_lo, exec_lo, s4
	v_mov_b32_e32 v24, s10
	v_mov_b32_e32 v32, s7
	;; [unrolled: 1-line block ×3, first 2 shown]
	s_clause 0x7
	buffer_load_dword v0, off, s[0:3], 0
	buffer_load_dword v1, off, s[0:3], 0 offset:4
	buffer_load_dword v2, off, s[0:3], 0 offset:8
	;; [unrolled: 1-line block ×3, first 2 shown]
	buffer_load_dword v17, v4, s[0:3], 0 offen
	buffer_load_dword v18, v4, s[0:3], 0 offen offset:4
	buffer_load_dword v19, v4, s[0:3], 0 offen offset:8
	;; [unrolled: 1-line block ×3, first 2 shown]
	v_mov_b32_e32 v4, s9
	s_clause 0x7
	buffer_load_dword v21, v24, s[0:3], 0 offen
	buffer_load_dword v22, v24, s[0:3], 0 offen offset:4
	buffer_load_dword v23, v24, s[0:3], 0 offen offset:8
	;; [unrolled: 1-line block ×3, first 2 shown]
	buffer_load_dword v25, v4, s[0:3], 0 offen
	buffer_load_dword v26, v4, s[0:3], 0 offen offset:4
	buffer_load_dword v27, v4, s[0:3], 0 offen offset:8
	;; [unrolled: 1-line block ×3, first 2 shown]
	v_mov_b32_e32 v4, s6
	s_clause 0x7
	buffer_load_dword v29, v32, s[0:3], 0 offen
	buffer_load_dword v30, v32, s[0:3], 0 offen offset:4
	buffer_load_dword v31, v32, s[0:3], 0 offen offset:8
	;; [unrolled: 1-line block ×3, first 2 shown]
	buffer_load_dword v33, v4, s[0:3], 0 offen
	buffer_load_dword v34, v4, s[0:3], 0 offen offset:4
	buffer_load_dword v35, v4, s[0:3], 0 offen offset:8
	;; [unrolled: 1-line block ×3, first 2 shown]
	s_waitcnt vmcnt(20)
	global_store_dwordx4 v[5:6], v[0:3], off
	s_waitcnt vmcnt(16)
	global_store_dwordx4 v[9:10], v[17:20], off
	s_waitcnt vmcnt(12)
	global_store_dwordx4 v[7:8], v[21:24], off
	s_waitcnt vmcnt(8)
	global_store_dwordx4 v[11:12], v[25:28], off
	s_waitcnt vmcnt(4)
	global_store_dwordx4 v[15:16], v[29:32], off
	s_waitcnt vmcnt(0)
	global_store_dwordx4 v[13:14], v[33:36], off
.LBB5_83:
	s_endpgm
	.section	.rodata,"a",@progbits
	.p2align	6, 0x0
	.amdhsa_kernel _ZN9rocsolver6v33100L18trti2_kernel_smallILi6E19rocblas_complex_numIdEPS3_EEv13rocblas_fill_17rocblas_diagonal_T1_iil
		.amdhsa_group_segment_fixed_size 192
		.amdhsa_private_segment_fixed_size 112
		.amdhsa_kernarg_size 32
		.amdhsa_user_sgpr_count 6
		.amdhsa_user_sgpr_private_segment_buffer 1
		.amdhsa_user_sgpr_dispatch_ptr 0
		.amdhsa_user_sgpr_queue_ptr 0
		.amdhsa_user_sgpr_kernarg_segment_ptr 1
		.amdhsa_user_sgpr_dispatch_id 0
		.amdhsa_user_sgpr_flat_scratch_init 0
		.amdhsa_user_sgpr_private_segment_size 0
		.amdhsa_wavefront_size32 1
		.amdhsa_uses_dynamic_stack 0
		.amdhsa_system_sgpr_private_segment_wavefront_offset 1
		.amdhsa_system_sgpr_workgroup_id_x 1
		.amdhsa_system_sgpr_workgroup_id_y 0
		.amdhsa_system_sgpr_workgroup_id_z 0
		.amdhsa_system_sgpr_workgroup_info 0
		.amdhsa_system_vgpr_workitem_id 0
		.amdhsa_next_free_vgpr 40
		.amdhsa_next_free_sgpr 16
		.amdhsa_reserve_vcc 1
		.amdhsa_reserve_flat_scratch 0
		.amdhsa_float_round_mode_32 0
		.amdhsa_float_round_mode_16_64 0
		.amdhsa_float_denorm_mode_32 3
		.amdhsa_float_denorm_mode_16_64 3
		.amdhsa_dx10_clamp 1
		.amdhsa_ieee_mode 1
		.amdhsa_fp16_overflow 0
		.amdhsa_workgroup_processor_mode 1
		.amdhsa_memory_ordered 1
		.amdhsa_forward_progress 1
		.amdhsa_shared_vgpr_count 0
		.amdhsa_exception_fp_ieee_invalid_op 0
		.amdhsa_exception_fp_denorm_src 0
		.amdhsa_exception_fp_ieee_div_zero 0
		.amdhsa_exception_fp_ieee_overflow 0
		.amdhsa_exception_fp_ieee_underflow 0
		.amdhsa_exception_fp_ieee_inexact 0
		.amdhsa_exception_int_div_zero 0
	.end_amdhsa_kernel
	.section	.text._ZN9rocsolver6v33100L18trti2_kernel_smallILi6E19rocblas_complex_numIdEPS3_EEv13rocblas_fill_17rocblas_diagonal_T1_iil,"axG",@progbits,_ZN9rocsolver6v33100L18trti2_kernel_smallILi6E19rocblas_complex_numIdEPS3_EEv13rocblas_fill_17rocblas_diagonal_T1_iil,comdat
.Lfunc_end5:
	.size	_ZN9rocsolver6v33100L18trti2_kernel_smallILi6E19rocblas_complex_numIdEPS3_EEv13rocblas_fill_17rocblas_diagonal_T1_iil, .Lfunc_end5-_ZN9rocsolver6v33100L18trti2_kernel_smallILi6E19rocblas_complex_numIdEPS3_EEv13rocblas_fill_17rocblas_diagonal_T1_iil
                                        ; -- End function
	.set _ZN9rocsolver6v33100L18trti2_kernel_smallILi6E19rocblas_complex_numIdEPS3_EEv13rocblas_fill_17rocblas_diagonal_T1_iil.num_vgpr, 40
	.set _ZN9rocsolver6v33100L18trti2_kernel_smallILi6E19rocblas_complex_numIdEPS3_EEv13rocblas_fill_17rocblas_diagonal_T1_iil.num_agpr, 0
	.set _ZN9rocsolver6v33100L18trti2_kernel_smallILi6E19rocblas_complex_numIdEPS3_EEv13rocblas_fill_17rocblas_diagonal_T1_iil.numbered_sgpr, 16
	.set _ZN9rocsolver6v33100L18trti2_kernel_smallILi6E19rocblas_complex_numIdEPS3_EEv13rocblas_fill_17rocblas_diagonal_T1_iil.num_named_barrier, 0
	.set _ZN9rocsolver6v33100L18trti2_kernel_smallILi6E19rocblas_complex_numIdEPS3_EEv13rocblas_fill_17rocblas_diagonal_T1_iil.private_seg_size, 112
	.set _ZN9rocsolver6v33100L18trti2_kernel_smallILi6E19rocblas_complex_numIdEPS3_EEv13rocblas_fill_17rocblas_diagonal_T1_iil.uses_vcc, 1
	.set _ZN9rocsolver6v33100L18trti2_kernel_smallILi6E19rocblas_complex_numIdEPS3_EEv13rocblas_fill_17rocblas_diagonal_T1_iil.uses_flat_scratch, 0
	.set _ZN9rocsolver6v33100L18trti2_kernel_smallILi6E19rocblas_complex_numIdEPS3_EEv13rocblas_fill_17rocblas_diagonal_T1_iil.has_dyn_sized_stack, 0
	.set _ZN9rocsolver6v33100L18trti2_kernel_smallILi6E19rocblas_complex_numIdEPS3_EEv13rocblas_fill_17rocblas_diagonal_T1_iil.has_recursion, 0
	.set _ZN9rocsolver6v33100L18trti2_kernel_smallILi6E19rocblas_complex_numIdEPS3_EEv13rocblas_fill_17rocblas_diagonal_T1_iil.has_indirect_call, 0
	.section	.AMDGPU.csdata,"",@progbits
; Kernel info:
; codeLenInByte = 5536
; TotalNumSgprs: 18
; NumVgprs: 40
; ScratchSize: 112
; MemoryBound: 0
; FloatMode: 240
; IeeeMode: 1
; LDSByteSize: 192 bytes/workgroup (compile time only)
; SGPRBlocks: 0
; VGPRBlocks: 4
; NumSGPRsForWavesPerEU: 18
; NumVGPRsForWavesPerEU: 40
; Occupancy: 16
; WaveLimiterHint : 0
; COMPUTE_PGM_RSRC2:SCRATCH_EN: 1
; COMPUTE_PGM_RSRC2:USER_SGPR: 6
; COMPUTE_PGM_RSRC2:TRAP_HANDLER: 0
; COMPUTE_PGM_RSRC2:TGID_X_EN: 1
; COMPUTE_PGM_RSRC2:TGID_Y_EN: 0
; COMPUTE_PGM_RSRC2:TGID_Z_EN: 0
; COMPUTE_PGM_RSRC2:TIDIG_COMP_CNT: 0
	.section	.text._ZN9rocsolver6v33100L18trti2_kernel_smallILi7E19rocblas_complex_numIdEPS3_EEv13rocblas_fill_17rocblas_diagonal_T1_iil,"axG",@progbits,_ZN9rocsolver6v33100L18trti2_kernel_smallILi7E19rocblas_complex_numIdEPS3_EEv13rocblas_fill_17rocblas_diagonal_T1_iil,comdat
	.globl	_ZN9rocsolver6v33100L18trti2_kernel_smallILi7E19rocblas_complex_numIdEPS3_EEv13rocblas_fill_17rocblas_diagonal_T1_iil ; -- Begin function _ZN9rocsolver6v33100L18trti2_kernel_smallILi7E19rocblas_complex_numIdEPS3_EEv13rocblas_fill_17rocblas_diagonal_T1_iil
	.p2align	8
	.type	_ZN9rocsolver6v33100L18trti2_kernel_smallILi7E19rocblas_complex_numIdEPS3_EEv13rocblas_fill_17rocblas_diagonal_T1_iil,@function
_ZN9rocsolver6v33100L18trti2_kernel_smallILi7E19rocblas_complex_numIdEPS3_EEv13rocblas_fill_17rocblas_diagonal_T1_iil: ; @_ZN9rocsolver6v33100L18trti2_kernel_smallILi7E19rocblas_complex_numIdEPS3_EEv13rocblas_fill_17rocblas_diagonal_T1_iil
; %bb.0:
	s_add_u32 s0, s0, s7
	s_addc_u32 s1, s1, 0
	s_mov_b32 s7, exec_lo
	v_cmpx_gt_u32_e32 7, v0
	s_cbranch_execz .LBB6_99
; %bb.1:
	s_load_dwordx8 s[8:15], s[4:5], 0x0
	s_ashr_i32 s7, s6, 31
	v_lshlrev_b32_e32 v25, 4, v0
	s_waitcnt lgkmcnt(0)
	v_add3_u32 v1, s13, s13, v0
	s_ashr_i32 s5, s12, 31
	s_mov_b32 s4, s12
	s_mul_hi_u32 s12, s14, s6
	s_mul_i32 s7, s14, s7
	v_add_nc_u32_e32 v7, s13, v1
	s_mul_i32 s15, s15, s6
	s_add_i32 s7, s12, s7
	s_mul_i32 s6, s14, s6
	s_add_i32 s7, s7, s15
	v_add_nc_u32_e32 v11, s13, v7
	s_lshl_b64 s[6:7], s[6:7], 4
	v_ashrrev_i32_e32 v2, 31, v1
	s_add_u32 s6, s10, s6
	s_addc_u32 s7, s11, s7
	v_add_nc_u32_e32 v15, s13, v11
	s_lshl_b64 s[4:5], s[4:5], 4
	v_ashrrev_i32_e32 v8, 31, v7
	s_add_u32 s4, s6, s4
	s_addc_u32 s5, s7, s5
	v_add_nc_u32_e32 v23, s13, v15
	v_add_co_u32 v5, s6, s4, v25
	v_ashrrev_i32_e32 v12, 31, v11
	s_mov_b32 s14, s13
	v_lshlrev_b64 v[9:10], 4, v[1:2]
	s_ashr_i32 s15, s13, 31
	v_add_co_ci_u32_e64 v6, null, s5, 0, s6
	v_ashrrev_i32_e32 v16, 31, v15
	s_lshl_b64 s[6:7], s[14:15], 4
	v_lshlrev_b64 v[13:14], 4, v[7:8]
	v_ashrrev_i32_e32 v24, 31, v23
	v_add_co_u32 v7, vcc_lo, v5, s6
	v_lshlrev_b64 v[17:18], 4, v[11:12]
	v_add_co_ci_u32_e64 v8, null, s7, v6, vcc_lo
	v_add_co_u32 v9, vcc_lo, s4, v9
	v_lshlrev_b64 v[15:16], 4, v[15:16]
	v_add_co_ci_u32_e64 v10, null, s5, v10, vcc_lo
	;; [unrolled: 3-line block ×3, first 2 shown]
	v_add_co_u32 v13, vcc_lo, s4, v17
	v_add_co_ci_u32_e64 v14, null, s5, v18, vcc_lo
	v_add_co_u32 v17, vcc_lo, s4, v15
	v_add_co_ci_u32_e64 v18, null, s5, v16, vcc_lo
	;; [unrolled: 2-line block ×3, first 2 shown]
	s_clause 0x6
	global_load_dwordx4 v[1:4], v25, s[4:5]
	global_load_dwordx4 v[19:22], v[7:8], off
	global_load_dwordx4 v[26:29], v[9:10], off
	;; [unrolled: 1-line block ×6, first 2 shown]
	s_cmpk_lg_i32 s9, 0x84
	s_movk_i32 s4, 0x50
	s_movk_i32 s5, 0x60
	s_cselect_b32 s13, -1, 0
	s_cmpk_eq_i32 s9, 0x84
	s_waitcnt vmcnt(6)
	buffer_store_dword v4, off, s[0:3], 0 offset:12
	buffer_store_dword v3, off, s[0:3], 0 offset:8
	;; [unrolled: 1-line block ×3, first 2 shown]
	buffer_store_dword v1, off, s[0:3], 0
	s_waitcnt vmcnt(5)
	buffer_store_dword v22, off, s[0:3], 0 offset:28
	buffer_store_dword v21, off, s[0:3], 0 offset:24
	buffer_store_dword v20, off, s[0:3], 0 offset:20
	buffer_store_dword v19, off, s[0:3], 0 offset:16
	s_waitcnt vmcnt(4)
	buffer_store_dword v29, off, s[0:3], 0 offset:44
	buffer_store_dword v28, off, s[0:3], 0 offset:40
	buffer_store_dword v27, off, s[0:3], 0 offset:36
	buffer_store_dword v26, off, s[0:3], 0 offset:32
	;; [unrolled: 5-line block ×6, first 2 shown]
	s_cbranch_scc1 .LBB6_7
; %bb.2:
	v_lshl_add_u32 v26, v0, 4, 0
                                        ; implicit-def: $vgpr21_vgpr22
                                        ; implicit-def: $vgpr3_vgpr4
	s_clause 0x3
	buffer_load_dword v19, v26, s[0:3], 0 offen
	buffer_load_dword v20, v26, s[0:3], 0 offen offset:4
	buffer_load_dword v23, v26, s[0:3], 0 offen offset:8
	;; [unrolled: 1-line block ×3, first 2 shown]
	s_waitcnt vmcnt(0)
	v_cmp_ngt_f64_e64 s6, |v[19:20]|, |v[23:24]|
	s_and_saveexec_b32 s7, s6
	s_xor_b32 s6, exec_lo, s7
	s_cbranch_execz .LBB6_4
; %bb.3:
	v_div_scale_f64 v[1:2], null, v[23:24], v[23:24], v[19:20]
	v_div_scale_f64 v[27:28], vcc_lo, v[19:20], v[23:24], v[19:20]
	v_rcp_f64_e32 v[3:4], v[1:2]
	v_fma_f64 v[21:22], -v[1:2], v[3:4], 1.0
	v_fma_f64 v[3:4], v[3:4], v[21:22], v[3:4]
	v_fma_f64 v[21:22], -v[1:2], v[3:4], 1.0
	v_fma_f64 v[3:4], v[3:4], v[21:22], v[3:4]
	v_mul_f64 v[21:22], v[27:28], v[3:4]
	v_fma_f64 v[1:2], -v[1:2], v[21:22], v[27:28]
	v_div_fmas_f64 v[1:2], v[1:2], v[3:4], v[21:22]
	v_div_fixup_f64 v[1:2], v[1:2], v[23:24], v[19:20]
	v_fma_f64 v[3:4], v[19:20], v[1:2], v[23:24]
	v_div_scale_f64 v[19:20], null, v[3:4], v[3:4], 1.0
	v_div_scale_f64 v[27:28], vcc_lo, 1.0, v[3:4], 1.0
	v_rcp_f64_e32 v[21:22], v[19:20]
	v_fma_f64 v[23:24], -v[19:20], v[21:22], 1.0
	v_fma_f64 v[21:22], v[21:22], v[23:24], v[21:22]
	v_fma_f64 v[23:24], -v[19:20], v[21:22], 1.0
	v_fma_f64 v[21:22], v[21:22], v[23:24], v[21:22]
	v_mul_f64 v[23:24], v[27:28], v[21:22]
	v_fma_f64 v[19:20], -v[19:20], v[23:24], v[27:28]
	v_div_fmas_f64 v[19:20], v[19:20], v[21:22], v[23:24]
                                        ; implicit-def: $vgpr23_vgpr24
	v_div_fixup_f64 v[3:4], v[19:20], v[3:4], 1.0
                                        ; implicit-def: $vgpr19_vgpr20
	v_mul_f64 v[21:22], v[1:2], v[3:4]
	v_xor_b32_e32 v4, 0x80000000, v4
	v_xor_b32_e32 v2, 0x80000000, v22
	v_mov_b32_e32 v1, v21
.LBB6_4:
	s_andn2_saveexec_b32 s6, s6
	s_cbranch_execz .LBB6_6
; %bb.5:
	v_div_scale_f64 v[1:2], null, v[19:20], v[19:20], v[23:24]
	v_div_scale_f64 v[27:28], vcc_lo, v[23:24], v[19:20], v[23:24]
	v_rcp_f64_e32 v[3:4], v[1:2]
	v_fma_f64 v[21:22], -v[1:2], v[3:4], 1.0
	v_fma_f64 v[3:4], v[3:4], v[21:22], v[3:4]
	v_fma_f64 v[21:22], -v[1:2], v[3:4], 1.0
	v_fma_f64 v[3:4], v[3:4], v[21:22], v[3:4]
	v_mul_f64 v[21:22], v[27:28], v[3:4]
	v_fma_f64 v[1:2], -v[1:2], v[21:22], v[27:28]
	v_div_fmas_f64 v[1:2], v[1:2], v[3:4], v[21:22]
	v_div_fixup_f64 v[1:2], v[1:2], v[19:20], v[23:24]
	v_fma_f64 v[3:4], v[23:24], v[1:2], v[19:20]
	v_div_scale_f64 v[19:20], null, v[3:4], v[3:4], 1.0
	v_rcp_f64_e32 v[21:22], v[19:20]
	v_fma_f64 v[23:24], -v[19:20], v[21:22], 1.0
	v_fma_f64 v[21:22], v[21:22], v[23:24], v[21:22]
	v_fma_f64 v[23:24], -v[19:20], v[21:22], 1.0
	v_fma_f64 v[21:22], v[21:22], v[23:24], v[21:22]
	v_div_scale_f64 v[23:24], vcc_lo, 1.0, v[3:4], 1.0
	v_mul_f64 v[27:28], v[23:24], v[21:22]
	v_fma_f64 v[19:20], -v[19:20], v[27:28], v[23:24]
	v_div_fmas_f64 v[19:20], v[19:20], v[21:22], v[27:28]
	v_div_fixup_f64 v[21:22], v[19:20], v[3:4], 1.0
	v_mul_f64 v[3:4], v[1:2], -v[21:22]
	v_xor_b32_e32 v2, 0x80000000, v22
	v_mov_b32_e32 v1, v21
.LBB6_6:
	s_or_b32 exec_lo, exec_lo, s6
	buffer_store_dword v4, v26, s[0:3], 0 offen offset:12
	v_xor_b32_e32 v4, 0x80000000, v4
	buffer_store_dword v22, v26, s[0:3], 0 offen offset:4
	buffer_store_dword v21, v26, s[0:3], 0 offen
	buffer_store_dword v3, v26, s[0:3], 0 offen offset:8
	s_branch .LBB6_8
.LBB6_7:
	v_mov_b32_e32 v1, 0
	v_mov_b32_e32 v3, 0
	;; [unrolled: 1-line block ×4, first 2 shown]
.LBB6_8:
	v_add_nc_u32_e32 v20, 0x70, v25
	v_mov_b32_e32 v19, v25
	s_mov_b32 s12, 16
	s_mov_b32 s11, 32
	;; [unrolled: 1-line block ×6, first 2 shown]
	s_cmpk_eq_i32 s8, 0x79
	ds_write_b128 v25, v[1:4]
	s_cbranch_scc1 .LBB6_52
; %bb.9:
	v_mov_b32_e32 v4, s7
	v_cmp_eq_u32_e64 s4, 6, v0
	s_clause 0x3
	buffer_load_dword v1, v4, s[0:3], 0 offen
	buffer_load_dword v2, v4, s[0:3], 0 offen offset:4
	buffer_load_dword v3, v4, s[0:3], 0 offen offset:8
	buffer_load_dword v4, v4, s[0:3], 0 offen offset:12
	s_waitcnt vmcnt(0)
	ds_write_b128 v20, v[1:4]
	s_waitcnt lgkmcnt(0)
	s_waitcnt_vscnt null, 0x0
	s_barrier
	buffer_gl0_inv
	s_and_saveexec_b32 s5, s4
	s_cbranch_execz .LBB6_13
; %bb.10:
	ds_read_b128 v[1:4], v20
	s_andn2_b32 vcc_lo, exec_lo, s13
	s_cbranch_vccnz .LBB6_12
; %bb.11:
	s_clause 0x3
	buffer_load_dword v21, v19, s[0:3], 0 offen offset:8
	buffer_load_dword v22, v19, s[0:3], 0 offen offset:12
	buffer_load_dword v23, v19, s[0:3], 0 offen
	buffer_load_dword v24, v19, s[0:3], 0 offen offset:4
	s_waitcnt vmcnt(2) lgkmcnt(0)
	v_mul_f64 v[26:27], v[3:4], v[21:22]
	v_mul_f64 v[21:22], v[1:2], v[21:22]
	s_waitcnt vmcnt(0)
	v_fma_f64 v[1:2], v[1:2], v[23:24], -v[26:27]
	v_fma_f64 v[3:4], v[3:4], v[23:24], v[21:22]
.LBB6_12:
	v_mov_b32_e32 v21, 0
	ds_read_b128 v[21:24], v21 offset:80
	s_waitcnt lgkmcnt(0)
	v_mul_f64 v[26:27], v[3:4], v[23:24]
	v_mul_f64 v[23:24], v[1:2], v[23:24]
	v_fma_f64 v[1:2], v[1:2], v[21:22], -v[26:27]
	v_fma_f64 v[3:4], v[3:4], v[21:22], v[23:24]
	buffer_store_dword v2, off, s[0:3], 0 offset:84
	buffer_store_dword v1, off, s[0:3], 0 offset:80
	;; [unrolled: 1-line block ×4, first 2 shown]
.LBB6_13:
	s_or_b32 exec_lo, exec_lo, s5
	v_mov_b32_e32 v4, s9
	v_cmp_lt_u32_e64 s5, 4, v0
	s_clause 0x3
	buffer_load_dword v1, v4, s[0:3], 0 offen
	buffer_load_dword v2, v4, s[0:3], 0 offen offset:4
	buffer_load_dword v3, v4, s[0:3], 0 offen offset:8
	;; [unrolled: 1-line block ×3, first 2 shown]
	s_waitcnt vmcnt(0)
	ds_write_b128 v20, v[1:4]
	s_waitcnt lgkmcnt(0)
	s_waitcnt_vscnt null, 0x0
	s_barrier
	buffer_gl0_inv
	s_and_saveexec_b32 s8, s5
	s_cbranch_execz .LBB6_19
; %bb.14:
	ds_read_b128 v[1:4], v20
	s_andn2_b32 vcc_lo, exec_lo, s13
	s_cbranch_vccnz .LBB6_16
; %bb.15:
	s_clause 0x3
	buffer_load_dword v21, v19, s[0:3], 0 offen offset:8
	buffer_load_dword v22, v19, s[0:3], 0 offen offset:12
	buffer_load_dword v23, v19, s[0:3], 0 offen
	buffer_load_dword v24, v19, s[0:3], 0 offen offset:4
	s_waitcnt vmcnt(2) lgkmcnt(0)
	v_mul_f64 v[26:27], v[3:4], v[21:22]
	v_mul_f64 v[21:22], v[1:2], v[21:22]
	s_waitcnt vmcnt(0)
	v_fma_f64 v[1:2], v[1:2], v[23:24], -v[26:27]
	v_fma_f64 v[3:4], v[3:4], v[23:24], v[21:22]
.LBB6_16:
	s_and_saveexec_b32 s14, s4
	s_cbranch_execz .LBB6_18
; %bb.17:
	s_clause 0x3
	buffer_load_dword v26, off, s[0:3], 0 offset:88
	buffer_load_dword v27, off, s[0:3], 0 offset:92
	;; [unrolled: 1-line block ×4, first 2 shown]
	v_mov_b32_e32 v21, 0
	ds_read_b128 v[21:24], v21 offset:192
	s_waitcnt vmcnt(2) lgkmcnt(0)
	v_mul_f64 v[30:31], v[21:22], v[26:27]
	v_mul_f64 v[26:27], v[23:24], v[26:27]
	s_waitcnt vmcnt(0)
	v_fma_f64 v[23:24], v[23:24], v[28:29], v[30:31]
	v_fma_f64 v[21:22], v[21:22], v[28:29], -v[26:27]
	v_add_f64 v[3:4], v[3:4], v[23:24]
	v_add_f64 v[1:2], v[1:2], v[21:22]
.LBB6_18:
	s_or_b32 exec_lo, exec_lo, s14
	v_mov_b32_e32 v21, 0
	ds_read_b128 v[21:24], v21 offset:64
	s_waitcnt lgkmcnt(0)
	v_mul_f64 v[26:27], v[3:4], v[23:24]
	v_mul_f64 v[23:24], v[1:2], v[23:24]
	v_fma_f64 v[1:2], v[1:2], v[21:22], -v[26:27]
	v_fma_f64 v[3:4], v[3:4], v[21:22], v[23:24]
	buffer_store_dword v2, off, s[0:3], 0 offset:68
	buffer_store_dword v1, off, s[0:3], 0 offset:64
	;; [unrolled: 1-line block ×4, first 2 shown]
.LBB6_19:
	s_or_b32 exec_lo, exec_lo, s8
	v_mov_b32_e32 v4, s10
	v_cmp_lt_u32_e64 s4, 3, v0
	s_clause 0x3
	buffer_load_dword v1, v4, s[0:3], 0 offen
	buffer_load_dword v2, v4, s[0:3], 0 offen offset:4
	buffer_load_dword v3, v4, s[0:3], 0 offen offset:8
	;; [unrolled: 1-line block ×3, first 2 shown]
	s_waitcnt vmcnt(0)
	ds_write_b128 v20, v[1:4]
	s_waitcnt lgkmcnt(0)
	s_waitcnt_vscnt null, 0x0
	s_barrier
	buffer_gl0_inv
	s_and_saveexec_b32 s8, s4
	s_cbranch_execz .LBB6_27
; %bb.20:
	ds_read_b128 v[1:4], v20
	s_andn2_b32 vcc_lo, exec_lo, s13
	s_cbranch_vccnz .LBB6_22
; %bb.21:
	s_clause 0x3
	buffer_load_dword v21, v19, s[0:3], 0 offen offset:8
	buffer_load_dword v22, v19, s[0:3], 0 offen offset:12
	buffer_load_dword v23, v19, s[0:3], 0 offen
	buffer_load_dword v24, v19, s[0:3], 0 offen offset:4
	s_waitcnt vmcnt(2) lgkmcnt(0)
	v_mul_f64 v[26:27], v[3:4], v[21:22]
	v_mul_f64 v[21:22], v[1:2], v[21:22]
	s_waitcnt vmcnt(0)
	v_fma_f64 v[1:2], v[1:2], v[23:24], -v[26:27]
	v_fma_f64 v[3:4], v[3:4], v[23:24], v[21:22]
.LBB6_22:
	s_and_saveexec_b32 s14, s5
	s_cbranch_execz .LBB6_26
; %bb.23:
	v_add_nc_u32_e32 v21, -4, v0
	s_movk_i32 s15, 0xb0
	s_mov_b32 s5, 0
	s_mov_b32 s16, s9
	.p2align	6
.LBB6_24:                               ; =>This Inner Loop Header: Depth=1
	v_mov_b32_e32 v24, s16
	v_add_nc_u32_e32 v21, -1, v21
	s_add_i32 s16, s16, 16
	s_clause 0x3
	buffer_load_dword v22, v24, s[0:3], 0 offen offset:8
	buffer_load_dword v23, v24, s[0:3], 0 offen offset:12
	buffer_load_dword v30, v24, s[0:3], 0 offen
	buffer_load_dword v31, v24, s[0:3], 0 offen offset:4
	v_mov_b32_e32 v24, s15
	v_cmp_eq_u32_e32 vcc_lo, 0, v21
	s_add_i32 s15, s15, 16
	ds_read_b128 v[26:29], v24
	s_or_b32 s5, vcc_lo, s5
	s_waitcnt vmcnt(2) lgkmcnt(0)
	v_mul_f64 v[32:33], v[28:29], v[22:23]
	v_mul_f64 v[22:23], v[26:27], v[22:23]
	s_waitcnt vmcnt(0)
	v_fma_f64 v[26:27], v[26:27], v[30:31], -v[32:33]
	v_fma_f64 v[22:23], v[28:29], v[30:31], v[22:23]
	v_add_f64 v[1:2], v[1:2], v[26:27]
	v_add_f64 v[3:4], v[3:4], v[22:23]
	s_andn2_b32 exec_lo, exec_lo, s5
	s_cbranch_execnz .LBB6_24
; %bb.25:
	s_or_b32 exec_lo, exec_lo, s5
.LBB6_26:
	s_or_b32 exec_lo, exec_lo, s14
	v_mov_b32_e32 v21, 0
	ds_read_b128 v[21:24], v21 offset:48
	s_waitcnt lgkmcnt(0)
	v_mul_f64 v[26:27], v[3:4], v[23:24]
	v_mul_f64 v[23:24], v[1:2], v[23:24]
	v_fma_f64 v[1:2], v[1:2], v[21:22], -v[26:27]
	v_fma_f64 v[3:4], v[3:4], v[21:22], v[23:24]
	buffer_store_dword v2, off, s[0:3], 0 offset:52
	buffer_store_dword v1, off, s[0:3], 0 offset:48
	;; [unrolled: 1-line block ×4, first 2 shown]
.LBB6_27:
	s_or_b32 exec_lo, exec_lo, s8
	v_mov_b32_e32 v4, s11
	v_cmp_lt_u32_e64 s5, 2, v0
	s_clause 0x3
	buffer_load_dword v1, v4, s[0:3], 0 offen
	buffer_load_dword v2, v4, s[0:3], 0 offen offset:4
	buffer_load_dword v3, v4, s[0:3], 0 offen offset:8
	;; [unrolled: 1-line block ×3, first 2 shown]
	s_waitcnt vmcnt(0)
	ds_write_b128 v20, v[1:4]
	s_waitcnt lgkmcnt(0)
	s_waitcnt_vscnt null, 0x0
	s_barrier
	buffer_gl0_inv
	s_and_saveexec_b32 s8, s5
	s_cbranch_execz .LBB6_35
; %bb.28:
	ds_read_b128 v[1:4], v20
	s_andn2_b32 vcc_lo, exec_lo, s13
	s_cbranch_vccnz .LBB6_30
; %bb.29:
	s_clause 0x3
	buffer_load_dword v21, v19, s[0:3], 0 offen offset:8
	buffer_load_dword v22, v19, s[0:3], 0 offen offset:12
	buffer_load_dword v23, v19, s[0:3], 0 offen
	buffer_load_dword v24, v19, s[0:3], 0 offen offset:4
	s_waitcnt vmcnt(2) lgkmcnt(0)
	v_mul_f64 v[26:27], v[3:4], v[21:22]
	v_mul_f64 v[21:22], v[1:2], v[21:22]
	s_waitcnt vmcnt(0)
	v_fma_f64 v[1:2], v[1:2], v[23:24], -v[26:27]
	v_fma_f64 v[3:4], v[3:4], v[23:24], v[21:22]
.LBB6_30:
	s_and_saveexec_b32 s14, s4
	s_cbranch_execz .LBB6_34
; %bb.31:
	v_add_nc_u32_e32 v21, -3, v0
	s_movk_i32 s15, 0xa0
	s_mov_b32 s4, 0
	s_mov_b32 s16, s10
	.p2align	6
.LBB6_32:                               ; =>This Inner Loop Header: Depth=1
	v_mov_b32_e32 v24, s16
	v_add_nc_u32_e32 v21, -1, v21
	s_add_i32 s16, s16, 16
	s_clause 0x3
	buffer_load_dword v22, v24, s[0:3], 0 offen offset:8
	buffer_load_dword v23, v24, s[0:3], 0 offen offset:12
	buffer_load_dword v30, v24, s[0:3], 0 offen
	buffer_load_dword v31, v24, s[0:3], 0 offen offset:4
	v_mov_b32_e32 v24, s15
	v_cmp_eq_u32_e32 vcc_lo, 0, v21
	s_add_i32 s15, s15, 16
	ds_read_b128 v[26:29], v24
	s_or_b32 s4, vcc_lo, s4
	s_waitcnt vmcnt(2) lgkmcnt(0)
	v_mul_f64 v[32:33], v[28:29], v[22:23]
	v_mul_f64 v[22:23], v[26:27], v[22:23]
	s_waitcnt vmcnt(0)
	v_fma_f64 v[26:27], v[26:27], v[30:31], -v[32:33]
	v_fma_f64 v[22:23], v[28:29], v[30:31], v[22:23]
	v_add_f64 v[1:2], v[1:2], v[26:27]
	v_add_f64 v[3:4], v[3:4], v[22:23]
	s_andn2_b32 exec_lo, exec_lo, s4
	s_cbranch_execnz .LBB6_32
; %bb.33:
	s_or_b32 exec_lo, exec_lo, s4
.LBB6_34:
	s_or_b32 exec_lo, exec_lo, s14
	v_mov_b32_e32 v21, 0
	ds_read_b128 v[21:24], v21 offset:32
	s_waitcnt lgkmcnt(0)
	v_mul_f64 v[26:27], v[3:4], v[23:24]
	v_mul_f64 v[23:24], v[1:2], v[23:24]
	v_fma_f64 v[1:2], v[1:2], v[21:22], -v[26:27]
	v_fma_f64 v[3:4], v[3:4], v[21:22], v[23:24]
	buffer_store_dword v2, off, s[0:3], 0 offset:36
	buffer_store_dword v1, off, s[0:3], 0 offset:32
	;; [unrolled: 1-line block ×4, first 2 shown]
.LBB6_35:
	s_or_b32 exec_lo, exec_lo, s8
	v_mov_b32_e32 v4, s12
	v_cmp_lt_u32_e64 s4, 1, v0
	s_clause 0x3
	buffer_load_dword v1, v4, s[0:3], 0 offen
	buffer_load_dword v2, v4, s[0:3], 0 offen offset:4
	buffer_load_dword v3, v4, s[0:3], 0 offen offset:8
	;; [unrolled: 1-line block ×3, first 2 shown]
	s_waitcnt vmcnt(0)
	ds_write_b128 v20, v[1:4]
	s_waitcnt lgkmcnt(0)
	s_waitcnt_vscnt null, 0x0
	s_barrier
	buffer_gl0_inv
	s_and_saveexec_b32 s8, s4
	s_cbranch_execz .LBB6_43
; %bb.36:
	ds_read_b128 v[1:4], v20
	s_andn2_b32 vcc_lo, exec_lo, s13
	s_cbranch_vccnz .LBB6_38
; %bb.37:
	s_clause 0x3
	buffer_load_dword v21, v19, s[0:3], 0 offen offset:8
	buffer_load_dword v22, v19, s[0:3], 0 offen offset:12
	buffer_load_dword v23, v19, s[0:3], 0 offen
	buffer_load_dword v24, v19, s[0:3], 0 offen offset:4
	s_waitcnt vmcnt(2) lgkmcnt(0)
	v_mul_f64 v[26:27], v[3:4], v[21:22]
	v_mul_f64 v[21:22], v[1:2], v[21:22]
	s_waitcnt vmcnt(0)
	v_fma_f64 v[1:2], v[1:2], v[23:24], -v[26:27]
	v_fma_f64 v[3:4], v[3:4], v[23:24], v[21:22]
.LBB6_38:
	s_and_saveexec_b32 s14, s5
	s_cbranch_execz .LBB6_42
; %bb.39:
	v_add_nc_u32_e32 v21, -2, v0
	s_movk_i32 s15, 0x90
	s_mov_b32 s5, 0
	s_mov_b32 s16, s11
	.p2align	6
.LBB6_40:                               ; =>This Inner Loop Header: Depth=1
	v_mov_b32_e32 v24, s16
	v_add_nc_u32_e32 v21, -1, v21
	s_add_i32 s16, s16, 16
	s_clause 0x3
	buffer_load_dword v22, v24, s[0:3], 0 offen offset:8
	buffer_load_dword v23, v24, s[0:3], 0 offen offset:12
	buffer_load_dword v30, v24, s[0:3], 0 offen
	buffer_load_dword v31, v24, s[0:3], 0 offen offset:4
	v_mov_b32_e32 v24, s15
	v_cmp_eq_u32_e32 vcc_lo, 0, v21
	s_add_i32 s15, s15, 16
	ds_read_b128 v[26:29], v24
	s_or_b32 s5, vcc_lo, s5
	s_waitcnt vmcnt(2) lgkmcnt(0)
	v_mul_f64 v[32:33], v[28:29], v[22:23]
	v_mul_f64 v[22:23], v[26:27], v[22:23]
	s_waitcnt vmcnt(0)
	v_fma_f64 v[26:27], v[26:27], v[30:31], -v[32:33]
	v_fma_f64 v[22:23], v[28:29], v[30:31], v[22:23]
	v_add_f64 v[1:2], v[1:2], v[26:27]
	v_add_f64 v[3:4], v[3:4], v[22:23]
	s_andn2_b32 exec_lo, exec_lo, s5
	s_cbranch_execnz .LBB6_40
; %bb.41:
	s_or_b32 exec_lo, exec_lo, s5
.LBB6_42:
	s_or_b32 exec_lo, exec_lo, s14
	v_mov_b32_e32 v21, 0
	ds_read_b128 v[21:24], v21 offset:16
	s_waitcnt lgkmcnt(0)
	v_mul_f64 v[26:27], v[3:4], v[23:24]
	v_mul_f64 v[23:24], v[1:2], v[23:24]
	v_fma_f64 v[1:2], v[1:2], v[21:22], -v[26:27]
	v_fma_f64 v[3:4], v[3:4], v[21:22], v[23:24]
	buffer_store_dword v2, off, s[0:3], 0 offset:20
	buffer_store_dword v1, off, s[0:3], 0 offset:16
	;; [unrolled: 1-line block ×4, first 2 shown]
.LBB6_43:
	s_or_b32 exec_lo, exec_lo, s8
	s_clause 0x3
	buffer_load_dword v1, off, s[0:3], 0
	buffer_load_dword v2, off, s[0:3], 0 offset:4
	buffer_load_dword v3, off, s[0:3], 0 offset:8
	;; [unrolled: 1-line block ×3, first 2 shown]
	s_mov_b32 s8, 0
	s_mov_b32 s5, 0
	s_mov_b32 s14, exec_lo
                                        ; implicit-def: $sgpr15
	s_waitcnt vmcnt(0)
	ds_write_b128 v20, v[1:4]
	s_waitcnt lgkmcnt(0)
	s_waitcnt_vscnt null, 0x0
	s_barrier
	buffer_gl0_inv
                                        ; implicit-def: $vgpr1_vgpr2
	v_cmpx_ne_u32_e32 0, v0
	s_cbranch_execz .LBB6_51
; %bb.44:
	ds_read_b128 v[1:4], v20
	s_andn2_b32 vcc_lo, exec_lo, s13
	s_cbranch_vccnz .LBB6_46
; %bb.45:
	s_clause 0x3
	buffer_load_dword v21, v19, s[0:3], 0 offen offset:8
	buffer_load_dword v22, v19, s[0:3], 0 offen offset:12
	buffer_load_dword v23, v19, s[0:3], 0 offen
	buffer_load_dword v24, v19, s[0:3], 0 offen offset:4
	s_waitcnt vmcnt(2) lgkmcnt(0)
	v_mul_f64 v[26:27], v[3:4], v[21:22]
	v_mul_f64 v[21:22], v[1:2], v[21:22]
	s_waitcnt vmcnt(0)
	v_fma_f64 v[1:2], v[1:2], v[23:24], -v[26:27]
	v_fma_f64 v[3:4], v[3:4], v[23:24], v[21:22]
.LBB6_46:
	s_and_saveexec_b32 s5, s4
	s_cbranch_execz .LBB6_50
; %bb.47:
	v_add_nc_u32_e32 v21, -1, v0
	s_movk_i32 s15, 0x80
	s_mov_b32 s4, 0
	s_mov_b32 s16, s12
	.p2align	6
.LBB6_48:                               ; =>This Inner Loop Header: Depth=1
	v_mov_b32_e32 v24, s16
	v_add_nc_u32_e32 v21, -1, v21
	s_add_i32 s16, s16, 16
	s_clause 0x3
	buffer_load_dword v22, v24, s[0:3], 0 offen offset:8
	buffer_load_dword v23, v24, s[0:3], 0 offen offset:12
	buffer_load_dword v30, v24, s[0:3], 0 offen
	buffer_load_dword v31, v24, s[0:3], 0 offen offset:4
	v_mov_b32_e32 v24, s15
	v_cmp_eq_u32_e32 vcc_lo, 0, v21
	s_add_i32 s15, s15, 16
	ds_read_b128 v[26:29], v24
	s_or_b32 s4, vcc_lo, s4
	s_waitcnt vmcnt(2) lgkmcnt(0)
	v_mul_f64 v[32:33], v[28:29], v[22:23]
	v_mul_f64 v[22:23], v[26:27], v[22:23]
	s_waitcnt vmcnt(0)
	v_fma_f64 v[26:27], v[26:27], v[30:31], -v[32:33]
	v_fma_f64 v[22:23], v[28:29], v[30:31], v[22:23]
	v_add_f64 v[1:2], v[1:2], v[26:27]
	v_add_f64 v[3:4], v[3:4], v[22:23]
	s_andn2_b32 exec_lo, exec_lo, s4
	s_cbranch_execnz .LBB6_48
; %bb.49:
	s_or_b32 exec_lo, exec_lo, s4
.LBB6_50:
	s_or_b32 exec_lo, exec_lo, s5
	v_mov_b32_e32 v21, 0
	s_mov_b32 s5, exec_lo
	s_or_b32 s15, 0, 8
	ds_read_b128 v[21:24], v21
	s_waitcnt lgkmcnt(0)
	v_mul_f64 v[26:27], v[3:4], v[23:24]
	v_mul_f64 v[23:24], v[1:2], v[23:24]
	v_fma_f64 v[26:27], v[1:2], v[21:22], -v[26:27]
	v_fma_f64 v[1:2], v[3:4], v[21:22], v[23:24]
	buffer_store_dword v27, off, s[0:3], 0 offset:4
	buffer_store_dword v26, off, s[0:3], 0
.LBB6_51:
	s_or_b32 exec_lo, exec_lo, s14
	s_and_b32 vcc_lo, exec_lo, s8
	s_cbranch_vccnz .LBB6_53
	s_branch .LBB6_96
.LBB6_52:
	s_mov_b32 s5, 0
                                        ; implicit-def: $vgpr1_vgpr2
                                        ; implicit-def: $sgpr15
	s_cbranch_execz .LBB6_96
.LBB6_53:
	v_mov_b32_e32 v4, s12
	v_cmp_eq_u32_e64 s4, 0, v0
	v_cndmask_b32_e64 v21, 0, 1, s13
	s_clause 0x3
	buffer_load_dword v1, v4, s[0:3], 0 offen
	buffer_load_dword v2, v4, s[0:3], 0 offen offset:4
	buffer_load_dword v3, v4, s[0:3], 0 offen offset:8
	;; [unrolled: 1-line block ×3, first 2 shown]
	s_waitcnt vmcnt(0)
	ds_write_b128 v20, v[1:4]
	s_waitcnt lgkmcnt(0)
	s_waitcnt_vscnt null, 0x0
	s_barrier
	buffer_gl0_inv
	s_and_saveexec_b32 s8, s4
	s_cbranch_execz .LBB6_57
; %bb.54:
	ds_read_b128 v[1:4], v20
	s_andn2_b32 vcc_lo, exec_lo, s13
	s_cbranch_vccnz .LBB6_56
; %bb.55:
	s_clause 0x3
	buffer_load_dword v22, v19, s[0:3], 0 offen offset:8
	buffer_load_dword v23, v19, s[0:3], 0 offen offset:12
	buffer_load_dword v26, v19, s[0:3], 0 offen
	buffer_load_dword v27, v19, s[0:3], 0 offen offset:4
	s_waitcnt vmcnt(2) lgkmcnt(0)
	v_mul_f64 v[28:29], v[3:4], v[22:23]
	v_mul_f64 v[22:23], v[1:2], v[22:23]
	s_waitcnt vmcnt(0)
	v_fma_f64 v[1:2], v[1:2], v[26:27], -v[28:29]
	v_fma_f64 v[3:4], v[3:4], v[26:27], v[22:23]
.LBB6_56:
	v_mov_b32_e32 v22, 0
	ds_read_b128 v[26:29], v22 offset:16
	s_waitcnt lgkmcnt(0)
	v_mul_f64 v[22:23], v[3:4], v[28:29]
	v_mul_f64 v[28:29], v[1:2], v[28:29]
	v_fma_f64 v[1:2], v[1:2], v[26:27], -v[22:23]
	v_fma_f64 v[3:4], v[3:4], v[26:27], v[28:29]
	buffer_store_dword v2, off, s[0:3], 0 offset:20
	buffer_store_dword v1, off, s[0:3], 0 offset:16
	;; [unrolled: 1-line block ×4, first 2 shown]
.LBB6_57:
	s_or_b32 exec_lo, exec_lo, s8
	v_mov_b32_e32 v4, s11
	s_mov_b32 s8, exec_lo
	s_clause 0x3
	buffer_load_dword v1, v4, s[0:3], 0 offen
	buffer_load_dword v2, v4, s[0:3], 0 offen offset:4
	buffer_load_dword v3, v4, s[0:3], 0 offen offset:8
	;; [unrolled: 1-line block ×3, first 2 shown]
	s_waitcnt vmcnt(0)
	ds_write_b128 v20, v[1:4]
	s_waitcnt lgkmcnt(0)
	s_waitcnt_vscnt null, 0x0
	s_barrier
	buffer_gl0_inv
	v_cmpx_gt_u32_e32 2, v0
	s_cbranch_execz .LBB6_63
; %bb.58:
	ds_read_b128 v[1:4], v20
	v_cmp_ne_u32_e32 vcc_lo, 1, v21
	s_cbranch_vccnz .LBB6_60
; %bb.59:
	s_clause 0x3
	buffer_load_dword v22, v19, s[0:3], 0 offen offset:8
	buffer_load_dword v23, v19, s[0:3], 0 offen offset:12
	buffer_load_dword v26, v19, s[0:3], 0 offen
	buffer_load_dword v27, v19, s[0:3], 0 offen offset:4
	s_waitcnt vmcnt(2) lgkmcnt(0)
	v_mul_f64 v[28:29], v[3:4], v[22:23]
	v_mul_f64 v[22:23], v[1:2], v[22:23]
	s_waitcnt vmcnt(0)
	v_fma_f64 v[1:2], v[1:2], v[26:27], -v[28:29]
	v_fma_f64 v[3:4], v[3:4], v[26:27], v[22:23]
.LBB6_60:
	s_and_saveexec_b32 s13, s4
	s_cbranch_execz .LBB6_62
; %bb.61:
	s_clause 0x3
	buffer_load_dword v22, off, s[0:3], 0 offset:24
	buffer_load_dword v23, off, s[0:3], 0 offset:28
	;; [unrolled: 1-line block ×4, first 2 shown]
	v_mov_b32_e32 v24, 0
	ds_read_b128 v[26:29], v24 offset:128
	s_waitcnt vmcnt(2) lgkmcnt(0)
	v_mul_f64 v[32:33], v[28:29], v[22:23]
	v_mul_f64 v[22:23], v[26:27], v[22:23]
	s_waitcnt vmcnt(0)
	v_fma_f64 v[26:27], v[26:27], v[30:31], -v[32:33]
	v_fma_f64 v[22:23], v[28:29], v[30:31], v[22:23]
	v_add_f64 v[1:2], v[1:2], v[26:27]
	v_add_f64 v[3:4], v[3:4], v[22:23]
.LBB6_62:
	s_or_b32 exec_lo, exec_lo, s13
	v_mov_b32_e32 v22, 0
	ds_read_b128 v[26:29], v22 offset:32
	s_waitcnt lgkmcnt(0)
	v_mul_f64 v[22:23], v[3:4], v[28:29]
	v_mul_f64 v[28:29], v[1:2], v[28:29]
	v_fma_f64 v[1:2], v[1:2], v[26:27], -v[22:23]
	v_fma_f64 v[3:4], v[3:4], v[26:27], v[28:29]
	buffer_store_dword v2, off, s[0:3], 0 offset:36
	buffer_store_dword v1, off, s[0:3], 0 offset:32
	;; [unrolled: 1-line block ×4, first 2 shown]
.LBB6_63:
	s_or_b32 exec_lo, exec_lo, s8
	v_mov_b32_e32 v4, s10
	s_mov_b32 s8, exec_lo
	s_clause 0x3
	buffer_load_dword v1, v4, s[0:3], 0 offen
	buffer_load_dword v2, v4, s[0:3], 0 offen offset:4
	buffer_load_dword v3, v4, s[0:3], 0 offen offset:8
	;; [unrolled: 1-line block ×3, first 2 shown]
	s_waitcnt vmcnt(0)
	ds_write_b128 v20, v[1:4]
	s_waitcnt lgkmcnt(0)
	s_waitcnt_vscnt null, 0x0
	s_barrier
	buffer_gl0_inv
	v_cmpx_gt_u32_e32 3, v0
	s_cbranch_execz .LBB6_71
; %bb.64:
	ds_read_b128 v[1:4], v20
	v_cmp_ne_u32_e32 vcc_lo, 1, v21
	s_cbranch_vccnz .LBB6_66
; %bb.65:
	s_clause 0x3
	buffer_load_dword v22, v19, s[0:3], 0 offen offset:8
	buffer_load_dword v23, v19, s[0:3], 0 offen offset:12
	buffer_load_dword v26, v19, s[0:3], 0 offen
	buffer_load_dword v27, v19, s[0:3], 0 offen offset:4
	s_waitcnt vmcnt(2) lgkmcnt(0)
	v_mul_f64 v[28:29], v[3:4], v[22:23]
	v_mul_f64 v[22:23], v[1:2], v[22:23]
	s_waitcnt vmcnt(0)
	v_fma_f64 v[1:2], v[1:2], v[26:27], -v[28:29]
	v_fma_f64 v[3:4], v[3:4], v[26:27], v[22:23]
.LBB6_66:
	s_mov_b32 s13, exec_lo
	v_cmpx_ne_u32_e32 2, v0
	s_cbranch_execz .LBB6_70
; %bb.67:
	s_clause 0x3
	buffer_load_dword v22, v19, s[0:3], 0 offen offset:24
	buffer_load_dword v23, v19, s[0:3], 0 offen offset:28
	;; [unrolled: 1-line block ×4, first 2 shown]
	ds_read_b128 v[26:29], v20 offset:16
	s_waitcnt vmcnt(2) lgkmcnt(0)
	v_mul_f64 v[32:33], v[28:29], v[22:23]
	v_mul_f64 v[22:23], v[26:27], v[22:23]
	s_waitcnt vmcnt(0)
	v_fma_f64 v[26:27], v[26:27], v[30:31], -v[32:33]
	v_fma_f64 v[22:23], v[28:29], v[30:31], v[22:23]
	v_add_f64 v[1:2], v[1:2], v[26:27]
	v_add_f64 v[3:4], v[3:4], v[22:23]
	s_and_saveexec_b32 s14, s4
	s_cbranch_execz .LBB6_69
; %bb.68:
	s_clause 0x3
	buffer_load_dword v22, off, s[0:3], 0 offset:40
	buffer_load_dword v23, off, s[0:3], 0 offset:44
	;; [unrolled: 1-line block ×4, first 2 shown]
	v_mov_b32_e32 v24, 0
	ds_read_b128 v[26:29], v24 offset:144
	s_waitcnt vmcnt(2) lgkmcnt(0)
	v_mul_f64 v[32:33], v[26:27], v[22:23]
	v_mul_f64 v[22:23], v[28:29], v[22:23]
	s_waitcnt vmcnt(0)
	v_fma_f64 v[28:29], v[28:29], v[30:31], v[32:33]
	v_fma_f64 v[22:23], v[26:27], v[30:31], -v[22:23]
	v_add_f64 v[3:4], v[3:4], v[28:29]
	v_add_f64 v[1:2], v[1:2], v[22:23]
.LBB6_69:
	s_or_b32 exec_lo, exec_lo, s14
.LBB6_70:
	s_or_b32 exec_lo, exec_lo, s13
	v_mov_b32_e32 v22, 0
	ds_read_b128 v[26:29], v22 offset:48
	s_waitcnt lgkmcnt(0)
	v_mul_f64 v[22:23], v[3:4], v[28:29]
	v_mul_f64 v[28:29], v[1:2], v[28:29]
	v_fma_f64 v[1:2], v[1:2], v[26:27], -v[22:23]
	v_fma_f64 v[3:4], v[3:4], v[26:27], v[28:29]
	buffer_store_dword v2, off, s[0:3], 0 offset:52
	buffer_store_dword v1, off, s[0:3], 0 offset:48
	;; [unrolled: 1-line block ×4, first 2 shown]
.LBB6_71:
	s_or_b32 exec_lo, exec_lo, s8
	v_mov_b32_e32 v4, s9
	s_mov_b32 s4, exec_lo
	s_clause 0x3
	buffer_load_dword v1, v4, s[0:3], 0 offen
	buffer_load_dword v2, v4, s[0:3], 0 offen offset:4
	buffer_load_dword v3, v4, s[0:3], 0 offen offset:8
	;; [unrolled: 1-line block ×3, first 2 shown]
	s_waitcnt vmcnt(0)
	ds_write_b128 v20, v[1:4]
	s_waitcnt lgkmcnt(0)
	s_waitcnt_vscnt null, 0x0
	s_barrier
	buffer_gl0_inv
	v_cmpx_gt_u32_e32 4, v0
	s_cbranch_execz .LBB6_79
; %bb.72:
	ds_read_b128 v[1:4], v20
	v_cmp_ne_u32_e32 vcc_lo, 1, v21
	s_cbranch_vccnz .LBB6_74
; %bb.73:
	s_clause 0x3
	buffer_load_dword v22, v19, s[0:3], 0 offen offset:8
	buffer_load_dword v23, v19, s[0:3], 0 offen offset:12
	buffer_load_dword v26, v19, s[0:3], 0 offen
	buffer_load_dword v27, v19, s[0:3], 0 offen offset:4
	s_waitcnt vmcnt(2) lgkmcnt(0)
	v_mul_f64 v[28:29], v[3:4], v[22:23]
	v_mul_f64 v[22:23], v[1:2], v[22:23]
	s_waitcnt vmcnt(0)
	v_fma_f64 v[1:2], v[1:2], v[26:27], -v[28:29]
	v_fma_f64 v[3:4], v[3:4], v[26:27], v[22:23]
.LBB6_74:
	s_mov_b32 s8, exec_lo
	v_cmpx_ne_u32_e32 3, v0
	s_cbranch_execz .LBB6_78
; %bb.75:
	v_add_nc_u32_e32 v22, 0x80, v25
	v_add3_u32 v23, 0, v25, 16
	v_mov_b32_e32 v24, v0
	s_mov_b32 s13, 0
	.p2align	6
.LBB6_76:                               ; =>This Inner Loop Header: Depth=1
	s_clause 0x3
	buffer_load_dword v30, v23, s[0:3], 0 offen offset:8
	buffer_load_dword v31, v23, s[0:3], 0 offen offset:12
	buffer_load_dword v32, v23, s[0:3], 0 offen
	buffer_load_dword v33, v23, s[0:3], 0 offen offset:4
	ds_read_b128 v[26:29], v22
	v_add_nc_u32_e32 v24, 1, v24
	v_add_nc_u32_e32 v22, 16, v22
	;; [unrolled: 1-line block ×3, first 2 shown]
	v_cmp_lt_u32_e32 vcc_lo, 2, v24
	s_or_b32 s13, vcc_lo, s13
	s_waitcnt vmcnt(2) lgkmcnt(0)
	v_mul_f64 v[34:35], v[28:29], v[30:31]
	v_mul_f64 v[30:31], v[26:27], v[30:31]
	s_waitcnt vmcnt(0)
	v_fma_f64 v[26:27], v[26:27], v[32:33], -v[34:35]
	v_fma_f64 v[28:29], v[28:29], v[32:33], v[30:31]
	v_add_f64 v[1:2], v[1:2], v[26:27]
	v_add_f64 v[3:4], v[3:4], v[28:29]
	s_andn2_b32 exec_lo, exec_lo, s13
	s_cbranch_execnz .LBB6_76
; %bb.77:
	s_or_b32 exec_lo, exec_lo, s13
.LBB6_78:
	s_or_b32 exec_lo, exec_lo, s8
	v_mov_b32_e32 v22, 0
	ds_read_b128 v[26:29], v22 offset:64
	s_waitcnt lgkmcnt(0)
	v_mul_f64 v[22:23], v[3:4], v[28:29]
	v_mul_f64 v[28:29], v[1:2], v[28:29]
	v_fma_f64 v[1:2], v[1:2], v[26:27], -v[22:23]
	v_fma_f64 v[3:4], v[3:4], v[26:27], v[28:29]
	buffer_store_dword v2, off, s[0:3], 0 offset:68
	buffer_store_dword v1, off, s[0:3], 0 offset:64
	;; [unrolled: 1-line block ×4, first 2 shown]
.LBB6_79:
	s_or_b32 exec_lo, exec_lo, s4
	v_mov_b32_e32 v4, s7
	v_cmp_gt_u32_e64 s4, 5, v0
	s_clause 0x3
	buffer_load_dword v1, v4, s[0:3], 0 offen
	buffer_load_dword v2, v4, s[0:3], 0 offen offset:4
	buffer_load_dword v3, v4, s[0:3], 0 offen offset:8
	;; [unrolled: 1-line block ×3, first 2 shown]
	s_waitcnt vmcnt(0)
	ds_write_b128 v20, v[1:4]
	s_waitcnt lgkmcnt(0)
	s_waitcnt_vscnt null, 0x0
	s_barrier
	buffer_gl0_inv
	s_and_saveexec_b32 s8, s4
	s_cbranch_execz .LBB6_87
; %bb.80:
	ds_read_b128 v[1:4], v20
	v_cmp_ne_u32_e32 vcc_lo, 1, v21
	s_cbranch_vccnz .LBB6_82
; %bb.81:
	s_clause 0x3
	buffer_load_dword v22, v19, s[0:3], 0 offen offset:8
	buffer_load_dword v23, v19, s[0:3], 0 offen offset:12
	buffer_load_dword v26, v19, s[0:3], 0 offen
	buffer_load_dword v27, v19, s[0:3], 0 offen offset:4
	s_waitcnt vmcnt(2) lgkmcnt(0)
	v_mul_f64 v[28:29], v[3:4], v[22:23]
	v_mul_f64 v[22:23], v[1:2], v[22:23]
	s_waitcnt vmcnt(0)
	v_fma_f64 v[1:2], v[1:2], v[26:27], -v[28:29]
	v_fma_f64 v[3:4], v[3:4], v[26:27], v[22:23]
.LBB6_82:
	s_mov_b32 s13, exec_lo
	v_cmpx_ne_u32_e32 4, v0
	s_cbranch_execz .LBB6_86
; %bb.83:
	v_add_nc_u32_e32 v22, 0x80, v25
	v_add3_u32 v23, 0, v25, 16
	v_mov_b32_e32 v24, v0
	s_mov_b32 s14, 0
	.p2align	6
.LBB6_84:                               ; =>This Inner Loop Header: Depth=1
	s_clause 0x3
	buffer_load_dword v30, v23, s[0:3], 0 offen offset:8
	buffer_load_dword v31, v23, s[0:3], 0 offen offset:12
	buffer_load_dword v32, v23, s[0:3], 0 offen
	buffer_load_dword v33, v23, s[0:3], 0 offen offset:4
	ds_read_b128 v[26:29], v22
	v_add_nc_u32_e32 v24, 1, v24
	v_add_nc_u32_e32 v22, 16, v22
	;; [unrolled: 1-line block ×3, first 2 shown]
	v_cmp_lt_u32_e32 vcc_lo, 3, v24
	s_or_b32 s14, vcc_lo, s14
	s_waitcnt vmcnt(2) lgkmcnt(0)
	v_mul_f64 v[34:35], v[28:29], v[30:31]
	v_mul_f64 v[30:31], v[26:27], v[30:31]
	s_waitcnt vmcnt(0)
	v_fma_f64 v[26:27], v[26:27], v[32:33], -v[34:35]
	v_fma_f64 v[28:29], v[28:29], v[32:33], v[30:31]
	v_add_f64 v[1:2], v[1:2], v[26:27]
	v_add_f64 v[3:4], v[3:4], v[28:29]
	s_andn2_b32 exec_lo, exec_lo, s14
	s_cbranch_execnz .LBB6_84
; %bb.85:
	s_or_b32 exec_lo, exec_lo, s14
.LBB6_86:
	s_or_b32 exec_lo, exec_lo, s13
	v_mov_b32_e32 v22, 0
	ds_read_b128 v[26:29], v22 offset:80
	s_waitcnt lgkmcnt(0)
	v_mul_f64 v[22:23], v[3:4], v[28:29]
	v_mul_f64 v[28:29], v[1:2], v[28:29]
	v_fma_f64 v[1:2], v[1:2], v[26:27], -v[22:23]
	v_fma_f64 v[3:4], v[3:4], v[26:27], v[28:29]
	buffer_store_dword v2, off, s[0:3], 0 offset:84
	buffer_store_dword v1, off, s[0:3], 0 offset:80
	buffer_store_dword v4, off, s[0:3], 0 offset:92
	buffer_store_dword v3, off, s[0:3], 0 offset:88
.LBB6_87:
	s_or_b32 exec_lo, exec_lo, s8
	v_mov_b32_e32 v4, s6
	s_mov_b32 s8, exec_lo
                                        ; implicit-def: $sgpr15
	s_clause 0x3
	buffer_load_dword v1, v4, s[0:3], 0 offen
	buffer_load_dword v2, v4, s[0:3], 0 offen offset:4
	buffer_load_dword v3, v4, s[0:3], 0 offen offset:8
	buffer_load_dword v4, v4, s[0:3], 0 offen offset:12
	s_waitcnt vmcnt(0)
	ds_write_b128 v20, v[1:4]
	s_waitcnt lgkmcnt(0)
	s_waitcnt_vscnt null, 0x0
	s_barrier
	buffer_gl0_inv
                                        ; implicit-def: $vgpr1_vgpr2
	v_cmpx_ne_u32_e32 6, v0
	s_cbranch_execz .LBB6_95
; %bb.88:
	ds_read_b128 v[1:4], v20
	v_cmp_ne_u32_e32 vcc_lo, 1, v21
	s_cbranch_vccnz .LBB6_90
; %bb.89:
	s_clause 0x3
	buffer_load_dword v20, v19, s[0:3], 0 offen offset:8
	buffer_load_dword v21, v19, s[0:3], 0 offen offset:12
	buffer_load_dword v22, v19, s[0:3], 0 offen
	buffer_load_dword v23, v19, s[0:3], 0 offen offset:4
	s_waitcnt vmcnt(2) lgkmcnt(0)
	v_mul_f64 v[26:27], v[3:4], v[20:21]
	v_mul_f64 v[19:20], v[1:2], v[20:21]
	s_waitcnt vmcnt(0)
	v_fma_f64 v[1:2], v[1:2], v[22:23], -v[26:27]
	v_fma_f64 v[3:4], v[3:4], v[22:23], v[19:20]
.LBB6_90:
	s_and_saveexec_b32 s13, s4
	s_cbranch_execz .LBB6_94
; %bb.91:
	v_add_nc_u32_e32 v19, 0x80, v25
	v_add3_u32 v20, 0, v25, 16
	s_mov_b32 s4, 0
	.p2align	6
.LBB6_92:                               ; =>This Inner Loop Header: Depth=1
	s_clause 0x3
	buffer_load_dword v25, v20, s[0:3], 0 offen offset:8
	buffer_load_dword v26, v20, s[0:3], 0 offen offset:12
	buffer_load_dword v27, v20, s[0:3], 0 offen
	buffer_load_dword v28, v20, s[0:3], 0 offen offset:4
	ds_read_b128 v[21:24], v19
	v_add_nc_u32_e32 v0, 1, v0
	v_add_nc_u32_e32 v19, 16, v19
	;; [unrolled: 1-line block ×3, first 2 shown]
	v_cmp_lt_u32_e32 vcc_lo, 4, v0
	s_or_b32 s4, vcc_lo, s4
	s_waitcnt vmcnt(2) lgkmcnt(0)
	v_mul_f64 v[29:30], v[23:24], v[25:26]
	v_mul_f64 v[25:26], v[21:22], v[25:26]
	s_waitcnt vmcnt(0)
	v_fma_f64 v[21:22], v[21:22], v[27:28], -v[29:30]
	v_fma_f64 v[23:24], v[23:24], v[27:28], v[25:26]
	v_add_f64 v[1:2], v[1:2], v[21:22]
	v_add_f64 v[3:4], v[3:4], v[23:24]
	s_andn2_b32 exec_lo, exec_lo, s4
	s_cbranch_execnz .LBB6_92
; %bb.93:
	s_or_b32 exec_lo, exec_lo, s4
.LBB6_94:
	s_or_b32 exec_lo, exec_lo, s13
	v_mov_b32_e32 v0, 0
	s_movk_i32 s15, 0x68
	s_or_b32 s5, s5, exec_lo
	ds_read_b128 v[19:22], v0 offset:96
	s_waitcnt lgkmcnt(0)
	v_mul_f64 v[23:24], v[3:4], v[21:22]
	v_mul_f64 v[21:22], v[1:2], v[21:22]
	v_fma_f64 v[23:24], v[1:2], v[19:20], -v[23:24]
	v_fma_f64 v[1:2], v[3:4], v[19:20], v[21:22]
	buffer_store_dword v24, off, s[0:3], 0 offset:100
	buffer_store_dword v23, off, s[0:3], 0 offset:96
.LBB6_95:
	s_or_b32 exec_lo, exec_lo, s8
.LBB6_96:
	s_and_saveexec_b32 s4, s5
	s_cbranch_execz .LBB6_98
; %bb.97:
	v_mov_b32_e32 v0, s15
	buffer_store_dword v2, v0, s[0:3], 0 offen offset:4
	buffer_store_dword v1, v0, s[0:3], 0 offen
.LBB6_98:
	s_or_b32 exec_lo, exec_lo, s4
	v_mov_b32_e32 v26, s11
	v_mov_b32_e32 v34, s9
	;; [unrolled: 1-line block ×3, first 2 shown]
	s_clause 0x7
	buffer_load_dword v0, off, s[0:3], 0
	buffer_load_dword v1, off, s[0:3], 0 offset:4
	buffer_load_dword v2, off, s[0:3], 0 offset:8
	;; [unrolled: 1-line block ×3, first 2 shown]
	buffer_load_dword v19, v4, s[0:3], 0 offen
	buffer_load_dword v20, v4, s[0:3], 0 offen offset:4
	buffer_load_dword v21, v4, s[0:3], 0 offen offset:8
	;; [unrolled: 1-line block ×3, first 2 shown]
	v_mov_b32_e32 v4, s10
	s_clause 0x7
	buffer_load_dword v23, v26, s[0:3], 0 offen
	buffer_load_dword v24, v26, s[0:3], 0 offen offset:4
	buffer_load_dword v25, v26, s[0:3], 0 offen offset:8
	buffer_load_dword v26, v26, s[0:3], 0 offen offset:12
	buffer_load_dword v27, v4, s[0:3], 0 offen
	buffer_load_dword v28, v4, s[0:3], 0 offen offset:4
	buffer_load_dword v29, v4, s[0:3], 0 offen offset:8
	;; [unrolled: 1-line block ×3, first 2 shown]
	v_mov_b32_e32 v4, s7
	v_mov_b32_e32 v42, s6
	s_clause 0xb
	buffer_load_dword v31, v34, s[0:3], 0 offen
	buffer_load_dword v32, v34, s[0:3], 0 offen offset:4
	buffer_load_dword v33, v34, s[0:3], 0 offen offset:8
	buffer_load_dword v34, v34, s[0:3], 0 offen offset:12
	buffer_load_dword v35, v4, s[0:3], 0 offen
	buffer_load_dword v36, v4, s[0:3], 0 offen offset:4
	buffer_load_dword v37, v4, s[0:3], 0 offen offset:8
	buffer_load_dword v38, v4, s[0:3], 0 offen offset:12
	;; [unrolled: 4-line block ×3, first 2 shown]
	s_waitcnt vmcnt(24)
	global_store_dwordx4 v[5:6], v[0:3], off
	s_waitcnt vmcnt(20)
	global_store_dwordx4 v[7:8], v[19:22], off
	;; [unrolled: 2-line block ×7, first 2 shown]
.LBB6_99:
	s_endpgm
	.section	.rodata,"a",@progbits
	.p2align	6, 0x0
	.amdhsa_kernel _ZN9rocsolver6v33100L18trti2_kernel_smallILi7E19rocblas_complex_numIdEPS3_EEv13rocblas_fill_17rocblas_diagonal_T1_iil
		.amdhsa_group_segment_fixed_size 224
		.amdhsa_private_segment_fixed_size 128
		.amdhsa_kernarg_size 32
		.amdhsa_user_sgpr_count 6
		.amdhsa_user_sgpr_private_segment_buffer 1
		.amdhsa_user_sgpr_dispatch_ptr 0
		.amdhsa_user_sgpr_queue_ptr 0
		.amdhsa_user_sgpr_kernarg_segment_ptr 1
		.amdhsa_user_sgpr_dispatch_id 0
		.amdhsa_user_sgpr_flat_scratch_init 0
		.amdhsa_user_sgpr_private_segment_size 0
		.amdhsa_wavefront_size32 1
		.amdhsa_uses_dynamic_stack 0
		.amdhsa_system_sgpr_private_segment_wavefront_offset 1
		.amdhsa_system_sgpr_workgroup_id_x 1
		.amdhsa_system_sgpr_workgroup_id_y 0
		.amdhsa_system_sgpr_workgroup_id_z 0
		.amdhsa_system_sgpr_workgroup_info 0
		.amdhsa_system_vgpr_workitem_id 0
		.amdhsa_next_free_vgpr 46
		.amdhsa_next_free_sgpr 17
		.amdhsa_reserve_vcc 1
		.amdhsa_reserve_flat_scratch 0
		.amdhsa_float_round_mode_32 0
		.amdhsa_float_round_mode_16_64 0
		.amdhsa_float_denorm_mode_32 3
		.amdhsa_float_denorm_mode_16_64 3
		.amdhsa_dx10_clamp 1
		.amdhsa_ieee_mode 1
		.amdhsa_fp16_overflow 0
		.amdhsa_workgroup_processor_mode 1
		.amdhsa_memory_ordered 1
		.amdhsa_forward_progress 1
		.amdhsa_shared_vgpr_count 0
		.amdhsa_exception_fp_ieee_invalid_op 0
		.amdhsa_exception_fp_denorm_src 0
		.amdhsa_exception_fp_ieee_div_zero 0
		.amdhsa_exception_fp_ieee_overflow 0
		.amdhsa_exception_fp_ieee_underflow 0
		.amdhsa_exception_fp_ieee_inexact 0
		.amdhsa_exception_int_div_zero 0
	.end_amdhsa_kernel
	.section	.text._ZN9rocsolver6v33100L18trti2_kernel_smallILi7E19rocblas_complex_numIdEPS3_EEv13rocblas_fill_17rocblas_diagonal_T1_iil,"axG",@progbits,_ZN9rocsolver6v33100L18trti2_kernel_smallILi7E19rocblas_complex_numIdEPS3_EEv13rocblas_fill_17rocblas_diagonal_T1_iil,comdat
.Lfunc_end6:
	.size	_ZN9rocsolver6v33100L18trti2_kernel_smallILi7E19rocblas_complex_numIdEPS3_EEv13rocblas_fill_17rocblas_diagonal_T1_iil, .Lfunc_end6-_ZN9rocsolver6v33100L18trti2_kernel_smallILi7E19rocblas_complex_numIdEPS3_EEv13rocblas_fill_17rocblas_diagonal_T1_iil
                                        ; -- End function
	.set _ZN9rocsolver6v33100L18trti2_kernel_smallILi7E19rocblas_complex_numIdEPS3_EEv13rocblas_fill_17rocblas_diagonal_T1_iil.num_vgpr, 46
	.set _ZN9rocsolver6v33100L18trti2_kernel_smallILi7E19rocblas_complex_numIdEPS3_EEv13rocblas_fill_17rocblas_diagonal_T1_iil.num_agpr, 0
	.set _ZN9rocsolver6v33100L18trti2_kernel_smallILi7E19rocblas_complex_numIdEPS3_EEv13rocblas_fill_17rocblas_diagonal_T1_iil.numbered_sgpr, 17
	.set _ZN9rocsolver6v33100L18trti2_kernel_smallILi7E19rocblas_complex_numIdEPS3_EEv13rocblas_fill_17rocblas_diagonal_T1_iil.num_named_barrier, 0
	.set _ZN9rocsolver6v33100L18trti2_kernel_smallILi7E19rocblas_complex_numIdEPS3_EEv13rocblas_fill_17rocblas_diagonal_T1_iil.private_seg_size, 128
	.set _ZN9rocsolver6v33100L18trti2_kernel_smallILi7E19rocblas_complex_numIdEPS3_EEv13rocblas_fill_17rocblas_diagonal_T1_iil.uses_vcc, 1
	.set _ZN9rocsolver6v33100L18trti2_kernel_smallILi7E19rocblas_complex_numIdEPS3_EEv13rocblas_fill_17rocblas_diagonal_T1_iil.uses_flat_scratch, 0
	.set _ZN9rocsolver6v33100L18trti2_kernel_smallILi7E19rocblas_complex_numIdEPS3_EEv13rocblas_fill_17rocblas_diagonal_T1_iil.has_dyn_sized_stack, 0
	.set _ZN9rocsolver6v33100L18trti2_kernel_smallILi7E19rocblas_complex_numIdEPS3_EEv13rocblas_fill_17rocblas_diagonal_T1_iil.has_recursion, 0
	.set _ZN9rocsolver6v33100L18trti2_kernel_smallILi7E19rocblas_complex_numIdEPS3_EEv13rocblas_fill_17rocblas_diagonal_T1_iil.has_indirect_call, 0
	.section	.AMDGPU.csdata,"",@progbits
; Kernel info:
; codeLenInByte = 6544
; TotalNumSgprs: 19
; NumVgprs: 46
; ScratchSize: 128
; MemoryBound: 0
; FloatMode: 240
; IeeeMode: 1
; LDSByteSize: 224 bytes/workgroup (compile time only)
; SGPRBlocks: 0
; VGPRBlocks: 5
; NumSGPRsForWavesPerEU: 19
; NumVGPRsForWavesPerEU: 46
; Occupancy: 16
; WaveLimiterHint : 0
; COMPUTE_PGM_RSRC2:SCRATCH_EN: 1
; COMPUTE_PGM_RSRC2:USER_SGPR: 6
; COMPUTE_PGM_RSRC2:TRAP_HANDLER: 0
; COMPUTE_PGM_RSRC2:TGID_X_EN: 1
; COMPUTE_PGM_RSRC2:TGID_Y_EN: 0
; COMPUTE_PGM_RSRC2:TGID_Z_EN: 0
; COMPUTE_PGM_RSRC2:TIDIG_COMP_CNT: 0
	.section	.text._ZN9rocsolver6v33100L18trti2_kernel_smallILi8E19rocblas_complex_numIdEPS3_EEv13rocblas_fill_17rocblas_diagonal_T1_iil,"axG",@progbits,_ZN9rocsolver6v33100L18trti2_kernel_smallILi8E19rocblas_complex_numIdEPS3_EEv13rocblas_fill_17rocblas_diagonal_T1_iil,comdat
	.globl	_ZN9rocsolver6v33100L18trti2_kernel_smallILi8E19rocblas_complex_numIdEPS3_EEv13rocblas_fill_17rocblas_diagonal_T1_iil ; -- Begin function _ZN9rocsolver6v33100L18trti2_kernel_smallILi8E19rocblas_complex_numIdEPS3_EEv13rocblas_fill_17rocblas_diagonal_T1_iil
	.p2align	8
	.type	_ZN9rocsolver6v33100L18trti2_kernel_smallILi8E19rocblas_complex_numIdEPS3_EEv13rocblas_fill_17rocblas_diagonal_T1_iil,@function
_ZN9rocsolver6v33100L18trti2_kernel_smallILi8E19rocblas_complex_numIdEPS3_EEv13rocblas_fill_17rocblas_diagonal_T1_iil: ; @_ZN9rocsolver6v33100L18trti2_kernel_smallILi8E19rocblas_complex_numIdEPS3_EEv13rocblas_fill_17rocblas_diagonal_T1_iil
; %bb.0:
	s_add_u32 s0, s0, s7
	s_addc_u32 s1, s1, 0
	s_mov_b32 s7, exec_lo
	v_cmpx_gt_u32_e32 8, v0
	s_cbranch_execz .LBB7_115
; %bb.1:
	s_load_dwordx8 s[8:15], s[4:5], 0x0
	s_ashr_i32 s7, s6, 31
	v_lshlrev_b32_e32 v27, 4, v0
	s_waitcnt lgkmcnt(0)
	v_add3_u32 v1, s13, s13, v0
	s_ashr_i32 s5, s12, 31
	s_mov_b32 s4, s12
	s_mul_hi_u32 s12, s14, s6
	s_mul_i32 s7, s14, s7
	v_add_nc_u32_e32 v11, s13, v1
	s_mul_i32 s15, s15, s6
	s_add_i32 s7, s12, s7
	s_mul_i32 s6, s14, s6
	s_add_i32 s7, s7, s15
	v_add_nc_u32_e32 v13, s13, v11
	s_lshl_b64 s[6:7], s[6:7], 4
	v_ashrrev_i32_e32 v2, 31, v1
	s_add_u32 s6, s10, s6
	s_addc_u32 s7, s11, s7
	s_lshl_b64 s[4:5], s[4:5], 4
	v_add_nc_u32_e32 v15, s13, v13
	v_ashrrev_i32_e32 v12, 31, v11
	s_add_u32 s4, s6, s4
	s_addc_u32 s5, s7, s5
	v_add_co_u32 v5, s6, s4, v27
	v_ashrrev_i32_e32 v14, 31, v13
	s_mov_b32 s14, s13
	v_lshlrev_b64 v[9:10], 4, v[1:2]
	s_ashr_i32 s15, s13, 31
	v_add_co_ci_u32_e64 v6, null, s5, 0, s6
	v_ashrrev_i32_e32 v16, 31, v15
	v_add_nc_u32_e32 v18, s13, v15
	s_lshl_b64 s[6:7], s[14:15], 4
	v_lshlrev_b64 v[11:12], 4, v[11:12]
	v_add_co_u32 v7, vcc_lo, v5, s6
	v_lshlrev_b64 v[13:14], 4, v[13:14]
	v_add_co_ci_u32_e64 v8, null, s7, v6, vcc_lo
	v_add_co_u32 v9, vcc_lo, s4, v9
	v_lshlrev_b64 v[16:17], 4, v[15:16]
	v_add_nc_u32_e32 v25, s13, v18
	v_add_co_ci_u32_e64 v10, null, s5, v10, vcc_lo
	v_add_co_u32 v11, vcc_lo, s4, v11
	v_ashrrev_i32_e32 v19, 31, v18
	v_add_co_ci_u32_e64 v12, null, s5, v12, vcc_lo
	v_add_co_u32 v13, vcc_lo, s4, v13
	v_ashrrev_i32_e32 v26, 31, v25
	v_add_co_ci_u32_e64 v14, null, s5, v14, vcc_lo
	v_add_co_u32 v15, vcc_lo, s4, v16
	v_add_co_ci_u32_e64 v16, null, s5, v17, vcc_lo
	v_lshlrev_b64 v[17:18], 4, v[18:19]
	v_lshlrev_b64 v[25:26], 4, v[25:26]
	s_clause 0x5
	global_load_dwordx4 v[1:4], v27, s[4:5]
	global_load_dwordx4 v[21:24], v[7:8], off
	global_load_dwordx4 v[28:31], v[9:10], off
	;; [unrolled: 1-line block ×5, first 2 shown]
	s_cmpk_lg_i32 s9, 0x84
	v_add_co_u32 v19, vcc_lo, s4, v17
	v_add_co_ci_u32_e64 v20, null, s5, v18, vcc_lo
	v_add_co_u32 v17, vcc_lo, s4, v25
	v_add_co_ci_u32_e64 v18, null, s5, v26, vcc_lo
	s_clause 0x1
	global_load_dwordx4 v[44:47], v[19:20], off
	global_load_dwordx4 v[48:51], v[17:18], off
	s_movk_i32 s4, 0x50
	s_movk_i32 s5, 0x60
	;; [unrolled: 1-line block ×3, first 2 shown]
	s_cselect_b32 s15, -1, 0
	s_cmpk_eq_i32 s9, 0x84
	s_waitcnt vmcnt(7)
	buffer_store_dword v4, off, s[0:3], 0 offset:12
	buffer_store_dword v3, off, s[0:3], 0 offset:8
	;; [unrolled: 1-line block ×3, first 2 shown]
	buffer_store_dword v1, off, s[0:3], 0
	s_waitcnt vmcnt(6)
	buffer_store_dword v24, off, s[0:3], 0 offset:28
	buffer_store_dword v23, off, s[0:3], 0 offset:24
	buffer_store_dword v22, off, s[0:3], 0 offset:20
	buffer_store_dword v21, off, s[0:3], 0 offset:16
	s_waitcnt vmcnt(5)
	buffer_store_dword v31, off, s[0:3], 0 offset:44
	buffer_store_dword v30, off, s[0:3], 0 offset:40
	buffer_store_dword v29, off, s[0:3], 0 offset:36
	buffer_store_dword v28, off, s[0:3], 0 offset:32
	;; [unrolled: 5-line block ×7, first 2 shown]
	s_cbranch_scc1 .LBB7_7
; %bb.2:
	v_lshl_add_u32 v28, v0, 4, 0
                                        ; implicit-def: $vgpr23_vgpr24
                                        ; implicit-def: $vgpr3_vgpr4
	s_clause 0x3
	buffer_load_dword v21, v28, s[0:3], 0 offen
	buffer_load_dword v22, v28, s[0:3], 0 offen offset:4
	buffer_load_dword v25, v28, s[0:3], 0 offen offset:8
	buffer_load_dword v26, v28, s[0:3], 0 offen offset:12
	s_waitcnt vmcnt(0)
	v_cmp_ngt_f64_e64 s7, |v[21:22]|, |v[25:26]|
	s_and_saveexec_b32 s9, s7
	s_xor_b32 s7, exec_lo, s9
	s_cbranch_execz .LBB7_4
; %bb.3:
	v_div_scale_f64 v[1:2], null, v[25:26], v[25:26], v[21:22]
	v_div_scale_f64 v[29:30], vcc_lo, v[21:22], v[25:26], v[21:22]
	v_rcp_f64_e32 v[3:4], v[1:2]
	v_fma_f64 v[23:24], -v[1:2], v[3:4], 1.0
	v_fma_f64 v[3:4], v[3:4], v[23:24], v[3:4]
	v_fma_f64 v[23:24], -v[1:2], v[3:4], 1.0
	v_fma_f64 v[3:4], v[3:4], v[23:24], v[3:4]
	v_mul_f64 v[23:24], v[29:30], v[3:4]
	v_fma_f64 v[1:2], -v[1:2], v[23:24], v[29:30]
	v_div_fmas_f64 v[1:2], v[1:2], v[3:4], v[23:24]
	v_div_fixup_f64 v[1:2], v[1:2], v[25:26], v[21:22]
	v_fma_f64 v[3:4], v[21:22], v[1:2], v[25:26]
	v_div_scale_f64 v[21:22], null, v[3:4], v[3:4], 1.0
	v_div_scale_f64 v[29:30], vcc_lo, 1.0, v[3:4], 1.0
	v_rcp_f64_e32 v[23:24], v[21:22]
	v_fma_f64 v[25:26], -v[21:22], v[23:24], 1.0
	v_fma_f64 v[23:24], v[23:24], v[25:26], v[23:24]
	v_fma_f64 v[25:26], -v[21:22], v[23:24], 1.0
	v_fma_f64 v[23:24], v[23:24], v[25:26], v[23:24]
	v_mul_f64 v[25:26], v[29:30], v[23:24]
	v_fma_f64 v[21:22], -v[21:22], v[25:26], v[29:30]
	v_div_fmas_f64 v[21:22], v[21:22], v[23:24], v[25:26]
                                        ; implicit-def: $vgpr25_vgpr26
	v_div_fixup_f64 v[3:4], v[21:22], v[3:4], 1.0
                                        ; implicit-def: $vgpr21_vgpr22
	v_mul_f64 v[23:24], v[1:2], v[3:4]
	v_xor_b32_e32 v4, 0x80000000, v4
	v_xor_b32_e32 v2, 0x80000000, v24
	v_mov_b32_e32 v1, v23
.LBB7_4:
	s_andn2_saveexec_b32 s7, s7
	s_cbranch_execz .LBB7_6
; %bb.5:
	v_div_scale_f64 v[1:2], null, v[21:22], v[21:22], v[25:26]
	v_div_scale_f64 v[29:30], vcc_lo, v[25:26], v[21:22], v[25:26]
	v_rcp_f64_e32 v[3:4], v[1:2]
	v_fma_f64 v[23:24], -v[1:2], v[3:4], 1.0
	v_fma_f64 v[3:4], v[3:4], v[23:24], v[3:4]
	v_fma_f64 v[23:24], -v[1:2], v[3:4], 1.0
	v_fma_f64 v[3:4], v[3:4], v[23:24], v[3:4]
	v_mul_f64 v[23:24], v[29:30], v[3:4]
	v_fma_f64 v[1:2], -v[1:2], v[23:24], v[29:30]
	v_div_fmas_f64 v[1:2], v[1:2], v[3:4], v[23:24]
	v_div_fixup_f64 v[1:2], v[1:2], v[21:22], v[25:26]
	v_fma_f64 v[3:4], v[25:26], v[1:2], v[21:22]
	v_div_scale_f64 v[21:22], null, v[3:4], v[3:4], 1.0
	v_rcp_f64_e32 v[23:24], v[21:22]
	v_fma_f64 v[25:26], -v[21:22], v[23:24], 1.0
	v_fma_f64 v[23:24], v[23:24], v[25:26], v[23:24]
	v_fma_f64 v[25:26], -v[21:22], v[23:24], 1.0
	v_fma_f64 v[23:24], v[23:24], v[25:26], v[23:24]
	v_div_scale_f64 v[25:26], vcc_lo, 1.0, v[3:4], 1.0
	v_mul_f64 v[29:30], v[25:26], v[23:24]
	v_fma_f64 v[21:22], -v[21:22], v[29:30], v[25:26]
	v_div_fmas_f64 v[21:22], v[21:22], v[23:24], v[29:30]
	v_div_fixup_f64 v[23:24], v[21:22], v[3:4], 1.0
	v_mul_f64 v[3:4], v[1:2], -v[23:24]
	v_xor_b32_e32 v2, 0x80000000, v24
	v_mov_b32_e32 v1, v23
.LBB7_6:
	s_or_b32 exec_lo, exec_lo, s7
	buffer_store_dword v4, v28, s[0:3], 0 offen offset:12
	v_xor_b32_e32 v4, 0x80000000, v4
	buffer_store_dword v24, v28, s[0:3], 0 offen offset:4
	buffer_store_dword v23, v28, s[0:3], 0 offen
	buffer_store_dword v3, v28, s[0:3], 0 offen offset:8
	s_branch .LBB7_8
.LBB7_7:
	v_mov_b32_e32 v1, 0
	v_mov_b32_e32 v3, 0
	;; [unrolled: 1-line block ×4, first 2 shown]
.LBB7_8:
	v_add_nc_u32_e32 v22, 0x80, v27
	v_mov_b32_e32 v21, v27
	s_mov_b32 s14, 16
	s_mov_b32 s13, 32
	;; [unrolled: 1-line block ×7, first 2 shown]
	s_cmpk_eq_i32 s8, 0x79
	ds_write_b128 v27, v[1:4]
	s_cbranch_scc1 .LBB7_60
; %bb.9:
	v_mov_b32_e32 v4, s9
	v_cmp_eq_u32_e64 s4, 7, v0
	s_clause 0x3
	buffer_load_dword v1, v4, s[0:3], 0 offen
	buffer_load_dword v2, v4, s[0:3], 0 offen offset:4
	buffer_load_dword v3, v4, s[0:3], 0 offen offset:8
	;; [unrolled: 1-line block ×3, first 2 shown]
	s_waitcnt vmcnt(0)
	ds_write_b128 v22, v[1:4]
	s_waitcnt lgkmcnt(0)
	s_waitcnt_vscnt null, 0x0
	s_barrier
	buffer_gl0_inv
	s_and_saveexec_b32 s5, s4
	s_cbranch_execz .LBB7_13
; %bb.10:
	ds_read_b128 v[1:4], v22
	s_andn2_b32 vcc_lo, exec_lo, s15
	s_cbranch_vccnz .LBB7_12
; %bb.11:
	s_clause 0x3
	buffer_load_dword v23, v21, s[0:3], 0 offen offset:8
	buffer_load_dword v24, v21, s[0:3], 0 offen offset:12
	buffer_load_dword v25, v21, s[0:3], 0 offen
	buffer_load_dword v26, v21, s[0:3], 0 offen offset:4
	s_waitcnt vmcnt(2) lgkmcnt(0)
	v_mul_f64 v[28:29], v[3:4], v[23:24]
	v_mul_f64 v[23:24], v[1:2], v[23:24]
	s_waitcnt vmcnt(0)
	v_fma_f64 v[1:2], v[1:2], v[25:26], -v[28:29]
	v_fma_f64 v[3:4], v[3:4], v[25:26], v[23:24]
.LBB7_12:
	v_mov_b32_e32 v23, 0
	ds_read_b128 v[23:26], v23 offset:96
	s_waitcnt lgkmcnt(0)
	v_mul_f64 v[28:29], v[3:4], v[25:26]
	v_mul_f64 v[25:26], v[1:2], v[25:26]
	v_fma_f64 v[1:2], v[1:2], v[23:24], -v[28:29]
	v_fma_f64 v[3:4], v[3:4], v[23:24], v[25:26]
	buffer_store_dword v2, off, s[0:3], 0 offset:100
	buffer_store_dword v1, off, s[0:3], 0 offset:96
	;; [unrolled: 1-line block ×4, first 2 shown]
.LBB7_13:
	s_or_b32 exec_lo, exec_lo, s5
	v_mov_b32_e32 v4, s10
	v_cmp_lt_u32_e64 s5, 5, v0
	s_clause 0x3
	buffer_load_dword v1, v4, s[0:3], 0 offen
	buffer_load_dword v2, v4, s[0:3], 0 offen offset:4
	buffer_load_dword v3, v4, s[0:3], 0 offen offset:8
	;; [unrolled: 1-line block ×3, first 2 shown]
	s_waitcnt vmcnt(0)
	ds_write_b128 v22, v[1:4]
	s_waitcnt lgkmcnt(0)
	s_waitcnt_vscnt null, 0x0
	s_barrier
	buffer_gl0_inv
	s_and_saveexec_b32 s6, s5
	s_cbranch_execz .LBB7_19
; %bb.14:
	ds_read_b128 v[1:4], v22
	s_andn2_b32 vcc_lo, exec_lo, s15
	s_cbranch_vccnz .LBB7_16
; %bb.15:
	s_clause 0x3
	buffer_load_dword v23, v21, s[0:3], 0 offen offset:8
	buffer_load_dword v24, v21, s[0:3], 0 offen offset:12
	buffer_load_dword v25, v21, s[0:3], 0 offen
	buffer_load_dword v26, v21, s[0:3], 0 offen offset:4
	s_waitcnt vmcnt(2) lgkmcnt(0)
	v_mul_f64 v[28:29], v[3:4], v[23:24]
	v_mul_f64 v[23:24], v[1:2], v[23:24]
	s_waitcnt vmcnt(0)
	v_fma_f64 v[1:2], v[1:2], v[25:26], -v[28:29]
	v_fma_f64 v[3:4], v[3:4], v[25:26], v[23:24]
.LBB7_16:
	s_and_saveexec_b32 s8, s4
	s_cbranch_execz .LBB7_18
; %bb.17:
	s_clause 0x3
	buffer_load_dword v28, off, s[0:3], 0 offset:104
	buffer_load_dword v29, off, s[0:3], 0 offset:108
	;; [unrolled: 1-line block ×4, first 2 shown]
	v_mov_b32_e32 v23, 0
	ds_read_b128 v[23:26], v23 offset:224
	s_waitcnt vmcnt(2) lgkmcnt(0)
	v_mul_f64 v[32:33], v[23:24], v[28:29]
	v_mul_f64 v[28:29], v[25:26], v[28:29]
	s_waitcnt vmcnt(0)
	v_fma_f64 v[25:26], v[25:26], v[30:31], v[32:33]
	v_fma_f64 v[23:24], v[23:24], v[30:31], -v[28:29]
	v_add_f64 v[3:4], v[3:4], v[25:26]
	v_add_f64 v[1:2], v[1:2], v[23:24]
.LBB7_18:
	s_or_b32 exec_lo, exec_lo, s8
	v_mov_b32_e32 v23, 0
	ds_read_b128 v[23:26], v23 offset:80
	s_waitcnt lgkmcnt(0)
	v_mul_f64 v[28:29], v[3:4], v[25:26]
	v_mul_f64 v[25:26], v[1:2], v[25:26]
	v_fma_f64 v[1:2], v[1:2], v[23:24], -v[28:29]
	v_fma_f64 v[3:4], v[3:4], v[23:24], v[25:26]
	buffer_store_dword v2, off, s[0:3], 0 offset:84
	buffer_store_dword v1, off, s[0:3], 0 offset:80
	;; [unrolled: 1-line block ×4, first 2 shown]
.LBB7_19:
	s_or_b32 exec_lo, exec_lo, s6
	v_mov_b32_e32 v4, s11
	v_cmp_lt_u32_e64 s4, 4, v0
	s_clause 0x3
	buffer_load_dword v1, v4, s[0:3], 0 offen
	buffer_load_dword v2, v4, s[0:3], 0 offen offset:4
	buffer_load_dword v3, v4, s[0:3], 0 offen offset:8
	buffer_load_dword v4, v4, s[0:3], 0 offen offset:12
	s_waitcnt vmcnt(0)
	ds_write_b128 v22, v[1:4]
	s_waitcnt lgkmcnt(0)
	s_waitcnt_vscnt null, 0x0
	s_barrier
	buffer_gl0_inv
	s_and_saveexec_b32 s6, s4
	s_cbranch_execz .LBB7_27
; %bb.20:
	ds_read_b128 v[1:4], v22
	s_andn2_b32 vcc_lo, exec_lo, s15
	s_cbranch_vccnz .LBB7_22
; %bb.21:
	s_clause 0x3
	buffer_load_dword v23, v21, s[0:3], 0 offen offset:8
	buffer_load_dword v24, v21, s[0:3], 0 offen offset:12
	buffer_load_dword v25, v21, s[0:3], 0 offen
	buffer_load_dword v26, v21, s[0:3], 0 offen offset:4
	s_waitcnt vmcnt(2) lgkmcnt(0)
	v_mul_f64 v[28:29], v[3:4], v[23:24]
	v_mul_f64 v[23:24], v[1:2], v[23:24]
	s_waitcnt vmcnt(0)
	v_fma_f64 v[1:2], v[1:2], v[25:26], -v[28:29]
	v_fma_f64 v[3:4], v[3:4], v[25:26], v[23:24]
.LBB7_22:
	s_and_saveexec_b32 s8, s5
	s_cbranch_execz .LBB7_26
; %bb.23:
	v_add_nc_u32_e32 v23, -5, v0
	s_movk_i32 s16, 0xd0
	s_mov_b32 s5, 0
	s_mov_b32 s17, s10
	.p2align	6
.LBB7_24:                               ; =>This Inner Loop Header: Depth=1
	v_mov_b32_e32 v26, s17
	v_add_nc_u32_e32 v23, -1, v23
	s_add_i32 s17, s17, 16
	s_clause 0x3
	buffer_load_dword v24, v26, s[0:3], 0 offen offset:8
	buffer_load_dword v25, v26, s[0:3], 0 offen offset:12
	buffer_load_dword v32, v26, s[0:3], 0 offen
	buffer_load_dword v33, v26, s[0:3], 0 offen offset:4
	v_mov_b32_e32 v26, s16
	v_cmp_eq_u32_e32 vcc_lo, 0, v23
	s_add_i32 s16, s16, 16
	ds_read_b128 v[28:31], v26
	s_or_b32 s5, vcc_lo, s5
	s_waitcnt vmcnt(2) lgkmcnt(0)
	v_mul_f64 v[34:35], v[30:31], v[24:25]
	v_mul_f64 v[24:25], v[28:29], v[24:25]
	s_waitcnt vmcnt(0)
	v_fma_f64 v[28:29], v[28:29], v[32:33], -v[34:35]
	v_fma_f64 v[24:25], v[30:31], v[32:33], v[24:25]
	v_add_f64 v[1:2], v[1:2], v[28:29]
	v_add_f64 v[3:4], v[3:4], v[24:25]
	s_andn2_b32 exec_lo, exec_lo, s5
	s_cbranch_execnz .LBB7_24
; %bb.25:
	s_or_b32 exec_lo, exec_lo, s5
.LBB7_26:
	s_or_b32 exec_lo, exec_lo, s8
	v_mov_b32_e32 v23, 0
	ds_read_b128 v[23:26], v23 offset:64
	s_waitcnt lgkmcnt(0)
	v_mul_f64 v[28:29], v[3:4], v[25:26]
	v_mul_f64 v[25:26], v[1:2], v[25:26]
	v_fma_f64 v[1:2], v[1:2], v[23:24], -v[28:29]
	v_fma_f64 v[3:4], v[3:4], v[23:24], v[25:26]
	buffer_store_dword v2, off, s[0:3], 0 offset:68
	buffer_store_dword v1, off, s[0:3], 0 offset:64
	;; [unrolled: 1-line block ×4, first 2 shown]
.LBB7_27:
	s_or_b32 exec_lo, exec_lo, s6
	v_mov_b32_e32 v4, s12
	v_cmp_lt_u32_e64 s5, 3, v0
	s_clause 0x3
	buffer_load_dword v1, v4, s[0:3], 0 offen
	buffer_load_dword v2, v4, s[0:3], 0 offen offset:4
	buffer_load_dword v3, v4, s[0:3], 0 offen offset:8
	;; [unrolled: 1-line block ×3, first 2 shown]
	s_waitcnt vmcnt(0)
	ds_write_b128 v22, v[1:4]
	s_waitcnt lgkmcnt(0)
	s_waitcnt_vscnt null, 0x0
	s_barrier
	buffer_gl0_inv
	s_and_saveexec_b32 s6, s5
	s_cbranch_execz .LBB7_35
; %bb.28:
	ds_read_b128 v[1:4], v22
	s_andn2_b32 vcc_lo, exec_lo, s15
	s_cbranch_vccnz .LBB7_30
; %bb.29:
	s_clause 0x3
	buffer_load_dword v23, v21, s[0:3], 0 offen offset:8
	buffer_load_dword v24, v21, s[0:3], 0 offen offset:12
	buffer_load_dword v25, v21, s[0:3], 0 offen
	buffer_load_dword v26, v21, s[0:3], 0 offen offset:4
	s_waitcnt vmcnt(2) lgkmcnt(0)
	v_mul_f64 v[28:29], v[3:4], v[23:24]
	v_mul_f64 v[23:24], v[1:2], v[23:24]
	s_waitcnt vmcnt(0)
	v_fma_f64 v[1:2], v[1:2], v[25:26], -v[28:29]
	v_fma_f64 v[3:4], v[3:4], v[25:26], v[23:24]
.LBB7_30:
	s_and_saveexec_b32 s8, s4
	s_cbranch_execz .LBB7_34
; %bb.31:
	v_add_nc_u32_e32 v23, -4, v0
	s_movk_i32 s16, 0xc0
	s_mov_b32 s4, 0
	s_mov_b32 s17, s11
	.p2align	6
.LBB7_32:                               ; =>This Inner Loop Header: Depth=1
	v_mov_b32_e32 v26, s17
	v_add_nc_u32_e32 v23, -1, v23
	s_add_i32 s17, s17, 16
	s_clause 0x3
	buffer_load_dword v24, v26, s[0:3], 0 offen offset:8
	buffer_load_dword v25, v26, s[0:3], 0 offen offset:12
	buffer_load_dword v32, v26, s[0:3], 0 offen
	buffer_load_dword v33, v26, s[0:3], 0 offen offset:4
	v_mov_b32_e32 v26, s16
	v_cmp_eq_u32_e32 vcc_lo, 0, v23
	s_add_i32 s16, s16, 16
	ds_read_b128 v[28:31], v26
	s_or_b32 s4, vcc_lo, s4
	s_waitcnt vmcnt(2) lgkmcnt(0)
	v_mul_f64 v[34:35], v[30:31], v[24:25]
	v_mul_f64 v[24:25], v[28:29], v[24:25]
	s_waitcnt vmcnt(0)
	v_fma_f64 v[28:29], v[28:29], v[32:33], -v[34:35]
	v_fma_f64 v[24:25], v[30:31], v[32:33], v[24:25]
	v_add_f64 v[1:2], v[1:2], v[28:29]
	v_add_f64 v[3:4], v[3:4], v[24:25]
	s_andn2_b32 exec_lo, exec_lo, s4
	s_cbranch_execnz .LBB7_32
; %bb.33:
	s_or_b32 exec_lo, exec_lo, s4
.LBB7_34:
	s_or_b32 exec_lo, exec_lo, s8
	v_mov_b32_e32 v23, 0
	ds_read_b128 v[23:26], v23 offset:48
	s_waitcnt lgkmcnt(0)
	v_mul_f64 v[28:29], v[3:4], v[25:26]
	v_mul_f64 v[25:26], v[1:2], v[25:26]
	v_fma_f64 v[1:2], v[1:2], v[23:24], -v[28:29]
	v_fma_f64 v[3:4], v[3:4], v[23:24], v[25:26]
	buffer_store_dword v2, off, s[0:3], 0 offset:52
	buffer_store_dword v1, off, s[0:3], 0 offset:48
	;; [unrolled: 1-line block ×4, first 2 shown]
.LBB7_35:
	s_or_b32 exec_lo, exec_lo, s6
	v_mov_b32_e32 v4, s13
	v_cmp_lt_u32_e64 s6, 2, v0
	s_clause 0x3
	buffer_load_dword v1, v4, s[0:3], 0 offen
	buffer_load_dword v2, v4, s[0:3], 0 offen offset:4
	buffer_load_dword v3, v4, s[0:3], 0 offen offset:8
	;; [unrolled: 1-line block ×3, first 2 shown]
	s_waitcnt vmcnt(0)
	ds_write_b128 v22, v[1:4]
	s_waitcnt lgkmcnt(0)
	s_waitcnt_vscnt null, 0x0
	s_barrier
	buffer_gl0_inv
	s_and_saveexec_b32 s4, s6
	s_cbranch_execz .LBB7_43
; %bb.36:
	ds_read_b128 v[1:4], v22
	s_andn2_b32 vcc_lo, exec_lo, s15
	s_cbranch_vccnz .LBB7_38
; %bb.37:
	s_clause 0x3
	buffer_load_dword v23, v21, s[0:3], 0 offen offset:8
	buffer_load_dword v24, v21, s[0:3], 0 offen offset:12
	buffer_load_dword v25, v21, s[0:3], 0 offen
	buffer_load_dword v26, v21, s[0:3], 0 offen offset:4
	s_waitcnt vmcnt(2) lgkmcnt(0)
	v_mul_f64 v[28:29], v[3:4], v[23:24]
	v_mul_f64 v[23:24], v[1:2], v[23:24]
	s_waitcnt vmcnt(0)
	v_fma_f64 v[1:2], v[1:2], v[25:26], -v[28:29]
	v_fma_f64 v[3:4], v[3:4], v[25:26], v[23:24]
.LBB7_38:
	s_and_saveexec_b32 s8, s5
	s_cbranch_execz .LBB7_42
; %bb.39:
	v_add_nc_u32_e32 v23, -3, v0
	s_movk_i32 s16, 0xb0
	s_mov_b32 s5, 0
	s_mov_b32 s17, s12
	.p2align	6
.LBB7_40:                               ; =>This Inner Loop Header: Depth=1
	v_mov_b32_e32 v26, s17
	v_add_nc_u32_e32 v23, -1, v23
	s_add_i32 s17, s17, 16
	s_clause 0x3
	buffer_load_dword v24, v26, s[0:3], 0 offen offset:8
	buffer_load_dword v25, v26, s[0:3], 0 offen offset:12
	buffer_load_dword v32, v26, s[0:3], 0 offen
	buffer_load_dword v33, v26, s[0:3], 0 offen offset:4
	v_mov_b32_e32 v26, s16
	v_cmp_eq_u32_e32 vcc_lo, 0, v23
	s_add_i32 s16, s16, 16
	ds_read_b128 v[28:31], v26
	s_or_b32 s5, vcc_lo, s5
	s_waitcnt vmcnt(2) lgkmcnt(0)
	v_mul_f64 v[34:35], v[30:31], v[24:25]
	v_mul_f64 v[24:25], v[28:29], v[24:25]
	s_waitcnt vmcnt(0)
	v_fma_f64 v[28:29], v[28:29], v[32:33], -v[34:35]
	v_fma_f64 v[24:25], v[30:31], v[32:33], v[24:25]
	v_add_f64 v[1:2], v[1:2], v[28:29]
	v_add_f64 v[3:4], v[3:4], v[24:25]
	s_andn2_b32 exec_lo, exec_lo, s5
	s_cbranch_execnz .LBB7_40
; %bb.41:
	s_or_b32 exec_lo, exec_lo, s5
.LBB7_42:
	s_or_b32 exec_lo, exec_lo, s8
	v_mov_b32_e32 v23, 0
	ds_read_b128 v[23:26], v23 offset:32
	s_waitcnt lgkmcnt(0)
	v_mul_f64 v[28:29], v[3:4], v[25:26]
	v_mul_f64 v[25:26], v[1:2], v[25:26]
	v_fma_f64 v[1:2], v[1:2], v[23:24], -v[28:29]
	v_fma_f64 v[3:4], v[3:4], v[23:24], v[25:26]
	buffer_store_dword v2, off, s[0:3], 0 offset:36
	buffer_store_dword v1, off, s[0:3], 0 offset:32
	;; [unrolled: 1-line block ×4, first 2 shown]
.LBB7_43:
	s_or_b32 exec_lo, exec_lo, s4
	v_mov_b32_e32 v4, s14
	v_cmp_lt_u32_e64 s4, 1, v0
	s_clause 0x3
	buffer_load_dword v1, v4, s[0:3], 0 offen
	buffer_load_dword v2, v4, s[0:3], 0 offen offset:4
	buffer_load_dword v3, v4, s[0:3], 0 offen offset:8
	;; [unrolled: 1-line block ×3, first 2 shown]
	s_waitcnt vmcnt(0)
	ds_write_b128 v22, v[1:4]
	s_waitcnt lgkmcnt(0)
	s_waitcnt_vscnt null, 0x0
	s_barrier
	buffer_gl0_inv
	s_and_saveexec_b32 s5, s4
	s_cbranch_execz .LBB7_51
; %bb.44:
	ds_read_b128 v[1:4], v22
	s_andn2_b32 vcc_lo, exec_lo, s15
	s_cbranch_vccnz .LBB7_46
; %bb.45:
	s_clause 0x3
	buffer_load_dword v23, v21, s[0:3], 0 offen offset:8
	buffer_load_dword v24, v21, s[0:3], 0 offen offset:12
	buffer_load_dword v25, v21, s[0:3], 0 offen
	buffer_load_dword v26, v21, s[0:3], 0 offen offset:4
	s_waitcnt vmcnt(2) lgkmcnt(0)
	v_mul_f64 v[28:29], v[3:4], v[23:24]
	v_mul_f64 v[23:24], v[1:2], v[23:24]
	s_waitcnt vmcnt(0)
	v_fma_f64 v[1:2], v[1:2], v[25:26], -v[28:29]
	v_fma_f64 v[3:4], v[3:4], v[25:26], v[23:24]
.LBB7_46:
	s_and_saveexec_b32 s8, s6
	s_cbranch_execz .LBB7_50
; %bb.47:
	v_add_nc_u32_e32 v23, -2, v0
	s_movk_i32 s16, 0xa0
	s_mov_b32 s6, 0
	s_mov_b32 s17, s13
	.p2align	6
.LBB7_48:                               ; =>This Inner Loop Header: Depth=1
	v_mov_b32_e32 v26, s17
	v_add_nc_u32_e32 v23, -1, v23
	s_add_i32 s17, s17, 16
	s_clause 0x3
	buffer_load_dword v24, v26, s[0:3], 0 offen offset:8
	buffer_load_dword v25, v26, s[0:3], 0 offen offset:12
	buffer_load_dword v32, v26, s[0:3], 0 offen
	buffer_load_dword v33, v26, s[0:3], 0 offen offset:4
	v_mov_b32_e32 v26, s16
	v_cmp_eq_u32_e32 vcc_lo, 0, v23
	s_add_i32 s16, s16, 16
	ds_read_b128 v[28:31], v26
	s_or_b32 s6, vcc_lo, s6
	s_waitcnt vmcnt(2) lgkmcnt(0)
	v_mul_f64 v[34:35], v[30:31], v[24:25]
	v_mul_f64 v[24:25], v[28:29], v[24:25]
	s_waitcnt vmcnt(0)
	v_fma_f64 v[28:29], v[28:29], v[32:33], -v[34:35]
	v_fma_f64 v[24:25], v[30:31], v[32:33], v[24:25]
	v_add_f64 v[1:2], v[1:2], v[28:29]
	v_add_f64 v[3:4], v[3:4], v[24:25]
	s_andn2_b32 exec_lo, exec_lo, s6
	s_cbranch_execnz .LBB7_48
; %bb.49:
	s_or_b32 exec_lo, exec_lo, s6
.LBB7_50:
	s_or_b32 exec_lo, exec_lo, s8
	v_mov_b32_e32 v23, 0
	ds_read_b128 v[23:26], v23 offset:16
	s_waitcnt lgkmcnt(0)
	v_mul_f64 v[28:29], v[3:4], v[25:26]
	v_mul_f64 v[25:26], v[1:2], v[25:26]
	v_fma_f64 v[1:2], v[1:2], v[23:24], -v[28:29]
	v_fma_f64 v[3:4], v[3:4], v[23:24], v[25:26]
	buffer_store_dword v2, off, s[0:3], 0 offset:20
	buffer_store_dword v1, off, s[0:3], 0 offset:16
	;; [unrolled: 1-line block ×4, first 2 shown]
.LBB7_51:
	s_or_b32 exec_lo, exec_lo, s5
	s_clause 0x3
	buffer_load_dword v1, off, s[0:3], 0
	buffer_load_dword v2, off, s[0:3], 0 offset:4
	buffer_load_dword v3, off, s[0:3], 0 offset:8
	;; [unrolled: 1-line block ×3, first 2 shown]
	s_mov_b32 s6, 0
	s_mov_b32 s5, 0
	s_mov_b32 s8, exec_lo
                                        ; implicit-def: $sgpr16
	s_waitcnt vmcnt(0)
	ds_write_b128 v22, v[1:4]
	s_waitcnt lgkmcnt(0)
	s_waitcnt_vscnt null, 0x0
	s_barrier
	buffer_gl0_inv
                                        ; implicit-def: $vgpr1_vgpr2
	v_cmpx_ne_u32_e32 0, v0
	s_cbranch_execz .LBB7_59
; %bb.52:
	ds_read_b128 v[1:4], v22
	s_andn2_b32 vcc_lo, exec_lo, s15
	s_cbranch_vccnz .LBB7_54
; %bb.53:
	s_clause 0x3
	buffer_load_dword v23, v21, s[0:3], 0 offen offset:8
	buffer_load_dword v24, v21, s[0:3], 0 offen offset:12
	buffer_load_dword v25, v21, s[0:3], 0 offen
	buffer_load_dword v26, v21, s[0:3], 0 offen offset:4
	s_waitcnt vmcnt(2) lgkmcnt(0)
	v_mul_f64 v[28:29], v[3:4], v[23:24]
	v_mul_f64 v[23:24], v[1:2], v[23:24]
	s_waitcnt vmcnt(0)
	v_fma_f64 v[1:2], v[1:2], v[25:26], -v[28:29]
	v_fma_f64 v[3:4], v[3:4], v[25:26], v[23:24]
.LBB7_54:
	s_and_saveexec_b32 s5, s4
	s_cbranch_execz .LBB7_58
; %bb.55:
	v_add_nc_u32_e32 v23, -1, v0
	s_movk_i32 s16, 0x90
	s_mov_b32 s4, 0
	s_mov_b32 s17, s14
	.p2align	6
.LBB7_56:                               ; =>This Inner Loop Header: Depth=1
	v_mov_b32_e32 v26, s17
	v_add_nc_u32_e32 v23, -1, v23
	s_add_i32 s17, s17, 16
	s_clause 0x3
	buffer_load_dword v24, v26, s[0:3], 0 offen offset:8
	buffer_load_dword v25, v26, s[0:3], 0 offen offset:12
	buffer_load_dword v32, v26, s[0:3], 0 offen
	buffer_load_dword v33, v26, s[0:3], 0 offen offset:4
	v_mov_b32_e32 v26, s16
	v_cmp_eq_u32_e32 vcc_lo, 0, v23
	s_add_i32 s16, s16, 16
	ds_read_b128 v[28:31], v26
	s_or_b32 s4, vcc_lo, s4
	s_waitcnt vmcnt(2) lgkmcnt(0)
	v_mul_f64 v[34:35], v[30:31], v[24:25]
	v_mul_f64 v[24:25], v[28:29], v[24:25]
	s_waitcnt vmcnt(0)
	v_fma_f64 v[28:29], v[28:29], v[32:33], -v[34:35]
	v_fma_f64 v[24:25], v[30:31], v[32:33], v[24:25]
	v_add_f64 v[1:2], v[1:2], v[28:29]
	v_add_f64 v[3:4], v[3:4], v[24:25]
	s_andn2_b32 exec_lo, exec_lo, s4
	s_cbranch_execnz .LBB7_56
; %bb.57:
	s_or_b32 exec_lo, exec_lo, s4
.LBB7_58:
	s_or_b32 exec_lo, exec_lo, s5
	v_mov_b32_e32 v23, 0
	s_mov_b32 s5, exec_lo
	s_or_b32 s16, 0, 8
	ds_read_b128 v[23:26], v23
	s_waitcnt lgkmcnt(0)
	v_mul_f64 v[28:29], v[3:4], v[25:26]
	v_mul_f64 v[25:26], v[1:2], v[25:26]
	v_fma_f64 v[28:29], v[1:2], v[23:24], -v[28:29]
	v_fma_f64 v[1:2], v[3:4], v[23:24], v[25:26]
	buffer_store_dword v29, off, s[0:3], 0 offset:4
	buffer_store_dword v28, off, s[0:3], 0
.LBB7_59:
	s_or_b32 exec_lo, exec_lo, s8
	s_and_b32 vcc_lo, exec_lo, s6
	s_cbranch_vccnz .LBB7_61
	s_branch .LBB7_112
.LBB7_60:
	s_mov_b32 s5, 0
                                        ; implicit-def: $vgpr1_vgpr2
                                        ; implicit-def: $sgpr16
	s_cbranch_execz .LBB7_112
.LBB7_61:
	v_mov_b32_e32 v4, s14
	v_cmp_eq_u32_e64 s4, 0, v0
	v_cndmask_b32_e64 v23, 0, 1, s15
	s_clause 0x3
	buffer_load_dword v1, v4, s[0:3], 0 offen
	buffer_load_dword v2, v4, s[0:3], 0 offen offset:4
	buffer_load_dword v3, v4, s[0:3], 0 offen offset:8
	;; [unrolled: 1-line block ×3, first 2 shown]
	s_waitcnt vmcnt(0)
	ds_write_b128 v22, v[1:4]
	s_waitcnt lgkmcnt(0)
	s_waitcnt_vscnt null, 0x0
	s_barrier
	buffer_gl0_inv
	s_and_saveexec_b32 s6, s4
	s_cbranch_execz .LBB7_65
; %bb.62:
	ds_read_b128 v[1:4], v22
	s_andn2_b32 vcc_lo, exec_lo, s15
	s_cbranch_vccnz .LBB7_64
; %bb.63:
	s_clause 0x3
	buffer_load_dword v24, v21, s[0:3], 0 offen offset:8
	buffer_load_dword v25, v21, s[0:3], 0 offen offset:12
	buffer_load_dword v28, v21, s[0:3], 0 offen
	buffer_load_dword v29, v21, s[0:3], 0 offen offset:4
	s_waitcnt vmcnt(2) lgkmcnt(0)
	v_mul_f64 v[30:31], v[3:4], v[24:25]
	v_mul_f64 v[24:25], v[1:2], v[24:25]
	s_waitcnt vmcnt(0)
	v_fma_f64 v[1:2], v[1:2], v[28:29], -v[30:31]
	v_fma_f64 v[3:4], v[3:4], v[28:29], v[24:25]
.LBB7_64:
	v_mov_b32_e32 v24, 0
	ds_read_b128 v[28:31], v24 offset:16
	s_waitcnt lgkmcnt(0)
	v_mul_f64 v[24:25], v[3:4], v[30:31]
	v_mul_f64 v[30:31], v[1:2], v[30:31]
	v_fma_f64 v[1:2], v[1:2], v[28:29], -v[24:25]
	v_fma_f64 v[3:4], v[3:4], v[28:29], v[30:31]
	buffer_store_dword v2, off, s[0:3], 0 offset:20
	buffer_store_dword v1, off, s[0:3], 0 offset:16
	;; [unrolled: 1-line block ×4, first 2 shown]
.LBB7_65:
	s_or_b32 exec_lo, exec_lo, s6
	v_mov_b32_e32 v4, s13
	s_mov_b32 s6, exec_lo
	s_clause 0x3
	buffer_load_dword v1, v4, s[0:3], 0 offen
	buffer_load_dword v2, v4, s[0:3], 0 offen offset:4
	buffer_load_dword v3, v4, s[0:3], 0 offen offset:8
	;; [unrolled: 1-line block ×3, first 2 shown]
	s_waitcnt vmcnt(0)
	ds_write_b128 v22, v[1:4]
	s_waitcnt lgkmcnt(0)
	s_waitcnt_vscnt null, 0x0
	s_barrier
	buffer_gl0_inv
	v_cmpx_gt_u32_e32 2, v0
	s_cbranch_execz .LBB7_71
; %bb.66:
	ds_read_b128 v[1:4], v22
	v_cmp_ne_u32_e32 vcc_lo, 1, v23
	s_cbranch_vccnz .LBB7_68
; %bb.67:
	s_clause 0x3
	buffer_load_dword v24, v21, s[0:3], 0 offen offset:8
	buffer_load_dword v25, v21, s[0:3], 0 offen offset:12
	buffer_load_dword v28, v21, s[0:3], 0 offen
	buffer_load_dword v29, v21, s[0:3], 0 offen offset:4
	s_waitcnt vmcnt(2) lgkmcnt(0)
	v_mul_f64 v[30:31], v[3:4], v[24:25]
	v_mul_f64 v[24:25], v[1:2], v[24:25]
	s_waitcnt vmcnt(0)
	v_fma_f64 v[1:2], v[1:2], v[28:29], -v[30:31]
	v_fma_f64 v[3:4], v[3:4], v[28:29], v[24:25]
.LBB7_68:
	s_and_saveexec_b32 s8, s4
	s_cbranch_execz .LBB7_70
; %bb.69:
	s_clause 0x3
	buffer_load_dword v24, off, s[0:3], 0 offset:24
	buffer_load_dword v25, off, s[0:3], 0 offset:28
	;; [unrolled: 1-line block ×4, first 2 shown]
	v_mov_b32_e32 v26, 0
	ds_read_b128 v[28:31], v26 offset:144
	s_waitcnt vmcnt(2) lgkmcnt(0)
	v_mul_f64 v[34:35], v[30:31], v[24:25]
	v_mul_f64 v[24:25], v[28:29], v[24:25]
	s_waitcnt vmcnt(0)
	v_fma_f64 v[28:29], v[28:29], v[32:33], -v[34:35]
	v_fma_f64 v[24:25], v[30:31], v[32:33], v[24:25]
	v_add_f64 v[1:2], v[1:2], v[28:29]
	v_add_f64 v[3:4], v[3:4], v[24:25]
.LBB7_70:
	s_or_b32 exec_lo, exec_lo, s8
	v_mov_b32_e32 v24, 0
	ds_read_b128 v[28:31], v24 offset:32
	s_waitcnt lgkmcnt(0)
	v_mul_f64 v[24:25], v[3:4], v[30:31]
	v_mul_f64 v[30:31], v[1:2], v[30:31]
	v_fma_f64 v[1:2], v[1:2], v[28:29], -v[24:25]
	v_fma_f64 v[3:4], v[3:4], v[28:29], v[30:31]
	buffer_store_dword v2, off, s[0:3], 0 offset:36
	buffer_store_dword v1, off, s[0:3], 0 offset:32
	;; [unrolled: 1-line block ×4, first 2 shown]
.LBB7_71:
	s_or_b32 exec_lo, exec_lo, s6
	v_mov_b32_e32 v4, s12
	s_mov_b32 s6, exec_lo
	s_clause 0x3
	buffer_load_dword v1, v4, s[0:3], 0 offen
	buffer_load_dword v2, v4, s[0:3], 0 offen offset:4
	buffer_load_dword v3, v4, s[0:3], 0 offen offset:8
	;; [unrolled: 1-line block ×3, first 2 shown]
	s_waitcnt vmcnt(0)
	ds_write_b128 v22, v[1:4]
	s_waitcnt lgkmcnt(0)
	s_waitcnt_vscnt null, 0x0
	s_barrier
	buffer_gl0_inv
	v_cmpx_gt_u32_e32 3, v0
	s_cbranch_execz .LBB7_79
; %bb.72:
	ds_read_b128 v[1:4], v22
	v_cmp_ne_u32_e32 vcc_lo, 1, v23
	s_cbranch_vccnz .LBB7_74
; %bb.73:
	s_clause 0x3
	buffer_load_dword v24, v21, s[0:3], 0 offen offset:8
	buffer_load_dword v25, v21, s[0:3], 0 offen offset:12
	buffer_load_dword v28, v21, s[0:3], 0 offen
	buffer_load_dword v29, v21, s[0:3], 0 offen offset:4
	s_waitcnt vmcnt(2) lgkmcnt(0)
	v_mul_f64 v[30:31], v[3:4], v[24:25]
	v_mul_f64 v[24:25], v[1:2], v[24:25]
	s_waitcnt vmcnt(0)
	v_fma_f64 v[1:2], v[1:2], v[28:29], -v[30:31]
	v_fma_f64 v[3:4], v[3:4], v[28:29], v[24:25]
.LBB7_74:
	s_mov_b32 s8, exec_lo
	v_cmpx_ne_u32_e32 2, v0
	s_cbranch_execz .LBB7_78
; %bb.75:
	s_clause 0x3
	buffer_load_dword v24, v21, s[0:3], 0 offen offset:24
	buffer_load_dword v25, v21, s[0:3], 0 offen offset:28
	;; [unrolled: 1-line block ×4, first 2 shown]
	ds_read_b128 v[28:31], v22 offset:16
	s_waitcnt vmcnt(2) lgkmcnt(0)
	v_mul_f64 v[34:35], v[30:31], v[24:25]
	v_mul_f64 v[24:25], v[28:29], v[24:25]
	s_waitcnt vmcnt(0)
	v_fma_f64 v[28:29], v[28:29], v[32:33], -v[34:35]
	v_fma_f64 v[24:25], v[30:31], v[32:33], v[24:25]
	v_add_f64 v[1:2], v[1:2], v[28:29]
	v_add_f64 v[3:4], v[3:4], v[24:25]
	s_and_saveexec_b32 s15, s4
	s_cbranch_execz .LBB7_77
; %bb.76:
	s_clause 0x3
	buffer_load_dword v24, off, s[0:3], 0 offset:40
	buffer_load_dword v25, off, s[0:3], 0 offset:44
	;; [unrolled: 1-line block ×4, first 2 shown]
	v_mov_b32_e32 v26, 0
	ds_read_b128 v[28:31], v26 offset:160
	s_waitcnt vmcnt(2) lgkmcnt(0)
	v_mul_f64 v[34:35], v[28:29], v[24:25]
	v_mul_f64 v[24:25], v[30:31], v[24:25]
	s_waitcnt vmcnt(0)
	v_fma_f64 v[30:31], v[30:31], v[32:33], v[34:35]
	v_fma_f64 v[24:25], v[28:29], v[32:33], -v[24:25]
	v_add_f64 v[3:4], v[3:4], v[30:31]
	v_add_f64 v[1:2], v[1:2], v[24:25]
.LBB7_77:
	s_or_b32 exec_lo, exec_lo, s15
.LBB7_78:
	s_or_b32 exec_lo, exec_lo, s8
	v_mov_b32_e32 v24, 0
	ds_read_b128 v[28:31], v24 offset:48
	s_waitcnt lgkmcnt(0)
	v_mul_f64 v[24:25], v[3:4], v[30:31]
	v_mul_f64 v[30:31], v[1:2], v[30:31]
	v_fma_f64 v[1:2], v[1:2], v[28:29], -v[24:25]
	v_fma_f64 v[3:4], v[3:4], v[28:29], v[30:31]
	buffer_store_dword v2, off, s[0:3], 0 offset:52
	buffer_store_dword v1, off, s[0:3], 0 offset:48
	;; [unrolled: 1-line block ×4, first 2 shown]
.LBB7_79:
	s_or_b32 exec_lo, exec_lo, s6
	v_mov_b32_e32 v4, s11
	s_mov_b32 s4, exec_lo
	s_clause 0x3
	buffer_load_dword v1, v4, s[0:3], 0 offen
	buffer_load_dword v2, v4, s[0:3], 0 offen offset:4
	buffer_load_dword v3, v4, s[0:3], 0 offen offset:8
	;; [unrolled: 1-line block ×3, first 2 shown]
	s_waitcnt vmcnt(0)
	ds_write_b128 v22, v[1:4]
	s_waitcnt lgkmcnt(0)
	s_waitcnt_vscnt null, 0x0
	s_barrier
	buffer_gl0_inv
	v_cmpx_gt_u32_e32 4, v0
	s_cbranch_execz .LBB7_87
; %bb.80:
	ds_read_b128 v[1:4], v22
	v_cmp_ne_u32_e32 vcc_lo, 1, v23
	s_cbranch_vccnz .LBB7_82
; %bb.81:
	s_clause 0x3
	buffer_load_dword v24, v21, s[0:3], 0 offen offset:8
	buffer_load_dword v25, v21, s[0:3], 0 offen offset:12
	buffer_load_dword v28, v21, s[0:3], 0 offen
	buffer_load_dword v29, v21, s[0:3], 0 offen offset:4
	s_waitcnt vmcnt(2) lgkmcnt(0)
	v_mul_f64 v[30:31], v[3:4], v[24:25]
	v_mul_f64 v[24:25], v[1:2], v[24:25]
	s_waitcnt vmcnt(0)
	v_fma_f64 v[1:2], v[1:2], v[28:29], -v[30:31]
	v_fma_f64 v[3:4], v[3:4], v[28:29], v[24:25]
.LBB7_82:
	s_mov_b32 s6, exec_lo
	v_cmpx_ne_u32_e32 3, v0
	s_cbranch_execz .LBB7_86
; %bb.83:
	v_add_nc_u32_e32 v24, 0x90, v27
	v_add3_u32 v25, 0, v27, 16
	v_mov_b32_e32 v26, v0
	s_mov_b32 s8, 0
	.p2align	6
.LBB7_84:                               ; =>This Inner Loop Header: Depth=1
	s_clause 0x3
	buffer_load_dword v32, v25, s[0:3], 0 offen offset:8
	buffer_load_dword v33, v25, s[0:3], 0 offen offset:12
	buffer_load_dword v34, v25, s[0:3], 0 offen
	buffer_load_dword v35, v25, s[0:3], 0 offen offset:4
	ds_read_b128 v[28:31], v24
	v_add_nc_u32_e32 v26, 1, v26
	v_add_nc_u32_e32 v24, 16, v24
	;; [unrolled: 1-line block ×3, first 2 shown]
	v_cmp_lt_u32_e32 vcc_lo, 2, v26
	s_or_b32 s8, vcc_lo, s8
	s_waitcnt vmcnt(2) lgkmcnt(0)
	v_mul_f64 v[36:37], v[30:31], v[32:33]
	v_mul_f64 v[32:33], v[28:29], v[32:33]
	s_waitcnt vmcnt(0)
	v_fma_f64 v[28:29], v[28:29], v[34:35], -v[36:37]
	v_fma_f64 v[30:31], v[30:31], v[34:35], v[32:33]
	v_add_f64 v[1:2], v[1:2], v[28:29]
	v_add_f64 v[3:4], v[3:4], v[30:31]
	s_andn2_b32 exec_lo, exec_lo, s8
	s_cbranch_execnz .LBB7_84
; %bb.85:
	s_or_b32 exec_lo, exec_lo, s8
.LBB7_86:
	s_or_b32 exec_lo, exec_lo, s6
	v_mov_b32_e32 v24, 0
	ds_read_b128 v[28:31], v24 offset:64
	s_waitcnt lgkmcnt(0)
	v_mul_f64 v[24:25], v[3:4], v[30:31]
	v_mul_f64 v[30:31], v[1:2], v[30:31]
	v_fma_f64 v[1:2], v[1:2], v[28:29], -v[24:25]
	v_fma_f64 v[3:4], v[3:4], v[28:29], v[30:31]
	buffer_store_dword v2, off, s[0:3], 0 offset:68
	buffer_store_dword v1, off, s[0:3], 0 offset:64
	;; [unrolled: 1-line block ×4, first 2 shown]
.LBB7_87:
	s_or_b32 exec_lo, exec_lo, s4
	v_mov_b32_e32 v4, s10
	s_mov_b32 s4, exec_lo
	s_clause 0x3
	buffer_load_dword v1, v4, s[0:3], 0 offen
	buffer_load_dword v2, v4, s[0:3], 0 offen offset:4
	buffer_load_dword v3, v4, s[0:3], 0 offen offset:8
	;; [unrolled: 1-line block ×3, first 2 shown]
	s_waitcnt vmcnt(0)
	ds_write_b128 v22, v[1:4]
	s_waitcnt lgkmcnt(0)
	s_waitcnt_vscnt null, 0x0
	s_barrier
	buffer_gl0_inv
	v_cmpx_gt_u32_e32 5, v0
	s_cbranch_execz .LBB7_95
; %bb.88:
	ds_read_b128 v[1:4], v22
	v_cmp_ne_u32_e32 vcc_lo, 1, v23
	s_cbranch_vccnz .LBB7_90
; %bb.89:
	s_clause 0x3
	buffer_load_dword v24, v21, s[0:3], 0 offen offset:8
	buffer_load_dword v25, v21, s[0:3], 0 offen offset:12
	buffer_load_dword v28, v21, s[0:3], 0 offen
	buffer_load_dword v29, v21, s[0:3], 0 offen offset:4
	s_waitcnt vmcnt(2) lgkmcnt(0)
	v_mul_f64 v[30:31], v[3:4], v[24:25]
	v_mul_f64 v[24:25], v[1:2], v[24:25]
	s_waitcnt vmcnt(0)
	v_fma_f64 v[1:2], v[1:2], v[28:29], -v[30:31]
	v_fma_f64 v[3:4], v[3:4], v[28:29], v[24:25]
.LBB7_90:
	s_mov_b32 s6, exec_lo
	v_cmpx_ne_u32_e32 4, v0
	s_cbranch_execz .LBB7_94
; %bb.91:
	v_add_nc_u32_e32 v24, 0x90, v27
	v_add3_u32 v25, 0, v27, 16
	v_mov_b32_e32 v26, v0
	s_mov_b32 s8, 0
	.p2align	6
.LBB7_92:                               ; =>This Inner Loop Header: Depth=1
	s_clause 0x3
	buffer_load_dword v32, v25, s[0:3], 0 offen offset:8
	buffer_load_dword v33, v25, s[0:3], 0 offen offset:12
	buffer_load_dword v34, v25, s[0:3], 0 offen
	buffer_load_dword v35, v25, s[0:3], 0 offen offset:4
	ds_read_b128 v[28:31], v24
	v_add_nc_u32_e32 v26, 1, v26
	v_add_nc_u32_e32 v24, 16, v24
	;; [unrolled: 1-line block ×3, first 2 shown]
	v_cmp_lt_u32_e32 vcc_lo, 3, v26
	s_or_b32 s8, vcc_lo, s8
	s_waitcnt vmcnt(2) lgkmcnt(0)
	v_mul_f64 v[36:37], v[30:31], v[32:33]
	v_mul_f64 v[32:33], v[28:29], v[32:33]
	s_waitcnt vmcnt(0)
	v_fma_f64 v[28:29], v[28:29], v[34:35], -v[36:37]
	v_fma_f64 v[30:31], v[30:31], v[34:35], v[32:33]
	v_add_f64 v[1:2], v[1:2], v[28:29]
	v_add_f64 v[3:4], v[3:4], v[30:31]
	s_andn2_b32 exec_lo, exec_lo, s8
	s_cbranch_execnz .LBB7_92
; %bb.93:
	s_or_b32 exec_lo, exec_lo, s8
.LBB7_94:
	s_or_b32 exec_lo, exec_lo, s6
	v_mov_b32_e32 v24, 0
	ds_read_b128 v[28:31], v24 offset:80
	s_waitcnt lgkmcnt(0)
	v_mul_f64 v[24:25], v[3:4], v[30:31]
	v_mul_f64 v[30:31], v[1:2], v[30:31]
	v_fma_f64 v[1:2], v[1:2], v[28:29], -v[24:25]
	v_fma_f64 v[3:4], v[3:4], v[28:29], v[30:31]
	buffer_store_dword v2, off, s[0:3], 0 offset:84
	buffer_store_dword v1, off, s[0:3], 0 offset:80
	;; [unrolled: 1-line block ×4, first 2 shown]
.LBB7_95:
	s_or_b32 exec_lo, exec_lo, s4
	v_mov_b32_e32 v4, s9
	v_cmp_gt_u32_e64 s4, 6, v0
	s_clause 0x3
	buffer_load_dword v1, v4, s[0:3], 0 offen
	buffer_load_dword v2, v4, s[0:3], 0 offen offset:4
	buffer_load_dword v3, v4, s[0:3], 0 offen offset:8
	;; [unrolled: 1-line block ×3, first 2 shown]
	s_waitcnt vmcnt(0)
	ds_write_b128 v22, v[1:4]
	s_waitcnt lgkmcnt(0)
	s_waitcnt_vscnt null, 0x0
	s_barrier
	buffer_gl0_inv
	s_and_saveexec_b32 s6, s4
	s_cbranch_execz .LBB7_103
; %bb.96:
	ds_read_b128 v[1:4], v22
	v_cmp_ne_u32_e32 vcc_lo, 1, v23
	s_cbranch_vccnz .LBB7_98
; %bb.97:
	s_clause 0x3
	buffer_load_dword v24, v21, s[0:3], 0 offen offset:8
	buffer_load_dword v25, v21, s[0:3], 0 offen offset:12
	buffer_load_dword v28, v21, s[0:3], 0 offen
	buffer_load_dword v29, v21, s[0:3], 0 offen offset:4
	s_waitcnt vmcnt(2) lgkmcnt(0)
	v_mul_f64 v[30:31], v[3:4], v[24:25]
	v_mul_f64 v[24:25], v[1:2], v[24:25]
	s_waitcnt vmcnt(0)
	v_fma_f64 v[1:2], v[1:2], v[28:29], -v[30:31]
	v_fma_f64 v[3:4], v[3:4], v[28:29], v[24:25]
.LBB7_98:
	s_mov_b32 s8, exec_lo
	v_cmpx_ne_u32_e32 5, v0
	s_cbranch_execz .LBB7_102
; %bb.99:
	v_add_nc_u32_e32 v24, 0x90, v27
	v_add3_u32 v25, 0, v27, 16
	v_mov_b32_e32 v26, v0
	s_mov_b32 s15, 0
	.p2align	6
.LBB7_100:                              ; =>This Inner Loop Header: Depth=1
	s_clause 0x3
	buffer_load_dword v32, v25, s[0:3], 0 offen offset:8
	buffer_load_dword v33, v25, s[0:3], 0 offen offset:12
	buffer_load_dword v34, v25, s[0:3], 0 offen
	buffer_load_dword v35, v25, s[0:3], 0 offen offset:4
	ds_read_b128 v[28:31], v24
	v_add_nc_u32_e32 v26, 1, v26
	v_add_nc_u32_e32 v24, 16, v24
	;; [unrolled: 1-line block ×3, first 2 shown]
	v_cmp_lt_u32_e32 vcc_lo, 4, v26
	s_or_b32 s15, vcc_lo, s15
	s_waitcnt vmcnt(2) lgkmcnt(0)
	v_mul_f64 v[36:37], v[30:31], v[32:33]
	v_mul_f64 v[32:33], v[28:29], v[32:33]
	s_waitcnt vmcnt(0)
	v_fma_f64 v[28:29], v[28:29], v[34:35], -v[36:37]
	v_fma_f64 v[30:31], v[30:31], v[34:35], v[32:33]
	v_add_f64 v[1:2], v[1:2], v[28:29]
	v_add_f64 v[3:4], v[3:4], v[30:31]
	s_andn2_b32 exec_lo, exec_lo, s15
	s_cbranch_execnz .LBB7_100
; %bb.101:
	s_or_b32 exec_lo, exec_lo, s15
.LBB7_102:
	s_or_b32 exec_lo, exec_lo, s8
	v_mov_b32_e32 v24, 0
	ds_read_b128 v[28:31], v24 offset:96
	s_waitcnt lgkmcnt(0)
	v_mul_f64 v[24:25], v[3:4], v[30:31]
	v_mul_f64 v[30:31], v[1:2], v[30:31]
	v_fma_f64 v[1:2], v[1:2], v[28:29], -v[24:25]
	v_fma_f64 v[3:4], v[3:4], v[28:29], v[30:31]
	buffer_store_dword v2, off, s[0:3], 0 offset:100
	buffer_store_dword v1, off, s[0:3], 0 offset:96
	;; [unrolled: 1-line block ×4, first 2 shown]
.LBB7_103:
	s_or_b32 exec_lo, exec_lo, s6
	v_mov_b32_e32 v4, s7
	s_mov_b32 s6, exec_lo
                                        ; implicit-def: $sgpr16
	s_clause 0x3
	buffer_load_dword v1, v4, s[0:3], 0 offen
	buffer_load_dword v2, v4, s[0:3], 0 offen offset:4
	buffer_load_dword v3, v4, s[0:3], 0 offen offset:8
	;; [unrolled: 1-line block ×3, first 2 shown]
	s_waitcnt vmcnt(0)
	ds_write_b128 v22, v[1:4]
	s_waitcnt lgkmcnt(0)
	s_waitcnt_vscnt null, 0x0
	s_barrier
	buffer_gl0_inv
                                        ; implicit-def: $vgpr1_vgpr2
	v_cmpx_ne_u32_e32 7, v0
	s_cbranch_execz .LBB7_111
; %bb.104:
	ds_read_b128 v[1:4], v22
	v_cmp_ne_u32_e32 vcc_lo, 1, v23
	s_cbranch_vccnz .LBB7_106
; %bb.105:
	s_clause 0x3
	buffer_load_dword v22, v21, s[0:3], 0 offen offset:8
	buffer_load_dword v23, v21, s[0:3], 0 offen offset:12
	buffer_load_dword v24, v21, s[0:3], 0 offen
	buffer_load_dword v25, v21, s[0:3], 0 offen offset:4
	s_waitcnt vmcnt(2) lgkmcnt(0)
	v_mul_f64 v[28:29], v[3:4], v[22:23]
	v_mul_f64 v[21:22], v[1:2], v[22:23]
	s_waitcnt vmcnt(0)
	v_fma_f64 v[1:2], v[1:2], v[24:25], -v[28:29]
	v_fma_f64 v[3:4], v[3:4], v[24:25], v[21:22]
.LBB7_106:
	s_and_saveexec_b32 s8, s4
	s_cbranch_execz .LBB7_110
; %bb.107:
	v_add_nc_u32_e32 v21, 0x90, v27
	v_add3_u32 v22, 0, v27, 16
	s_mov_b32 s4, 0
	.p2align	6
.LBB7_108:                              ; =>This Inner Loop Header: Depth=1
	s_clause 0x3
	buffer_load_dword v27, v22, s[0:3], 0 offen offset:8
	buffer_load_dword v28, v22, s[0:3], 0 offen offset:12
	buffer_load_dword v29, v22, s[0:3], 0 offen
	buffer_load_dword v30, v22, s[0:3], 0 offen offset:4
	ds_read_b128 v[23:26], v21
	v_add_nc_u32_e32 v0, 1, v0
	v_add_nc_u32_e32 v21, 16, v21
	;; [unrolled: 1-line block ×3, first 2 shown]
	v_cmp_lt_u32_e32 vcc_lo, 5, v0
	s_or_b32 s4, vcc_lo, s4
	s_waitcnt vmcnt(2) lgkmcnt(0)
	v_mul_f64 v[31:32], v[25:26], v[27:28]
	v_mul_f64 v[27:28], v[23:24], v[27:28]
	s_waitcnt vmcnt(0)
	v_fma_f64 v[23:24], v[23:24], v[29:30], -v[31:32]
	v_fma_f64 v[25:26], v[25:26], v[29:30], v[27:28]
	v_add_f64 v[1:2], v[1:2], v[23:24]
	v_add_f64 v[3:4], v[3:4], v[25:26]
	s_andn2_b32 exec_lo, exec_lo, s4
	s_cbranch_execnz .LBB7_108
; %bb.109:
	s_or_b32 exec_lo, exec_lo, s4
.LBB7_110:
	s_or_b32 exec_lo, exec_lo, s8
	v_mov_b32_e32 v0, 0
	s_movk_i32 s16, 0x78
	s_or_b32 s5, s5, exec_lo
	ds_read_b128 v[21:24], v0 offset:112
	s_waitcnt lgkmcnt(0)
	v_mul_f64 v[25:26], v[3:4], v[23:24]
	v_mul_f64 v[23:24], v[1:2], v[23:24]
	v_fma_f64 v[25:26], v[1:2], v[21:22], -v[25:26]
	v_fma_f64 v[1:2], v[3:4], v[21:22], v[23:24]
	buffer_store_dword v26, off, s[0:3], 0 offset:116
	buffer_store_dword v25, off, s[0:3], 0 offset:112
.LBB7_111:
	s_or_b32 exec_lo, exec_lo, s6
.LBB7_112:
	s_and_saveexec_b32 s4, s5
	s_cbranch_execz .LBB7_114
; %bb.113:
	v_mov_b32_e32 v0, s16
	buffer_store_dword v2, v0, s[0:3], 0 offen offset:4
	buffer_store_dword v1, v0, s[0:3], 0 offen
.LBB7_114:
	s_or_b32 exec_lo, exec_lo, s4
	v_mov_b32_e32 v28, s13
	v_mov_b32_e32 v36, s11
	;; [unrolled: 1-line block ×4, first 2 shown]
	s_clause 0x7
	buffer_load_dword v0, off, s[0:3], 0
	buffer_load_dword v1, off, s[0:3], 0 offset:4
	buffer_load_dword v2, off, s[0:3], 0 offset:8
	;; [unrolled: 1-line block ×3, first 2 shown]
	buffer_load_dword v21, v4, s[0:3], 0 offen
	buffer_load_dword v22, v4, s[0:3], 0 offen offset:4
	buffer_load_dword v23, v4, s[0:3], 0 offen offset:8
	buffer_load_dword v24, v4, s[0:3], 0 offen offset:12
	v_mov_b32_e32 v4, s12
	s_clause 0x7
	buffer_load_dword v25, v28, s[0:3], 0 offen
	buffer_load_dword v26, v28, s[0:3], 0 offen offset:4
	buffer_load_dword v27, v28, s[0:3], 0 offen offset:8
	buffer_load_dword v28, v28, s[0:3], 0 offen offset:12
	buffer_load_dword v29, v4, s[0:3], 0 offen
	buffer_load_dword v30, v4, s[0:3], 0 offen offset:4
	buffer_load_dword v31, v4, s[0:3], 0 offen offset:8
	buffer_load_dword v32, v4, s[0:3], 0 offen offset:12
	v_mov_b32_e32 v4, s10
	s_clause 0x7
	buffer_load_dword v33, v36, s[0:3], 0 offen
	buffer_load_dword v34, v36, s[0:3], 0 offen offset:4
	buffer_load_dword v35, v36, s[0:3], 0 offen offset:8
	buffer_load_dword v36, v36, s[0:3], 0 offen offset:12
	;; [unrolled: 10-line block ×3, first 2 shown]
	buffer_load_dword v45, v4, s[0:3], 0 offen
	buffer_load_dword v46, v4, s[0:3], 0 offen offset:4
	buffer_load_dword v47, v4, s[0:3], 0 offen offset:8
	;; [unrolled: 1-line block ×3, first 2 shown]
	s_waitcnt vmcnt(28)
	global_store_dwordx4 v[5:6], v[0:3], off
	s_waitcnt vmcnt(24)
	global_store_dwordx4 v[7:8], v[21:24], off
	;; [unrolled: 2-line block ×8, first 2 shown]
.LBB7_115:
	s_endpgm
	.section	.rodata,"a",@progbits
	.p2align	6, 0x0
	.amdhsa_kernel _ZN9rocsolver6v33100L18trti2_kernel_smallILi8E19rocblas_complex_numIdEPS3_EEv13rocblas_fill_17rocblas_diagonal_T1_iil
		.amdhsa_group_segment_fixed_size 256
		.amdhsa_private_segment_fixed_size 144
		.amdhsa_kernarg_size 32
		.amdhsa_user_sgpr_count 6
		.amdhsa_user_sgpr_private_segment_buffer 1
		.amdhsa_user_sgpr_dispatch_ptr 0
		.amdhsa_user_sgpr_queue_ptr 0
		.amdhsa_user_sgpr_kernarg_segment_ptr 1
		.amdhsa_user_sgpr_dispatch_id 0
		.amdhsa_user_sgpr_flat_scratch_init 0
		.amdhsa_user_sgpr_private_segment_size 0
		.amdhsa_wavefront_size32 1
		.amdhsa_uses_dynamic_stack 0
		.amdhsa_system_sgpr_private_segment_wavefront_offset 1
		.amdhsa_system_sgpr_workgroup_id_x 1
		.amdhsa_system_sgpr_workgroup_id_y 0
		.amdhsa_system_sgpr_workgroup_id_z 0
		.amdhsa_system_sgpr_workgroup_info 0
		.amdhsa_system_vgpr_workitem_id 0
		.amdhsa_next_free_vgpr 52
		.amdhsa_next_free_sgpr 18
		.amdhsa_reserve_vcc 1
		.amdhsa_reserve_flat_scratch 0
		.amdhsa_float_round_mode_32 0
		.amdhsa_float_round_mode_16_64 0
		.amdhsa_float_denorm_mode_32 3
		.amdhsa_float_denorm_mode_16_64 3
		.amdhsa_dx10_clamp 1
		.amdhsa_ieee_mode 1
		.amdhsa_fp16_overflow 0
		.amdhsa_workgroup_processor_mode 1
		.amdhsa_memory_ordered 1
		.amdhsa_forward_progress 1
		.amdhsa_shared_vgpr_count 0
		.amdhsa_exception_fp_ieee_invalid_op 0
		.amdhsa_exception_fp_denorm_src 0
		.amdhsa_exception_fp_ieee_div_zero 0
		.amdhsa_exception_fp_ieee_overflow 0
		.amdhsa_exception_fp_ieee_underflow 0
		.amdhsa_exception_fp_ieee_inexact 0
		.amdhsa_exception_int_div_zero 0
	.end_amdhsa_kernel
	.section	.text._ZN9rocsolver6v33100L18trti2_kernel_smallILi8E19rocblas_complex_numIdEPS3_EEv13rocblas_fill_17rocblas_diagonal_T1_iil,"axG",@progbits,_ZN9rocsolver6v33100L18trti2_kernel_smallILi8E19rocblas_complex_numIdEPS3_EEv13rocblas_fill_17rocblas_diagonal_T1_iil,comdat
.Lfunc_end7:
	.size	_ZN9rocsolver6v33100L18trti2_kernel_smallILi8E19rocblas_complex_numIdEPS3_EEv13rocblas_fill_17rocblas_diagonal_T1_iil, .Lfunc_end7-_ZN9rocsolver6v33100L18trti2_kernel_smallILi8E19rocblas_complex_numIdEPS3_EEv13rocblas_fill_17rocblas_diagonal_T1_iil
                                        ; -- End function
	.set _ZN9rocsolver6v33100L18trti2_kernel_smallILi8E19rocblas_complex_numIdEPS3_EEv13rocblas_fill_17rocblas_diagonal_T1_iil.num_vgpr, 52
	.set _ZN9rocsolver6v33100L18trti2_kernel_smallILi8E19rocblas_complex_numIdEPS3_EEv13rocblas_fill_17rocblas_diagonal_T1_iil.num_agpr, 0
	.set _ZN9rocsolver6v33100L18trti2_kernel_smallILi8E19rocblas_complex_numIdEPS3_EEv13rocblas_fill_17rocblas_diagonal_T1_iil.numbered_sgpr, 18
	.set _ZN9rocsolver6v33100L18trti2_kernel_smallILi8E19rocblas_complex_numIdEPS3_EEv13rocblas_fill_17rocblas_diagonal_T1_iil.num_named_barrier, 0
	.set _ZN9rocsolver6v33100L18trti2_kernel_smallILi8E19rocblas_complex_numIdEPS3_EEv13rocblas_fill_17rocblas_diagonal_T1_iil.private_seg_size, 144
	.set _ZN9rocsolver6v33100L18trti2_kernel_smallILi8E19rocblas_complex_numIdEPS3_EEv13rocblas_fill_17rocblas_diagonal_T1_iil.uses_vcc, 1
	.set _ZN9rocsolver6v33100L18trti2_kernel_smallILi8E19rocblas_complex_numIdEPS3_EEv13rocblas_fill_17rocblas_diagonal_T1_iil.uses_flat_scratch, 0
	.set _ZN9rocsolver6v33100L18trti2_kernel_smallILi8E19rocblas_complex_numIdEPS3_EEv13rocblas_fill_17rocblas_diagonal_T1_iil.has_dyn_sized_stack, 0
	.set _ZN9rocsolver6v33100L18trti2_kernel_smallILi8E19rocblas_complex_numIdEPS3_EEv13rocblas_fill_17rocblas_diagonal_T1_iil.has_recursion, 0
	.set _ZN9rocsolver6v33100L18trti2_kernel_smallILi8E19rocblas_complex_numIdEPS3_EEv13rocblas_fill_17rocblas_diagonal_T1_iil.has_indirect_call, 0
	.section	.AMDGPU.csdata,"",@progbits
; Kernel info:
; codeLenInByte = 7556
; TotalNumSgprs: 20
; NumVgprs: 52
; ScratchSize: 144
; MemoryBound: 0
; FloatMode: 240
; IeeeMode: 1
; LDSByteSize: 256 bytes/workgroup (compile time only)
; SGPRBlocks: 0
; VGPRBlocks: 6
; NumSGPRsForWavesPerEU: 20
; NumVGPRsForWavesPerEU: 52
; Occupancy: 16
; WaveLimiterHint : 0
; COMPUTE_PGM_RSRC2:SCRATCH_EN: 1
; COMPUTE_PGM_RSRC2:USER_SGPR: 6
; COMPUTE_PGM_RSRC2:TRAP_HANDLER: 0
; COMPUTE_PGM_RSRC2:TGID_X_EN: 1
; COMPUTE_PGM_RSRC2:TGID_Y_EN: 0
; COMPUTE_PGM_RSRC2:TGID_Z_EN: 0
; COMPUTE_PGM_RSRC2:TIDIG_COMP_CNT: 0
	.section	.text._ZN9rocsolver6v33100L18trti2_kernel_smallILi9E19rocblas_complex_numIdEPS3_EEv13rocblas_fill_17rocblas_diagonal_T1_iil,"axG",@progbits,_ZN9rocsolver6v33100L18trti2_kernel_smallILi9E19rocblas_complex_numIdEPS3_EEv13rocblas_fill_17rocblas_diagonal_T1_iil,comdat
	.globl	_ZN9rocsolver6v33100L18trti2_kernel_smallILi9E19rocblas_complex_numIdEPS3_EEv13rocblas_fill_17rocblas_diagonal_T1_iil ; -- Begin function _ZN9rocsolver6v33100L18trti2_kernel_smallILi9E19rocblas_complex_numIdEPS3_EEv13rocblas_fill_17rocblas_diagonal_T1_iil
	.p2align	8
	.type	_ZN9rocsolver6v33100L18trti2_kernel_smallILi9E19rocblas_complex_numIdEPS3_EEv13rocblas_fill_17rocblas_diagonal_T1_iil,@function
_ZN9rocsolver6v33100L18trti2_kernel_smallILi9E19rocblas_complex_numIdEPS3_EEv13rocblas_fill_17rocblas_diagonal_T1_iil: ; @_ZN9rocsolver6v33100L18trti2_kernel_smallILi9E19rocblas_complex_numIdEPS3_EEv13rocblas_fill_17rocblas_diagonal_T1_iil
; %bb.0:
	s_add_u32 s0, s0, s7
	s_addc_u32 s1, s1, 0
	s_mov_b32 s7, exec_lo
	v_cmpx_gt_u32_e32 9, v0
	s_cbranch_execz .LBB8_131
; %bb.1:
	s_load_dwordx8 s[8:15], s[4:5], 0x0
	s_ashr_i32 s7, s6, 31
	v_lshlrev_b32_e32 v29, 4, v0
	s_movk_i32 s16, 0x80
	s_waitcnt lgkmcnt(0)
	v_add3_u32 v1, s13, s13, v0
	s_ashr_i32 s5, s12, 31
	s_mov_b32 s4, s12
	s_mul_hi_u32 s12, s14, s6
	s_mul_i32 s7, s14, s7
	v_add_nc_u32_e32 v7, s13, v1
	s_mul_i32 s15, s15, s6
	s_add_i32 s7, s12, s7
	s_mul_i32 s6, s14, s6
	s_add_i32 s7, s7, s15
	v_add_nc_u32_e32 v13, s13, v7
	v_ashrrev_i32_e32 v2, 31, v1
	s_lshl_b64 s[6:7], s[6:7], 4
	v_ashrrev_i32_e32 v8, 31, v7
	s_add_u32 s6, s10, s6
	v_add_nc_u32_e32 v15, s13, v13
	s_addc_u32 s7, s11, s7
	s_lshl_b64 s[4:5], s[4:5], 4
	v_lshlrev_b64 v[9:10], 4, v[1:2]
	s_add_u32 s4, s6, s4
	v_add_nc_u32_e32 v17, s13, v15
	v_ashrrev_i32_e32 v14, 31, v13
	s_addc_u32 s5, s7, s5
	v_add_co_u32 v5, s6, s4, v29
	v_ashrrev_i32_e32 v16, 31, v15
	s_mov_b32 s14, s13
	s_ashr_i32 s15, s13, 31
	v_lshlrev_b64 v[11:12], 4, v[7:8]
	v_add_co_ci_u32_e64 v6, null, s5, 0, s6
	v_ashrrev_i32_e32 v18, 31, v17
	v_add_nc_u32_e32 v20, s13, v17
	s_lshl_b64 s[6:7], s[14:15], 4
	v_add_co_u32 v7, vcc_lo, s4, v9
	v_lshlrev_b64 v[13:14], 4, v[13:14]
	v_add_co_ci_u32_e64 v8, null, s5, v10, vcc_lo
	v_add_co_u32 v9, vcc_lo, v5, s6
	v_lshlrev_b64 v[15:16], 4, v[15:16]
	v_add_co_ci_u32_e64 v10, null, s7, v6, vcc_lo
	v_add_co_u32 v11, vcc_lo, s4, v11
	v_lshlrev_b64 v[18:19], 4, v[17:18]
	v_add_nc_u32_e32 v27, s13, v20
	v_add_co_ci_u32_e64 v12, null, s5, v12, vcc_lo
	v_add_co_u32 v13, vcc_lo, s4, v13
	v_ashrrev_i32_e32 v21, 31, v20
	v_add_co_ci_u32_e64 v14, null, s5, v14, vcc_lo
	v_add_co_u32 v15, vcc_lo, s4, v15
	v_ashrrev_i32_e32 v28, 31, v27
	v_add_co_ci_u32_e64 v16, null, s5, v16, vcc_lo
	v_add_co_u32 v17, vcc_lo, s4, v18
	v_add_co_ci_u32_e64 v18, null, s5, v19, vcc_lo
	v_lshlrev_b64 v[19:20], 4, v[20:21]
	v_lshlrev_b64 v[27:28], 4, v[27:28]
	s_clause 0x6
	global_load_dwordx4 v[1:4], v29, s[4:5]
	global_load_dwordx4 v[23:26], v[9:10], off
	global_load_dwordx4 v[30:33], v[7:8], off
	;; [unrolled: 1-line block ×6, first 2 shown]
	s_cmpk_lg_i32 s9, 0x84
	v_add_co_u32 v21, vcc_lo, s4, v19
	v_add_co_ci_u32_e64 v22, null, s5, v20, vcc_lo
	v_add_co_u32 v19, vcc_lo, s4, v27
	v_add_co_ci_u32_e64 v20, null, s5, v28, vcc_lo
	s_clause 0x1
	global_load_dwordx4 v[50:53], v[21:22], off
	global_load_dwordx4 v[54:57], v[19:20], off
	s_movk_i32 s4, 0x50
	s_movk_i32 s5, 0x60
	;; [unrolled: 1-line block ×3, first 2 shown]
	s_cselect_b32 s15, -1, 0
	s_cmpk_eq_i32 s9, 0x84
	s_waitcnt vmcnt(8)
	buffer_store_dword v4, off, s[0:3], 0 offset:12
	buffer_store_dword v3, off, s[0:3], 0 offset:8
	;; [unrolled: 1-line block ×3, first 2 shown]
	buffer_store_dword v1, off, s[0:3], 0
	s_waitcnt vmcnt(7)
	buffer_store_dword v26, off, s[0:3], 0 offset:28
	buffer_store_dword v25, off, s[0:3], 0 offset:24
	buffer_store_dword v24, off, s[0:3], 0 offset:20
	buffer_store_dword v23, off, s[0:3], 0 offset:16
	s_waitcnt vmcnt(6)
	buffer_store_dword v33, off, s[0:3], 0 offset:44
	buffer_store_dword v32, off, s[0:3], 0 offset:40
	buffer_store_dword v31, off, s[0:3], 0 offset:36
	buffer_store_dword v30, off, s[0:3], 0 offset:32
	;; [unrolled: 5-line block ×8, first 2 shown]
	s_cbranch_scc1 .LBB8_7
; %bb.2:
	v_lshl_add_u32 v30, v0, 4, 0
                                        ; implicit-def: $vgpr25_vgpr26
                                        ; implicit-def: $vgpr3_vgpr4
	s_clause 0x3
	buffer_load_dword v23, v30, s[0:3], 0 offen
	buffer_load_dword v24, v30, s[0:3], 0 offen offset:4
	buffer_load_dword v27, v30, s[0:3], 0 offen offset:8
	;; [unrolled: 1-line block ×3, first 2 shown]
	s_waitcnt vmcnt(0)
	v_cmp_ngt_f64_e64 s7, |v[23:24]|, |v[27:28]|
	s_and_saveexec_b32 s9, s7
	s_xor_b32 s7, exec_lo, s9
	s_cbranch_execz .LBB8_4
; %bb.3:
	v_div_scale_f64 v[1:2], null, v[27:28], v[27:28], v[23:24]
	v_div_scale_f64 v[31:32], vcc_lo, v[23:24], v[27:28], v[23:24]
	v_rcp_f64_e32 v[3:4], v[1:2]
	v_fma_f64 v[25:26], -v[1:2], v[3:4], 1.0
	v_fma_f64 v[3:4], v[3:4], v[25:26], v[3:4]
	v_fma_f64 v[25:26], -v[1:2], v[3:4], 1.0
	v_fma_f64 v[3:4], v[3:4], v[25:26], v[3:4]
	v_mul_f64 v[25:26], v[31:32], v[3:4]
	v_fma_f64 v[1:2], -v[1:2], v[25:26], v[31:32]
	v_div_fmas_f64 v[1:2], v[1:2], v[3:4], v[25:26]
	v_div_fixup_f64 v[1:2], v[1:2], v[27:28], v[23:24]
	v_fma_f64 v[3:4], v[23:24], v[1:2], v[27:28]
	v_div_scale_f64 v[23:24], null, v[3:4], v[3:4], 1.0
	v_div_scale_f64 v[31:32], vcc_lo, 1.0, v[3:4], 1.0
	v_rcp_f64_e32 v[25:26], v[23:24]
	v_fma_f64 v[27:28], -v[23:24], v[25:26], 1.0
	v_fma_f64 v[25:26], v[25:26], v[27:28], v[25:26]
	v_fma_f64 v[27:28], -v[23:24], v[25:26], 1.0
	v_fma_f64 v[25:26], v[25:26], v[27:28], v[25:26]
	v_mul_f64 v[27:28], v[31:32], v[25:26]
	v_fma_f64 v[23:24], -v[23:24], v[27:28], v[31:32]
	v_div_fmas_f64 v[23:24], v[23:24], v[25:26], v[27:28]
                                        ; implicit-def: $vgpr27_vgpr28
	v_div_fixup_f64 v[3:4], v[23:24], v[3:4], 1.0
                                        ; implicit-def: $vgpr23_vgpr24
	v_mul_f64 v[25:26], v[1:2], v[3:4]
	v_xor_b32_e32 v4, 0x80000000, v4
	v_xor_b32_e32 v2, 0x80000000, v26
	v_mov_b32_e32 v1, v25
.LBB8_4:
	s_andn2_saveexec_b32 s7, s7
	s_cbranch_execz .LBB8_6
; %bb.5:
	v_div_scale_f64 v[1:2], null, v[23:24], v[23:24], v[27:28]
	v_div_scale_f64 v[31:32], vcc_lo, v[27:28], v[23:24], v[27:28]
	v_rcp_f64_e32 v[3:4], v[1:2]
	v_fma_f64 v[25:26], -v[1:2], v[3:4], 1.0
	v_fma_f64 v[3:4], v[3:4], v[25:26], v[3:4]
	v_fma_f64 v[25:26], -v[1:2], v[3:4], 1.0
	v_fma_f64 v[3:4], v[3:4], v[25:26], v[3:4]
	v_mul_f64 v[25:26], v[31:32], v[3:4]
	v_fma_f64 v[1:2], -v[1:2], v[25:26], v[31:32]
	v_div_fmas_f64 v[1:2], v[1:2], v[3:4], v[25:26]
	v_div_fixup_f64 v[1:2], v[1:2], v[23:24], v[27:28]
	v_fma_f64 v[3:4], v[27:28], v[1:2], v[23:24]
	v_div_scale_f64 v[23:24], null, v[3:4], v[3:4], 1.0
	v_rcp_f64_e32 v[25:26], v[23:24]
	v_fma_f64 v[27:28], -v[23:24], v[25:26], 1.0
	v_fma_f64 v[25:26], v[25:26], v[27:28], v[25:26]
	v_fma_f64 v[27:28], -v[23:24], v[25:26], 1.0
	v_fma_f64 v[25:26], v[25:26], v[27:28], v[25:26]
	v_div_scale_f64 v[27:28], vcc_lo, 1.0, v[3:4], 1.0
	v_mul_f64 v[31:32], v[27:28], v[25:26]
	v_fma_f64 v[23:24], -v[23:24], v[31:32], v[27:28]
	v_div_fmas_f64 v[23:24], v[23:24], v[25:26], v[31:32]
	v_div_fixup_f64 v[25:26], v[23:24], v[3:4], 1.0
	v_mul_f64 v[3:4], v[1:2], -v[25:26]
	v_xor_b32_e32 v2, 0x80000000, v26
	v_mov_b32_e32 v1, v25
.LBB8_6:
	s_or_b32 exec_lo, exec_lo, s7
	buffer_store_dword v4, v30, s[0:3], 0 offen offset:12
	v_xor_b32_e32 v4, 0x80000000, v4
	buffer_store_dword v26, v30, s[0:3], 0 offen offset:4
	buffer_store_dword v25, v30, s[0:3], 0 offen
	buffer_store_dword v3, v30, s[0:3], 0 offen offset:8
	s_branch .LBB8_8
.LBB8_7:
	v_mov_b32_e32 v1, 0
	v_mov_b32_e32 v3, 0
	;; [unrolled: 1-line block ×4, first 2 shown]
.LBB8_8:
	v_add_nc_u32_e32 v24, 0x90, v29
	v_mov_b32_e32 v23, v29
	s_mov_b32 s14, 16
	s_mov_b32 s13, 32
	;; [unrolled: 1-line block ×8, first 2 shown]
	s_cmpk_eq_i32 s8, 0x79
	ds_write_b128 v29, v[1:4]
	s_cbranch_scc1 .LBB8_68
; %bb.9:
	v_mov_b32_e32 v4, s7
	v_cmp_eq_u32_e64 s4, 8, v0
	s_clause 0x3
	buffer_load_dword v1, v4, s[0:3], 0 offen
	buffer_load_dword v2, v4, s[0:3], 0 offen offset:4
	buffer_load_dword v3, v4, s[0:3], 0 offen offset:8
	buffer_load_dword v4, v4, s[0:3], 0 offen offset:12
	s_waitcnt vmcnt(0)
	ds_write_b128 v24, v[1:4]
	s_waitcnt lgkmcnt(0)
	s_waitcnt_vscnt null, 0x0
	s_barrier
	buffer_gl0_inv
	s_and_saveexec_b32 s5, s4
	s_cbranch_execz .LBB8_13
; %bb.10:
	ds_read_b128 v[1:4], v24
	s_andn2_b32 vcc_lo, exec_lo, s15
	s_cbranch_vccnz .LBB8_12
; %bb.11:
	s_clause 0x3
	buffer_load_dword v25, v23, s[0:3], 0 offen offset:8
	buffer_load_dword v26, v23, s[0:3], 0 offen offset:12
	buffer_load_dword v27, v23, s[0:3], 0 offen
	buffer_load_dword v28, v23, s[0:3], 0 offen offset:4
	s_waitcnt vmcnt(2) lgkmcnt(0)
	v_mul_f64 v[30:31], v[3:4], v[25:26]
	v_mul_f64 v[25:26], v[1:2], v[25:26]
	s_waitcnt vmcnt(0)
	v_fma_f64 v[1:2], v[1:2], v[27:28], -v[30:31]
	v_fma_f64 v[3:4], v[3:4], v[27:28], v[25:26]
.LBB8_12:
	v_mov_b32_e32 v25, 0
	ds_read_b128 v[25:28], v25 offset:112
	s_waitcnt lgkmcnt(0)
	v_mul_f64 v[30:31], v[3:4], v[27:28]
	v_mul_f64 v[27:28], v[1:2], v[27:28]
	v_fma_f64 v[1:2], v[1:2], v[25:26], -v[30:31]
	v_fma_f64 v[3:4], v[3:4], v[25:26], v[27:28]
	buffer_store_dword v2, off, s[0:3], 0 offset:116
	buffer_store_dword v1, off, s[0:3], 0 offset:112
	;; [unrolled: 1-line block ×4, first 2 shown]
.LBB8_13:
	s_or_b32 exec_lo, exec_lo, s5
	v_mov_b32_e32 v4, s9
	v_cmp_lt_u32_e64 s5, 6, v0
	s_clause 0x3
	buffer_load_dword v1, v4, s[0:3], 0 offen
	buffer_load_dword v2, v4, s[0:3], 0 offen offset:4
	buffer_load_dword v3, v4, s[0:3], 0 offen offset:8
	;; [unrolled: 1-line block ×3, first 2 shown]
	s_waitcnt vmcnt(0)
	ds_write_b128 v24, v[1:4]
	s_waitcnt lgkmcnt(0)
	s_waitcnt_vscnt null, 0x0
	s_barrier
	buffer_gl0_inv
	s_and_saveexec_b32 s8, s5
	s_cbranch_execz .LBB8_19
; %bb.14:
	ds_read_b128 v[1:4], v24
	s_andn2_b32 vcc_lo, exec_lo, s15
	s_cbranch_vccnz .LBB8_16
; %bb.15:
	s_clause 0x3
	buffer_load_dword v25, v23, s[0:3], 0 offen offset:8
	buffer_load_dword v26, v23, s[0:3], 0 offen offset:12
	buffer_load_dword v27, v23, s[0:3], 0 offen
	buffer_load_dword v28, v23, s[0:3], 0 offen offset:4
	s_waitcnt vmcnt(2) lgkmcnt(0)
	v_mul_f64 v[30:31], v[3:4], v[25:26]
	v_mul_f64 v[25:26], v[1:2], v[25:26]
	s_waitcnt vmcnt(0)
	v_fma_f64 v[1:2], v[1:2], v[27:28], -v[30:31]
	v_fma_f64 v[3:4], v[3:4], v[27:28], v[25:26]
.LBB8_16:
	s_and_saveexec_b32 s16, s4
	s_cbranch_execz .LBB8_18
; %bb.17:
	s_clause 0x3
	buffer_load_dword v30, off, s[0:3], 0 offset:120
	buffer_load_dword v31, off, s[0:3], 0 offset:124
	;; [unrolled: 1-line block ×4, first 2 shown]
	v_mov_b32_e32 v25, 0
	ds_read_b128 v[25:28], v25 offset:256
	s_waitcnt vmcnt(2) lgkmcnt(0)
	v_mul_f64 v[34:35], v[25:26], v[30:31]
	v_mul_f64 v[30:31], v[27:28], v[30:31]
	s_waitcnt vmcnt(0)
	v_fma_f64 v[27:28], v[27:28], v[32:33], v[34:35]
	v_fma_f64 v[25:26], v[25:26], v[32:33], -v[30:31]
	v_add_f64 v[3:4], v[3:4], v[27:28]
	v_add_f64 v[1:2], v[1:2], v[25:26]
.LBB8_18:
	s_or_b32 exec_lo, exec_lo, s16
	v_mov_b32_e32 v25, 0
	ds_read_b128 v[25:28], v25 offset:96
	s_waitcnt lgkmcnt(0)
	v_mul_f64 v[30:31], v[3:4], v[27:28]
	v_mul_f64 v[27:28], v[1:2], v[27:28]
	v_fma_f64 v[1:2], v[1:2], v[25:26], -v[30:31]
	v_fma_f64 v[3:4], v[3:4], v[25:26], v[27:28]
	buffer_store_dword v2, off, s[0:3], 0 offset:100
	buffer_store_dword v1, off, s[0:3], 0 offset:96
	;; [unrolled: 1-line block ×4, first 2 shown]
.LBB8_19:
	s_or_b32 exec_lo, exec_lo, s8
	v_mov_b32_e32 v4, s10
	v_cmp_lt_u32_e64 s4, 5, v0
	s_clause 0x3
	buffer_load_dword v1, v4, s[0:3], 0 offen
	buffer_load_dword v2, v4, s[0:3], 0 offen offset:4
	buffer_load_dword v3, v4, s[0:3], 0 offen offset:8
	;; [unrolled: 1-line block ×3, first 2 shown]
	s_waitcnt vmcnt(0)
	ds_write_b128 v24, v[1:4]
	s_waitcnt lgkmcnt(0)
	s_waitcnt_vscnt null, 0x0
	s_barrier
	buffer_gl0_inv
	s_and_saveexec_b32 s8, s4
	s_cbranch_execz .LBB8_27
; %bb.20:
	ds_read_b128 v[1:4], v24
	s_andn2_b32 vcc_lo, exec_lo, s15
	s_cbranch_vccnz .LBB8_22
; %bb.21:
	s_clause 0x3
	buffer_load_dword v25, v23, s[0:3], 0 offen offset:8
	buffer_load_dword v26, v23, s[0:3], 0 offen offset:12
	buffer_load_dword v27, v23, s[0:3], 0 offen
	buffer_load_dword v28, v23, s[0:3], 0 offen offset:4
	s_waitcnt vmcnt(2) lgkmcnt(0)
	v_mul_f64 v[30:31], v[3:4], v[25:26]
	v_mul_f64 v[25:26], v[1:2], v[25:26]
	s_waitcnt vmcnt(0)
	v_fma_f64 v[1:2], v[1:2], v[27:28], -v[30:31]
	v_fma_f64 v[3:4], v[3:4], v[27:28], v[25:26]
.LBB8_22:
	s_and_saveexec_b32 s16, s5
	s_cbranch_execz .LBB8_26
; %bb.23:
	v_add_nc_u32_e32 v25, -6, v0
	s_movk_i32 s17, 0xf0
	s_mov_b32 s5, 0
	s_mov_b32 s18, s9
	.p2align	6
.LBB8_24:                               ; =>This Inner Loop Header: Depth=1
	v_mov_b32_e32 v28, s18
	v_add_nc_u32_e32 v25, -1, v25
	s_add_i32 s18, s18, 16
	s_clause 0x3
	buffer_load_dword v26, v28, s[0:3], 0 offen offset:8
	buffer_load_dword v27, v28, s[0:3], 0 offen offset:12
	buffer_load_dword v34, v28, s[0:3], 0 offen
	buffer_load_dword v35, v28, s[0:3], 0 offen offset:4
	v_mov_b32_e32 v28, s17
	v_cmp_eq_u32_e32 vcc_lo, 0, v25
	s_add_i32 s17, s17, 16
	ds_read_b128 v[30:33], v28
	s_or_b32 s5, vcc_lo, s5
	s_waitcnt vmcnt(2) lgkmcnt(0)
	v_mul_f64 v[36:37], v[32:33], v[26:27]
	v_mul_f64 v[26:27], v[30:31], v[26:27]
	s_waitcnt vmcnt(0)
	v_fma_f64 v[30:31], v[30:31], v[34:35], -v[36:37]
	v_fma_f64 v[26:27], v[32:33], v[34:35], v[26:27]
	v_add_f64 v[1:2], v[1:2], v[30:31]
	v_add_f64 v[3:4], v[3:4], v[26:27]
	s_andn2_b32 exec_lo, exec_lo, s5
	s_cbranch_execnz .LBB8_24
; %bb.25:
	s_or_b32 exec_lo, exec_lo, s5
.LBB8_26:
	s_or_b32 exec_lo, exec_lo, s16
	v_mov_b32_e32 v25, 0
	ds_read_b128 v[25:28], v25 offset:80
	s_waitcnt lgkmcnt(0)
	v_mul_f64 v[30:31], v[3:4], v[27:28]
	v_mul_f64 v[27:28], v[1:2], v[27:28]
	v_fma_f64 v[1:2], v[1:2], v[25:26], -v[30:31]
	v_fma_f64 v[3:4], v[3:4], v[25:26], v[27:28]
	buffer_store_dword v2, off, s[0:3], 0 offset:84
	buffer_store_dword v1, off, s[0:3], 0 offset:80
	;; [unrolled: 1-line block ×4, first 2 shown]
.LBB8_27:
	s_or_b32 exec_lo, exec_lo, s8
	v_mov_b32_e32 v4, s11
	v_cmp_lt_u32_e64 s5, 4, v0
	s_clause 0x3
	buffer_load_dword v1, v4, s[0:3], 0 offen
	buffer_load_dword v2, v4, s[0:3], 0 offen offset:4
	buffer_load_dword v3, v4, s[0:3], 0 offen offset:8
	;; [unrolled: 1-line block ×3, first 2 shown]
	s_waitcnt vmcnt(0)
	ds_write_b128 v24, v[1:4]
	s_waitcnt lgkmcnt(0)
	s_waitcnt_vscnt null, 0x0
	s_barrier
	buffer_gl0_inv
	s_and_saveexec_b32 s8, s5
	s_cbranch_execz .LBB8_35
; %bb.28:
	ds_read_b128 v[1:4], v24
	s_andn2_b32 vcc_lo, exec_lo, s15
	s_cbranch_vccnz .LBB8_30
; %bb.29:
	s_clause 0x3
	buffer_load_dword v25, v23, s[0:3], 0 offen offset:8
	buffer_load_dword v26, v23, s[0:3], 0 offen offset:12
	buffer_load_dword v27, v23, s[0:3], 0 offen
	buffer_load_dword v28, v23, s[0:3], 0 offen offset:4
	s_waitcnt vmcnt(2) lgkmcnt(0)
	v_mul_f64 v[30:31], v[3:4], v[25:26]
	v_mul_f64 v[25:26], v[1:2], v[25:26]
	s_waitcnt vmcnt(0)
	v_fma_f64 v[1:2], v[1:2], v[27:28], -v[30:31]
	v_fma_f64 v[3:4], v[3:4], v[27:28], v[25:26]
.LBB8_30:
	s_and_saveexec_b32 s16, s4
	s_cbranch_execz .LBB8_34
; %bb.31:
	v_add_nc_u32_e32 v25, -5, v0
	s_movk_i32 s17, 0xe0
	s_mov_b32 s4, 0
	s_mov_b32 s18, s10
	.p2align	6
.LBB8_32:                               ; =>This Inner Loop Header: Depth=1
	v_mov_b32_e32 v28, s18
	v_add_nc_u32_e32 v25, -1, v25
	s_add_i32 s18, s18, 16
	s_clause 0x3
	buffer_load_dword v26, v28, s[0:3], 0 offen offset:8
	buffer_load_dword v27, v28, s[0:3], 0 offen offset:12
	buffer_load_dword v34, v28, s[0:3], 0 offen
	buffer_load_dword v35, v28, s[0:3], 0 offen offset:4
	v_mov_b32_e32 v28, s17
	v_cmp_eq_u32_e32 vcc_lo, 0, v25
	s_add_i32 s17, s17, 16
	ds_read_b128 v[30:33], v28
	s_or_b32 s4, vcc_lo, s4
	s_waitcnt vmcnt(2) lgkmcnt(0)
	v_mul_f64 v[36:37], v[32:33], v[26:27]
	v_mul_f64 v[26:27], v[30:31], v[26:27]
	s_waitcnt vmcnt(0)
	v_fma_f64 v[30:31], v[30:31], v[34:35], -v[36:37]
	v_fma_f64 v[26:27], v[32:33], v[34:35], v[26:27]
	v_add_f64 v[1:2], v[1:2], v[30:31]
	v_add_f64 v[3:4], v[3:4], v[26:27]
	s_andn2_b32 exec_lo, exec_lo, s4
	s_cbranch_execnz .LBB8_32
; %bb.33:
	s_or_b32 exec_lo, exec_lo, s4
.LBB8_34:
	s_or_b32 exec_lo, exec_lo, s16
	v_mov_b32_e32 v25, 0
	ds_read_b128 v[25:28], v25 offset:64
	s_waitcnt lgkmcnt(0)
	v_mul_f64 v[30:31], v[3:4], v[27:28]
	v_mul_f64 v[27:28], v[1:2], v[27:28]
	v_fma_f64 v[1:2], v[1:2], v[25:26], -v[30:31]
	v_fma_f64 v[3:4], v[3:4], v[25:26], v[27:28]
	buffer_store_dword v2, off, s[0:3], 0 offset:68
	buffer_store_dword v1, off, s[0:3], 0 offset:64
	;; [unrolled: 1-line block ×4, first 2 shown]
.LBB8_35:
	s_or_b32 exec_lo, exec_lo, s8
	v_mov_b32_e32 v4, s12
	v_cmp_lt_u32_e64 s4, 3, v0
	s_clause 0x3
	buffer_load_dword v1, v4, s[0:3], 0 offen
	buffer_load_dword v2, v4, s[0:3], 0 offen offset:4
	buffer_load_dword v3, v4, s[0:3], 0 offen offset:8
	;; [unrolled: 1-line block ×3, first 2 shown]
	s_waitcnt vmcnt(0)
	ds_write_b128 v24, v[1:4]
	s_waitcnt lgkmcnt(0)
	s_waitcnt_vscnt null, 0x0
	s_barrier
	buffer_gl0_inv
	s_and_saveexec_b32 s8, s4
	s_cbranch_execz .LBB8_43
; %bb.36:
	ds_read_b128 v[1:4], v24
	s_andn2_b32 vcc_lo, exec_lo, s15
	s_cbranch_vccnz .LBB8_38
; %bb.37:
	s_clause 0x3
	buffer_load_dword v25, v23, s[0:3], 0 offen offset:8
	buffer_load_dword v26, v23, s[0:3], 0 offen offset:12
	buffer_load_dword v27, v23, s[0:3], 0 offen
	buffer_load_dword v28, v23, s[0:3], 0 offen offset:4
	s_waitcnt vmcnt(2) lgkmcnt(0)
	v_mul_f64 v[30:31], v[3:4], v[25:26]
	v_mul_f64 v[25:26], v[1:2], v[25:26]
	s_waitcnt vmcnt(0)
	v_fma_f64 v[1:2], v[1:2], v[27:28], -v[30:31]
	v_fma_f64 v[3:4], v[3:4], v[27:28], v[25:26]
.LBB8_38:
	s_and_saveexec_b32 s16, s5
	s_cbranch_execz .LBB8_42
; %bb.39:
	v_add_nc_u32_e32 v25, -4, v0
	s_movk_i32 s17, 0xd0
	s_mov_b32 s5, 0
	s_mov_b32 s18, s11
	.p2align	6
.LBB8_40:                               ; =>This Inner Loop Header: Depth=1
	v_mov_b32_e32 v28, s18
	v_add_nc_u32_e32 v25, -1, v25
	s_add_i32 s18, s18, 16
	s_clause 0x3
	buffer_load_dword v26, v28, s[0:3], 0 offen offset:8
	buffer_load_dword v27, v28, s[0:3], 0 offen offset:12
	buffer_load_dword v34, v28, s[0:3], 0 offen
	buffer_load_dword v35, v28, s[0:3], 0 offen offset:4
	v_mov_b32_e32 v28, s17
	v_cmp_eq_u32_e32 vcc_lo, 0, v25
	s_add_i32 s17, s17, 16
	ds_read_b128 v[30:33], v28
	s_or_b32 s5, vcc_lo, s5
	s_waitcnt vmcnt(2) lgkmcnt(0)
	v_mul_f64 v[36:37], v[32:33], v[26:27]
	v_mul_f64 v[26:27], v[30:31], v[26:27]
	s_waitcnt vmcnt(0)
	v_fma_f64 v[30:31], v[30:31], v[34:35], -v[36:37]
	v_fma_f64 v[26:27], v[32:33], v[34:35], v[26:27]
	v_add_f64 v[1:2], v[1:2], v[30:31]
	v_add_f64 v[3:4], v[3:4], v[26:27]
	s_andn2_b32 exec_lo, exec_lo, s5
	s_cbranch_execnz .LBB8_40
; %bb.41:
	s_or_b32 exec_lo, exec_lo, s5
.LBB8_42:
	s_or_b32 exec_lo, exec_lo, s16
	v_mov_b32_e32 v25, 0
	ds_read_b128 v[25:28], v25 offset:48
	s_waitcnt lgkmcnt(0)
	v_mul_f64 v[30:31], v[3:4], v[27:28]
	v_mul_f64 v[27:28], v[1:2], v[27:28]
	v_fma_f64 v[1:2], v[1:2], v[25:26], -v[30:31]
	v_fma_f64 v[3:4], v[3:4], v[25:26], v[27:28]
	buffer_store_dword v2, off, s[0:3], 0 offset:52
	buffer_store_dword v1, off, s[0:3], 0 offset:48
	;; [unrolled: 1-line block ×4, first 2 shown]
.LBB8_43:
	s_or_b32 exec_lo, exec_lo, s8
	v_mov_b32_e32 v4, s13
	v_cmp_lt_u32_e64 s5, 2, v0
	s_clause 0x3
	buffer_load_dword v1, v4, s[0:3], 0 offen
	buffer_load_dword v2, v4, s[0:3], 0 offen offset:4
	buffer_load_dword v3, v4, s[0:3], 0 offen offset:8
	;; [unrolled: 1-line block ×3, first 2 shown]
	s_waitcnt vmcnt(0)
	ds_write_b128 v24, v[1:4]
	s_waitcnt lgkmcnt(0)
	s_waitcnt_vscnt null, 0x0
	s_barrier
	buffer_gl0_inv
	s_and_saveexec_b32 s8, s5
	s_cbranch_execz .LBB8_51
; %bb.44:
	ds_read_b128 v[1:4], v24
	s_andn2_b32 vcc_lo, exec_lo, s15
	s_cbranch_vccnz .LBB8_46
; %bb.45:
	s_clause 0x3
	buffer_load_dword v25, v23, s[0:3], 0 offen offset:8
	buffer_load_dword v26, v23, s[0:3], 0 offen offset:12
	buffer_load_dword v27, v23, s[0:3], 0 offen
	buffer_load_dword v28, v23, s[0:3], 0 offen offset:4
	s_waitcnt vmcnt(2) lgkmcnt(0)
	v_mul_f64 v[30:31], v[3:4], v[25:26]
	v_mul_f64 v[25:26], v[1:2], v[25:26]
	s_waitcnt vmcnt(0)
	v_fma_f64 v[1:2], v[1:2], v[27:28], -v[30:31]
	v_fma_f64 v[3:4], v[3:4], v[27:28], v[25:26]
.LBB8_46:
	s_and_saveexec_b32 s16, s4
	s_cbranch_execz .LBB8_50
; %bb.47:
	v_add_nc_u32_e32 v25, -3, v0
	s_movk_i32 s17, 0xc0
	s_mov_b32 s4, 0
	s_mov_b32 s18, s12
	.p2align	6
.LBB8_48:                               ; =>This Inner Loop Header: Depth=1
	v_mov_b32_e32 v28, s18
	v_add_nc_u32_e32 v25, -1, v25
	s_add_i32 s18, s18, 16
	s_clause 0x3
	buffer_load_dword v26, v28, s[0:3], 0 offen offset:8
	buffer_load_dword v27, v28, s[0:3], 0 offen offset:12
	buffer_load_dword v34, v28, s[0:3], 0 offen
	buffer_load_dword v35, v28, s[0:3], 0 offen offset:4
	v_mov_b32_e32 v28, s17
	v_cmp_eq_u32_e32 vcc_lo, 0, v25
	s_add_i32 s17, s17, 16
	ds_read_b128 v[30:33], v28
	s_or_b32 s4, vcc_lo, s4
	s_waitcnt vmcnt(2) lgkmcnt(0)
	v_mul_f64 v[36:37], v[32:33], v[26:27]
	v_mul_f64 v[26:27], v[30:31], v[26:27]
	s_waitcnt vmcnt(0)
	v_fma_f64 v[30:31], v[30:31], v[34:35], -v[36:37]
	v_fma_f64 v[26:27], v[32:33], v[34:35], v[26:27]
	v_add_f64 v[1:2], v[1:2], v[30:31]
	v_add_f64 v[3:4], v[3:4], v[26:27]
	s_andn2_b32 exec_lo, exec_lo, s4
	s_cbranch_execnz .LBB8_48
; %bb.49:
	s_or_b32 exec_lo, exec_lo, s4
.LBB8_50:
	s_or_b32 exec_lo, exec_lo, s16
	v_mov_b32_e32 v25, 0
	ds_read_b128 v[25:28], v25 offset:32
	s_waitcnt lgkmcnt(0)
	v_mul_f64 v[30:31], v[3:4], v[27:28]
	v_mul_f64 v[27:28], v[1:2], v[27:28]
	v_fma_f64 v[1:2], v[1:2], v[25:26], -v[30:31]
	v_fma_f64 v[3:4], v[3:4], v[25:26], v[27:28]
	buffer_store_dword v2, off, s[0:3], 0 offset:36
	buffer_store_dword v1, off, s[0:3], 0 offset:32
	;; [unrolled: 1-line block ×4, first 2 shown]
.LBB8_51:
	s_or_b32 exec_lo, exec_lo, s8
	v_mov_b32_e32 v4, s14
	v_cmp_lt_u32_e64 s4, 1, v0
	s_clause 0x3
	buffer_load_dword v1, v4, s[0:3], 0 offen
	buffer_load_dword v2, v4, s[0:3], 0 offen offset:4
	buffer_load_dword v3, v4, s[0:3], 0 offen offset:8
	;; [unrolled: 1-line block ×3, first 2 shown]
	s_waitcnt vmcnt(0)
	ds_write_b128 v24, v[1:4]
	s_waitcnt lgkmcnt(0)
	s_waitcnt_vscnt null, 0x0
	s_barrier
	buffer_gl0_inv
	s_and_saveexec_b32 s8, s4
	s_cbranch_execz .LBB8_59
; %bb.52:
	ds_read_b128 v[1:4], v24
	s_andn2_b32 vcc_lo, exec_lo, s15
	s_cbranch_vccnz .LBB8_54
; %bb.53:
	s_clause 0x3
	buffer_load_dword v25, v23, s[0:3], 0 offen offset:8
	buffer_load_dword v26, v23, s[0:3], 0 offen offset:12
	buffer_load_dword v27, v23, s[0:3], 0 offen
	buffer_load_dword v28, v23, s[0:3], 0 offen offset:4
	s_waitcnt vmcnt(2) lgkmcnt(0)
	v_mul_f64 v[30:31], v[3:4], v[25:26]
	v_mul_f64 v[25:26], v[1:2], v[25:26]
	s_waitcnt vmcnt(0)
	v_fma_f64 v[1:2], v[1:2], v[27:28], -v[30:31]
	v_fma_f64 v[3:4], v[3:4], v[27:28], v[25:26]
.LBB8_54:
	s_and_saveexec_b32 s16, s5
	s_cbranch_execz .LBB8_58
; %bb.55:
	v_add_nc_u32_e32 v25, -2, v0
	s_movk_i32 s17, 0xb0
	s_mov_b32 s5, 0
	s_mov_b32 s18, s13
	.p2align	6
.LBB8_56:                               ; =>This Inner Loop Header: Depth=1
	v_mov_b32_e32 v28, s18
	v_add_nc_u32_e32 v25, -1, v25
	s_add_i32 s18, s18, 16
	s_clause 0x3
	buffer_load_dword v26, v28, s[0:3], 0 offen offset:8
	buffer_load_dword v27, v28, s[0:3], 0 offen offset:12
	buffer_load_dword v34, v28, s[0:3], 0 offen
	buffer_load_dword v35, v28, s[0:3], 0 offen offset:4
	v_mov_b32_e32 v28, s17
	v_cmp_eq_u32_e32 vcc_lo, 0, v25
	s_add_i32 s17, s17, 16
	ds_read_b128 v[30:33], v28
	s_or_b32 s5, vcc_lo, s5
	s_waitcnt vmcnt(2) lgkmcnt(0)
	v_mul_f64 v[36:37], v[32:33], v[26:27]
	v_mul_f64 v[26:27], v[30:31], v[26:27]
	s_waitcnt vmcnt(0)
	v_fma_f64 v[30:31], v[30:31], v[34:35], -v[36:37]
	v_fma_f64 v[26:27], v[32:33], v[34:35], v[26:27]
	v_add_f64 v[1:2], v[1:2], v[30:31]
	v_add_f64 v[3:4], v[3:4], v[26:27]
	s_andn2_b32 exec_lo, exec_lo, s5
	s_cbranch_execnz .LBB8_56
; %bb.57:
	s_or_b32 exec_lo, exec_lo, s5
.LBB8_58:
	s_or_b32 exec_lo, exec_lo, s16
	v_mov_b32_e32 v25, 0
	ds_read_b128 v[25:28], v25 offset:16
	s_waitcnt lgkmcnt(0)
	v_mul_f64 v[30:31], v[3:4], v[27:28]
	v_mul_f64 v[27:28], v[1:2], v[27:28]
	v_fma_f64 v[1:2], v[1:2], v[25:26], -v[30:31]
	v_fma_f64 v[3:4], v[3:4], v[25:26], v[27:28]
	buffer_store_dword v2, off, s[0:3], 0 offset:20
	buffer_store_dword v1, off, s[0:3], 0 offset:16
	;; [unrolled: 1-line block ×4, first 2 shown]
.LBB8_59:
	s_or_b32 exec_lo, exec_lo, s8
	s_clause 0x3
	buffer_load_dword v1, off, s[0:3], 0
	buffer_load_dword v2, off, s[0:3], 0 offset:4
	buffer_load_dword v3, off, s[0:3], 0 offset:8
	;; [unrolled: 1-line block ×3, first 2 shown]
	s_mov_b32 s8, 0
	s_mov_b32 s5, 0
	s_mov_b32 s16, exec_lo
                                        ; implicit-def: $sgpr17
	s_waitcnt vmcnt(0)
	ds_write_b128 v24, v[1:4]
	s_waitcnt lgkmcnt(0)
	s_waitcnt_vscnt null, 0x0
	s_barrier
	buffer_gl0_inv
                                        ; implicit-def: $vgpr1_vgpr2
	v_cmpx_ne_u32_e32 0, v0
	s_cbranch_execz .LBB8_67
; %bb.60:
	ds_read_b128 v[1:4], v24
	s_andn2_b32 vcc_lo, exec_lo, s15
	s_cbranch_vccnz .LBB8_62
; %bb.61:
	s_clause 0x3
	buffer_load_dword v25, v23, s[0:3], 0 offen offset:8
	buffer_load_dword v26, v23, s[0:3], 0 offen offset:12
	buffer_load_dword v27, v23, s[0:3], 0 offen
	buffer_load_dword v28, v23, s[0:3], 0 offen offset:4
	s_waitcnt vmcnt(2) lgkmcnt(0)
	v_mul_f64 v[30:31], v[3:4], v[25:26]
	v_mul_f64 v[25:26], v[1:2], v[25:26]
	s_waitcnt vmcnt(0)
	v_fma_f64 v[1:2], v[1:2], v[27:28], -v[30:31]
	v_fma_f64 v[3:4], v[3:4], v[27:28], v[25:26]
.LBB8_62:
	s_and_saveexec_b32 s5, s4
	s_cbranch_execz .LBB8_66
; %bb.63:
	v_add_nc_u32_e32 v25, -1, v0
	s_movk_i32 s17, 0xa0
	s_mov_b32 s4, 0
	s_mov_b32 s18, s14
	.p2align	6
.LBB8_64:                               ; =>This Inner Loop Header: Depth=1
	v_mov_b32_e32 v28, s18
	v_add_nc_u32_e32 v25, -1, v25
	s_add_i32 s18, s18, 16
	s_clause 0x3
	buffer_load_dword v26, v28, s[0:3], 0 offen offset:8
	buffer_load_dword v27, v28, s[0:3], 0 offen offset:12
	buffer_load_dword v34, v28, s[0:3], 0 offen
	buffer_load_dword v35, v28, s[0:3], 0 offen offset:4
	v_mov_b32_e32 v28, s17
	v_cmp_eq_u32_e32 vcc_lo, 0, v25
	s_add_i32 s17, s17, 16
	ds_read_b128 v[30:33], v28
	s_or_b32 s4, vcc_lo, s4
	s_waitcnt vmcnt(2) lgkmcnt(0)
	v_mul_f64 v[36:37], v[32:33], v[26:27]
	v_mul_f64 v[26:27], v[30:31], v[26:27]
	s_waitcnt vmcnt(0)
	v_fma_f64 v[30:31], v[30:31], v[34:35], -v[36:37]
	v_fma_f64 v[26:27], v[32:33], v[34:35], v[26:27]
	v_add_f64 v[1:2], v[1:2], v[30:31]
	v_add_f64 v[3:4], v[3:4], v[26:27]
	s_andn2_b32 exec_lo, exec_lo, s4
	s_cbranch_execnz .LBB8_64
; %bb.65:
	s_or_b32 exec_lo, exec_lo, s4
.LBB8_66:
	s_or_b32 exec_lo, exec_lo, s5
	v_mov_b32_e32 v25, 0
	s_mov_b32 s5, exec_lo
	s_or_b32 s17, 0, 8
	ds_read_b128 v[25:28], v25
	s_waitcnt lgkmcnt(0)
	v_mul_f64 v[30:31], v[3:4], v[27:28]
	v_mul_f64 v[27:28], v[1:2], v[27:28]
	v_fma_f64 v[30:31], v[1:2], v[25:26], -v[30:31]
	v_fma_f64 v[1:2], v[3:4], v[25:26], v[27:28]
	buffer_store_dword v31, off, s[0:3], 0 offset:4
	buffer_store_dword v30, off, s[0:3], 0
.LBB8_67:
	s_or_b32 exec_lo, exec_lo, s16
	s_and_b32 vcc_lo, exec_lo, s8
	s_cbranch_vccnz .LBB8_69
	s_branch .LBB8_128
.LBB8_68:
	s_mov_b32 s5, 0
                                        ; implicit-def: $vgpr1_vgpr2
                                        ; implicit-def: $sgpr17
	s_cbranch_execz .LBB8_128
.LBB8_69:
	v_mov_b32_e32 v4, s14
	v_cmp_eq_u32_e64 s4, 0, v0
	v_cndmask_b32_e64 v25, 0, 1, s15
	s_clause 0x3
	buffer_load_dword v1, v4, s[0:3], 0 offen
	buffer_load_dword v2, v4, s[0:3], 0 offen offset:4
	buffer_load_dword v3, v4, s[0:3], 0 offen offset:8
	;; [unrolled: 1-line block ×3, first 2 shown]
	s_waitcnt vmcnt(0)
	ds_write_b128 v24, v[1:4]
	s_waitcnt lgkmcnt(0)
	s_waitcnt_vscnt null, 0x0
	s_barrier
	buffer_gl0_inv
	s_and_saveexec_b32 s8, s4
	s_cbranch_execz .LBB8_73
; %bb.70:
	ds_read_b128 v[1:4], v24
	s_andn2_b32 vcc_lo, exec_lo, s15
	s_cbranch_vccnz .LBB8_72
; %bb.71:
	s_clause 0x3
	buffer_load_dword v26, v23, s[0:3], 0 offen offset:8
	buffer_load_dword v27, v23, s[0:3], 0 offen offset:12
	buffer_load_dword v30, v23, s[0:3], 0 offen
	buffer_load_dword v31, v23, s[0:3], 0 offen offset:4
	s_waitcnt vmcnt(2) lgkmcnt(0)
	v_mul_f64 v[32:33], v[3:4], v[26:27]
	v_mul_f64 v[26:27], v[1:2], v[26:27]
	s_waitcnt vmcnt(0)
	v_fma_f64 v[1:2], v[1:2], v[30:31], -v[32:33]
	v_fma_f64 v[3:4], v[3:4], v[30:31], v[26:27]
.LBB8_72:
	v_mov_b32_e32 v26, 0
	ds_read_b128 v[30:33], v26 offset:16
	s_waitcnt lgkmcnt(0)
	v_mul_f64 v[26:27], v[3:4], v[32:33]
	v_mul_f64 v[32:33], v[1:2], v[32:33]
	v_fma_f64 v[1:2], v[1:2], v[30:31], -v[26:27]
	v_fma_f64 v[3:4], v[3:4], v[30:31], v[32:33]
	buffer_store_dword v2, off, s[0:3], 0 offset:20
	buffer_store_dword v1, off, s[0:3], 0 offset:16
	;; [unrolled: 1-line block ×4, first 2 shown]
.LBB8_73:
	s_or_b32 exec_lo, exec_lo, s8
	v_mov_b32_e32 v4, s13
	s_mov_b32 s8, exec_lo
	s_clause 0x3
	buffer_load_dword v1, v4, s[0:3], 0 offen
	buffer_load_dword v2, v4, s[0:3], 0 offen offset:4
	buffer_load_dword v3, v4, s[0:3], 0 offen offset:8
	buffer_load_dword v4, v4, s[0:3], 0 offen offset:12
	s_waitcnt vmcnt(0)
	ds_write_b128 v24, v[1:4]
	s_waitcnt lgkmcnt(0)
	s_waitcnt_vscnt null, 0x0
	s_barrier
	buffer_gl0_inv
	v_cmpx_gt_u32_e32 2, v0
	s_cbranch_execz .LBB8_79
; %bb.74:
	ds_read_b128 v[1:4], v24
	v_cmp_ne_u32_e32 vcc_lo, 1, v25
	s_cbranch_vccnz .LBB8_76
; %bb.75:
	s_clause 0x3
	buffer_load_dword v26, v23, s[0:3], 0 offen offset:8
	buffer_load_dword v27, v23, s[0:3], 0 offen offset:12
	buffer_load_dword v30, v23, s[0:3], 0 offen
	buffer_load_dword v31, v23, s[0:3], 0 offen offset:4
	s_waitcnt vmcnt(2) lgkmcnt(0)
	v_mul_f64 v[32:33], v[3:4], v[26:27]
	v_mul_f64 v[26:27], v[1:2], v[26:27]
	s_waitcnt vmcnt(0)
	v_fma_f64 v[1:2], v[1:2], v[30:31], -v[32:33]
	v_fma_f64 v[3:4], v[3:4], v[30:31], v[26:27]
.LBB8_76:
	s_and_saveexec_b32 s15, s4
	s_cbranch_execz .LBB8_78
; %bb.77:
	s_clause 0x3
	buffer_load_dword v26, off, s[0:3], 0 offset:24
	buffer_load_dword v27, off, s[0:3], 0 offset:28
	;; [unrolled: 1-line block ×4, first 2 shown]
	v_mov_b32_e32 v28, 0
	ds_read_b128 v[30:33], v28 offset:160
	s_waitcnt vmcnt(2) lgkmcnt(0)
	v_mul_f64 v[36:37], v[32:33], v[26:27]
	v_mul_f64 v[26:27], v[30:31], v[26:27]
	s_waitcnt vmcnt(0)
	v_fma_f64 v[30:31], v[30:31], v[34:35], -v[36:37]
	v_fma_f64 v[26:27], v[32:33], v[34:35], v[26:27]
	v_add_f64 v[1:2], v[1:2], v[30:31]
	v_add_f64 v[3:4], v[3:4], v[26:27]
.LBB8_78:
	s_or_b32 exec_lo, exec_lo, s15
	v_mov_b32_e32 v26, 0
	ds_read_b128 v[30:33], v26 offset:32
	s_waitcnt lgkmcnt(0)
	v_mul_f64 v[26:27], v[3:4], v[32:33]
	v_mul_f64 v[32:33], v[1:2], v[32:33]
	v_fma_f64 v[1:2], v[1:2], v[30:31], -v[26:27]
	v_fma_f64 v[3:4], v[3:4], v[30:31], v[32:33]
	buffer_store_dword v2, off, s[0:3], 0 offset:36
	buffer_store_dword v1, off, s[0:3], 0 offset:32
	;; [unrolled: 1-line block ×4, first 2 shown]
.LBB8_79:
	s_or_b32 exec_lo, exec_lo, s8
	v_mov_b32_e32 v4, s12
	s_mov_b32 s8, exec_lo
	s_clause 0x3
	buffer_load_dword v1, v4, s[0:3], 0 offen
	buffer_load_dword v2, v4, s[0:3], 0 offen offset:4
	buffer_load_dword v3, v4, s[0:3], 0 offen offset:8
	;; [unrolled: 1-line block ×3, first 2 shown]
	s_waitcnt vmcnt(0)
	ds_write_b128 v24, v[1:4]
	s_waitcnt lgkmcnt(0)
	s_waitcnt_vscnt null, 0x0
	s_barrier
	buffer_gl0_inv
	v_cmpx_gt_u32_e32 3, v0
	s_cbranch_execz .LBB8_87
; %bb.80:
	ds_read_b128 v[1:4], v24
	v_cmp_ne_u32_e32 vcc_lo, 1, v25
	s_cbranch_vccnz .LBB8_82
; %bb.81:
	s_clause 0x3
	buffer_load_dword v26, v23, s[0:3], 0 offen offset:8
	buffer_load_dword v27, v23, s[0:3], 0 offen offset:12
	buffer_load_dword v30, v23, s[0:3], 0 offen
	buffer_load_dword v31, v23, s[0:3], 0 offen offset:4
	s_waitcnt vmcnt(2) lgkmcnt(0)
	v_mul_f64 v[32:33], v[3:4], v[26:27]
	v_mul_f64 v[26:27], v[1:2], v[26:27]
	s_waitcnt vmcnt(0)
	v_fma_f64 v[1:2], v[1:2], v[30:31], -v[32:33]
	v_fma_f64 v[3:4], v[3:4], v[30:31], v[26:27]
.LBB8_82:
	s_mov_b32 s15, exec_lo
	v_cmpx_ne_u32_e32 2, v0
	s_cbranch_execz .LBB8_86
; %bb.83:
	s_clause 0x3
	buffer_load_dword v26, v23, s[0:3], 0 offen offset:24
	buffer_load_dword v27, v23, s[0:3], 0 offen offset:28
	;; [unrolled: 1-line block ×4, first 2 shown]
	ds_read_b128 v[30:33], v24 offset:16
	s_waitcnt vmcnt(2) lgkmcnt(0)
	v_mul_f64 v[36:37], v[32:33], v[26:27]
	v_mul_f64 v[26:27], v[30:31], v[26:27]
	s_waitcnt vmcnt(0)
	v_fma_f64 v[30:31], v[30:31], v[34:35], -v[36:37]
	v_fma_f64 v[26:27], v[32:33], v[34:35], v[26:27]
	v_add_f64 v[1:2], v[1:2], v[30:31]
	v_add_f64 v[3:4], v[3:4], v[26:27]
	s_and_saveexec_b32 s16, s4
	s_cbranch_execz .LBB8_85
; %bb.84:
	s_clause 0x3
	buffer_load_dword v26, off, s[0:3], 0 offset:40
	buffer_load_dword v27, off, s[0:3], 0 offset:44
	;; [unrolled: 1-line block ×4, first 2 shown]
	v_mov_b32_e32 v28, 0
	ds_read_b128 v[30:33], v28 offset:176
	s_waitcnt vmcnt(2) lgkmcnt(0)
	v_mul_f64 v[36:37], v[30:31], v[26:27]
	v_mul_f64 v[26:27], v[32:33], v[26:27]
	s_waitcnt vmcnt(0)
	v_fma_f64 v[32:33], v[32:33], v[34:35], v[36:37]
	v_fma_f64 v[26:27], v[30:31], v[34:35], -v[26:27]
	v_add_f64 v[3:4], v[3:4], v[32:33]
	v_add_f64 v[1:2], v[1:2], v[26:27]
.LBB8_85:
	s_or_b32 exec_lo, exec_lo, s16
.LBB8_86:
	s_or_b32 exec_lo, exec_lo, s15
	v_mov_b32_e32 v26, 0
	ds_read_b128 v[30:33], v26 offset:48
	s_waitcnt lgkmcnt(0)
	v_mul_f64 v[26:27], v[3:4], v[32:33]
	v_mul_f64 v[32:33], v[1:2], v[32:33]
	v_fma_f64 v[1:2], v[1:2], v[30:31], -v[26:27]
	v_fma_f64 v[3:4], v[3:4], v[30:31], v[32:33]
	buffer_store_dword v2, off, s[0:3], 0 offset:52
	buffer_store_dword v1, off, s[0:3], 0 offset:48
	buffer_store_dword v4, off, s[0:3], 0 offset:60
	buffer_store_dword v3, off, s[0:3], 0 offset:56
.LBB8_87:
	s_or_b32 exec_lo, exec_lo, s8
	v_mov_b32_e32 v4, s11
	s_mov_b32 s4, exec_lo
	s_clause 0x3
	buffer_load_dword v1, v4, s[0:3], 0 offen
	buffer_load_dword v2, v4, s[0:3], 0 offen offset:4
	buffer_load_dword v3, v4, s[0:3], 0 offen offset:8
	;; [unrolled: 1-line block ×3, first 2 shown]
	s_waitcnt vmcnt(0)
	ds_write_b128 v24, v[1:4]
	s_waitcnt lgkmcnt(0)
	s_waitcnt_vscnt null, 0x0
	s_barrier
	buffer_gl0_inv
	v_cmpx_gt_u32_e32 4, v0
	s_cbranch_execz .LBB8_95
; %bb.88:
	ds_read_b128 v[1:4], v24
	v_cmp_ne_u32_e32 vcc_lo, 1, v25
	s_cbranch_vccnz .LBB8_90
; %bb.89:
	s_clause 0x3
	buffer_load_dword v26, v23, s[0:3], 0 offen offset:8
	buffer_load_dword v27, v23, s[0:3], 0 offen offset:12
	buffer_load_dword v30, v23, s[0:3], 0 offen
	buffer_load_dword v31, v23, s[0:3], 0 offen offset:4
	s_waitcnt vmcnt(2) lgkmcnt(0)
	v_mul_f64 v[32:33], v[3:4], v[26:27]
	v_mul_f64 v[26:27], v[1:2], v[26:27]
	s_waitcnt vmcnt(0)
	v_fma_f64 v[1:2], v[1:2], v[30:31], -v[32:33]
	v_fma_f64 v[3:4], v[3:4], v[30:31], v[26:27]
.LBB8_90:
	s_mov_b32 s8, exec_lo
	v_cmpx_ne_u32_e32 3, v0
	s_cbranch_execz .LBB8_94
; %bb.91:
	v_add_nc_u32_e32 v26, 0xa0, v29
	v_add3_u32 v27, 0, v29, 16
	v_mov_b32_e32 v28, v0
	s_mov_b32 s15, 0
	.p2align	6
.LBB8_92:                               ; =>This Inner Loop Header: Depth=1
	s_clause 0x3
	buffer_load_dword v34, v27, s[0:3], 0 offen offset:8
	buffer_load_dword v35, v27, s[0:3], 0 offen offset:12
	buffer_load_dword v36, v27, s[0:3], 0 offen
	buffer_load_dword v37, v27, s[0:3], 0 offen offset:4
	ds_read_b128 v[30:33], v26
	v_add_nc_u32_e32 v28, 1, v28
	v_add_nc_u32_e32 v26, 16, v26
	;; [unrolled: 1-line block ×3, first 2 shown]
	v_cmp_lt_u32_e32 vcc_lo, 2, v28
	s_or_b32 s15, vcc_lo, s15
	s_waitcnt vmcnt(2) lgkmcnt(0)
	v_mul_f64 v[38:39], v[32:33], v[34:35]
	v_mul_f64 v[34:35], v[30:31], v[34:35]
	s_waitcnt vmcnt(0)
	v_fma_f64 v[30:31], v[30:31], v[36:37], -v[38:39]
	v_fma_f64 v[32:33], v[32:33], v[36:37], v[34:35]
	v_add_f64 v[1:2], v[1:2], v[30:31]
	v_add_f64 v[3:4], v[3:4], v[32:33]
	s_andn2_b32 exec_lo, exec_lo, s15
	s_cbranch_execnz .LBB8_92
; %bb.93:
	s_or_b32 exec_lo, exec_lo, s15
.LBB8_94:
	s_or_b32 exec_lo, exec_lo, s8
	v_mov_b32_e32 v26, 0
	ds_read_b128 v[30:33], v26 offset:64
	s_waitcnt lgkmcnt(0)
	v_mul_f64 v[26:27], v[3:4], v[32:33]
	v_mul_f64 v[32:33], v[1:2], v[32:33]
	v_fma_f64 v[1:2], v[1:2], v[30:31], -v[26:27]
	v_fma_f64 v[3:4], v[3:4], v[30:31], v[32:33]
	buffer_store_dword v2, off, s[0:3], 0 offset:68
	buffer_store_dword v1, off, s[0:3], 0 offset:64
	;; [unrolled: 1-line block ×4, first 2 shown]
.LBB8_95:
	s_or_b32 exec_lo, exec_lo, s4
	v_mov_b32_e32 v4, s10
	s_mov_b32 s4, exec_lo
	s_clause 0x3
	buffer_load_dword v1, v4, s[0:3], 0 offen
	buffer_load_dword v2, v4, s[0:3], 0 offen offset:4
	buffer_load_dword v3, v4, s[0:3], 0 offen offset:8
	;; [unrolled: 1-line block ×3, first 2 shown]
	s_waitcnt vmcnt(0)
	ds_write_b128 v24, v[1:4]
	s_waitcnt lgkmcnt(0)
	s_waitcnt_vscnt null, 0x0
	s_barrier
	buffer_gl0_inv
	v_cmpx_gt_u32_e32 5, v0
	s_cbranch_execz .LBB8_103
; %bb.96:
	ds_read_b128 v[1:4], v24
	v_cmp_ne_u32_e32 vcc_lo, 1, v25
	s_cbranch_vccnz .LBB8_98
; %bb.97:
	s_clause 0x3
	buffer_load_dword v26, v23, s[0:3], 0 offen offset:8
	buffer_load_dword v27, v23, s[0:3], 0 offen offset:12
	buffer_load_dword v30, v23, s[0:3], 0 offen
	buffer_load_dword v31, v23, s[0:3], 0 offen offset:4
	s_waitcnt vmcnt(2) lgkmcnt(0)
	v_mul_f64 v[32:33], v[3:4], v[26:27]
	v_mul_f64 v[26:27], v[1:2], v[26:27]
	s_waitcnt vmcnt(0)
	v_fma_f64 v[1:2], v[1:2], v[30:31], -v[32:33]
	v_fma_f64 v[3:4], v[3:4], v[30:31], v[26:27]
.LBB8_98:
	s_mov_b32 s8, exec_lo
	v_cmpx_ne_u32_e32 4, v0
	s_cbranch_execz .LBB8_102
; %bb.99:
	v_add_nc_u32_e32 v26, 0xa0, v29
	v_add3_u32 v27, 0, v29, 16
	v_mov_b32_e32 v28, v0
	s_mov_b32 s15, 0
	.p2align	6
.LBB8_100:                              ; =>This Inner Loop Header: Depth=1
	s_clause 0x3
	buffer_load_dword v34, v27, s[0:3], 0 offen offset:8
	buffer_load_dword v35, v27, s[0:3], 0 offen offset:12
	buffer_load_dword v36, v27, s[0:3], 0 offen
	buffer_load_dword v37, v27, s[0:3], 0 offen offset:4
	ds_read_b128 v[30:33], v26
	v_add_nc_u32_e32 v28, 1, v28
	v_add_nc_u32_e32 v26, 16, v26
	v_add_nc_u32_e32 v27, 16, v27
	v_cmp_lt_u32_e32 vcc_lo, 3, v28
	s_or_b32 s15, vcc_lo, s15
	s_waitcnt vmcnt(2) lgkmcnt(0)
	v_mul_f64 v[38:39], v[32:33], v[34:35]
	v_mul_f64 v[34:35], v[30:31], v[34:35]
	s_waitcnt vmcnt(0)
	v_fma_f64 v[30:31], v[30:31], v[36:37], -v[38:39]
	v_fma_f64 v[32:33], v[32:33], v[36:37], v[34:35]
	v_add_f64 v[1:2], v[1:2], v[30:31]
	v_add_f64 v[3:4], v[3:4], v[32:33]
	s_andn2_b32 exec_lo, exec_lo, s15
	s_cbranch_execnz .LBB8_100
; %bb.101:
	s_or_b32 exec_lo, exec_lo, s15
.LBB8_102:
	s_or_b32 exec_lo, exec_lo, s8
	v_mov_b32_e32 v26, 0
	ds_read_b128 v[30:33], v26 offset:80
	s_waitcnt lgkmcnt(0)
	v_mul_f64 v[26:27], v[3:4], v[32:33]
	v_mul_f64 v[32:33], v[1:2], v[32:33]
	v_fma_f64 v[1:2], v[1:2], v[30:31], -v[26:27]
	v_fma_f64 v[3:4], v[3:4], v[30:31], v[32:33]
	buffer_store_dword v2, off, s[0:3], 0 offset:84
	buffer_store_dword v1, off, s[0:3], 0 offset:80
	;; [unrolled: 1-line block ×4, first 2 shown]
.LBB8_103:
	s_or_b32 exec_lo, exec_lo, s4
	v_mov_b32_e32 v4, s9
	s_mov_b32 s4, exec_lo
	s_clause 0x3
	buffer_load_dword v1, v4, s[0:3], 0 offen
	buffer_load_dword v2, v4, s[0:3], 0 offen offset:4
	buffer_load_dword v3, v4, s[0:3], 0 offen offset:8
	;; [unrolled: 1-line block ×3, first 2 shown]
	s_waitcnt vmcnt(0)
	ds_write_b128 v24, v[1:4]
	s_waitcnt lgkmcnt(0)
	s_waitcnt_vscnt null, 0x0
	s_barrier
	buffer_gl0_inv
	v_cmpx_gt_u32_e32 6, v0
	s_cbranch_execz .LBB8_111
; %bb.104:
	ds_read_b128 v[1:4], v24
	v_cmp_ne_u32_e32 vcc_lo, 1, v25
	s_cbranch_vccnz .LBB8_106
; %bb.105:
	s_clause 0x3
	buffer_load_dword v26, v23, s[0:3], 0 offen offset:8
	buffer_load_dword v27, v23, s[0:3], 0 offen offset:12
	buffer_load_dword v30, v23, s[0:3], 0 offen
	buffer_load_dword v31, v23, s[0:3], 0 offen offset:4
	s_waitcnt vmcnt(2) lgkmcnt(0)
	v_mul_f64 v[32:33], v[3:4], v[26:27]
	v_mul_f64 v[26:27], v[1:2], v[26:27]
	s_waitcnt vmcnt(0)
	v_fma_f64 v[1:2], v[1:2], v[30:31], -v[32:33]
	v_fma_f64 v[3:4], v[3:4], v[30:31], v[26:27]
.LBB8_106:
	s_mov_b32 s8, exec_lo
	v_cmpx_ne_u32_e32 5, v0
	s_cbranch_execz .LBB8_110
; %bb.107:
	v_add_nc_u32_e32 v26, 0xa0, v29
	v_add3_u32 v27, 0, v29, 16
	v_mov_b32_e32 v28, v0
	s_mov_b32 s15, 0
	.p2align	6
.LBB8_108:                              ; =>This Inner Loop Header: Depth=1
	s_clause 0x3
	buffer_load_dword v34, v27, s[0:3], 0 offen offset:8
	buffer_load_dword v35, v27, s[0:3], 0 offen offset:12
	buffer_load_dword v36, v27, s[0:3], 0 offen
	buffer_load_dword v37, v27, s[0:3], 0 offen offset:4
	ds_read_b128 v[30:33], v26
	v_add_nc_u32_e32 v28, 1, v28
	v_add_nc_u32_e32 v26, 16, v26
	;; [unrolled: 1-line block ×3, first 2 shown]
	v_cmp_lt_u32_e32 vcc_lo, 4, v28
	s_or_b32 s15, vcc_lo, s15
	s_waitcnt vmcnt(2) lgkmcnt(0)
	v_mul_f64 v[38:39], v[32:33], v[34:35]
	v_mul_f64 v[34:35], v[30:31], v[34:35]
	s_waitcnt vmcnt(0)
	v_fma_f64 v[30:31], v[30:31], v[36:37], -v[38:39]
	v_fma_f64 v[32:33], v[32:33], v[36:37], v[34:35]
	v_add_f64 v[1:2], v[1:2], v[30:31]
	v_add_f64 v[3:4], v[3:4], v[32:33]
	s_andn2_b32 exec_lo, exec_lo, s15
	s_cbranch_execnz .LBB8_108
; %bb.109:
	s_or_b32 exec_lo, exec_lo, s15
.LBB8_110:
	s_or_b32 exec_lo, exec_lo, s8
	v_mov_b32_e32 v26, 0
	ds_read_b128 v[30:33], v26 offset:96
	s_waitcnt lgkmcnt(0)
	v_mul_f64 v[26:27], v[3:4], v[32:33]
	v_mul_f64 v[32:33], v[1:2], v[32:33]
	v_fma_f64 v[1:2], v[1:2], v[30:31], -v[26:27]
	v_fma_f64 v[3:4], v[3:4], v[30:31], v[32:33]
	buffer_store_dword v2, off, s[0:3], 0 offset:100
	buffer_store_dword v1, off, s[0:3], 0 offset:96
	;; [unrolled: 1-line block ×4, first 2 shown]
.LBB8_111:
	s_or_b32 exec_lo, exec_lo, s4
	v_mov_b32_e32 v4, s7
	v_cmp_gt_u32_e64 s4, 7, v0
	s_clause 0x3
	buffer_load_dword v1, v4, s[0:3], 0 offen
	buffer_load_dword v2, v4, s[0:3], 0 offen offset:4
	buffer_load_dword v3, v4, s[0:3], 0 offen offset:8
	;; [unrolled: 1-line block ×3, first 2 shown]
	s_waitcnt vmcnt(0)
	ds_write_b128 v24, v[1:4]
	s_waitcnt lgkmcnt(0)
	s_waitcnt_vscnt null, 0x0
	s_barrier
	buffer_gl0_inv
	s_and_saveexec_b32 s8, s4
	s_cbranch_execz .LBB8_119
; %bb.112:
	ds_read_b128 v[1:4], v24
	v_cmp_ne_u32_e32 vcc_lo, 1, v25
	s_cbranch_vccnz .LBB8_114
; %bb.113:
	s_clause 0x3
	buffer_load_dword v26, v23, s[0:3], 0 offen offset:8
	buffer_load_dword v27, v23, s[0:3], 0 offen offset:12
	buffer_load_dword v30, v23, s[0:3], 0 offen
	buffer_load_dword v31, v23, s[0:3], 0 offen offset:4
	s_waitcnt vmcnt(2) lgkmcnt(0)
	v_mul_f64 v[32:33], v[3:4], v[26:27]
	v_mul_f64 v[26:27], v[1:2], v[26:27]
	s_waitcnt vmcnt(0)
	v_fma_f64 v[1:2], v[1:2], v[30:31], -v[32:33]
	v_fma_f64 v[3:4], v[3:4], v[30:31], v[26:27]
.LBB8_114:
	s_mov_b32 s15, exec_lo
	v_cmpx_ne_u32_e32 6, v0
	s_cbranch_execz .LBB8_118
; %bb.115:
	v_add_nc_u32_e32 v26, 0xa0, v29
	v_add3_u32 v27, 0, v29, 16
	v_mov_b32_e32 v28, v0
	s_mov_b32 s16, 0
	.p2align	6
.LBB8_116:                              ; =>This Inner Loop Header: Depth=1
	s_clause 0x3
	buffer_load_dword v34, v27, s[0:3], 0 offen offset:8
	buffer_load_dword v35, v27, s[0:3], 0 offen offset:12
	buffer_load_dword v36, v27, s[0:3], 0 offen
	buffer_load_dword v37, v27, s[0:3], 0 offen offset:4
	ds_read_b128 v[30:33], v26
	v_add_nc_u32_e32 v28, 1, v28
	v_add_nc_u32_e32 v26, 16, v26
	;; [unrolled: 1-line block ×3, first 2 shown]
	v_cmp_lt_u32_e32 vcc_lo, 5, v28
	s_or_b32 s16, vcc_lo, s16
	s_waitcnt vmcnt(2) lgkmcnt(0)
	v_mul_f64 v[38:39], v[32:33], v[34:35]
	v_mul_f64 v[34:35], v[30:31], v[34:35]
	s_waitcnt vmcnt(0)
	v_fma_f64 v[30:31], v[30:31], v[36:37], -v[38:39]
	v_fma_f64 v[32:33], v[32:33], v[36:37], v[34:35]
	v_add_f64 v[1:2], v[1:2], v[30:31]
	v_add_f64 v[3:4], v[3:4], v[32:33]
	s_andn2_b32 exec_lo, exec_lo, s16
	s_cbranch_execnz .LBB8_116
; %bb.117:
	s_or_b32 exec_lo, exec_lo, s16
.LBB8_118:
	s_or_b32 exec_lo, exec_lo, s15
	v_mov_b32_e32 v26, 0
	ds_read_b128 v[30:33], v26 offset:112
	s_waitcnt lgkmcnt(0)
	v_mul_f64 v[26:27], v[3:4], v[32:33]
	v_mul_f64 v[32:33], v[1:2], v[32:33]
	v_fma_f64 v[1:2], v[1:2], v[30:31], -v[26:27]
	v_fma_f64 v[3:4], v[3:4], v[30:31], v[32:33]
	buffer_store_dword v2, off, s[0:3], 0 offset:116
	buffer_store_dword v1, off, s[0:3], 0 offset:112
	;; [unrolled: 1-line block ×4, first 2 shown]
.LBB8_119:
	s_or_b32 exec_lo, exec_lo, s8
	v_mov_b32_e32 v4, s6
	s_mov_b32 s8, exec_lo
                                        ; implicit-def: $sgpr17
	s_clause 0x3
	buffer_load_dword v1, v4, s[0:3], 0 offen
	buffer_load_dword v2, v4, s[0:3], 0 offen offset:4
	buffer_load_dword v3, v4, s[0:3], 0 offen offset:8
	;; [unrolled: 1-line block ×3, first 2 shown]
	s_waitcnt vmcnt(0)
	ds_write_b128 v24, v[1:4]
	s_waitcnt lgkmcnt(0)
	s_waitcnt_vscnt null, 0x0
	s_barrier
	buffer_gl0_inv
                                        ; implicit-def: $vgpr1_vgpr2
	v_cmpx_ne_u32_e32 8, v0
	s_cbranch_execz .LBB8_127
; %bb.120:
	ds_read_b128 v[1:4], v24
	v_cmp_ne_u32_e32 vcc_lo, 1, v25
	s_cbranch_vccnz .LBB8_122
; %bb.121:
	s_clause 0x3
	buffer_load_dword v24, v23, s[0:3], 0 offen offset:8
	buffer_load_dword v25, v23, s[0:3], 0 offen offset:12
	buffer_load_dword v26, v23, s[0:3], 0 offen
	buffer_load_dword v27, v23, s[0:3], 0 offen offset:4
	s_waitcnt vmcnt(2) lgkmcnt(0)
	v_mul_f64 v[30:31], v[3:4], v[24:25]
	v_mul_f64 v[23:24], v[1:2], v[24:25]
	s_waitcnt vmcnt(0)
	v_fma_f64 v[1:2], v[1:2], v[26:27], -v[30:31]
	v_fma_f64 v[3:4], v[3:4], v[26:27], v[23:24]
.LBB8_122:
	s_and_saveexec_b32 s15, s4
	s_cbranch_execz .LBB8_126
; %bb.123:
	v_add_nc_u32_e32 v23, 0xa0, v29
	v_add3_u32 v24, 0, v29, 16
	s_mov_b32 s4, 0
	.p2align	6
.LBB8_124:                              ; =>This Inner Loop Header: Depth=1
	s_clause 0x3
	buffer_load_dword v29, v24, s[0:3], 0 offen offset:8
	buffer_load_dword v30, v24, s[0:3], 0 offen offset:12
	buffer_load_dword v31, v24, s[0:3], 0 offen
	buffer_load_dword v32, v24, s[0:3], 0 offen offset:4
	ds_read_b128 v[25:28], v23
	v_add_nc_u32_e32 v0, 1, v0
	v_add_nc_u32_e32 v23, 16, v23
	;; [unrolled: 1-line block ×3, first 2 shown]
	v_cmp_lt_u32_e32 vcc_lo, 6, v0
	s_or_b32 s4, vcc_lo, s4
	s_waitcnt vmcnt(2) lgkmcnt(0)
	v_mul_f64 v[33:34], v[27:28], v[29:30]
	v_mul_f64 v[29:30], v[25:26], v[29:30]
	s_waitcnt vmcnt(0)
	v_fma_f64 v[25:26], v[25:26], v[31:32], -v[33:34]
	v_fma_f64 v[27:28], v[27:28], v[31:32], v[29:30]
	v_add_f64 v[1:2], v[1:2], v[25:26]
	v_add_f64 v[3:4], v[3:4], v[27:28]
	s_andn2_b32 exec_lo, exec_lo, s4
	s_cbranch_execnz .LBB8_124
; %bb.125:
	s_or_b32 exec_lo, exec_lo, s4
.LBB8_126:
	s_or_b32 exec_lo, exec_lo, s15
	v_mov_b32_e32 v0, 0
	s_movk_i32 s17, 0x88
	s_or_b32 s5, s5, exec_lo
	ds_read_b128 v[23:26], v0 offset:128
	s_waitcnt lgkmcnt(0)
	v_mul_f64 v[27:28], v[3:4], v[25:26]
	v_mul_f64 v[25:26], v[1:2], v[25:26]
	v_fma_f64 v[27:28], v[1:2], v[23:24], -v[27:28]
	v_fma_f64 v[1:2], v[3:4], v[23:24], v[25:26]
	buffer_store_dword v28, off, s[0:3], 0 offset:132
	buffer_store_dword v27, off, s[0:3], 0 offset:128
.LBB8_127:
	s_or_b32 exec_lo, exec_lo, s8
.LBB8_128:
	s_and_saveexec_b32 s4, s5
	s_cbranch_execz .LBB8_130
; %bb.129:
	v_mov_b32_e32 v0, s17
	buffer_store_dword v2, v0, s[0:3], 0 offen offset:4
	buffer_store_dword v1, v0, s[0:3], 0 offen
.LBB8_130:
	s_or_b32 exec_lo, exec_lo, s4
	v_mov_b32_e32 v30, s13
	v_mov_b32_e32 v38, s11
	;; [unrolled: 1-line block ×4, first 2 shown]
	s_clause 0x7
	buffer_load_dword v0, off, s[0:3], 0
	buffer_load_dword v1, off, s[0:3], 0 offset:4
	buffer_load_dword v2, off, s[0:3], 0 offset:8
	;; [unrolled: 1-line block ×3, first 2 shown]
	buffer_load_dword v23, v4, s[0:3], 0 offen
	buffer_load_dword v24, v4, s[0:3], 0 offen offset:4
	buffer_load_dword v25, v4, s[0:3], 0 offen offset:8
	;; [unrolled: 1-line block ×3, first 2 shown]
	v_mov_b32_e32 v4, s12
	s_clause 0x7
	buffer_load_dword v27, v30, s[0:3], 0 offen
	buffer_load_dword v28, v30, s[0:3], 0 offen offset:4
	buffer_load_dword v29, v30, s[0:3], 0 offen offset:8
	;; [unrolled: 1-line block ×3, first 2 shown]
	buffer_load_dword v31, v4, s[0:3], 0 offen
	buffer_load_dword v32, v4, s[0:3], 0 offen offset:4
	buffer_load_dword v33, v4, s[0:3], 0 offen offset:8
	;; [unrolled: 1-line block ×3, first 2 shown]
	v_mov_b32_e32 v4, s10
	s_clause 0x7
	buffer_load_dword v35, v38, s[0:3], 0 offen
	buffer_load_dword v36, v38, s[0:3], 0 offen offset:4
	buffer_load_dword v37, v38, s[0:3], 0 offen offset:8
	;; [unrolled: 1-line block ×3, first 2 shown]
	buffer_load_dword v39, v4, s[0:3], 0 offen
	buffer_load_dword v40, v4, s[0:3], 0 offen offset:4
	buffer_load_dword v41, v4, s[0:3], 0 offen offset:8
	;; [unrolled: 1-line block ×3, first 2 shown]
	v_mov_b32_e32 v4, s7
	v_mov_b32_e32 v54, s6
	s_clause 0xb
	buffer_load_dword v43, v46, s[0:3], 0 offen
	buffer_load_dword v44, v46, s[0:3], 0 offen offset:4
	buffer_load_dword v45, v46, s[0:3], 0 offen offset:8
	buffer_load_dword v46, v46, s[0:3], 0 offen offset:12
	buffer_load_dword v47, v4, s[0:3], 0 offen
	buffer_load_dword v48, v4, s[0:3], 0 offen offset:4
	buffer_load_dword v49, v4, s[0:3], 0 offen offset:8
	buffer_load_dword v50, v4, s[0:3], 0 offen offset:12
	;; [unrolled: 4-line block ×3, first 2 shown]
	s_waitcnt vmcnt(32)
	global_store_dwordx4 v[5:6], v[0:3], off
	s_waitcnt vmcnt(28)
	global_store_dwordx4 v[9:10], v[23:26], off
	s_waitcnt vmcnt(24)
	global_store_dwordx4 v[7:8], v[27:30], off
	s_waitcnt vmcnt(20)
	global_store_dwordx4 v[11:12], v[31:34], off
	s_waitcnt vmcnt(16)
	global_store_dwordx4 v[13:14], v[35:38], off
	s_waitcnt vmcnt(12)
	global_store_dwordx4 v[15:16], v[39:42], off
	s_waitcnt vmcnt(8)
	global_store_dwordx4 v[17:18], v[43:46], off
	s_waitcnt vmcnt(4)
	global_store_dwordx4 v[21:22], v[47:50], off
	s_waitcnt vmcnt(0)
	global_store_dwordx4 v[19:20], v[51:54], off
.LBB8_131:
	s_endpgm
	.section	.rodata,"a",@progbits
	.p2align	6, 0x0
	.amdhsa_kernel _ZN9rocsolver6v33100L18trti2_kernel_smallILi9E19rocblas_complex_numIdEPS3_EEv13rocblas_fill_17rocblas_diagonal_T1_iil
		.amdhsa_group_segment_fixed_size 288
		.amdhsa_private_segment_fixed_size 160
		.amdhsa_kernarg_size 32
		.amdhsa_user_sgpr_count 6
		.amdhsa_user_sgpr_private_segment_buffer 1
		.amdhsa_user_sgpr_dispatch_ptr 0
		.amdhsa_user_sgpr_queue_ptr 0
		.amdhsa_user_sgpr_kernarg_segment_ptr 1
		.amdhsa_user_sgpr_dispatch_id 0
		.amdhsa_user_sgpr_flat_scratch_init 0
		.amdhsa_user_sgpr_private_segment_size 0
		.amdhsa_wavefront_size32 1
		.amdhsa_uses_dynamic_stack 0
		.amdhsa_system_sgpr_private_segment_wavefront_offset 1
		.amdhsa_system_sgpr_workgroup_id_x 1
		.amdhsa_system_sgpr_workgroup_id_y 0
		.amdhsa_system_sgpr_workgroup_id_z 0
		.amdhsa_system_sgpr_workgroup_info 0
		.amdhsa_system_vgpr_workitem_id 0
		.amdhsa_next_free_vgpr 58
		.amdhsa_next_free_sgpr 19
		.amdhsa_reserve_vcc 1
		.amdhsa_reserve_flat_scratch 0
		.amdhsa_float_round_mode_32 0
		.amdhsa_float_round_mode_16_64 0
		.amdhsa_float_denorm_mode_32 3
		.amdhsa_float_denorm_mode_16_64 3
		.amdhsa_dx10_clamp 1
		.amdhsa_ieee_mode 1
		.amdhsa_fp16_overflow 0
		.amdhsa_workgroup_processor_mode 1
		.amdhsa_memory_ordered 1
		.amdhsa_forward_progress 1
		.amdhsa_shared_vgpr_count 0
		.amdhsa_exception_fp_ieee_invalid_op 0
		.amdhsa_exception_fp_denorm_src 0
		.amdhsa_exception_fp_ieee_div_zero 0
		.amdhsa_exception_fp_ieee_overflow 0
		.amdhsa_exception_fp_ieee_underflow 0
		.amdhsa_exception_fp_ieee_inexact 0
		.amdhsa_exception_int_div_zero 0
	.end_amdhsa_kernel
	.section	.text._ZN9rocsolver6v33100L18trti2_kernel_smallILi9E19rocblas_complex_numIdEPS3_EEv13rocblas_fill_17rocblas_diagonal_T1_iil,"axG",@progbits,_ZN9rocsolver6v33100L18trti2_kernel_smallILi9E19rocblas_complex_numIdEPS3_EEv13rocblas_fill_17rocblas_diagonal_T1_iil,comdat
.Lfunc_end8:
	.size	_ZN9rocsolver6v33100L18trti2_kernel_smallILi9E19rocblas_complex_numIdEPS3_EEv13rocblas_fill_17rocblas_diagonal_T1_iil, .Lfunc_end8-_ZN9rocsolver6v33100L18trti2_kernel_smallILi9E19rocblas_complex_numIdEPS3_EEv13rocblas_fill_17rocblas_diagonal_T1_iil
                                        ; -- End function
	.set _ZN9rocsolver6v33100L18trti2_kernel_smallILi9E19rocblas_complex_numIdEPS3_EEv13rocblas_fill_17rocblas_diagonal_T1_iil.num_vgpr, 58
	.set _ZN9rocsolver6v33100L18trti2_kernel_smallILi9E19rocblas_complex_numIdEPS3_EEv13rocblas_fill_17rocblas_diagonal_T1_iil.num_agpr, 0
	.set _ZN9rocsolver6v33100L18trti2_kernel_smallILi9E19rocblas_complex_numIdEPS3_EEv13rocblas_fill_17rocblas_diagonal_T1_iil.numbered_sgpr, 19
	.set _ZN9rocsolver6v33100L18trti2_kernel_smallILi9E19rocblas_complex_numIdEPS3_EEv13rocblas_fill_17rocblas_diagonal_T1_iil.num_named_barrier, 0
	.set _ZN9rocsolver6v33100L18trti2_kernel_smallILi9E19rocblas_complex_numIdEPS3_EEv13rocblas_fill_17rocblas_diagonal_T1_iil.private_seg_size, 160
	.set _ZN9rocsolver6v33100L18trti2_kernel_smallILi9E19rocblas_complex_numIdEPS3_EEv13rocblas_fill_17rocblas_diagonal_T1_iil.uses_vcc, 1
	.set _ZN9rocsolver6v33100L18trti2_kernel_smallILi9E19rocblas_complex_numIdEPS3_EEv13rocblas_fill_17rocblas_diagonal_T1_iil.uses_flat_scratch, 0
	.set _ZN9rocsolver6v33100L18trti2_kernel_smallILi9E19rocblas_complex_numIdEPS3_EEv13rocblas_fill_17rocblas_diagonal_T1_iil.has_dyn_sized_stack, 0
	.set _ZN9rocsolver6v33100L18trti2_kernel_smallILi9E19rocblas_complex_numIdEPS3_EEv13rocblas_fill_17rocblas_diagonal_T1_iil.has_recursion, 0
	.set _ZN9rocsolver6v33100L18trti2_kernel_smallILi9E19rocblas_complex_numIdEPS3_EEv13rocblas_fill_17rocblas_diagonal_T1_iil.has_indirect_call, 0
	.section	.AMDGPU.csdata,"",@progbits
; Kernel info:
; codeLenInByte = 8628
; TotalNumSgprs: 21
; NumVgprs: 58
; ScratchSize: 160
; MemoryBound: 0
; FloatMode: 240
; IeeeMode: 1
; LDSByteSize: 288 bytes/workgroup (compile time only)
; SGPRBlocks: 0
; VGPRBlocks: 7
; NumSGPRsForWavesPerEU: 21
; NumVGPRsForWavesPerEU: 58
; Occupancy: 16
; WaveLimiterHint : 0
; COMPUTE_PGM_RSRC2:SCRATCH_EN: 1
; COMPUTE_PGM_RSRC2:USER_SGPR: 6
; COMPUTE_PGM_RSRC2:TRAP_HANDLER: 0
; COMPUTE_PGM_RSRC2:TGID_X_EN: 1
; COMPUTE_PGM_RSRC2:TGID_Y_EN: 0
; COMPUTE_PGM_RSRC2:TGID_Z_EN: 0
; COMPUTE_PGM_RSRC2:TIDIG_COMP_CNT: 0
	.section	.text._ZN9rocsolver6v33100L18trti2_kernel_smallILi10E19rocblas_complex_numIdEPS3_EEv13rocblas_fill_17rocblas_diagonal_T1_iil,"axG",@progbits,_ZN9rocsolver6v33100L18trti2_kernel_smallILi10E19rocblas_complex_numIdEPS3_EEv13rocblas_fill_17rocblas_diagonal_T1_iil,comdat
	.globl	_ZN9rocsolver6v33100L18trti2_kernel_smallILi10E19rocblas_complex_numIdEPS3_EEv13rocblas_fill_17rocblas_diagonal_T1_iil ; -- Begin function _ZN9rocsolver6v33100L18trti2_kernel_smallILi10E19rocblas_complex_numIdEPS3_EEv13rocblas_fill_17rocblas_diagonal_T1_iil
	.p2align	8
	.type	_ZN9rocsolver6v33100L18trti2_kernel_smallILi10E19rocblas_complex_numIdEPS3_EEv13rocblas_fill_17rocblas_diagonal_T1_iil,@function
_ZN9rocsolver6v33100L18trti2_kernel_smallILi10E19rocblas_complex_numIdEPS3_EEv13rocblas_fill_17rocblas_diagonal_T1_iil: ; @_ZN9rocsolver6v33100L18trti2_kernel_smallILi10E19rocblas_complex_numIdEPS3_EEv13rocblas_fill_17rocblas_diagonal_T1_iil
; %bb.0:
	s_add_u32 s0, s0, s7
	s_addc_u32 s1, s1, 0
	s_mov_b32 s7, exec_lo
	v_cmpx_gt_u32_e32 10, v0
	s_cbranch_execz .LBB9_147
; %bb.1:
	s_load_dwordx8 s[8:15], s[4:5], 0x0
	s_ashr_i32 s4, s6, 31
	v_lshlrev_b32_e32 v31, 4, v0
	s_movk_i32 s18, 0x90
	s_waitcnt lgkmcnt(0)
	s_mul_hi_u32 s5, s14, s6
	s_mul_i32 s4, s14, s4
	s_mul_i32 s7, s15, s6
	s_add_i32 s5, s5, s4
	s_mul_i32 s4, s14, s6
	s_add_i32 s5, s5, s7
	s_ashr_i32 s7, s12, 31
	s_lshl_b64 s[4:5], s[4:5], 4
	s_mov_b32 s6, s12
	s_add_u32 s10, s10, s4
	s_addc_u32 s11, s11, s5
	s_lshl_b64 s[4:5], s[6:7], 4
	v_add3_u32 v5, s13, s13, v0
	s_add_u32 s4, s10, s4
	s_addc_u32 s5, s11, s5
	s_mov_b32 s6, s13
	global_load_dwordx4 v[1:4], v31, s[4:5]
	v_add_nc_u32_e32 v7, s13, v5
	v_ashrrev_i32_e32 v6, 31, v5
	s_ashr_i32 s7, s13, 31
	s_lshl_b64 s[6:7], s[6:7], 4
	v_add_nc_u32_e32 v11, s13, v7
	v_ashrrev_i32_e32 v8, 31, v7
	v_lshlrev_b64 v[9:10], 4, v[5:6]
	v_add_co_u32 v5, s10, s4, v31
	v_add_nc_u32_e32 v15, s13, v11
	v_ashrrev_i32_e32 v12, 31, v11
	v_lshlrev_b64 v[13:14], 4, v[7:8]
	v_add_co_ci_u32_e64 v6, null, s5, 0, s10
	v_add_nc_u32_e32 v19, s13, v15
	v_add_co_u32 v7, vcc_lo, s4, v9
	v_lshlrev_b64 v[17:18], 4, v[11:12]
	v_ashrrev_i32_e32 v16, 31, v15
	v_add_nc_u32_e32 v21, s13, v19
	v_add_co_ci_u32_e64 v8, null, s5, v10, vcc_lo
	v_add_co_u32 v9, vcc_lo, v5, s6
	v_ashrrev_i32_e32 v20, 31, v19
	v_add_co_ci_u32_e64 v10, null, s7, v6, vcc_lo
	v_add_co_u32 v11, vcc_lo, s4, v13
	v_ashrrev_i32_e32 v22, 31, v21
	v_add_co_ci_u32_e64 v12, null, s5, v14, vcc_lo
	v_lshlrev_b64 v[15:16], 4, v[15:16]
	v_add_co_u32 v13, vcc_lo, s4, v17
	v_add_co_ci_u32_e64 v14, null, s5, v18, vcc_lo
	v_lshlrev_b64 v[17:18], 4, v[19:20]
	v_lshlrev_b64 v[19:20], 4, v[21:22]
	v_add_co_u32 v15, vcc_lo, s4, v15
	v_add_co_ci_u32_e64 v16, null, s5, v16, vcc_lo
	v_add_co_u32 v17, vcc_lo, s4, v17
	v_add_co_ci_u32_e64 v18, null, s5, v18, vcc_lo
	;; [unrolled: 2-line block ×3, first 2 shown]
	v_add_nc_u32_e32 v23, s13, v21
	s_clause 0x6
	global_load_dwordx4 v[25:28], v[9:10], off
	global_load_dwordx4 v[32:35], v[7:8], off
	;; [unrolled: 1-line block ×7, first 2 shown]
	s_cmpk_lg_i32 s9, 0x84
	v_add_nc_u32_e32 v21, s13, v23
	v_ashrrev_i32_e32 v24, 31, v23
	s_movk_i32 s6, 0x70
	s_movk_i32 s7, 0x80
	s_cselect_b32 s17, -1, 0
	v_ashrrev_i32_e32 v22, 31, v21
	v_lshlrev_b64 v[23:24], 4, v[23:24]
	s_cmpk_eq_i32 s9, 0x84
	v_lshlrev_b64 v[21:22], 4, v[21:22]
	v_add_co_u32 v21, vcc_lo, s4, v21
	v_add_co_ci_u32_e64 v22, null, s5, v22, vcc_lo
	v_add_co_u32 v23, vcc_lo, s4, v23
	v_add_co_ci_u32_e64 v24, null, s5, v24, vcc_lo
	global_load_dwordx4 v[56:59], v[21:22], off
	s_movk_i32 s4, 0x50
	s_movk_i32 s5, 0x60
	s_waitcnt vmcnt(8)
	buffer_store_dword v4, off, s[0:3], 0 offset:12
	buffer_store_dword v3, off, s[0:3], 0 offset:8
	;; [unrolled: 1-line block ×3, first 2 shown]
	buffer_store_dword v1, off, s[0:3], 0
	global_load_dwordx4 v[1:4], v[23:24], off
	s_waitcnt vmcnt(8)
	buffer_store_dword v28, off, s[0:3], 0 offset:28
	buffer_store_dword v27, off, s[0:3], 0 offset:24
	buffer_store_dword v26, off, s[0:3], 0 offset:20
	buffer_store_dword v25, off, s[0:3], 0 offset:16
	s_waitcnt vmcnt(7)
	buffer_store_dword v35, off, s[0:3], 0 offset:44
	buffer_store_dword v34, off, s[0:3], 0 offset:40
	buffer_store_dword v33, off, s[0:3], 0 offset:36
	buffer_store_dword v32, off, s[0:3], 0 offset:32
	;; [unrolled: 5-line block ×8, first 2 shown]
	buffer_store_dword v56, off, s[0:3], 0 offset:144
	buffer_store_dword v57, off, s[0:3], 0 offset:148
	;; [unrolled: 1-line block ×4, first 2 shown]
	s_cbranch_scc1 .LBB9_7
; %bb.2:
	v_lshl_add_u32 v32, v0, 4, 0
                                        ; implicit-def: $vgpr27_vgpr28
                                        ; implicit-def: $vgpr3_vgpr4
	s_clause 0x3
	buffer_load_dword v25, v32, s[0:3], 0 offen
	buffer_load_dword v26, v32, s[0:3], 0 offen offset:4
	buffer_load_dword v29, v32, s[0:3], 0 offen offset:8
	;; [unrolled: 1-line block ×3, first 2 shown]
	s_waitcnt vmcnt(0)
	v_cmp_ngt_f64_e64 s9, |v[25:26]|, |v[29:30]|
	s_and_saveexec_b32 s10, s9
	s_xor_b32 s9, exec_lo, s10
	s_cbranch_execz .LBB9_4
; %bb.3:
	v_div_scale_f64 v[1:2], null, v[29:30], v[29:30], v[25:26]
	v_div_scale_f64 v[33:34], vcc_lo, v[25:26], v[29:30], v[25:26]
	v_rcp_f64_e32 v[3:4], v[1:2]
	v_fma_f64 v[27:28], -v[1:2], v[3:4], 1.0
	v_fma_f64 v[3:4], v[3:4], v[27:28], v[3:4]
	v_fma_f64 v[27:28], -v[1:2], v[3:4], 1.0
	v_fma_f64 v[3:4], v[3:4], v[27:28], v[3:4]
	v_mul_f64 v[27:28], v[33:34], v[3:4]
	v_fma_f64 v[1:2], -v[1:2], v[27:28], v[33:34]
	v_div_fmas_f64 v[1:2], v[1:2], v[3:4], v[27:28]
	v_div_fixup_f64 v[1:2], v[1:2], v[29:30], v[25:26]
	v_fma_f64 v[3:4], v[25:26], v[1:2], v[29:30]
	v_div_scale_f64 v[25:26], null, v[3:4], v[3:4], 1.0
	v_div_scale_f64 v[33:34], vcc_lo, 1.0, v[3:4], 1.0
	v_rcp_f64_e32 v[27:28], v[25:26]
	v_fma_f64 v[29:30], -v[25:26], v[27:28], 1.0
	v_fma_f64 v[27:28], v[27:28], v[29:30], v[27:28]
	v_fma_f64 v[29:30], -v[25:26], v[27:28], 1.0
	v_fma_f64 v[27:28], v[27:28], v[29:30], v[27:28]
	v_mul_f64 v[29:30], v[33:34], v[27:28]
	v_fma_f64 v[25:26], -v[25:26], v[29:30], v[33:34]
	v_div_fmas_f64 v[25:26], v[25:26], v[27:28], v[29:30]
                                        ; implicit-def: $vgpr29_vgpr30
	v_div_fixup_f64 v[3:4], v[25:26], v[3:4], 1.0
                                        ; implicit-def: $vgpr25_vgpr26
	v_mul_f64 v[27:28], v[1:2], v[3:4]
	v_xor_b32_e32 v4, 0x80000000, v4
	v_xor_b32_e32 v2, 0x80000000, v28
	v_mov_b32_e32 v1, v27
.LBB9_4:
	s_andn2_saveexec_b32 s9, s9
	s_cbranch_execz .LBB9_6
; %bb.5:
	v_div_scale_f64 v[1:2], null, v[25:26], v[25:26], v[29:30]
	v_div_scale_f64 v[33:34], vcc_lo, v[29:30], v[25:26], v[29:30]
	v_rcp_f64_e32 v[3:4], v[1:2]
	v_fma_f64 v[27:28], -v[1:2], v[3:4], 1.0
	v_fma_f64 v[3:4], v[3:4], v[27:28], v[3:4]
	v_fma_f64 v[27:28], -v[1:2], v[3:4], 1.0
	v_fma_f64 v[3:4], v[3:4], v[27:28], v[3:4]
	v_mul_f64 v[27:28], v[33:34], v[3:4]
	v_fma_f64 v[1:2], -v[1:2], v[27:28], v[33:34]
	v_div_fmas_f64 v[1:2], v[1:2], v[3:4], v[27:28]
	v_div_fixup_f64 v[1:2], v[1:2], v[25:26], v[29:30]
	v_fma_f64 v[3:4], v[29:30], v[1:2], v[25:26]
	v_div_scale_f64 v[25:26], null, v[3:4], v[3:4], 1.0
	v_rcp_f64_e32 v[27:28], v[25:26]
	v_fma_f64 v[29:30], -v[25:26], v[27:28], 1.0
	v_fma_f64 v[27:28], v[27:28], v[29:30], v[27:28]
	v_fma_f64 v[29:30], -v[25:26], v[27:28], 1.0
	v_fma_f64 v[27:28], v[27:28], v[29:30], v[27:28]
	v_div_scale_f64 v[29:30], vcc_lo, 1.0, v[3:4], 1.0
	v_mul_f64 v[33:34], v[29:30], v[27:28]
	v_fma_f64 v[25:26], -v[25:26], v[33:34], v[29:30]
	v_div_fmas_f64 v[25:26], v[25:26], v[27:28], v[33:34]
	v_div_fixup_f64 v[27:28], v[25:26], v[3:4], 1.0
	v_mul_f64 v[3:4], v[1:2], -v[27:28]
	v_xor_b32_e32 v2, 0x80000000, v28
	v_mov_b32_e32 v1, v27
.LBB9_6:
	s_or_b32 exec_lo, exec_lo, s9
	buffer_store_dword v4, v32, s[0:3], 0 offen offset:12
	v_xor_b32_e32 v4, 0x80000000, v4
	buffer_store_dword v28, v32, s[0:3], 0 offen offset:4
	buffer_store_dword v27, v32, s[0:3], 0 offen
	buffer_store_dword v3, v32, s[0:3], 0 offen offset:8
	s_branch .LBB9_8
.LBB9_7:
	v_mov_b32_e32 v1, 0
	v_mov_b32_e32 v3, 0
	;; [unrolled: 1-line block ×4, first 2 shown]
.LBB9_8:
	v_add_nc_u32_e32 v26, 0xa0, v31
	v_mov_b32_e32 v25, v31
	s_mov_b32 s15, 16
	s_mov_b32 s16, 32
	;; [unrolled: 1-line block ×9, first 2 shown]
	s_cmpk_eq_i32 s8, 0x79
	ds_write_b128 v31, v[1:4]
	s_cbranch_scc1 .LBB9_76
; %bb.9:
	v_mov_b32_e32 v4, s9
	v_cmp_eq_u32_e64 s4, 9, v0
	s_clause 0x3
	buffer_load_dword v1, v4, s[0:3], 0 offen
	buffer_load_dword v2, v4, s[0:3], 0 offen offset:4
	buffer_load_dword v3, v4, s[0:3], 0 offen offset:8
	;; [unrolled: 1-line block ×3, first 2 shown]
	s_waitcnt vmcnt(0)
	ds_write_b128 v26, v[1:4]
	s_waitcnt lgkmcnt(0)
	s_waitcnt_vscnt null, 0x0
	s_barrier
	buffer_gl0_inv
	s_and_saveexec_b32 s5, s4
	s_cbranch_execz .LBB9_13
; %bb.10:
	ds_read_b128 v[1:4], v26
	s_andn2_b32 vcc_lo, exec_lo, s17
	s_cbranch_vccnz .LBB9_12
; %bb.11:
	s_clause 0x3
	buffer_load_dword v27, v25, s[0:3], 0 offen offset:8
	buffer_load_dword v28, v25, s[0:3], 0 offen offset:12
	buffer_load_dword v29, v25, s[0:3], 0 offen
	buffer_load_dword v30, v25, s[0:3], 0 offen offset:4
	s_waitcnt vmcnt(2) lgkmcnt(0)
	v_mul_f64 v[32:33], v[3:4], v[27:28]
	v_mul_f64 v[27:28], v[1:2], v[27:28]
	s_waitcnt vmcnt(0)
	v_fma_f64 v[1:2], v[1:2], v[29:30], -v[32:33]
	v_fma_f64 v[3:4], v[3:4], v[29:30], v[27:28]
.LBB9_12:
	v_mov_b32_e32 v27, 0
	ds_read_b128 v[27:30], v27 offset:128
	s_waitcnt lgkmcnt(0)
	v_mul_f64 v[32:33], v[3:4], v[29:30]
	v_mul_f64 v[29:30], v[1:2], v[29:30]
	v_fma_f64 v[1:2], v[1:2], v[27:28], -v[32:33]
	v_fma_f64 v[3:4], v[3:4], v[27:28], v[29:30]
	buffer_store_dword v2, off, s[0:3], 0 offset:132
	buffer_store_dword v1, off, s[0:3], 0 offset:128
	;; [unrolled: 1-line block ×4, first 2 shown]
.LBB9_13:
	s_or_b32 exec_lo, exec_lo, s5
	v_mov_b32_e32 v4, s10
	v_cmp_lt_u32_e64 s5, 7, v0
	s_clause 0x3
	buffer_load_dword v1, v4, s[0:3], 0 offen
	buffer_load_dword v2, v4, s[0:3], 0 offen offset:4
	buffer_load_dword v3, v4, s[0:3], 0 offen offset:8
	;; [unrolled: 1-line block ×3, first 2 shown]
	s_waitcnt vmcnt(0)
	ds_write_b128 v26, v[1:4]
	s_waitcnt lgkmcnt(0)
	s_waitcnt_vscnt null, 0x0
	s_barrier
	buffer_gl0_inv
	s_and_saveexec_b32 s6, s5
	s_cbranch_execz .LBB9_19
; %bb.14:
	ds_read_b128 v[1:4], v26
	s_andn2_b32 vcc_lo, exec_lo, s17
	s_cbranch_vccnz .LBB9_16
; %bb.15:
	s_clause 0x3
	buffer_load_dword v27, v25, s[0:3], 0 offen offset:8
	buffer_load_dword v28, v25, s[0:3], 0 offen offset:12
	buffer_load_dword v29, v25, s[0:3], 0 offen
	buffer_load_dword v30, v25, s[0:3], 0 offen offset:4
	s_waitcnt vmcnt(2) lgkmcnt(0)
	v_mul_f64 v[32:33], v[3:4], v[27:28]
	v_mul_f64 v[27:28], v[1:2], v[27:28]
	s_waitcnt vmcnt(0)
	v_fma_f64 v[1:2], v[1:2], v[29:30], -v[32:33]
	v_fma_f64 v[3:4], v[3:4], v[29:30], v[27:28]
.LBB9_16:
	s_and_saveexec_b32 s8, s4
	s_cbranch_execz .LBB9_18
; %bb.17:
	s_clause 0x3
	buffer_load_dword v32, off, s[0:3], 0 offset:136
	buffer_load_dword v33, off, s[0:3], 0 offset:140
	;; [unrolled: 1-line block ×4, first 2 shown]
	v_mov_b32_e32 v27, 0
	ds_read_b128 v[27:30], v27 offset:288
	s_waitcnt vmcnt(2) lgkmcnt(0)
	v_mul_f64 v[36:37], v[27:28], v[32:33]
	v_mul_f64 v[32:33], v[29:30], v[32:33]
	s_waitcnt vmcnt(0)
	v_fma_f64 v[29:30], v[29:30], v[34:35], v[36:37]
	v_fma_f64 v[27:28], v[27:28], v[34:35], -v[32:33]
	v_add_f64 v[3:4], v[3:4], v[29:30]
	v_add_f64 v[1:2], v[1:2], v[27:28]
.LBB9_18:
	s_or_b32 exec_lo, exec_lo, s8
	v_mov_b32_e32 v27, 0
	ds_read_b128 v[27:30], v27 offset:112
	s_waitcnt lgkmcnt(0)
	v_mul_f64 v[32:33], v[3:4], v[29:30]
	v_mul_f64 v[29:30], v[1:2], v[29:30]
	v_fma_f64 v[1:2], v[1:2], v[27:28], -v[32:33]
	v_fma_f64 v[3:4], v[3:4], v[27:28], v[29:30]
	buffer_store_dword v2, off, s[0:3], 0 offset:116
	buffer_store_dword v1, off, s[0:3], 0 offset:112
	;; [unrolled: 1-line block ×4, first 2 shown]
.LBB9_19:
	s_or_b32 exec_lo, exec_lo, s6
	v_mov_b32_e32 v4, s11
	v_cmp_lt_u32_e64 s4, 6, v0
	s_clause 0x3
	buffer_load_dword v1, v4, s[0:3], 0 offen
	buffer_load_dword v2, v4, s[0:3], 0 offen offset:4
	buffer_load_dword v3, v4, s[0:3], 0 offen offset:8
	;; [unrolled: 1-line block ×3, first 2 shown]
	s_waitcnt vmcnt(0)
	ds_write_b128 v26, v[1:4]
	s_waitcnt lgkmcnt(0)
	s_waitcnt_vscnt null, 0x0
	s_barrier
	buffer_gl0_inv
	s_and_saveexec_b32 s6, s4
	s_cbranch_execz .LBB9_27
; %bb.20:
	ds_read_b128 v[1:4], v26
	s_andn2_b32 vcc_lo, exec_lo, s17
	s_cbranch_vccnz .LBB9_22
; %bb.21:
	s_clause 0x3
	buffer_load_dword v27, v25, s[0:3], 0 offen offset:8
	buffer_load_dword v28, v25, s[0:3], 0 offen offset:12
	buffer_load_dword v29, v25, s[0:3], 0 offen
	buffer_load_dword v30, v25, s[0:3], 0 offen offset:4
	s_waitcnt vmcnt(2) lgkmcnt(0)
	v_mul_f64 v[32:33], v[3:4], v[27:28]
	v_mul_f64 v[27:28], v[1:2], v[27:28]
	s_waitcnt vmcnt(0)
	v_fma_f64 v[1:2], v[1:2], v[29:30], -v[32:33]
	v_fma_f64 v[3:4], v[3:4], v[29:30], v[27:28]
.LBB9_22:
	s_and_saveexec_b32 s8, s5
	s_cbranch_execz .LBB9_26
; %bb.23:
	v_add_nc_u32_e32 v27, -7, v0
	s_movk_i32 s18, 0x110
	s_mov_b32 s5, 0
	s_mov_b32 s19, s10
	.p2align	6
.LBB9_24:                               ; =>This Inner Loop Header: Depth=1
	v_mov_b32_e32 v30, s19
	v_add_nc_u32_e32 v27, -1, v27
	s_add_i32 s19, s19, 16
	s_clause 0x3
	buffer_load_dword v28, v30, s[0:3], 0 offen offset:8
	buffer_load_dword v29, v30, s[0:3], 0 offen offset:12
	buffer_load_dword v36, v30, s[0:3], 0 offen
	buffer_load_dword v37, v30, s[0:3], 0 offen offset:4
	v_mov_b32_e32 v30, s18
	v_cmp_eq_u32_e32 vcc_lo, 0, v27
	s_add_i32 s18, s18, 16
	ds_read_b128 v[32:35], v30
	s_or_b32 s5, vcc_lo, s5
	s_waitcnt vmcnt(2) lgkmcnt(0)
	v_mul_f64 v[38:39], v[34:35], v[28:29]
	v_mul_f64 v[28:29], v[32:33], v[28:29]
	s_waitcnt vmcnt(0)
	v_fma_f64 v[32:33], v[32:33], v[36:37], -v[38:39]
	v_fma_f64 v[28:29], v[34:35], v[36:37], v[28:29]
	v_add_f64 v[1:2], v[1:2], v[32:33]
	v_add_f64 v[3:4], v[3:4], v[28:29]
	s_andn2_b32 exec_lo, exec_lo, s5
	s_cbranch_execnz .LBB9_24
; %bb.25:
	s_or_b32 exec_lo, exec_lo, s5
.LBB9_26:
	s_or_b32 exec_lo, exec_lo, s8
	v_mov_b32_e32 v27, 0
	ds_read_b128 v[27:30], v27 offset:96
	s_waitcnt lgkmcnt(0)
	v_mul_f64 v[32:33], v[3:4], v[29:30]
	v_mul_f64 v[29:30], v[1:2], v[29:30]
	v_fma_f64 v[1:2], v[1:2], v[27:28], -v[32:33]
	v_fma_f64 v[3:4], v[3:4], v[27:28], v[29:30]
	buffer_store_dword v2, off, s[0:3], 0 offset:100
	buffer_store_dword v1, off, s[0:3], 0 offset:96
	;; [unrolled: 1-line block ×4, first 2 shown]
.LBB9_27:
	s_or_b32 exec_lo, exec_lo, s6
	v_mov_b32_e32 v4, s12
	v_cmp_lt_u32_e64 s5, 5, v0
	s_clause 0x3
	buffer_load_dword v1, v4, s[0:3], 0 offen
	buffer_load_dword v2, v4, s[0:3], 0 offen offset:4
	buffer_load_dword v3, v4, s[0:3], 0 offen offset:8
	;; [unrolled: 1-line block ×3, first 2 shown]
	s_waitcnt vmcnt(0)
	ds_write_b128 v26, v[1:4]
	s_waitcnt lgkmcnt(0)
	s_waitcnt_vscnt null, 0x0
	s_barrier
	buffer_gl0_inv
	s_and_saveexec_b32 s6, s5
	s_cbranch_execz .LBB9_35
; %bb.28:
	ds_read_b128 v[1:4], v26
	s_andn2_b32 vcc_lo, exec_lo, s17
	s_cbranch_vccnz .LBB9_30
; %bb.29:
	s_clause 0x3
	buffer_load_dword v27, v25, s[0:3], 0 offen offset:8
	buffer_load_dword v28, v25, s[0:3], 0 offen offset:12
	buffer_load_dword v29, v25, s[0:3], 0 offen
	buffer_load_dword v30, v25, s[0:3], 0 offen offset:4
	s_waitcnt vmcnt(2) lgkmcnt(0)
	v_mul_f64 v[32:33], v[3:4], v[27:28]
	v_mul_f64 v[27:28], v[1:2], v[27:28]
	s_waitcnt vmcnt(0)
	v_fma_f64 v[1:2], v[1:2], v[29:30], -v[32:33]
	v_fma_f64 v[3:4], v[3:4], v[29:30], v[27:28]
.LBB9_30:
	s_and_saveexec_b32 s8, s4
	s_cbranch_execz .LBB9_34
; %bb.31:
	v_add_nc_u32_e32 v27, -6, v0
	s_movk_i32 s18, 0x100
	s_mov_b32 s4, 0
	s_mov_b32 s19, s11
	.p2align	6
.LBB9_32:                               ; =>This Inner Loop Header: Depth=1
	v_mov_b32_e32 v30, s19
	v_add_nc_u32_e32 v27, -1, v27
	s_add_i32 s19, s19, 16
	s_clause 0x3
	buffer_load_dword v28, v30, s[0:3], 0 offen offset:8
	buffer_load_dword v29, v30, s[0:3], 0 offen offset:12
	buffer_load_dword v36, v30, s[0:3], 0 offen
	buffer_load_dword v37, v30, s[0:3], 0 offen offset:4
	v_mov_b32_e32 v30, s18
	v_cmp_eq_u32_e32 vcc_lo, 0, v27
	s_add_i32 s18, s18, 16
	ds_read_b128 v[32:35], v30
	s_or_b32 s4, vcc_lo, s4
	s_waitcnt vmcnt(2) lgkmcnt(0)
	v_mul_f64 v[38:39], v[34:35], v[28:29]
	v_mul_f64 v[28:29], v[32:33], v[28:29]
	s_waitcnt vmcnt(0)
	v_fma_f64 v[32:33], v[32:33], v[36:37], -v[38:39]
	v_fma_f64 v[28:29], v[34:35], v[36:37], v[28:29]
	v_add_f64 v[1:2], v[1:2], v[32:33]
	v_add_f64 v[3:4], v[3:4], v[28:29]
	s_andn2_b32 exec_lo, exec_lo, s4
	s_cbranch_execnz .LBB9_32
; %bb.33:
	s_or_b32 exec_lo, exec_lo, s4
.LBB9_34:
	s_or_b32 exec_lo, exec_lo, s8
	v_mov_b32_e32 v27, 0
	ds_read_b128 v[27:30], v27 offset:80
	s_waitcnt lgkmcnt(0)
	v_mul_f64 v[32:33], v[3:4], v[29:30]
	v_mul_f64 v[29:30], v[1:2], v[29:30]
	v_fma_f64 v[1:2], v[1:2], v[27:28], -v[32:33]
	v_fma_f64 v[3:4], v[3:4], v[27:28], v[29:30]
	buffer_store_dword v2, off, s[0:3], 0 offset:84
	buffer_store_dword v1, off, s[0:3], 0 offset:80
	;; [unrolled: 1-line block ×4, first 2 shown]
.LBB9_35:
	s_or_b32 exec_lo, exec_lo, s6
	v_mov_b32_e32 v4, s13
	v_cmp_lt_u32_e64 s4, 4, v0
	s_clause 0x3
	buffer_load_dword v1, v4, s[0:3], 0 offen
	buffer_load_dword v2, v4, s[0:3], 0 offen offset:4
	buffer_load_dword v3, v4, s[0:3], 0 offen offset:8
	;; [unrolled: 1-line block ×3, first 2 shown]
	s_waitcnt vmcnt(0)
	ds_write_b128 v26, v[1:4]
	s_waitcnt lgkmcnt(0)
	s_waitcnt_vscnt null, 0x0
	s_barrier
	buffer_gl0_inv
	s_and_saveexec_b32 s6, s4
	s_cbranch_execz .LBB9_43
; %bb.36:
	ds_read_b128 v[1:4], v26
	s_andn2_b32 vcc_lo, exec_lo, s17
	s_cbranch_vccnz .LBB9_38
; %bb.37:
	s_clause 0x3
	buffer_load_dword v27, v25, s[0:3], 0 offen offset:8
	buffer_load_dword v28, v25, s[0:3], 0 offen offset:12
	buffer_load_dword v29, v25, s[0:3], 0 offen
	buffer_load_dword v30, v25, s[0:3], 0 offen offset:4
	s_waitcnt vmcnt(2) lgkmcnt(0)
	v_mul_f64 v[32:33], v[3:4], v[27:28]
	v_mul_f64 v[27:28], v[1:2], v[27:28]
	s_waitcnt vmcnt(0)
	v_fma_f64 v[1:2], v[1:2], v[29:30], -v[32:33]
	v_fma_f64 v[3:4], v[3:4], v[29:30], v[27:28]
.LBB9_38:
	s_and_saveexec_b32 s8, s5
	s_cbranch_execz .LBB9_42
; %bb.39:
	v_add_nc_u32_e32 v27, -5, v0
	s_movk_i32 s18, 0xf0
	s_mov_b32 s5, 0
	s_mov_b32 s19, s12
	.p2align	6
.LBB9_40:                               ; =>This Inner Loop Header: Depth=1
	v_mov_b32_e32 v30, s19
	v_add_nc_u32_e32 v27, -1, v27
	s_add_i32 s19, s19, 16
	s_clause 0x3
	buffer_load_dword v28, v30, s[0:3], 0 offen offset:8
	buffer_load_dword v29, v30, s[0:3], 0 offen offset:12
	buffer_load_dword v36, v30, s[0:3], 0 offen
	buffer_load_dword v37, v30, s[0:3], 0 offen offset:4
	v_mov_b32_e32 v30, s18
	v_cmp_eq_u32_e32 vcc_lo, 0, v27
	s_add_i32 s18, s18, 16
	ds_read_b128 v[32:35], v30
	s_or_b32 s5, vcc_lo, s5
	s_waitcnt vmcnt(2) lgkmcnt(0)
	v_mul_f64 v[38:39], v[34:35], v[28:29]
	v_mul_f64 v[28:29], v[32:33], v[28:29]
	s_waitcnt vmcnt(0)
	v_fma_f64 v[32:33], v[32:33], v[36:37], -v[38:39]
	v_fma_f64 v[28:29], v[34:35], v[36:37], v[28:29]
	v_add_f64 v[1:2], v[1:2], v[32:33]
	v_add_f64 v[3:4], v[3:4], v[28:29]
	s_andn2_b32 exec_lo, exec_lo, s5
	s_cbranch_execnz .LBB9_40
; %bb.41:
	s_or_b32 exec_lo, exec_lo, s5
.LBB9_42:
	s_or_b32 exec_lo, exec_lo, s8
	v_mov_b32_e32 v27, 0
	ds_read_b128 v[27:30], v27 offset:64
	s_waitcnt lgkmcnt(0)
	v_mul_f64 v[32:33], v[3:4], v[29:30]
	v_mul_f64 v[29:30], v[1:2], v[29:30]
	v_fma_f64 v[1:2], v[1:2], v[27:28], -v[32:33]
	v_fma_f64 v[3:4], v[3:4], v[27:28], v[29:30]
	buffer_store_dword v2, off, s[0:3], 0 offset:68
	buffer_store_dword v1, off, s[0:3], 0 offset:64
	;; [unrolled: 1-line block ×4, first 2 shown]
.LBB9_43:
	s_or_b32 exec_lo, exec_lo, s6
	v_mov_b32_e32 v4, s14
	v_cmp_lt_u32_e64 s5, 3, v0
	s_clause 0x3
	buffer_load_dword v1, v4, s[0:3], 0 offen
	buffer_load_dword v2, v4, s[0:3], 0 offen offset:4
	buffer_load_dword v3, v4, s[0:3], 0 offen offset:8
	;; [unrolled: 1-line block ×3, first 2 shown]
	s_waitcnt vmcnt(0)
	ds_write_b128 v26, v[1:4]
	s_waitcnt lgkmcnt(0)
	s_waitcnt_vscnt null, 0x0
	s_barrier
	buffer_gl0_inv
	s_and_saveexec_b32 s6, s5
	s_cbranch_execz .LBB9_51
; %bb.44:
	ds_read_b128 v[1:4], v26
	s_andn2_b32 vcc_lo, exec_lo, s17
	s_cbranch_vccnz .LBB9_46
; %bb.45:
	s_clause 0x3
	buffer_load_dword v27, v25, s[0:3], 0 offen offset:8
	buffer_load_dword v28, v25, s[0:3], 0 offen offset:12
	buffer_load_dword v29, v25, s[0:3], 0 offen
	buffer_load_dword v30, v25, s[0:3], 0 offen offset:4
	s_waitcnt vmcnt(2) lgkmcnt(0)
	v_mul_f64 v[32:33], v[3:4], v[27:28]
	v_mul_f64 v[27:28], v[1:2], v[27:28]
	s_waitcnt vmcnt(0)
	v_fma_f64 v[1:2], v[1:2], v[29:30], -v[32:33]
	v_fma_f64 v[3:4], v[3:4], v[29:30], v[27:28]
.LBB9_46:
	s_and_saveexec_b32 s8, s4
	s_cbranch_execz .LBB9_50
; %bb.47:
	v_add_nc_u32_e32 v27, -4, v0
	s_movk_i32 s18, 0xe0
	s_mov_b32 s4, 0
	s_mov_b32 s19, s13
	.p2align	6
.LBB9_48:                               ; =>This Inner Loop Header: Depth=1
	v_mov_b32_e32 v30, s19
	v_add_nc_u32_e32 v27, -1, v27
	s_add_i32 s19, s19, 16
	s_clause 0x3
	buffer_load_dword v28, v30, s[0:3], 0 offen offset:8
	buffer_load_dword v29, v30, s[0:3], 0 offen offset:12
	buffer_load_dword v36, v30, s[0:3], 0 offen
	buffer_load_dword v37, v30, s[0:3], 0 offen offset:4
	v_mov_b32_e32 v30, s18
	v_cmp_eq_u32_e32 vcc_lo, 0, v27
	s_add_i32 s18, s18, 16
	ds_read_b128 v[32:35], v30
	s_or_b32 s4, vcc_lo, s4
	s_waitcnt vmcnt(2) lgkmcnt(0)
	v_mul_f64 v[38:39], v[34:35], v[28:29]
	v_mul_f64 v[28:29], v[32:33], v[28:29]
	s_waitcnt vmcnt(0)
	v_fma_f64 v[32:33], v[32:33], v[36:37], -v[38:39]
	v_fma_f64 v[28:29], v[34:35], v[36:37], v[28:29]
	v_add_f64 v[1:2], v[1:2], v[32:33]
	v_add_f64 v[3:4], v[3:4], v[28:29]
	s_andn2_b32 exec_lo, exec_lo, s4
	s_cbranch_execnz .LBB9_48
; %bb.49:
	s_or_b32 exec_lo, exec_lo, s4
.LBB9_50:
	s_or_b32 exec_lo, exec_lo, s8
	v_mov_b32_e32 v27, 0
	ds_read_b128 v[27:30], v27 offset:48
	s_waitcnt lgkmcnt(0)
	v_mul_f64 v[32:33], v[3:4], v[29:30]
	v_mul_f64 v[29:30], v[1:2], v[29:30]
	v_fma_f64 v[1:2], v[1:2], v[27:28], -v[32:33]
	v_fma_f64 v[3:4], v[3:4], v[27:28], v[29:30]
	buffer_store_dword v2, off, s[0:3], 0 offset:52
	buffer_store_dword v1, off, s[0:3], 0 offset:48
	;; [unrolled: 1-line block ×4, first 2 shown]
.LBB9_51:
	s_or_b32 exec_lo, exec_lo, s6
	v_mov_b32_e32 v4, s16
	v_cmp_lt_u32_e64 s6, 2, v0
	s_clause 0x3
	buffer_load_dword v1, v4, s[0:3], 0 offen
	buffer_load_dword v2, v4, s[0:3], 0 offen offset:4
	buffer_load_dword v3, v4, s[0:3], 0 offen offset:8
	;; [unrolled: 1-line block ×3, first 2 shown]
	s_waitcnt vmcnt(0)
	ds_write_b128 v26, v[1:4]
	s_waitcnt lgkmcnt(0)
	s_waitcnt_vscnt null, 0x0
	s_barrier
	buffer_gl0_inv
	s_and_saveexec_b32 s4, s6
	s_cbranch_execz .LBB9_59
; %bb.52:
	ds_read_b128 v[1:4], v26
	s_andn2_b32 vcc_lo, exec_lo, s17
	s_cbranch_vccnz .LBB9_54
; %bb.53:
	s_clause 0x3
	buffer_load_dword v27, v25, s[0:3], 0 offen offset:8
	buffer_load_dword v28, v25, s[0:3], 0 offen offset:12
	buffer_load_dword v29, v25, s[0:3], 0 offen
	buffer_load_dword v30, v25, s[0:3], 0 offen offset:4
	s_waitcnt vmcnt(2) lgkmcnt(0)
	v_mul_f64 v[32:33], v[3:4], v[27:28]
	v_mul_f64 v[27:28], v[1:2], v[27:28]
	s_waitcnt vmcnt(0)
	v_fma_f64 v[1:2], v[1:2], v[29:30], -v[32:33]
	v_fma_f64 v[3:4], v[3:4], v[29:30], v[27:28]
.LBB9_54:
	s_and_saveexec_b32 s8, s5
	s_cbranch_execz .LBB9_58
; %bb.55:
	v_add_nc_u32_e32 v27, -3, v0
	s_movk_i32 s18, 0xd0
	s_mov_b32 s5, 0
	s_mov_b32 s19, s14
	.p2align	6
.LBB9_56:                               ; =>This Inner Loop Header: Depth=1
	v_mov_b32_e32 v30, s19
	v_add_nc_u32_e32 v27, -1, v27
	s_add_i32 s19, s19, 16
	s_clause 0x3
	buffer_load_dword v28, v30, s[0:3], 0 offen offset:8
	buffer_load_dword v29, v30, s[0:3], 0 offen offset:12
	buffer_load_dword v36, v30, s[0:3], 0 offen
	buffer_load_dword v37, v30, s[0:3], 0 offen offset:4
	v_mov_b32_e32 v30, s18
	v_cmp_eq_u32_e32 vcc_lo, 0, v27
	s_add_i32 s18, s18, 16
	ds_read_b128 v[32:35], v30
	s_or_b32 s5, vcc_lo, s5
	s_waitcnt vmcnt(2) lgkmcnt(0)
	v_mul_f64 v[38:39], v[34:35], v[28:29]
	v_mul_f64 v[28:29], v[32:33], v[28:29]
	s_waitcnt vmcnt(0)
	v_fma_f64 v[32:33], v[32:33], v[36:37], -v[38:39]
	v_fma_f64 v[28:29], v[34:35], v[36:37], v[28:29]
	v_add_f64 v[1:2], v[1:2], v[32:33]
	v_add_f64 v[3:4], v[3:4], v[28:29]
	s_andn2_b32 exec_lo, exec_lo, s5
	s_cbranch_execnz .LBB9_56
; %bb.57:
	s_or_b32 exec_lo, exec_lo, s5
.LBB9_58:
	s_or_b32 exec_lo, exec_lo, s8
	v_mov_b32_e32 v27, 0
	ds_read_b128 v[27:30], v27 offset:32
	s_waitcnt lgkmcnt(0)
	v_mul_f64 v[32:33], v[3:4], v[29:30]
	v_mul_f64 v[29:30], v[1:2], v[29:30]
	v_fma_f64 v[1:2], v[1:2], v[27:28], -v[32:33]
	v_fma_f64 v[3:4], v[3:4], v[27:28], v[29:30]
	buffer_store_dword v2, off, s[0:3], 0 offset:36
	buffer_store_dword v1, off, s[0:3], 0 offset:32
	;; [unrolled: 1-line block ×4, first 2 shown]
.LBB9_59:
	s_or_b32 exec_lo, exec_lo, s4
	v_mov_b32_e32 v4, s15
	v_cmp_lt_u32_e64 s4, 1, v0
	s_clause 0x3
	buffer_load_dword v1, v4, s[0:3], 0 offen
	buffer_load_dword v2, v4, s[0:3], 0 offen offset:4
	buffer_load_dword v3, v4, s[0:3], 0 offen offset:8
	;; [unrolled: 1-line block ×3, first 2 shown]
	s_waitcnt vmcnt(0)
	ds_write_b128 v26, v[1:4]
	s_waitcnt lgkmcnt(0)
	s_waitcnt_vscnt null, 0x0
	s_barrier
	buffer_gl0_inv
	s_and_saveexec_b32 s5, s4
	s_cbranch_execz .LBB9_67
; %bb.60:
	ds_read_b128 v[1:4], v26
	s_andn2_b32 vcc_lo, exec_lo, s17
	s_cbranch_vccnz .LBB9_62
; %bb.61:
	s_clause 0x3
	buffer_load_dword v27, v25, s[0:3], 0 offen offset:8
	buffer_load_dword v28, v25, s[0:3], 0 offen offset:12
	buffer_load_dword v29, v25, s[0:3], 0 offen
	buffer_load_dword v30, v25, s[0:3], 0 offen offset:4
	s_waitcnt vmcnt(2) lgkmcnt(0)
	v_mul_f64 v[32:33], v[3:4], v[27:28]
	v_mul_f64 v[27:28], v[1:2], v[27:28]
	s_waitcnt vmcnt(0)
	v_fma_f64 v[1:2], v[1:2], v[29:30], -v[32:33]
	v_fma_f64 v[3:4], v[3:4], v[29:30], v[27:28]
.LBB9_62:
	s_and_saveexec_b32 s8, s6
	s_cbranch_execz .LBB9_66
; %bb.63:
	v_add_nc_u32_e32 v27, -2, v0
	s_movk_i32 s18, 0xc0
	s_mov_b32 s6, 0
	s_mov_b32 s19, s16
	.p2align	6
.LBB9_64:                               ; =>This Inner Loop Header: Depth=1
	v_mov_b32_e32 v30, s19
	v_add_nc_u32_e32 v27, -1, v27
	s_add_i32 s19, s19, 16
	s_clause 0x3
	buffer_load_dword v28, v30, s[0:3], 0 offen offset:8
	buffer_load_dword v29, v30, s[0:3], 0 offen offset:12
	buffer_load_dword v36, v30, s[0:3], 0 offen
	buffer_load_dword v37, v30, s[0:3], 0 offen offset:4
	v_mov_b32_e32 v30, s18
	v_cmp_eq_u32_e32 vcc_lo, 0, v27
	s_add_i32 s18, s18, 16
	ds_read_b128 v[32:35], v30
	s_or_b32 s6, vcc_lo, s6
	s_waitcnt vmcnt(2) lgkmcnt(0)
	v_mul_f64 v[38:39], v[34:35], v[28:29]
	v_mul_f64 v[28:29], v[32:33], v[28:29]
	s_waitcnt vmcnt(0)
	v_fma_f64 v[32:33], v[32:33], v[36:37], -v[38:39]
	v_fma_f64 v[28:29], v[34:35], v[36:37], v[28:29]
	v_add_f64 v[1:2], v[1:2], v[32:33]
	v_add_f64 v[3:4], v[3:4], v[28:29]
	s_andn2_b32 exec_lo, exec_lo, s6
	s_cbranch_execnz .LBB9_64
; %bb.65:
	s_or_b32 exec_lo, exec_lo, s6
.LBB9_66:
	s_or_b32 exec_lo, exec_lo, s8
	v_mov_b32_e32 v27, 0
	ds_read_b128 v[27:30], v27 offset:16
	s_waitcnt lgkmcnt(0)
	v_mul_f64 v[32:33], v[3:4], v[29:30]
	v_mul_f64 v[29:30], v[1:2], v[29:30]
	v_fma_f64 v[1:2], v[1:2], v[27:28], -v[32:33]
	v_fma_f64 v[3:4], v[3:4], v[27:28], v[29:30]
	buffer_store_dword v2, off, s[0:3], 0 offset:20
	buffer_store_dword v1, off, s[0:3], 0 offset:16
	;; [unrolled: 1-line block ×4, first 2 shown]
.LBB9_67:
	s_or_b32 exec_lo, exec_lo, s5
	s_clause 0x3
	buffer_load_dword v1, off, s[0:3], 0
	buffer_load_dword v2, off, s[0:3], 0 offset:4
	buffer_load_dword v3, off, s[0:3], 0 offset:8
	;; [unrolled: 1-line block ×3, first 2 shown]
	s_mov_b32 s6, 0
	s_mov_b32 s5, 0
	s_mov_b32 s8, exec_lo
                                        ; implicit-def: $sgpr18
	s_waitcnt vmcnt(0)
	ds_write_b128 v26, v[1:4]
	s_waitcnt lgkmcnt(0)
	s_waitcnt_vscnt null, 0x0
	s_barrier
	buffer_gl0_inv
                                        ; implicit-def: $vgpr1_vgpr2
	v_cmpx_ne_u32_e32 0, v0
	s_cbranch_execz .LBB9_75
; %bb.68:
	ds_read_b128 v[1:4], v26
	s_andn2_b32 vcc_lo, exec_lo, s17
	s_cbranch_vccnz .LBB9_70
; %bb.69:
	s_clause 0x3
	buffer_load_dword v27, v25, s[0:3], 0 offen offset:8
	buffer_load_dword v28, v25, s[0:3], 0 offen offset:12
	buffer_load_dword v29, v25, s[0:3], 0 offen
	buffer_load_dword v30, v25, s[0:3], 0 offen offset:4
	s_waitcnt vmcnt(2) lgkmcnt(0)
	v_mul_f64 v[32:33], v[3:4], v[27:28]
	v_mul_f64 v[27:28], v[1:2], v[27:28]
	s_waitcnt vmcnt(0)
	v_fma_f64 v[1:2], v[1:2], v[29:30], -v[32:33]
	v_fma_f64 v[3:4], v[3:4], v[29:30], v[27:28]
.LBB9_70:
	s_and_saveexec_b32 s5, s4
	s_cbranch_execz .LBB9_74
; %bb.71:
	v_add_nc_u32_e32 v27, -1, v0
	s_movk_i32 s18, 0xb0
	s_mov_b32 s4, 0
	s_mov_b32 s19, s15
	.p2align	6
.LBB9_72:                               ; =>This Inner Loop Header: Depth=1
	v_mov_b32_e32 v30, s19
	v_add_nc_u32_e32 v27, -1, v27
	s_add_i32 s19, s19, 16
	s_clause 0x3
	buffer_load_dword v28, v30, s[0:3], 0 offen offset:8
	buffer_load_dword v29, v30, s[0:3], 0 offen offset:12
	buffer_load_dword v36, v30, s[0:3], 0 offen
	buffer_load_dword v37, v30, s[0:3], 0 offen offset:4
	v_mov_b32_e32 v30, s18
	v_cmp_eq_u32_e32 vcc_lo, 0, v27
	s_add_i32 s18, s18, 16
	ds_read_b128 v[32:35], v30
	s_or_b32 s4, vcc_lo, s4
	s_waitcnt vmcnt(2) lgkmcnt(0)
	v_mul_f64 v[38:39], v[34:35], v[28:29]
	v_mul_f64 v[28:29], v[32:33], v[28:29]
	s_waitcnt vmcnt(0)
	v_fma_f64 v[32:33], v[32:33], v[36:37], -v[38:39]
	v_fma_f64 v[28:29], v[34:35], v[36:37], v[28:29]
	v_add_f64 v[1:2], v[1:2], v[32:33]
	v_add_f64 v[3:4], v[3:4], v[28:29]
	s_andn2_b32 exec_lo, exec_lo, s4
	s_cbranch_execnz .LBB9_72
; %bb.73:
	s_or_b32 exec_lo, exec_lo, s4
.LBB9_74:
	s_or_b32 exec_lo, exec_lo, s5
	v_mov_b32_e32 v27, 0
	s_mov_b32 s5, exec_lo
	s_or_b32 s18, 0, 8
	ds_read_b128 v[27:30], v27
	s_waitcnt lgkmcnt(0)
	v_mul_f64 v[32:33], v[3:4], v[29:30]
	v_mul_f64 v[29:30], v[1:2], v[29:30]
	v_fma_f64 v[32:33], v[1:2], v[27:28], -v[32:33]
	v_fma_f64 v[1:2], v[3:4], v[27:28], v[29:30]
	buffer_store_dword v33, off, s[0:3], 0 offset:4
	buffer_store_dword v32, off, s[0:3], 0
.LBB9_75:
	s_or_b32 exec_lo, exec_lo, s8
	s_and_b32 vcc_lo, exec_lo, s6
	s_cbranch_vccnz .LBB9_77
	s_branch .LBB9_144
.LBB9_76:
	s_mov_b32 s5, 0
                                        ; implicit-def: $vgpr1_vgpr2
                                        ; implicit-def: $sgpr18
	s_cbranch_execz .LBB9_144
.LBB9_77:
	v_mov_b32_e32 v4, s15
	v_cmp_eq_u32_e64 s4, 0, v0
	v_cndmask_b32_e64 v27, 0, 1, s17
	s_clause 0x3
	buffer_load_dword v1, v4, s[0:3], 0 offen
	buffer_load_dword v2, v4, s[0:3], 0 offen offset:4
	buffer_load_dword v3, v4, s[0:3], 0 offen offset:8
	buffer_load_dword v4, v4, s[0:3], 0 offen offset:12
	s_waitcnt vmcnt(0)
	ds_write_b128 v26, v[1:4]
	s_waitcnt lgkmcnt(0)
	s_waitcnt_vscnt null, 0x0
	s_barrier
	buffer_gl0_inv
	s_and_saveexec_b32 s6, s4
	s_cbranch_execz .LBB9_81
; %bb.78:
	ds_read_b128 v[1:4], v26
	s_andn2_b32 vcc_lo, exec_lo, s17
	s_cbranch_vccnz .LBB9_80
; %bb.79:
	s_clause 0x3
	buffer_load_dword v28, v25, s[0:3], 0 offen offset:8
	buffer_load_dword v29, v25, s[0:3], 0 offen offset:12
	buffer_load_dword v32, v25, s[0:3], 0 offen
	buffer_load_dword v33, v25, s[0:3], 0 offen offset:4
	s_waitcnt vmcnt(2) lgkmcnt(0)
	v_mul_f64 v[34:35], v[3:4], v[28:29]
	v_mul_f64 v[28:29], v[1:2], v[28:29]
	s_waitcnt vmcnt(0)
	v_fma_f64 v[1:2], v[1:2], v[32:33], -v[34:35]
	v_fma_f64 v[3:4], v[3:4], v[32:33], v[28:29]
.LBB9_80:
	v_mov_b32_e32 v28, 0
	ds_read_b128 v[32:35], v28 offset:16
	s_waitcnt lgkmcnt(0)
	v_mul_f64 v[28:29], v[3:4], v[34:35]
	v_mul_f64 v[34:35], v[1:2], v[34:35]
	v_fma_f64 v[1:2], v[1:2], v[32:33], -v[28:29]
	v_fma_f64 v[3:4], v[3:4], v[32:33], v[34:35]
	buffer_store_dword v2, off, s[0:3], 0 offset:20
	buffer_store_dword v1, off, s[0:3], 0 offset:16
	;; [unrolled: 1-line block ×4, first 2 shown]
.LBB9_81:
	s_or_b32 exec_lo, exec_lo, s6
	v_mov_b32_e32 v4, s16
	s_mov_b32 s6, exec_lo
	s_clause 0x3
	buffer_load_dword v1, v4, s[0:3], 0 offen
	buffer_load_dword v2, v4, s[0:3], 0 offen offset:4
	buffer_load_dword v3, v4, s[0:3], 0 offen offset:8
	;; [unrolled: 1-line block ×3, first 2 shown]
	s_waitcnt vmcnt(0)
	ds_write_b128 v26, v[1:4]
	s_waitcnt lgkmcnt(0)
	s_waitcnt_vscnt null, 0x0
	s_barrier
	buffer_gl0_inv
	v_cmpx_gt_u32_e32 2, v0
	s_cbranch_execz .LBB9_87
; %bb.82:
	ds_read_b128 v[1:4], v26
	v_cmp_ne_u32_e32 vcc_lo, 1, v27
	s_cbranch_vccnz .LBB9_84
; %bb.83:
	s_clause 0x3
	buffer_load_dword v28, v25, s[0:3], 0 offen offset:8
	buffer_load_dword v29, v25, s[0:3], 0 offen offset:12
	buffer_load_dword v32, v25, s[0:3], 0 offen
	buffer_load_dword v33, v25, s[0:3], 0 offen offset:4
	s_waitcnt vmcnt(2) lgkmcnt(0)
	v_mul_f64 v[34:35], v[3:4], v[28:29]
	v_mul_f64 v[28:29], v[1:2], v[28:29]
	s_waitcnt vmcnt(0)
	v_fma_f64 v[1:2], v[1:2], v[32:33], -v[34:35]
	v_fma_f64 v[3:4], v[3:4], v[32:33], v[28:29]
.LBB9_84:
	s_and_saveexec_b32 s8, s4
	s_cbranch_execz .LBB9_86
; %bb.85:
	s_clause 0x3
	buffer_load_dword v28, off, s[0:3], 0 offset:24
	buffer_load_dword v29, off, s[0:3], 0 offset:28
	;; [unrolled: 1-line block ×4, first 2 shown]
	v_mov_b32_e32 v30, 0
	ds_read_b128 v[32:35], v30 offset:176
	s_waitcnt vmcnt(2) lgkmcnt(0)
	v_mul_f64 v[38:39], v[34:35], v[28:29]
	v_mul_f64 v[28:29], v[32:33], v[28:29]
	s_waitcnt vmcnt(0)
	v_fma_f64 v[32:33], v[32:33], v[36:37], -v[38:39]
	v_fma_f64 v[28:29], v[34:35], v[36:37], v[28:29]
	v_add_f64 v[1:2], v[1:2], v[32:33]
	v_add_f64 v[3:4], v[3:4], v[28:29]
.LBB9_86:
	s_or_b32 exec_lo, exec_lo, s8
	v_mov_b32_e32 v28, 0
	ds_read_b128 v[32:35], v28 offset:32
	s_waitcnt lgkmcnt(0)
	v_mul_f64 v[28:29], v[3:4], v[34:35]
	v_mul_f64 v[34:35], v[1:2], v[34:35]
	v_fma_f64 v[1:2], v[1:2], v[32:33], -v[28:29]
	v_fma_f64 v[3:4], v[3:4], v[32:33], v[34:35]
	buffer_store_dword v2, off, s[0:3], 0 offset:36
	buffer_store_dword v1, off, s[0:3], 0 offset:32
	;; [unrolled: 1-line block ×4, first 2 shown]
.LBB9_87:
	s_or_b32 exec_lo, exec_lo, s6
	v_mov_b32_e32 v4, s14
	s_mov_b32 s6, exec_lo
	s_clause 0x3
	buffer_load_dword v1, v4, s[0:3], 0 offen
	buffer_load_dword v2, v4, s[0:3], 0 offen offset:4
	buffer_load_dword v3, v4, s[0:3], 0 offen offset:8
	;; [unrolled: 1-line block ×3, first 2 shown]
	s_waitcnt vmcnt(0)
	ds_write_b128 v26, v[1:4]
	s_waitcnt lgkmcnt(0)
	s_waitcnt_vscnt null, 0x0
	s_barrier
	buffer_gl0_inv
	v_cmpx_gt_u32_e32 3, v0
	s_cbranch_execz .LBB9_95
; %bb.88:
	ds_read_b128 v[1:4], v26
	v_cmp_ne_u32_e32 vcc_lo, 1, v27
	s_cbranch_vccnz .LBB9_90
; %bb.89:
	s_clause 0x3
	buffer_load_dword v28, v25, s[0:3], 0 offen offset:8
	buffer_load_dword v29, v25, s[0:3], 0 offen offset:12
	buffer_load_dword v32, v25, s[0:3], 0 offen
	buffer_load_dword v33, v25, s[0:3], 0 offen offset:4
	s_waitcnt vmcnt(2) lgkmcnt(0)
	v_mul_f64 v[34:35], v[3:4], v[28:29]
	v_mul_f64 v[28:29], v[1:2], v[28:29]
	s_waitcnt vmcnt(0)
	v_fma_f64 v[1:2], v[1:2], v[32:33], -v[34:35]
	v_fma_f64 v[3:4], v[3:4], v[32:33], v[28:29]
.LBB9_90:
	s_mov_b32 s8, exec_lo
	v_cmpx_ne_u32_e32 2, v0
	s_cbranch_execz .LBB9_94
; %bb.91:
	s_clause 0x3
	buffer_load_dword v28, v25, s[0:3], 0 offen offset:24
	buffer_load_dword v29, v25, s[0:3], 0 offen offset:28
	;; [unrolled: 1-line block ×4, first 2 shown]
	ds_read_b128 v[32:35], v26 offset:16
	s_waitcnt vmcnt(2) lgkmcnt(0)
	v_mul_f64 v[38:39], v[34:35], v[28:29]
	v_mul_f64 v[28:29], v[32:33], v[28:29]
	s_waitcnt vmcnt(0)
	v_fma_f64 v[32:33], v[32:33], v[36:37], -v[38:39]
	v_fma_f64 v[28:29], v[34:35], v[36:37], v[28:29]
	v_add_f64 v[1:2], v[1:2], v[32:33]
	v_add_f64 v[3:4], v[3:4], v[28:29]
	s_and_saveexec_b32 s17, s4
	s_cbranch_execz .LBB9_93
; %bb.92:
	s_clause 0x3
	buffer_load_dword v28, off, s[0:3], 0 offset:40
	buffer_load_dword v29, off, s[0:3], 0 offset:44
	;; [unrolled: 1-line block ×4, first 2 shown]
	v_mov_b32_e32 v30, 0
	ds_read_b128 v[32:35], v30 offset:192
	s_waitcnt vmcnt(2) lgkmcnt(0)
	v_mul_f64 v[38:39], v[32:33], v[28:29]
	v_mul_f64 v[28:29], v[34:35], v[28:29]
	s_waitcnt vmcnt(0)
	v_fma_f64 v[34:35], v[34:35], v[36:37], v[38:39]
	v_fma_f64 v[28:29], v[32:33], v[36:37], -v[28:29]
	v_add_f64 v[3:4], v[3:4], v[34:35]
	v_add_f64 v[1:2], v[1:2], v[28:29]
.LBB9_93:
	s_or_b32 exec_lo, exec_lo, s17
.LBB9_94:
	s_or_b32 exec_lo, exec_lo, s8
	v_mov_b32_e32 v28, 0
	ds_read_b128 v[32:35], v28 offset:48
	s_waitcnt lgkmcnt(0)
	v_mul_f64 v[28:29], v[3:4], v[34:35]
	v_mul_f64 v[34:35], v[1:2], v[34:35]
	v_fma_f64 v[1:2], v[1:2], v[32:33], -v[28:29]
	v_fma_f64 v[3:4], v[3:4], v[32:33], v[34:35]
	buffer_store_dword v2, off, s[0:3], 0 offset:52
	buffer_store_dword v1, off, s[0:3], 0 offset:48
	;; [unrolled: 1-line block ×4, first 2 shown]
.LBB9_95:
	s_or_b32 exec_lo, exec_lo, s6
	v_mov_b32_e32 v4, s13
	s_mov_b32 s4, exec_lo
	s_clause 0x3
	buffer_load_dword v1, v4, s[0:3], 0 offen
	buffer_load_dword v2, v4, s[0:3], 0 offen offset:4
	buffer_load_dword v3, v4, s[0:3], 0 offen offset:8
	;; [unrolled: 1-line block ×3, first 2 shown]
	s_waitcnt vmcnt(0)
	ds_write_b128 v26, v[1:4]
	s_waitcnt lgkmcnt(0)
	s_waitcnt_vscnt null, 0x0
	s_barrier
	buffer_gl0_inv
	v_cmpx_gt_u32_e32 4, v0
	s_cbranch_execz .LBB9_103
; %bb.96:
	ds_read_b128 v[1:4], v26
	v_cmp_ne_u32_e32 vcc_lo, 1, v27
	s_cbranch_vccnz .LBB9_98
; %bb.97:
	s_clause 0x3
	buffer_load_dword v28, v25, s[0:3], 0 offen offset:8
	buffer_load_dword v29, v25, s[0:3], 0 offen offset:12
	buffer_load_dword v32, v25, s[0:3], 0 offen
	buffer_load_dword v33, v25, s[0:3], 0 offen offset:4
	s_waitcnt vmcnt(2) lgkmcnt(0)
	v_mul_f64 v[34:35], v[3:4], v[28:29]
	v_mul_f64 v[28:29], v[1:2], v[28:29]
	s_waitcnt vmcnt(0)
	v_fma_f64 v[1:2], v[1:2], v[32:33], -v[34:35]
	v_fma_f64 v[3:4], v[3:4], v[32:33], v[28:29]
.LBB9_98:
	s_mov_b32 s6, exec_lo
	v_cmpx_ne_u32_e32 3, v0
	s_cbranch_execz .LBB9_102
; %bb.99:
	v_add_nc_u32_e32 v28, 0xb0, v31
	v_add3_u32 v29, 0, v31, 16
	v_mov_b32_e32 v30, v0
	s_mov_b32 s8, 0
	.p2align	6
.LBB9_100:                              ; =>This Inner Loop Header: Depth=1
	s_clause 0x3
	buffer_load_dword v36, v29, s[0:3], 0 offen offset:8
	buffer_load_dword v37, v29, s[0:3], 0 offen offset:12
	buffer_load_dword v38, v29, s[0:3], 0 offen
	buffer_load_dword v39, v29, s[0:3], 0 offen offset:4
	ds_read_b128 v[32:35], v28
	v_add_nc_u32_e32 v30, 1, v30
	v_add_nc_u32_e32 v28, 16, v28
	v_add_nc_u32_e32 v29, 16, v29
	v_cmp_lt_u32_e32 vcc_lo, 2, v30
	s_or_b32 s8, vcc_lo, s8
	s_waitcnt vmcnt(2) lgkmcnt(0)
	v_mul_f64 v[40:41], v[34:35], v[36:37]
	v_mul_f64 v[36:37], v[32:33], v[36:37]
	s_waitcnt vmcnt(0)
	v_fma_f64 v[32:33], v[32:33], v[38:39], -v[40:41]
	v_fma_f64 v[34:35], v[34:35], v[38:39], v[36:37]
	v_add_f64 v[1:2], v[1:2], v[32:33]
	v_add_f64 v[3:4], v[3:4], v[34:35]
	s_andn2_b32 exec_lo, exec_lo, s8
	s_cbranch_execnz .LBB9_100
; %bb.101:
	s_or_b32 exec_lo, exec_lo, s8
.LBB9_102:
	s_or_b32 exec_lo, exec_lo, s6
	v_mov_b32_e32 v28, 0
	ds_read_b128 v[32:35], v28 offset:64
	s_waitcnt lgkmcnt(0)
	v_mul_f64 v[28:29], v[3:4], v[34:35]
	v_mul_f64 v[34:35], v[1:2], v[34:35]
	v_fma_f64 v[1:2], v[1:2], v[32:33], -v[28:29]
	v_fma_f64 v[3:4], v[3:4], v[32:33], v[34:35]
	buffer_store_dword v2, off, s[0:3], 0 offset:68
	buffer_store_dword v1, off, s[0:3], 0 offset:64
	;; [unrolled: 1-line block ×4, first 2 shown]
.LBB9_103:
	s_or_b32 exec_lo, exec_lo, s4
	v_mov_b32_e32 v4, s12
	s_mov_b32 s4, exec_lo
	s_clause 0x3
	buffer_load_dword v1, v4, s[0:3], 0 offen
	buffer_load_dword v2, v4, s[0:3], 0 offen offset:4
	buffer_load_dword v3, v4, s[0:3], 0 offen offset:8
	;; [unrolled: 1-line block ×3, first 2 shown]
	s_waitcnt vmcnt(0)
	ds_write_b128 v26, v[1:4]
	s_waitcnt lgkmcnt(0)
	s_waitcnt_vscnt null, 0x0
	s_barrier
	buffer_gl0_inv
	v_cmpx_gt_u32_e32 5, v0
	s_cbranch_execz .LBB9_111
; %bb.104:
	ds_read_b128 v[1:4], v26
	v_cmp_ne_u32_e32 vcc_lo, 1, v27
	s_cbranch_vccnz .LBB9_106
; %bb.105:
	s_clause 0x3
	buffer_load_dword v28, v25, s[0:3], 0 offen offset:8
	buffer_load_dword v29, v25, s[0:3], 0 offen offset:12
	buffer_load_dword v32, v25, s[0:3], 0 offen
	buffer_load_dword v33, v25, s[0:3], 0 offen offset:4
	s_waitcnt vmcnt(2) lgkmcnt(0)
	v_mul_f64 v[34:35], v[3:4], v[28:29]
	v_mul_f64 v[28:29], v[1:2], v[28:29]
	s_waitcnt vmcnt(0)
	v_fma_f64 v[1:2], v[1:2], v[32:33], -v[34:35]
	v_fma_f64 v[3:4], v[3:4], v[32:33], v[28:29]
.LBB9_106:
	s_mov_b32 s6, exec_lo
	v_cmpx_ne_u32_e32 4, v0
	s_cbranch_execz .LBB9_110
; %bb.107:
	v_add_nc_u32_e32 v28, 0xb0, v31
	v_add3_u32 v29, 0, v31, 16
	v_mov_b32_e32 v30, v0
	s_mov_b32 s8, 0
	.p2align	6
.LBB9_108:                              ; =>This Inner Loop Header: Depth=1
	s_clause 0x3
	buffer_load_dword v36, v29, s[0:3], 0 offen offset:8
	buffer_load_dword v37, v29, s[0:3], 0 offen offset:12
	buffer_load_dword v38, v29, s[0:3], 0 offen
	buffer_load_dword v39, v29, s[0:3], 0 offen offset:4
	ds_read_b128 v[32:35], v28
	v_add_nc_u32_e32 v30, 1, v30
	v_add_nc_u32_e32 v28, 16, v28
	;; [unrolled: 1-line block ×3, first 2 shown]
	v_cmp_lt_u32_e32 vcc_lo, 3, v30
	s_or_b32 s8, vcc_lo, s8
	s_waitcnt vmcnt(2) lgkmcnt(0)
	v_mul_f64 v[40:41], v[34:35], v[36:37]
	v_mul_f64 v[36:37], v[32:33], v[36:37]
	s_waitcnt vmcnt(0)
	v_fma_f64 v[32:33], v[32:33], v[38:39], -v[40:41]
	v_fma_f64 v[34:35], v[34:35], v[38:39], v[36:37]
	v_add_f64 v[1:2], v[1:2], v[32:33]
	v_add_f64 v[3:4], v[3:4], v[34:35]
	s_andn2_b32 exec_lo, exec_lo, s8
	s_cbranch_execnz .LBB9_108
; %bb.109:
	s_or_b32 exec_lo, exec_lo, s8
.LBB9_110:
	s_or_b32 exec_lo, exec_lo, s6
	v_mov_b32_e32 v28, 0
	ds_read_b128 v[32:35], v28 offset:80
	s_waitcnt lgkmcnt(0)
	v_mul_f64 v[28:29], v[3:4], v[34:35]
	v_mul_f64 v[34:35], v[1:2], v[34:35]
	v_fma_f64 v[1:2], v[1:2], v[32:33], -v[28:29]
	v_fma_f64 v[3:4], v[3:4], v[32:33], v[34:35]
	buffer_store_dword v2, off, s[0:3], 0 offset:84
	buffer_store_dword v1, off, s[0:3], 0 offset:80
	;; [unrolled: 1-line block ×4, first 2 shown]
.LBB9_111:
	s_or_b32 exec_lo, exec_lo, s4
	v_mov_b32_e32 v4, s11
	s_mov_b32 s4, exec_lo
	s_clause 0x3
	buffer_load_dword v1, v4, s[0:3], 0 offen
	buffer_load_dword v2, v4, s[0:3], 0 offen offset:4
	buffer_load_dword v3, v4, s[0:3], 0 offen offset:8
	;; [unrolled: 1-line block ×3, first 2 shown]
	s_waitcnt vmcnt(0)
	ds_write_b128 v26, v[1:4]
	s_waitcnt lgkmcnt(0)
	s_waitcnt_vscnt null, 0x0
	s_barrier
	buffer_gl0_inv
	v_cmpx_gt_u32_e32 6, v0
	s_cbranch_execz .LBB9_119
; %bb.112:
	ds_read_b128 v[1:4], v26
	v_cmp_ne_u32_e32 vcc_lo, 1, v27
	s_cbranch_vccnz .LBB9_114
; %bb.113:
	s_clause 0x3
	buffer_load_dword v28, v25, s[0:3], 0 offen offset:8
	buffer_load_dword v29, v25, s[0:3], 0 offen offset:12
	buffer_load_dword v32, v25, s[0:3], 0 offen
	buffer_load_dword v33, v25, s[0:3], 0 offen offset:4
	s_waitcnt vmcnt(2) lgkmcnt(0)
	v_mul_f64 v[34:35], v[3:4], v[28:29]
	v_mul_f64 v[28:29], v[1:2], v[28:29]
	s_waitcnt vmcnt(0)
	v_fma_f64 v[1:2], v[1:2], v[32:33], -v[34:35]
	v_fma_f64 v[3:4], v[3:4], v[32:33], v[28:29]
.LBB9_114:
	s_mov_b32 s6, exec_lo
	v_cmpx_ne_u32_e32 5, v0
	s_cbranch_execz .LBB9_118
; %bb.115:
	v_add_nc_u32_e32 v28, 0xb0, v31
	v_add3_u32 v29, 0, v31, 16
	v_mov_b32_e32 v30, v0
	s_mov_b32 s8, 0
	.p2align	6
.LBB9_116:                              ; =>This Inner Loop Header: Depth=1
	s_clause 0x3
	buffer_load_dword v36, v29, s[0:3], 0 offen offset:8
	buffer_load_dword v37, v29, s[0:3], 0 offen offset:12
	buffer_load_dword v38, v29, s[0:3], 0 offen
	buffer_load_dword v39, v29, s[0:3], 0 offen offset:4
	ds_read_b128 v[32:35], v28
	v_add_nc_u32_e32 v30, 1, v30
	v_add_nc_u32_e32 v28, 16, v28
	;; [unrolled: 1-line block ×3, first 2 shown]
	v_cmp_lt_u32_e32 vcc_lo, 4, v30
	s_or_b32 s8, vcc_lo, s8
	s_waitcnt vmcnt(2) lgkmcnt(0)
	v_mul_f64 v[40:41], v[34:35], v[36:37]
	v_mul_f64 v[36:37], v[32:33], v[36:37]
	s_waitcnt vmcnt(0)
	v_fma_f64 v[32:33], v[32:33], v[38:39], -v[40:41]
	v_fma_f64 v[34:35], v[34:35], v[38:39], v[36:37]
	v_add_f64 v[1:2], v[1:2], v[32:33]
	v_add_f64 v[3:4], v[3:4], v[34:35]
	s_andn2_b32 exec_lo, exec_lo, s8
	s_cbranch_execnz .LBB9_116
; %bb.117:
	s_or_b32 exec_lo, exec_lo, s8
.LBB9_118:
	s_or_b32 exec_lo, exec_lo, s6
	v_mov_b32_e32 v28, 0
	ds_read_b128 v[32:35], v28 offset:96
	s_waitcnt lgkmcnt(0)
	v_mul_f64 v[28:29], v[3:4], v[34:35]
	v_mul_f64 v[34:35], v[1:2], v[34:35]
	v_fma_f64 v[1:2], v[1:2], v[32:33], -v[28:29]
	v_fma_f64 v[3:4], v[3:4], v[32:33], v[34:35]
	buffer_store_dword v2, off, s[0:3], 0 offset:100
	buffer_store_dword v1, off, s[0:3], 0 offset:96
	;; [unrolled: 1-line block ×4, first 2 shown]
.LBB9_119:
	s_or_b32 exec_lo, exec_lo, s4
	v_mov_b32_e32 v4, s10
	s_mov_b32 s4, exec_lo
	s_clause 0x3
	buffer_load_dword v1, v4, s[0:3], 0 offen
	buffer_load_dword v2, v4, s[0:3], 0 offen offset:4
	buffer_load_dword v3, v4, s[0:3], 0 offen offset:8
	;; [unrolled: 1-line block ×3, first 2 shown]
	s_waitcnt vmcnt(0)
	ds_write_b128 v26, v[1:4]
	s_waitcnt lgkmcnt(0)
	s_waitcnt_vscnt null, 0x0
	s_barrier
	buffer_gl0_inv
	v_cmpx_gt_u32_e32 7, v0
	s_cbranch_execz .LBB9_127
; %bb.120:
	ds_read_b128 v[1:4], v26
	v_cmp_ne_u32_e32 vcc_lo, 1, v27
	s_cbranch_vccnz .LBB9_122
; %bb.121:
	s_clause 0x3
	buffer_load_dword v28, v25, s[0:3], 0 offen offset:8
	buffer_load_dword v29, v25, s[0:3], 0 offen offset:12
	buffer_load_dword v32, v25, s[0:3], 0 offen
	buffer_load_dword v33, v25, s[0:3], 0 offen offset:4
	s_waitcnt vmcnt(2) lgkmcnt(0)
	v_mul_f64 v[34:35], v[3:4], v[28:29]
	v_mul_f64 v[28:29], v[1:2], v[28:29]
	s_waitcnt vmcnt(0)
	v_fma_f64 v[1:2], v[1:2], v[32:33], -v[34:35]
	v_fma_f64 v[3:4], v[3:4], v[32:33], v[28:29]
.LBB9_122:
	s_mov_b32 s6, exec_lo
	v_cmpx_ne_u32_e32 6, v0
	s_cbranch_execz .LBB9_126
; %bb.123:
	v_add_nc_u32_e32 v28, 0xb0, v31
	v_add3_u32 v29, 0, v31, 16
	v_mov_b32_e32 v30, v0
	s_mov_b32 s8, 0
	.p2align	6
.LBB9_124:                              ; =>This Inner Loop Header: Depth=1
	s_clause 0x3
	buffer_load_dword v36, v29, s[0:3], 0 offen offset:8
	buffer_load_dword v37, v29, s[0:3], 0 offen offset:12
	buffer_load_dword v38, v29, s[0:3], 0 offen
	buffer_load_dword v39, v29, s[0:3], 0 offen offset:4
	ds_read_b128 v[32:35], v28
	v_add_nc_u32_e32 v30, 1, v30
	v_add_nc_u32_e32 v28, 16, v28
	;; [unrolled: 1-line block ×3, first 2 shown]
	v_cmp_lt_u32_e32 vcc_lo, 5, v30
	s_or_b32 s8, vcc_lo, s8
	s_waitcnt vmcnt(2) lgkmcnt(0)
	v_mul_f64 v[40:41], v[34:35], v[36:37]
	v_mul_f64 v[36:37], v[32:33], v[36:37]
	s_waitcnt vmcnt(0)
	v_fma_f64 v[32:33], v[32:33], v[38:39], -v[40:41]
	v_fma_f64 v[34:35], v[34:35], v[38:39], v[36:37]
	v_add_f64 v[1:2], v[1:2], v[32:33]
	v_add_f64 v[3:4], v[3:4], v[34:35]
	s_andn2_b32 exec_lo, exec_lo, s8
	s_cbranch_execnz .LBB9_124
; %bb.125:
	s_or_b32 exec_lo, exec_lo, s8
.LBB9_126:
	s_or_b32 exec_lo, exec_lo, s6
	v_mov_b32_e32 v28, 0
	ds_read_b128 v[32:35], v28 offset:112
	s_waitcnt lgkmcnt(0)
	v_mul_f64 v[28:29], v[3:4], v[34:35]
	v_mul_f64 v[34:35], v[1:2], v[34:35]
	v_fma_f64 v[1:2], v[1:2], v[32:33], -v[28:29]
	v_fma_f64 v[3:4], v[3:4], v[32:33], v[34:35]
	buffer_store_dword v2, off, s[0:3], 0 offset:116
	buffer_store_dword v1, off, s[0:3], 0 offset:112
	;; [unrolled: 1-line block ×4, first 2 shown]
.LBB9_127:
	s_or_b32 exec_lo, exec_lo, s4
	v_mov_b32_e32 v4, s9
	v_cmp_gt_u32_e64 s4, 8, v0
	s_clause 0x3
	buffer_load_dword v1, v4, s[0:3], 0 offen
	buffer_load_dword v2, v4, s[0:3], 0 offen offset:4
	buffer_load_dword v3, v4, s[0:3], 0 offen offset:8
	;; [unrolled: 1-line block ×3, first 2 shown]
	s_waitcnt vmcnt(0)
	ds_write_b128 v26, v[1:4]
	s_waitcnt lgkmcnt(0)
	s_waitcnt_vscnt null, 0x0
	s_barrier
	buffer_gl0_inv
	s_and_saveexec_b32 s6, s4
	s_cbranch_execz .LBB9_135
; %bb.128:
	ds_read_b128 v[1:4], v26
	v_cmp_ne_u32_e32 vcc_lo, 1, v27
	s_cbranch_vccnz .LBB9_130
; %bb.129:
	s_clause 0x3
	buffer_load_dword v28, v25, s[0:3], 0 offen offset:8
	buffer_load_dword v29, v25, s[0:3], 0 offen offset:12
	buffer_load_dword v32, v25, s[0:3], 0 offen
	buffer_load_dword v33, v25, s[0:3], 0 offen offset:4
	s_waitcnt vmcnt(2) lgkmcnt(0)
	v_mul_f64 v[34:35], v[3:4], v[28:29]
	v_mul_f64 v[28:29], v[1:2], v[28:29]
	s_waitcnt vmcnt(0)
	v_fma_f64 v[1:2], v[1:2], v[32:33], -v[34:35]
	v_fma_f64 v[3:4], v[3:4], v[32:33], v[28:29]
.LBB9_130:
	s_mov_b32 s8, exec_lo
	v_cmpx_ne_u32_e32 7, v0
	s_cbranch_execz .LBB9_134
; %bb.131:
	v_add_nc_u32_e32 v28, 0xb0, v31
	v_add3_u32 v29, 0, v31, 16
	v_mov_b32_e32 v30, v0
	s_mov_b32 s17, 0
	.p2align	6
.LBB9_132:                              ; =>This Inner Loop Header: Depth=1
	s_clause 0x3
	buffer_load_dword v36, v29, s[0:3], 0 offen offset:8
	buffer_load_dword v37, v29, s[0:3], 0 offen offset:12
	buffer_load_dword v38, v29, s[0:3], 0 offen
	buffer_load_dword v39, v29, s[0:3], 0 offen offset:4
	ds_read_b128 v[32:35], v28
	v_add_nc_u32_e32 v30, 1, v30
	v_add_nc_u32_e32 v28, 16, v28
	;; [unrolled: 1-line block ×3, first 2 shown]
	v_cmp_lt_u32_e32 vcc_lo, 6, v30
	s_or_b32 s17, vcc_lo, s17
	s_waitcnt vmcnt(2) lgkmcnt(0)
	v_mul_f64 v[40:41], v[34:35], v[36:37]
	v_mul_f64 v[36:37], v[32:33], v[36:37]
	s_waitcnt vmcnt(0)
	v_fma_f64 v[32:33], v[32:33], v[38:39], -v[40:41]
	v_fma_f64 v[34:35], v[34:35], v[38:39], v[36:37]
	v_add_f64 v[1:2], v[1:2], v[32:33]
	v_add_f64 v[3:4], v[3:4], v[34:35]
	s_andn2_b32 exec_lo, exec_lo, s17
	s_cbranch_execnz .LBB9_132
; %bb.133:
	s_or_b32 exec_lo, exec_lo, s17
.LBB9_134:
	s_or_b32 exec_lo, exec_lo, s8
	v_mov_b32_e32 v28, 0
	ds_read_b128 v[32:35], v28 offset:128
	s_waitcnt lgkmcnt(0)
	v_mul_f64 v[28:29], v[3:4], v[34:35]
	v_mul_f64 v[34:35], v[1:2], v[34:35]
	v_fma_f64 v[1:2], v[1:2], v[32:33], -v[28:29]
	v_fma_f64 v[3:4], v[3:4], v[32:33], v[34:35]
	buffer_store_dword v2, off, s[0:3], 0 offset:132
	buffer_store_dword v1, off, s[0:3], 0 offset:128
	;; [unrolled: 1-line block ×4, first 2 shown]
.LBB9_135:
	s_or_b32 exec_lo, exec_lo, s6
	v_mov_b32_e32 v4, s7
	s_mov_b32 s6, exec_lo
                                        ; implicit-def: $sgpr18
	s_clause 0x3
	buffer_load_dword v1, v4, s[0:3], 0 offen
	buffer_load_dword v2, v4, s[0:3], 0 offen offset:4
	buffer_load_dword v3, v4, s[0:3], 0 offen offset:8
	;; [unrolled: 1-line block ×3, first 2 shown]
	s_waitcnt vmcnt(0)
	ds_write_b128 v26, v[1:4]
	s_waitcnt lgkmcnt(0)
	s_waitcnt_vscnt null, 0x0
	s_barrier
	buffer_gl0_inv
                                        ; implicit-def: $vgpr1_vgpr2
	v_cmpx_ne_u32_e32 9, v0
	s_cbranch_execz .LBB9_143
; %bb.136:
	ds_read_b128 v[1:4], v26
	v_cmp_ne_u32_e32 vcc_lo, 1, v27
	s_cbranch_vccnz .LBB9_138
; %bb.137:
	s_clause 0x3
	buffer_load_dword v26, v25, s[0:3], 0 offen offset:8
	buffer_load_dword v27, v25, s[0:3], 0 offen offset:12
	buffer_load_dword v28, v25, s[0:3], 0 offen
	buffer_load_dword v29, v25, s[0:3], 0 offen offset:4
	s_waitcnt vmcnt(2) lgkmcnt(0)
	v_mul_f64 v[32:33], v[3:4], v[26:27]
	v_mul_f64 v[25:26], v[1:2], v[26:27]
	s_waitcnt vmcnt(0)
	v_fma_f64 v[1:2], v[1:2], v[28:29], -v[32:33]
	v_fma_f64 v[3:4], v[3:4], v[28:29], v[25:26]
.LBB9_138:
	s_and_saveexec_b32 s8, s4
	s_cbranch_execz .LBB9_142
; %bb.139:
	v_add_nc_u32_e32 v25, 0xb0, v31
	v_add3_u32 v26, 0, v31, 16
	s_mov_b32 s4, 0
	.p2align	6
.LBB9_140:                              ; =>This Inner Loop Header: Depth=1
	s_clause 0x3
	buffer_load_dword v31, v26, s[0:3], 0 offen offset:8
	buffer_load_dword v32, v26, s[0:3], 0 offen offset:12
	buffer_load_dword v33, v26, s[0:3], 0 offen
	buffer_load_dword v34, v26, s[0:3], 0 offen offset:4
	ds_read_b128 v[27:30], v25
	v_add_nc_u32_e32 v0, 1, v0
	v_add_nc_u32_e32 v25, 16, v25
	;; [unrolled: 1-line block ×3, first 2 shown]
	v_cmp_lt_u32_e32 vcc_lo, 7, v0
	s_or_b32 s4, vcc_lo, s4
	s_waitcnt vmcnt(2) lgkmcnt(0)
	v_mul_f64 v[35:36], v[29:30], v[31:32]
	v_mul_f64 v[31:32], v[27:28], v[31:32]
	s_waitcnt vmcnt(0)
	v_fma_f64 v[27:28], v[27:28], v[33:34], -v[35:36]
	v_fma_f64 v[29:30], v[29:30], v[33:34], v[31:32]
	v_add_f64 v[1:2], v[1:2], v[27:28]
	v_add_f64 v[3:4], v[3:4], v[29:30]
	s_andn2_b32 exec_lo, exec_lo, s4
	s_cbranch_execnz .LBB9_140
; %bb.141:
	s_or_b32 exec_lo, exec_lo, s4
.LBB9_142:
	s_or_b32 exec_lo, exec_lo, s8
	v_mov_b32_e32 v0, 0
	s_movk_i32 s18, 0x98
	s_or_b32 s5, s5, exec_lo
	ds_read_b128 v[25:28], v0 offset:144
	s_waitcnt lgkmcnt(0)
	v_mul_f64 v[29:30], v[3:4], v[27:28]
	v_mul_f64 v[27:28], v[1:2], v[27:28]
	v_fma_f64 v[29:30], v[1:2], v[25:26], -v[29:30]
	v_fma_f64 v[1:2], v[3:4], v[25:26], v[27:28]
	buffer_store_dword v30, off, s[0:3], 0 offset:148
	buffer_store_dword v29, off, s[0:3], 0 offset:144
.LBB9_143:
	s_or_b32 exec_lo, exec_lo, s6
.LBB9_144:
	s_and_saveexec_b32 s4, s5
	s_cbranch_execz .LBB9_146
; %bb.145:
	v_mov_b32_e32 v0, s18
	buffer_store_dword v2, v0, s[0:3], 0 offen offset:4
	buffer_store_dword v1, v0, s[0:3], 0 offen
.LBB9_146:
	s_or_b32 exec_lo, exec_lo, s4
	v_mov_b32_e32 v3, s16
	v_mov_b32_e32 v32, s13
	;; [unrolled: 1-line block ×9, first 2 shown]
	s_clause 0x27
	buffer_load_dword v0, v3, s[0:3], 0 offen
	buffer_load_dword v1, v3, s[0:3], 0 offen offset:4
	buffer_load_dword v2, v3, s[0:3], 0 offen offset:8
	buffer_load_dword v3, v3, s[0:3], 0 offen offset:12
	buffer_load_dword v25, v28, s[0:3], 0 offen
	buffer_load_dword v26, v28, s[0:3], 0 offen offset:4
	buffer_load_dword v27, v28, s[0:3], 0 offen offset:8
	buffer_load_dword v28, v28, s[0:3], 0 offen offset:12
	;; [unrolled: 4-line block ×9, first 2 shown]
	buffer_load_dword v57, off, s[0:3], 0
	buffer_load_dword v58, off, s[0:3], 0 offset:4
	buffer_load_dword v59, off, s[0:3], 0 offset:8
	;; [unrolled: 1-line block ×3, first 2 shown]
	s_waitcnt vmcnt(0)
	global_store_dwordx4 v[5:6], v[57:60], off
	global_store_dwordx4 v[9:10], v[53:56], off
	;; [unrolled: 1-line block ×10, first 2 shown]
.LBB9_147:
	s_endpgm
	.section	.rodata,"a",@progbits
	.p2align	6, 0x0
	.amdhsa_kernel _ZN9rocsolver6v33100L18trti2_kernel_smallILi10E19rocblas_complex_numIdEPS3_EEv13rocblas_fill_17rocblas_diagonal_T1_iil
		.amdhsa_group_segment_fixed_size 320
		.amdhsa_private_segment_fixed_size 176
		.amdhsa_kernarg_size 32
		.amdhsa_user_sgpr_count 6
		.amdhsa_user_sgpr_private_segment_buffer 1
		.amdhsa_user_sgpr_dispatch_ptr 0
		.amdhsa_user_sgpr_queue_ptr 0
		.amdhsa_user_sgpr_kernarg_segment_ptr 1
		.amdhsa_user_sgpr_dispatch_id 0
		.amdhsa_user_sgpr_flat_scratch_init 0
		.amdhsa_user_sgpr_private_segment_size 0
		.amdhsa_wavefront_size32 1
		.amdhsa_uses_dynamic_stack 0
		.amdhsa_system_sgpr_private_segment_wavefront_offset 1
		.amdhsa_system_sgpr_workgroup_id_x 1
		.amdhsa_system_sgpr_workgroup_id_y 0
		.amdhsa_system_sgpr_workgroup_id_z 0
		.amdhsa_system_sgpr_workgroup_info 0
		.amdhsa_system_vgpr_workitem_id 0
		.amdhsa_next_free_vgpr 61
		.amdhsa_next_free_sgpr 20
		.amdhsa_reserve_vcc 1
		.amdhsa_reserve_flat_scratch 0
		.amdhsa_float_round_mode_32 0
		.amdhsa_float_round_mode_16_64 0
		.amdhsa_float_denorm_mode_32 3
		.amdhsa_float_denorm_mode_16_64 3
		.amdhsa_dx10_clamp 1
		.amdhsa_ieee_mode 1
		.amdhsa_fp16_overflow 0
		.amdhsa_workgroup_processor_mode 1
		.amdhsa_memory_ordered 1
		.amdhsa_forward_progress 1
		.amdhsa_shared_vgpr_count 0
		.amdhsa_exception_fp_ieee_invalid_op 0
		.amdhsa_exception_fp_denorm_src 0
		.amdhsa_exception_fp_ieee_div_zero 0
		.amdhsa_exception_fp_ieee_overflow 0
		.amdhsa_exception_fp_ieee_underflow 0
		.amdhsa_exception_fp_ieee_inexact 0
		.amdhsa_exception_int_div_zero 0
	.end_amdhsa_kernel
	.section	.text._ZN9rocsolver6v33100L18trti2_kernel_smallILi10E19rocblas_complex_numIdEPS3_EEv13rocblas_fill_17rocblas_diagonal_T1_iil,"axG",@progbits,_ZN9rocsolver6v33100L18trti2_kernel_smallILi10E19rocblas_complex_numIdEPS3_EEv13rocblas_fill_17rocblas_diagonal_T1_iil,comdat
.Lfunc_end9:
	.size	_ZN9rocsolver6v33100L18trti2_kernel_smallILi10E19rocblas_complex_numIdEPS3_EEv13rocblas_fill_17rocblas_diagonal_T1_iil, .Lfunc_end9-_ZN9rocsolver6v33100L18trti2_kernel_smallILi10E19rocblas_complex_numIdEPS3_EEv13rocblas_fill_17rocblas_diagonal_T1_iil
                                        ; -- End function
	.set _ZN9rocsolver6v33100L18trti2_kernel_smallILi10E19rocblas_complex_numIdEPS3_EEv13rocblas_fill_17rocblas_diagonal_T1_iil.num_vgpr, 61
	.set _ZN9rocsolver6v33100L18trti2_kernel_smallILi10E19rocblas_complex_numIdEPS3_EEv13rocblas_fill_17rocblas_diagonal_T1_iil.num_agpr, 0
	.set _ZN9rocsolver6v33100L18trti2_kernel_smallILi10E19rocblas_complex_numIdEPS3_EEv13rocblas_fill_17rocblas_diagonal_T1_iil.numbered_sgpr, 20
	.set _ZN9rocsolver6v33100L18trti2_kernel_smallILi10E19rocblas_complex_numIdEPS3_EEv13rocblas_fill_17rocblas_diagonal_T1_iil.num_named_barrier, 0
	.set _ZN9rocsolver6v33100L18trti2_kernel_smallILi10E19rocblas_complex_numIdEPS3_EEv13rocblas_fill_17rocblas_diagonal_T1_iil.private_seg_size, 176
	.set _ZN9rocsolver6v33100L18trti2_kernel_smallILi10E19rocblas_complex_numIdEPS3_EEv13rocblas_fill_17rocblas_diagonal_T1_iil.uses_vcc, 1
	.set _ZN9rocsolver6v33100L18trti2_kernel_smallILi10E19rocblas_complex_numIdEPS3_EEv13rocblas_fill_17rocblas_diagonal_T1_iil.uses_flat_scratch, 0
	.set _ZN9rocsolver6v33100L18trti2_kernel_smallILi10E19rocblas_complex_numIdEPS3_EEv13rocblas_fill_17rocblas_diagonal_T1_iil.has_dyn_sized_stack, 0
	.set _ZN9rocsolver6v33100L18trti2_kernel_smallILi10E19rocblas_complex_numIdEPS3_EEv13rocblas_fill_17rocblas_diagonal_T1_iil.has_recursion, 0
	.set _ZN9rocsolver6v33100L18trti2_kernel_smallILi10E19rocblas_complex_numIdEPS3_EEv13rocblas_fill_17rocblas_diagonal_T1_iil.has_indirect_call, 0
	.section	.AMDGPU.csdata,"",@progbits
; Kernel info:
; codeLenInByte = 9588
; TotalNumSgprs: 22
; NumVgprs: 61
; ScratchSize: 176
; MemoryBound: 0
; FloatMode: 240
; IeeeMode: 1
; LDSByteSize: 320 bytes/workgroup (compile time only)
; SGPRBlocks: 0
; VGPRBlocks: 7
; NumSGPRsForWavesPerEU: 22
; NumVGPRsForWavesPerEU: 61
; Occupancy: 16
; WaveLimiterHint : 0
; COMPUTE_PGM_RSRC2:SCRATCH_EN: 1
; COMPUTE_PGM_RSRC2:USER_SGPR: 6
; COMPUTE_PGM_RSRC2:TRAP_HANDLER: 0
; COMPUTE_PGM_RSRC2:TGID_X_EN: 1
; COMPUTE_PGM_RSRC2:TGID_Y_EN: 0
; COMPUTE_PGM_RSRC2:TGID_Z_EN: 0
; COMPUTE_PGM_RSRC2:TIDIG_COMP_CNT: 0
	.section	.text._ZN9rocsolver6v33100L18trti2_kernel_smallILi11E19rocblas_complex_numIdEPS3_EEv13rocblas_fill_17rocblas_diagonal_T1_iil,"axG",@progbits,_ZN9rocsolver6v33100L18trti2_kernel_smallILi11E19rocblas_complex_numIdEPS3_EEv13rocblas_fill_17rocblas_diagonal_T1_iil,comdat
	.globl	_ZN9rocsolver6v33100L18trti2_kernel_smallILi11E19rocblas_complex_numIdEPS3_EEv13rocblas_fill_17rocblas_diagonal_T1_iil ; -- Begin function _ZN9rocsolver6v33100L18trti2_kernel_smallILi11E19rocblas_complex_numIdEPS3_EEv13rocblas_fill_17rocblas_diagonal_T1_iil
	.p2align	8
	.type	_ZN9rocsolver6v33100L18trti2_kernel_smallILi11E19rocblas_complex_numIdEPS3_EEv13rocblas_fill_17rocblas_diagonal_T1_iil,@function
_ZN9rocsolver6v33100L18trti2_kernel_smallILi11E19rocblas_complex_numIdEPS3_EEv13rocblas_fill_17rocblas_diagonal_T1_iil: ; @_ZN9rocsolver6v33100L18trti2_kernel_smallILi11E19rocblas_complex_numIdEPS3_EEv13rocblas_fill_17rocblas_diagonal_T1_iil
; %bb.0:
	s_add_u32 s0, s0, s7
	s_addc_u32 s1, s1, 0
	s_mov_b32 s7, exec_lo
	v_cmpx_gt_u32_e32 11, v0
	s_cbranch_execz .LBB10_163
; %bb.1:
	s_load_dwordx8 s[8:15], s[4:5], 0x0
	s_ashr_i32 s4, s6, 31
	v_lshlrev_b32_e32 v33, 4, v0
	s_movk_i32 s18, 0x90
	s_movk_i32 s19, 0xa0
	s_waitcnt lgkmcnt(0)
	s_mul_hi_u32 s5, s14, s6
	s_mul_i32 s4, s14, s4
	s_mul_i32 s7, s15, s6
	s_add_i32 s5, s5, s4
	s_mul_i32 s4, s14, s6
	s_add_i32 s5, s5, s7
	s_ashr_i32 s7, s12, 31
	s_lshl_b64 s[4:5], s[4:5], 4
	s_mov_b32 s6, s12
	s_add_u32 s10, s10, s4
	s_addc_u32 s11, s11, s5
	s_lshl_b64 s[4:5], s[6:7], 4
	s_mov_b32 s6, s13
	s_add_u32 s4, s10, s4
	s_addc_u32 s5, s11, s5
	v_add_co_u32 v7, s10, s4, v33
	s_ashr_i32 s7, s13, 31
	v_add_co_ci_u32_e64 v8, null, s5, 0, s10
	s_lshl_b64 s[6:7], s[6:7], 4
	global_load_dwordx4 v[1:4], v33, s[4:5]
	v_add_co_u32 v5, vcc_lo, v7, s6
	v_add_co_ci_u32_e64 v6, null, s7, v8, vcc_lo
	v_add3_u32 v9, s13, s13, v0
	s_cmpk_lg_i32 s9, 0x84
	s_movk_i32 s6, 0x70
	global_load_dwordx4 v[27:30], v[5:6], off
	s_movk_i32 s7, 0x80
	v_add_nc_u32_e32 v11, s13, v9
	v_ashrrev_i32_e32 v10, 31, v9
	s_cselect_b32 s17, -1, 0
	s_cmpk_eq_i32 s9, 0x84
	v_add_nc_u32_e32 v13, s13, v11
	v_ashrrev_i32_e32 v12, 31, v11
	v_lshlrev_b64 v[9:10], 4, v[9:10]
	v_add_nc_u32_e32 v15, s13, v13
	v_ashrrev_i32_e32 v14, 31, v13
	v_lshlrev_b64 v[11:12], 4, v[11:12]
	v_add_co_u32 v9, vcc_lo, s4, v9
	v_add_nc_u32_e32 v17, s13, v15
	v_ashrrev_i32_e32 v16, 31, v15
	v_lshlrev_b64 v[13:14], 4, v[13:14]
	v_add_co_ci_u32_e64 v10, null, s5, v10, vcc_lo
	v_ashrrev_i32_e32 v18, 31, v17
	v_lshlrev_b64 v[15:16], 4, v[15:16]
	v_add_co_u32 v11, vcc_lo, s4, v11
	v_add_nc_u32_e32 v19, s13, v17
	v_lshlrev_b64 v[17:18], 4, v[17:18]
	v_add_co_ci_u32_e64 v12, null, s5, v12, vcc_lo
	v_add_co_u32 v13, vcc_lo, s4, v13
	v_add_co_ci_u32_e64 v14, null, s5, v14, vcc_lo
	v_add_co_u32 v15, vcc_lo, s4, v15
	;; [unrolled: 2-line block ×3, first 2 shown]
	v_add_co_ci_u32_e64 v18, null, s5, v18, vcc_lo
	v_add_nc_u32_e32 v21, s13, v19
	s_clause 0x4
	global_load_dwordx4 v[34:37], v[9:10], off
	global_load_dwordx4 v[38:41], v[11:12], off
	;; [unrolled: 1-line block ×5, first 2 shown]
	v_ashrrev_i32_e32 v20, 31, v19
	v_add_nc_u32_e32 v23, s13, v21
	v_ashrrev_i32_e32 v22, 31, v21
	v_lshlrev_b64 v[19:20], 4, v[19:20]
	v_add_nc_u32_e32 v25, s13, v23
	v_ashrrev_i32_e32 v24, 31, v23
	v_lshlrev_b64 v[21:22], 4, v[21:22]
	v_add_co_u32 v19, vcc_lo, s4, v19
	v_ashrrev_i32_e32 v26, 31, v25
	v_add_co_ci_u32_e64 v20, null, s5, v20, vcc_lo
	v_lshlrev_b64 v[23:24], 4, v[23:24]
	v_add_co_u32 v21, vcc_lo, s4, v21
	v_add_co_ci_u32_e64 v22, null, s5, v22, vcc_lo
	v_lshlrev_b64 v[31:32], 4, v[25:26]
	global_load_dwordx4 v[54:57], v[19:20], off
	v_add_co_u32 v25, vcc_lo, s4, v23
	v_add_co_ci_u32_e64 v26, null, s5, v24, vcc_lo
	global_load_dwordx4 v[58:61], v[21:22], off
	v_add_co_u32 v23, vcc_lo, s4, v31
	v_add_co_ci_u32_e64 v24, null, s5, v32, vcc_lo
	s_movk_i32 s4, 0x50
	s_movk_i32 s5, 0x60
	s_waitcnt vmcnt(8)
	buffer_store_dword v4, off, s[0:3], 0 offset:12
	buffer_store_dword v3, off, s[0:3], 0 offset:8
	;; [unrolled: 1-line block ×3, first 2 shown]
	buffer_store_dword v1, off, s[0:3], 0
	global_load_dwordx4 v[1:4], v[25:26], off
	s_waitcnt vmcnt(8)
	buffer_store_dword v30, off, s[0:3], 0 offset:28
	buffer_store_dword v29, off, s[0:3], 0 offset:24
	;; [unrolled: 1-line block ×4, first 2 shown]
	global_load_dwordx4 v[27:30], v[23:24], off
	s_waitcnt vmcnt(8)
	buffer_store_dword v37, off, s[0:3], 0 offset:44
	buffer_store_dword v36, off, s[0:3], 0 offset:40
	buffer_store_dword v35, off, s[0:3], 0 offset:36
	buffer_store_dword v34, off, s[0:3], 0 offset:32
	s_waitcnt vmcnt(7)
	buffer_store_dword v41, off, s[0:3], 0 offset:60
	buffer_store_dword v40, off, s[0:3], 0 offset:56
	buffer_store_dword v39, off, s[0:3], 0 offset:52
	buffer_store_dword v38, off, s[0:3], 0 offset:48
	;; [unrolled: 5-line block ×9, first 2 shown]
	s_cbranch_scc1 .LBB10_7
; %bb.2:
	v_lshl_add_u32 v34, v0, 4, 0
                                        ; implicit-def: $vgpr29_vgpr30
                                        ; implicit-def: $vgpr3_vgpr4
	s_clause 0x3
	buffer_load_dword v27, v34, s[0:3], 0 offen
	buffer_load_dword v28, v34, s[0:3], 0 offen offset:4
	buffer_load_dword v31, v34, s[0:3], 0 offen offset:8
	buffer_load_dword v32, v34, s[0:3], 0 offen offset:12
	s_waitcnt vmcnt(0)
	v_cmp_ngt_f64_e64 s9, |v[27:28]|, |v[31:32]|
	s_and_saveexec_b32 s10, s9
	s_xor_b32 s9, exec_lo, s10
	s_cbranch_execz .LBB10_4
; %bb.3:
	v_div_scale_f64 v[1:2], null, v[31:32], v[31:32], v[27:28]
	v_div_scale_f64 v[35:36], vcc_lo, v[27:28], v[31:32], v[27:28]
	v_rcp_f64_e32 v[3:4], v[1:2]
	v_fma_f64 v[29:30], -v[1:2], v[3:4], 1.0
	v_fma_f64 v[3:4], v[3:4], v[29:30], v[3:4]
	v_fma_f64 v[29:30], -v[1:2], v[3:4], 1.0
	v_fma_f64 v[3:4], v[3:4], v[29:30], v[3:4]
	v_mul_f64 v[29:30], v[35:36], v[3:4]
	v_fma_f64 v[1:2], -v[1:2], v[29:30], v[35:36]
	v_div_fmas_f64 v[1:2], v[1:2], v[3:4], v[29:30]
	v_div_fixup_f64 v[1:2], v[1:2], v[31:32], v[27:28]
	v_fma_f64 v[3:4], v[27:28], v[1:2], v[31:32]
	v_div_scale_f64 v[27:28], null, v[3:4], v[3:4], 1.0
	v_div_scale_f64 v[35:36], vcc_lo, 1.0, v[3:4], 1.0
	v_rcp_f64_e32 v[29:30], v[27:28]
	v_fma_f64 v[31:32], -v[27:28], v[29:30], 1.0
	v_fma_f64 v[29:30], v[29:30], v[31:32], v[29:30]
	v_fma_f64 v[31:32], -v[27:28], v[29:30], 1.0
	v_fma_f64 v[29:30], v[29:30], v[31:32], v[29:30]
	v_mul_f64 v[31:32], v[35:36], v[29:30]
	v_fma_f64 v[27:28], -v[27:28], v[31:32], v[35:36]
	v_div_fmas_f64 v[27:28], v[27:28], v[29:30], v[31:32]
                                        ; implicit-def: $vgpr31_vgpr32
	v_div_fixup_f64 v[3:4], v[27:28], v[3:4], 1.0
                                        ; implicit-def: $vgpr27_vgpr28
	v_mul_f64 v[29:30], v[1:2], v[3:4]
	v_xor_b32_e32 v4, 0x80000000, v4
	v_xor_b32_e32 v2, 0x80000000, v30
	v_mov_b32_e32 v1, v29
.LBB10_4:
	s_andn2_saveexec_b32 s9, s9
	s_cbranch_execz .LBB10_6
; %bb.5:
	v_div_scale_f64 v[1:2], null, v[27:28], v[27:28], v[31:32]
	v_div_scale_f64 v[35:36], vcc_lo, v[31:32], v[27:28], v[31:32]
	v_rcp_f64_e32 v[3:4], v[1:2]
	v_fma_f64 v[29:30], -v[1:2], v[3:4], 1.0
	v_fma_f64 v[3:4], v[3:4], v[29:30], v[3:4]
	v_fma_f64 v[29:30], -v[1:2], v[3:4], 1.0
	v_fma_f64 v[3:4], v[3:4], v[29:30], v[3:4]
	v_mul_f64 v[29:30], v[35:36], v[3:4]
	v_fma_f64 v[1:2], -v[1:2], v[29:30], v[35:36]
	v_div_fmas_f64 v[1:2], v[1:2], v[3:4], v[29:30]
	v_div_fixup_f64 v[1:2], v[1:2], v[27:28], v[31:32]
	v_fma_f64 v[3:4], v[31:32], v[1:2], v[27:28]
	v_div_scale_f64 v[27:28], null, v[3:4], v[3:4], 1.0
	v_rcp_f64_e32 v[29:30], v[27:28]
	v_fma_f64 v[31:32], -v[27:28], v[29:30], 1.0
	v_fma_f64 v[29:30], v[29:30], v[31:32], v[29:30]
	v_fma_f64 v[31:32], -v[27:28], v[29:30], 1.0
	v_fma_f64 v[29:30], v[29:30], v[31:32], v[29:30]
	v_div_scale_f64 v[31:32], vcc_lo, 1.0, v[3:4], 1.0
	v_mul_f64 v[35:36], v[31:32], v[29:30]
	v_fma_f64 v[27:28], -v[27:28], v[35:36], v[31:32]
	v_div_fmas_f64 v[27:28], v[27:28], v[29:30], v[35:36]
	v_div_fixup_f64 v[29:30], v[27:28], v[3:4], 1.0
	v_mul_f64 v[3:4], v[1:2], -v[29:30]
	v_xor_b32_e32 v2, 0x80000000, v30
	v_mov_b32_e32 v1, v29
.LBB10_6:
	s_or_b32 exec_lo, exec_lo, s9
	buffer_store_dword v4, v34, s[0:3], 0 offen offset:12
	v_xor_b32_e32 v4, 0x80000000, v4
	buffer_store_dword v30, v34, s[0:3], 0 offen offset:4
	buffer_store_dword v29, v34, s[0:3], 0 offen
	buffer_store_dword v3, v34, s[0:3], 0 offen offset:8
	s_branch .LBB10_8
.LBB10_7:
	v_mov_b32_e32 v1, 0
	v_mov_b32_e32 v3, 0
	;; [unrolled: 1-line block ×4, first 2 shown]
.LBB10_8:
	v_add_nc_u32_e32 v28, 0xb0, v33
	v_mov_b32_e32 v27, v33
	s_mov_b32 s16, 16
	s_mov_b32 s15, 32
	;; [unrolled: 1-line block ×10, first 2 shown]
	s_cmpk_eq_i32 s8, 0x79
	ds_write_b128 v33, v[1:4]
	s_cbranch_scc1 .LBB10_84
; %bb.9:
	v_mov_b32_e32 v4, s7
	v_cmp_eq_u32_e64 s4, 10, v0
	s_clause 0x3
	buffer_load_dword v1, v4, s[0:3], 0 offen
	buffer_load_dword v2, v4, s[0:3], 0 offen offset:4
	buffer_load_dword v3, v4, s[0:3], 0 offen offset:8
	;; [unrolled: 1-line block ×3, first 2 shown]
	s_waitcnt vmcnt(0)
	ds_write_b128 v28, v[1:4]
	s_waitcnt lgkmcnt(0)
	s_waitcnt_vscnt null, 0x0
	s_barrier
	buffer_gl0_inv
	s_and_saveexec_b32 s5, s4
	s_cbranch_execz .LBB10_13
; %bb.10:
	ds_read_b128 v[1:4], v28
	s_andn2_b32 vcc_lo, exec_lo, s17
	s_cbranch_vccnz .LBB10_12
; %bb.11:
	s_clause 0x3
	buffer_load_dword v29, v27, s[0:3], 0 offen offset:8
	buffer_load_dword v30, v27, s[0:3], 0 offen offset:12
	buffer_load_dword v31, v27, s[0:3], 0 offen
	buffer_load_dword v32, v27, s[0:3], 0 offen offset:4
	s_waitcnt vmcnt(2) lgkmcnt(0)
	v_mul_f64 v[34:35], v[3:4], v[29:30]
	v_mul_f64 v[29:30], v[1:2], v[29:30]
	s_waitcnt vmcnt(0)
	v_fma_f64 v[1:2], v[1:2], v[31:32], -v[34:35]
	v_fma_f64 v[3:4], v[3:4], v[31:32], v[29:30]
.LBB10_12:
	v_mov_b32_e32 v29, 0
	ds_read_b128 v[29:32], v29 offset:144
	s_waitcnt lgkmcnt(0)
	v_mul_f64 v[34:35], v[3:4], v[31:32]
	v_mul_f64 v[31:32], v[1:2], v[31:32]
	v_fma_f64 v[1:2], v[1:2], v[29:30], -v[34:35]
	v_fma_f64 v[3:4], v[3:4], v[29:30], v[31:32]
	buffer_store_dword v2, off, s[0:3], 0 offset:148
	buffer_store_dword v1, off, s[0:3], 0 offset:144
	;; [unrolled: 1-line block ×4, first 2 shown]
.LBB10_13:
	s_or_b32 exec_lo, exec_lo, s5
	v_mov_b32_e32 v4, s9
	v_cmp_lt_u32_e64 s5, 8, v0
	s_clause 0x3
	buffer_load_dword v1, v4, s[0:3], 0 offen
	buffer_load_dword v2, v4, s[0:3], 0 offen offset:4
	buffer_load_dword v3, v4, s[0:3], 0 offen offset:8
	;; [unrolled: 1-line block ×3, first 2 shown]
	s_waitcnt vmcnt(0)
	ds_write_b128 v28, v[1:4]
	s_waitcnt lgkmcnt(0)
	s_waitcnt_vscnt null, 0x0
	s_barrier
	buffer_gl0_inv
	s_and_saveexec_b32 s8, s5
	s_cbranch_execz .LBB10_19
; %bb.14:
	ds_read_b128 v[1:4], v28
	s_andn2_b32 vcc_lo, exec_lo, s17
	s_cbranch_vccnz .LBB10_16
; %bb.15:
	s_clause 0x3
	buffer_load_dword v29, v27, s[0:3], 0 offen offset:8
	buffer_load_dword v30, v27, s[0:3], 0 offen offset:12
	buffer_load_dword v31, v27, s[0:3], 0 offen
	buffer_load_dword v32, v27, s[0:3], 0 offen offset:4
	s_waitcnt vmcnt(2) lgkmcnt(0)
	v_mul_f64 v[34:35], v[3:4], v[29:30]
	v_mul_f64 v[29:30], v[1:2], v[29:30]
	s_waitcnt vmcnt(0)
	v_fma_f64 v[1:2], v[1:2], v[31:32], -v[34:35]
	v_fma_f64 v[3:4], v[3:4], v[31:32], v[29:30]
.LBB10_16:
	s_and_saveexec_b32 s18, s4
	s_cbranch_execz .LBB10_18
; %bb.17:
	s_clause 0x3
	buffer_load_dword v34, off, s[0:3], 0 offset:152
	buffer_load_dword v35, off, s[0:3], 0 offset:156
	;; [unrolled: 1-line block ×4, first 2 shown]
	v_mov_b32_e32 v29, 0
	ds_read_b128 v[29:32], v29 offset:320
	s_waitcnt vmcnt(2) lgkmcnt(0)
	v_mul_f64 v[38:39], v[29:30], v[34:35]
	v_mul_f64 v[34:35], v[31:32], v[34:35]
	s_waitcnt vmcnt(0)
	v_fma_f64 v[31:32], v[31:32], v[36:37], v[38:39]
	v_fma_f64 v[29:30], v[29:30], v[36:37], -v[34:35]
	v_add_f64 v[3:4], v[3:4], v[31:32]
	v_add_f64 v[1:2], v[1:2], v[29:30]
.LBB10_18:
	s_or_b32 exec_lo, exec_lo, s18
	v_mov_b32_e32 v29, 0
	ds_read_b128 v[29:32], v29 offset:128
	s_waitcnt lgkmcnt(0)
	v_mul_f64 v[34:35], v[3:4], v[31:32]
	v_mul_f64 v[31:32], v[1:2], v[31:32]
	v_fma_f64 v[1:2], v[1:2], v[29:30], -v[34:35]
	v_fma_f64 v[3:4], v[3:4], v[29:30], v[31:32]
	buffer_store_dword v2, off, s[0:3], 0 offset:132
	buffer_store_dword v1, off, s[0:3], 0 offset:128
	;; [unrolled: 1-line block ×4, first 2 shown]
.LBB10_19:
	s_or_b32 exec_lo, exec_lo, s8
	v_mov_b32_e32 v4, s10
	v_cmp_lt_u32_e64 s4, 7, v0
	s_clause 0x3
	buffer_load_dword v1, v4, s[0:3], 0 offen
	buffer_load_dword v2, v4, s[0:3], 0 offen offset:4
	buffer_load_dword v3, v4, s[0:3], 0 offen offset:8
	;; [unrolled: 1-line block ×3, first 2 shown]
	s_waitcnt vmcnt(0)
	ds_write_b128 v28, v[1:4]
	s_waitcnt lgkmcnt(0)
	s_waitcnt_vscnt null, 0x0
	s_barrier
	buffer_gl0_inv
	s_and_saveexec_b32 s8, s4
	s_cbranch_execz .LBB10_27
; %bb.20:
	ds_read_b128 v[1:4], v28
	s_andn2_b32 vcc_lo, exec_lo, s17
	s_cbranch_vccnz .LBB10_22
; %bb.21:
	s_clause 0x3
	buffer_load_dword v29, v27, s[0:3], 0 offen offset:8
	buffer_load_dword v30, v27, s[0:3], 0 offen offset:12
	buffer_load_dword v31, v27, s[0:3], 0 offen
	buffer_load_dword v32, v27, s[0:3], 0 offen offset:4
	s_waitcnt vmcnt(2) lgkmcnt(0)
	v_mul_f64 v[34:35], v[3:4], v[29:30]
	v_mul_f64 v[29:30], v[1:2], v[29:30]
	s_waitcnt vmcnt(0)
	v_fma_f64 v[1:2], v[1:2], v[31:32], -v[34:35]
	v_fma_f64 v[3:4], v[3:4], v[31:32], v[29:30]
.LBB10_22:
	s_and_saveexec_b32 s18, s5
	s_cbranch_execz .LBB10_26
; %bb.23:
	v_add_nc_u32_e32 v29, -8, v0
	s_movk_i32 s19, 0x130
	s_mov_b32 s5, 0
	s_mov_b32 s20, s9
	.p2align	6
.LBB10_24:                              ; =>This Inner Loop Header: Depth=1
	v_mov_b32_e32 v32, s20
	v_add_nc_u32_e32 v29, -1, v29
	s_add_i32 s20, s20, 16
	s_clause 0x3
	buffer_load_dword v30, v32, s[0:3], 0 offen offset:8
	buffer_load_dword v31, v32, s[0:3], 0 offen offset:12
	buffer_load_dword v38, v32, s[0:3], 0 offen
	buffer_load_dword v39, v32, s[0:3], 0 offen offset:4
	v_mov_b32_e32 v32, s19
	v_cmp_eq_u32_e32 vcc_lo, 0, v29
	s_add_i32 s19, s19, 16
	ds_read_b128 v[34:37], v32
	s_or_b32 s5, vcc_lo, s5
	s_waitcnt vmcnt(2) lgkmcnt(0)
	v_mul_f64 v[40:41], v[36:37], v[30:31]
	v_mul_f64 v[30:31], v[34:35], v[30:31]
	s_waitcnt vmcnt(0)
	v_fma_f64 v[34:35], v[34:35], v[38:39], -v[40:41]
	v_fma_f64 v[30:31], v[36:37], v[38:39], v[30:31]
	v_add_f64 v[1:2], v[1:2], v[34:35]
	v_add_f64 v[3:4], v[3:4], v[30:31]
	s_andn2_b32 exec_lo, exec_lo, s5
	s_cbranch_execnz .LBB10_24
; %bb.25:
	s_or_b32 exec_lo, exec_lo, s5
.LBB10_26:
	s_or_b32 exec_lo, exec_lo, s18
	v_mov_b32_e32 v29, 0
	ds_read_b128 v[29:32], v29 offset:112
	s_waitcnt lgkmcnt(0)
	v_mul_f64 v[34:35], v[3:4], v[31:32]
	v_mul_f64 v[31:32], v[1:2], v[31:32]
	v_fma_f64 v[1:2], v[1:2], v[29:30], -v[34:35]
	v_fma_f64 v[3:4], v[3:4], v[29:30], v[31:32]
	buffer_store_dword v2, off, s[0:3], 0 offset:116
	buffer_store_dword v1, off, s[0:3], 0 offset:112
	buffer_store_dword v4, off, s[0:3], 0 offset:124
	buffer_store_dword v3, off, s[0:3], 0 offset:120
.LBB10_27:
	s_or_b32 exec_lo, exec_lo, s8
	v_mov_b32_e32 v4, s11
	v_cmp_lt_u32_e64 s5, 6, v0
	s_clause 0x3
	buffer_load_dword v1, v4, s[0:3], 0 offen
	buffer_load_dword v2, v4, s[0:3], 0 offen offset:4
	buffer_load_dword v3, v4, s[0:3], 0 offen offset:8
	;; [unrolled: 1-line block ×3, first 2 shown]
	s_waitcnt vmcnt(0)
	ds_write_b128 v28, v[1:4]
	s_waitcnt lgkmcnt(0)
	s_waitcnt_vscnt null, 0x0
	s_barrier
	buffer_gl0_inv
	s_and_saveexec_b32 s8, s5
	s_cbranch_execz .LBB10_35
; %bb.28:
	ds_read_b128 v[1:4], v28
	s_andn2_b32 vcc_lo, exec_lo, s17
	s_cbranch_vccnz .LBB10_30
; %bb.29:
	s_clause 0x3
	buffer_load_dword v29, v27, s[0:3], 0 offen offset:8
	buffer_load_dword v30, v27, s[0:3], 0 offen offset:12
	buffer_load_dword v31, v27, s[0:3], 0 offen
	buffer_load_dword v32, v27, s[0:3], 0 offen offset:4
	s_waitcnt vmcnt(2) lgkmcnt(0)
	v_mul_f64 v[34:35], v[3:4], v[29:30]
	v_mul_f64 v[29:30], v[1:2], v[29:30]
	s_waitcnt vmcnt(0)
	v_fma_f64 v[1:2], v[1:2], v[31:32], -v[34:35]
	v_fma_f64 v[3:4], v[3:4], v[31:32], v[29:30]
.LBB10_30:
	s_and_saveexec_b32 s18, s4
	s_cbranch_execz .LBB10_34
; %bb.31:
	v_add_nc_u32_e32 v29, -7, v0
	s_movk_i32 s19, 0x120
	s_mov_b32 s4, 0
	s_mov_b32 s20, s10
	.p2align	6
.LBB10_32:                              ; =>This Inner Loop Header: Depth=1
	v_mov_b32_e32 v32, s20
	v_add_nc_u32_e32 v29, -1, v29
	s_add_i32 s20, s20, 16
	s_clause 0x3
	buffer_load_dword v30, v32, s[0:3], 0 offen offset:8
	buffer_load_dword v31, v32, s[0:3], 0 offen offset:12
	buffer_load_dword v38, v32, s[0:3], 0 offen
	buffer_load_dword v39, v32, s[0:3], 0 offen offset:4
	v_mov_b32_e32 v32, s19
	v_cmp_eq_u32_e32 vcc_lo, 0, v29
	s_add_i32 s19, s19, 16
	ds_read_b128 v[34:37], v32
	s_or_b32 s4, vcc_lo, s4
	s_waitcnt vmcnt(2) lgkmcnt(0)
	v_mul_f64 v[40:41], v[36:37], v[30:31]
	v_mul_f64 v[30:31], v[34:35], v[30:31]
	s_waitcnt vmcnt(0)
	v_fma_f64 v[34:35], v[34:35], v[38:39], -v[40:41]
	v_fma_f64 v[30:31], v[36:37], v[38:39], v[30:31]
	v_add_f64 v[1:2], v[1:2], v[34:35]
	v_add_f64 v[3:4], v[3:4], v[30:31]
	s_andn2_b32 exec_lo, exec_lo, s4
	s_cbranch_execnz .LBB10_32
; %bb.33:
	s_or_b32 exec_lo, exec_lo, s4
.LBB10_34:
	s_or_b32 exec_lo, exec_lo, s18
	v_mov_b32_e32 v29, 0
	ds_read_b128 v[29:32], v29 offset:96
	s_waitcnt lgkmcnt(0)
	v_mul_f64 v[34:35], v[3:4], v[31:32]
	v_mul_f64 v[31:32], v[1:2], v[31:32]
	v_fma_f64 v[1:2], v[1:2], v[29:30], -v[34:35]
	v_fma_f64 v[3:4], v[3:4], v[29:30], v[31:32]
	buffer_store_dword v2, off, s[0:3], 0 offset:100
	buffer_store_dword v1, off, s[0:3], 0 offset:96
	buffer_store_dword v4, off, s[0:3], 0 offset:108
	buffer_store_dword v3, off, s[0:3], 0 offset:104
.LBB10_35:
	s_or_b32 exec_lo, exec_lo, s8
	v_mov_b32_e32 v4, s12
	v_cmp_lt_u32_e64 s4, 5, v0
	s_clause 0x3
	buffer_load_dword v1, v4, s[0:3], 0 offen
	buffer_load_dword v2, v4, s[0:3], 0 offen offset:4
	buffer_load_dword v3, v4, s[0:3], 0 offen offset:8
	;; [unrolled: 1-line block ×3, first 2 shown]
	s_waitcnt vmcnt(0)
	ds_write_b128 v28, v[1:4]
	s_waitcnt lgkmcnt(0)
	s_waitcnt_vscnt null, 0x0
	s_barrier
	buffer_gl0_inv
	s_and_saveexec_b32 s8, s4
	s_cbranch_execz .LBB10_43
; %bb.36:
	ds_read_b128 v[1:4], v28
	s_andn2_b32 vcc_lo, exec_lo, s17
	s_cbranch_vccnz .LBB10_38
; %bb.37:
	s_clause 0x3
	buffer_load_dword v29, v27, s[0:3], 0 offen offset:8
	buffer_load_dword v30, v27, s[0:3], 0 offen offset:12
	buffer_load_dword v31, v27, s[0:3], 0 offen
	buffer_load_dword v32, v27, s[0:3], 0 offen offset:4
	s_waitcnt vmcnt(2) lgkmcnt(0)
	v_mul_f64 v[34:35], v[3:4], v[29:30]
	v_mul_f64 v[29:30], v[1:2], v[29:30]
	s_waitcnt vmcnt(0)
	v_fma_f64 v[1:2], v[1:2], v[31:32], -v[34:35]
	v_fma_f64 v[3:4], v[3:4], v[31:32], v[29:30]
.LBB10_38:
	s_and_saveexec_b32 s18, s5
	s_cbranch_execz .LBB10_42
; %bb.39:
	v_add_nc_u32_e32 v29, -6, v0
	s_movk_i32 s19, 0x110
	s_mov_b32 s5, 0
	s_mov_b32 s20, s11
	.p2align	6
.LBB10_40:                              ; =>This Inner Loop Header: Depth=1
	v_mov_b32_e32 v32, s20
	v_add_nc_u32_e32 v29, -1, v29
	s_add_i32 s20, s20, 16
	s_clause 0x3
	buffer_load_dword v30, v32, s[0:3], 0 offen offset:8
	buffer_load_dword v31, v32, s[0:3], 0 offen offset:12
	buffer_load_dword v38, v32, s[0:3], 0 offen
	buffer_load_dword v39, v32, s[0:3], 0 offen offset:4
	v_mov_b32_e32 v32, s19
	v_cmp_eq_u32_e32 vcc_lo, 0, v29
	s_add_i32 s19, s19, 16
	ds_read_b128 v[34:37], v32
	s_or_b32 s5, vcc_lo, s5
	s_waitcnt vmcnt(2) lgkmcnt(0)
	v_mul_f64 v[40:41], v[36:37], v[30:31]
	v_mul_f64 v[30:31], v[34:35], v[30:31]
	s_waitcnt vmcnt(0)
	v_fma_f64 v[34:35], v[34:35], v[38:39], -v[40:41]
	v_fma_f64 v[30:31], v[36:37], v[38:39], v[30:31]
	v_add_f64 v[1:2], v[1:2], v[34:35]
	v_add_f64 v[3:4], v[3:4], v[30:31]
	s_andn2_b32 exec_lo, exec_lo, s5
	s_cbranch_execnz .LBB10_40
; %bb.41:
	s_or_b32 exec_lo, exec_lo, s5
.LBB10_42:
	s_or_b32 exec_lo, exec_lo, s18
	v_mov_b32_e32 v29, 0
	ds_read_b128 v[29:32], v29 offset:80
	s_waitcnt lgkmcnt(0)
	v_mul_f64 v[34:35], v[3:4], v[31:32]
	v_mul_f64 v[31:32], v[1:2], v[31:32]
	v_fma_f64 v[1:2], v[1:2], v[29:30], -v[34:35]
	v_fma_f64 v[3:4], v[3:4], v[29:30], v[31:32]
	buffer_store_dword v2, off, s[0:3], 0 offset:84
	buffer_store_dword v1, off, s[0:3], 0 offset:80
	;; [unrolled: 1-line block ×4, first 2 shown]
.LBB10_43:
	s_or_b32 exec_lo, exec_lo, s8
	v_mov_b32_e32 v4, s13
	v_cmp_lt_u32_e64 s5, 4, v0
	s_clause 0x3
	buffer_load_dword v1, v4, s[0:3], 0 offen
	buffer_load_dword v2, v4, s[0:3], 0 offen offset:4
	buffer_load_dword v3, v4, s[0:3], 0 offen offset:8
	;; [unrolled: 1-line block ×3, first 2 shown]
	s_waitcnt vmcnt(0)
	ds_write_b128 v28, v[1:4]
	s_waitcnt lgkmcnt(0)
	s_waitcnt_vscnt null, 0x0
	s_barrier
	buffer_gl0_inv
	s_and_saveexec_b32 s8, s5
	s_cbranch_execz .LBB10_51
; %bb.44:
	ds_read_b128 v[1:4], v28
	s_andn2_b32 vcc_lo, exec_lo, s17
	s_cbranch_vccnz .LBB10_46
; %bb.45:
	s_clause 0x3
	buffer_load_dword v29, v27, s[0:3], 0 offen offset:8
	buffer_load_dword v30, v27, s[0:3], 0 offen offset:12
	buffer_load_dword v31, v27, s[0:3], 0 offen
	buffer_load_dword v32, v27, s[0:3], 0 offen offset:4
	s_waitcnt vmcnt(2) lgkmcnt(0)
	v_mul_f64 v[34:35], v[3:4], v[29:30]
	v_mul_f64 v[29:30], v[1:2], v[29:30]
	s_waitcnt vmcnt(0)
	v_fma_f64 v[1:2], v[1:2], v[31:32], -v[34:35]
	v_fma_f64 v[3:4], v[3:4], v[31:32], v[29:30]
.LBB10_46:
	s_and_saveexec_b32 s18, s4
	s_cbranch_execz .LBB10_50
; %bb.47:
	v_add_nc_u32_e32 v29, -5, v0
	s_movk_i32 s19, 0x100
	s_mov_b32 s4, 0
	s_mov_b32 s20, s12
	.p2align	6
.LBB10_48:                              ; =>This Inner Loop Header: Depth=1
	v_mov_b32_e32 v32, s20
	v_add_nc_u32_e32 v29, -1, v29
	s_add_i32 s20, s20, 16
	s_clause 0x3
	buffer_load_dword v30, v32, s[0:3], 0 offen offset:8
	buffer_load_dword v31, v32, s[0:3], 0 offen offset:12
	buffer_load_dword v38, v32, s[0:3], 0 offen
	buffer_load_dword v39, v32, s[0:3], 0 offen offset:4
	v_mov_b32_e32 v32, s19
	v_cmp_eq_u32_e32 vcc_lo, 0, v29
	s_add_i32 s19, s19, 16
	ds_read_b128 v[34:37], v32
	s_or_b32 s4, vcc_lo, s4
	s_waitcnt vmcnt(2) lgkmcnt(0)
	v_mul_f64 v[40:41], v[36:37], v[30:31]
	v_mul_f64 v[30:31], v[34:35], v[30:31]
	s_waitcnt vmcnt(0)
	v_fma_f64 v[34:35], v[34:35], v[38:39], -v[40:41]
	v_fma_f64 v[30:31], v[36:37], v[38:39], v[30:31]
	v_add_f64 v[1:2], v[1:2], v[34:35]
	v_add_f64 v[3:4], v[3:4], v[30:31]
	s_andn2_b32 exec_lo, exec_lo, s4
	s_cbranch_execnz .LBB10_48
; %bb.49:
	s_or_b32 exec_lo, exec_lo, s4
.LBB10_50:
	s_or_b32 exec_lo, exec_lo, s18
	v_mov_b32_e32 v29, 0
	ds_read_b128 v[29:32], v29 offset:64
	s_waitcnt lgkmcnt(0)
	v_mul_f64 v[34:35], v[3:4], v[31:32]
	v_mul_f64 v[31:32], v[1:2], v[31:32]
	v_fma_f64 v[1:2], v[1:2], v[29:30], -v[34:35]
	v_fma_f64 v[3:4], v[3:4], v[29:30], v[31:32]
	buffer_store_dword v2, off, s[0:3], 0 offset:68
	buffer_store_dword v1, off, s[0:3], 0 offset:64
	;; [unrolled: 1-line block ×4, first 2 shown]
.LBB10_51:
	s_or_b32 exec_lo, exec_lo, s8
	v_mov_b32_e32 v4, s14
	v_cmp_lt_u32_e64 s4, 3, v0
	s_clause 0x3
	buffer_load_dword v1, v4, s[0:3], 0 offen
	buffer_load_dword v2, v4, s[0:3], 0 offen offset:4
	buffer_load_dword v3, v4, s[0:3], 0 offen offset:8
	;; [unrolled: 1-line block ×3, first 2 shown]
	s_waitcnt vmcnt(0)
	ds_write_b128 v28, v[1:4]
	s_waitcnt lgkmcnt(0)
	s_waitcnt_vscnt null, 0x0
	s_barrier
	buffer_gl0_inv
	s_and_saveexec_b32 s8, s4
	s_cbranch_execz .LBB10_59
; %bb.52:
	ds_read_b128 v[1:4], v28
	s_andn2_b32 vcc_lo, exec_lo, s17
	s_cbranch_vccnz .LBB10_54
; %bb.53:
	s_clause 0x3
	buffer_load_dword v29, v27, s[0:3], 0 offen offset:8
	buffer_load_dword v30, v27, s[0:3], 0 offen offset:12
	buffer_load_dword v31, v27, s[0:3], 0 offen
	buffer_load_dword v32, v27, s[0:3], 0 offen offset:4
	s_waitcnt vmcnt(2) lgkmcnt(0)
	v_mul_f64 v[34:35], v[3:4], v[29:30]
	v_mul_f64 v[29:30], v[1:2], v[29:30]
	s_waitcnt vmcnt(0)
	v_fma_f64 v[1:2], v[1:2], v[31:32], -v[34:35]
	v_fma_f64 v[3:4], v[3:4], v[31:32], v[29:30]
.LBB10_54:
	s_and_saveexec_b32 s18, s5
	s_cbranch_execz .LBB10_58
; %bb.55:
	v_add_nc_u32_e32 v29, -4, v0
	s_movk_i32 s19, 0xf0
	s_mov_b32 s5, 0
	s_mov_b32 s20, s13
	.p2align	6
.LBB10_56:                              ; =>This Inner Loop Header: Depth=1
	v_mov_b32_e32 v32, s20
	v_add_nc_u32_e32 v29, -1, v29
	s_add_i32 s20, s20, 16
	s_clause 0x3
	buffer_load_dword v30, v32, s[0:3], 0 offen offset:8
	buffer_load_dword v31, v32, s[0:3], 0 offen offset:12
	buffer_load_dword v38, v32, s[0:3], 0 offen
	buffer_load_dword v39, v32, s[0:3], 0 offen offset:4
	v_mov_b32_e32 v32, s19
	v_cmp_eq_u32_e32 vcc_lo, 0, v29
	s_add_i32 s19, s19, 16
	ds_read_b128 v[34:37], v32
	s_or_b32 s5, vcc_lo, s5
	s_waitcnt vmcnt(2) lgkmcnt(0)
	v_mul_f64 v[40:41], v[36:37], v[30:31]
	v_mul_f64 v[30:31], v[34:35], v[30:31]
	s_waitcnt vmcnt(0)
	v_fma_f64 v[34:35], v[34:35], v[38:39], -v[40:41]
	v_fma_f64 v[30:31], v[36:37], v[38:39], v[30:31]
	v_add_f64 v[1:2], v[1:2], v[34:35]
	v_add_f64 v[3:4], v[3:4], v[30:31]
	s_andn2_b32 exec_lo, exec_lo, s5
	s_cbranch_execnz .LBB10_56
; %bb.57:
	s_or_b32 exec_lo, exec_lo, s5
.LBB10_58:
	s_or_b32 exec_lo, exec_lo, s18
	v_mov_b32_e32 v29, 0
	ds_read_b128 v[29:32], v29 offset:48
	s_waitcnt lgkmcnt(0)
	v_mul_f64 v[34:35], v[3:4], v[31:32]
	v_mul_f64 v[31:32], v[1:2], v[31:32]
	v_fma_f64 v[1:2], v[1:2], v[29:30], -v[34:35]
	v_fma_f64 v[3:4], v[3:4], v[29:30], v[31:32]
	buffer_store_dword v2, off, s[0:3], 0 offset:52
	buffer_store_dword v1, off, s[0:3], 0 offset:48
	;; [unrolled: 1-line block ×4, first 2 shown]
.LBB10_59:
	s_or_b32 exec_lo, exec_lo, s8
	v_mov_b32_e32 v4, s15
	v_cmp_lt_u32_e64 s5, 2, v0
	s_clause 0x3
	buffer_load_dword v1, v4, s[0:3], 0 offen
	buffer_load_dword v2, v4, s[0:3], 0 offen offset:4
	buffer_load_dword v3, v4, s[0:3], 0 offen offset:8
	;; [unrolled: 1-line block ×3, first 2 shown]
	s_waitcnt vmcnt(0)
	ds_write_b128 v28, v[1:4]
	s_waitcnt lgkmcnt(0)
	s_waitcnt_vscnt null, 0x0
	s_barrier
	buffer_gl0_inv
	s_and_saveexec_b32 s8, s5
	s_cbranch_execz .LBB10_67
; %bb.60:
	ds_read_b128 v[1:4], v28
	s_andn2_b32 vcc_lo, exec_lo, s17
	s_cbranch_vccnz .LBB10_62
; %bb.61:
	s_clause 0x3
	buffer_load_dword v29, v27, s[0:3], 0 offen offset:8
	buffer_load_dword v30, v27, s[0:3], 0 offen offset:12
	buffer_load_dword v31, v27, s[0:3], 0 offen
	buffer_load_dword v32, v27, s[0:3], 0 offen offset:4
	s_waitcnt vmcnt(2) lgkmcnt(0)
	v_mul_f64 v[34:35], v[3:4], v[29:30]
	v_mul_f64 v[29:30], v[1:2], v[29:30]
	s_waitcnt vmcnt(0)
	v_fma_f64 v[1:2], v[1:2], v[31:32], -v[34:35]
	v_fma_f64 v[3:4], v[3:4], v[31:32], v[29:30]
.LBB10_62:
	s_and_saveexec_b32 s18, s4
	s_cbranch_execz .LBB10_66
; %bb.63:
	v_add_nc_u32_e32 v29, -3, v0
	s_movk_i32 s19, 0xe0
	s_mov_b32 s4, 0
	s_mov_b32 s20, s14
	.p2align	6
.LBB10_64:                              ; =>This Inner Loop Header: Depth=1
	v_mov_b32_e32 v32, s20
	v_add_nc_u32_e32 v29, -1, v29
	s_add_i32 s20, s20, 16
	s_clause 0x3
	buffer_load_dword v30, v32, s[0:3], 0 offen offset:8
	buffer_load_dword v31, v32, s[0:3], 0 offen offset:12
	buffer_load_dword v38, v32, s[0:3], 0 offen
	buffer_load_dword v39, v32, s[0:3], 0 offen offset:4
	v_mov_b32_e32 v32, s19
	v_cmp_eq_u32_e32 vcc_lo, 0, v29
	s_add_i32 s19, s19, 16
	ds_read_b128 v[34:37], v32
	s_or_b32 s4, vcc_lo, s4
	s_waitcnt vmcnt(2) lgkmcnt(0)
	v_mul_f64 v[40:41], v[36:37], v[30:31]
	v_mul_f64 v[30:31], v[34:35], v[30:31]
	s_waitcnt vmcnt(0)
	v_fma_f64 v[34:35], v[34:35], v[38:39], -v[40:41]
	v_fma_f64 v[30:31], v[36:37], v[38:39], v[30:31]
	v_add_f64 v[1:2], v[1:2], v[34:35]
	v_add_f64 v[3:4], v[3:4], v[30:31]
	s_andn2_b32 exec_lo, exec_lo, s4
	s_cbranch_execnz .LBB10_64
; %bb.65:
	s_or_b32 exec_lo, exec_lo, s4
.LBB10_66:
	s_or_b32 exec_lo, exec_lo, s18
	v_mov_b32_e32 v29, 0
	ds_read_b128 v[29:32], v29 offset:32
	s_waitcnt lgkmcnt(0)
	v_mul_f64 v[34:35], v[3:4], v[31:32]
	v_mul_f64 v[31:32], v[1:2], v[31:32]
	v_fma_f64 v[1:2], v[1:2], v[29:30], -v[34:35]
	v_fma_f64 v[3:4], v[3:4], v[29:30], v[31:32]
	buffer_store_dword v2, off, s[0:3], 0 offset:36
	buffer_store_dword v1, off, s[0:3], 0 offset:32
	;; [unrolled: 1-line block ×4, first 2 shown]
.LBB10_67:
	s_or_b32 exec_lo, exec_lo, s8
	v_mov_b32_e32 v4, s16
	v_cmp_lt_u32_e64 s4, 1, v0
	s_clause 0x3
	buffer_load_dword v1, v4, s[0:3], 0 offen
	buffer_load_dword v2, v4, s[0:3], 0 offen offset:4
	buffer_load_dword v3, v4, s[0:3], 0 offen offset:8
	;; [unrolled: 1-line block ×3, first 2 shown]
	s_waitcnt vmcnt(0)
	ds_write_b128 v28, v[1:4]
	s_waitcnt lgkmcnt(0)
	s_waitcnt_vscnt null, 0x0
	s_barrier
	buffer_gl0_inv
	s_and_saveexec_b32 s8, s4
	s_cbranch_execz .LBB10_75
; %bb.68:
	ds_read_b128 v[1:4], v28
	s_andn2_b32 vcc_lo, exec_lo, s17
	s_cbranch_vccnz .LBB10_70
; %bb.69:
	s_clause 0x3
	buffer_load_dword v29, v27, s[0:3], 0 offen offset:8
	buffer_load_dword v30, v27, s[0:3], 0 offen offset:12
	buffer_load_dword v31, v27, s[0:3], 0 offen
	buffer_load_dword v32, v27, s[0:3], 0 offen offset:4
	s_waitcnt vmcnt(2) lgkmcnt(0)
	v_mul_f64 v[34:35], v[3:4], v[29:30]
	v_mul_f64 v[29:30], v[1:2], v[29:30]
	s_waitcnt vmcnt(0)
	v_fma_f64 v[1:2], v[1:2], v[31:32], -v[34:35]
	v_fma_f64 v[3:4], v[3:4], v[31:32], v[29:30]
.LBB10_70:
	s_and_saveexec_b32 s18, s5
	s_cbranch_execz .LBB10_74
; %bb.71:
	v_add_nc_u32_e32 v29, -2, v0
	s_movk_i32 s19, 0xd0
	s_mov_b32 s5, 0
	s_mov_b32 s20, s15
	.p2align	6
.LBB10_72:                              ; =>This Inner Loop Header: Depth=1
	v_mov_b32_e32 v32, s20
	v_add_nc_u32_e32 v29, -1, v29
	s_add_i32 s20, s20, 16
	s_clause 0x3
	buffer_load_dword v30, v32, s[0:3], 0 offen offset:8
	buffer_load_dword v31, v32, s[0:3], 0 offen offset:12
	buffer_load_dword v38, v32, s[0:3], 0 offen
	buffer_load_dword v39, v32, s[0:3], 0 offen offset:4
	v_mov_b32_e32 v32, s19
	v_cmp_eq_u32_e32 vcc_lo, 0, v29
	s_add_i32 s19, s19, 16
	ds_read_b128 v[34:37], v32
	s_or_b32 s5, vcc_lo, s5
	s_waitcnt vmcnt(2) lgkmcnt(0)
	v_mul_f64 v[40:41], v[36:37], v[30:31]
	v_mul_f64 v[30:31], v[34:35], v[30:31]
	s_waitcnt vmcnt(0)
	v_fma_f64 v[34:35], v[34:35], v[38:39], -v[40:41]
	v_fma_f64 v[30:31], v[36:37], v[38:39], v[30:31]
	v_add_f64 v[1:2], v[1:2], v[34:35]
	v_add_f64 v[3:4], v[3:4], v[30:31]
	s_andn2_b32 exec_lo, exec_lo, s5
	s_cbranch_execnz .LBB10_72
; %bb.73:
	s_or_b32 exec_lo, exec_lo, s5
.LBB10_74:
	s_or_b32 exec_lo, exec_lo, s18
	v_mov_b32_e32 v29, 0
	ds_read_b128 v[29:32], v29 offset:16
	s_waitcnt lgkmcnt(0)
	v_mul_f64 v[34:35], v[3:4], v[31:32]
	v_mul_f64 v[31:32], v[1:2], v[31:32]
	v_fma_f64 v[1:2], v[1:2], v[29:30], -v[34:35]
	v_fma_f64 v[3:4], v[3:4], v[29:30], v[31:32]
	buffer_store_dword v2, off, s[0:3], 0 offset:20
	buffer_store_dword v1, off, s[0:3], 0 offset:16
	;; [unrolled: 1-line block ×4, first 2 shown]
.LBB10_75:
	s_or_b32 exec_lo, exec_lo, s8
	s_clause 0x3
	buffer_load_dword v1, off, s[0:3], 0
	buffer_load_dword v2, off, s[0:3], 0 offset:4
	buffer_load_dword v3, off, s[0:3], 0 offset:8
	;; [unrolled: 1-line block ×3, first 2 shown]
	s_mov_b32 s8, 0
	s_mov_b32 s5, 0
	s_mov_b32 s18, exec_lo
                                        ; implicit-def: $sgpr19
	s_waitcnt vmcnt(0)
	ds_write_b128 v28, v[1:4]
	s_waitcnt lgkmcnt(0)
	s_waitcnt_vscnt null, 0x0
	s_barrier
	buffer_gl0_inv
                                        ; implicit-def: $vgpr1_vgpr2
	v_cmpx_ne_u32_e32 0, v0
	s_cbranch_execz .LBB10_83
; %bb.76:
	ds_read_b128 v[1:4], v28
	s_andn2_b32 vcc_lo, exec_lo, s17
	s_cbranch_vccnz .LBB10_78
; %bb.77:
	s_clause 0x3
	buffer_load_dword v29, v27, s[0:3], 0 offen offset:8
	buffer_load_dword v30, v27, s[0:3], 0 offen offset:12
	buffer_load_dword v31, v27, s[0:3], 0 offen
	buffer_load_dword v32, v27, s[0:3], 0 offen offset:4
	s_waitcnt vmcnt(2) lgkmcnt(0)
	v_mul_f64 v[34:35], v[3:4], v[29:30]
	v_mul_f64 v[29:30], v[1:2], v[29:30]
	s_waitcnt vmcnt(0)
	v_fma_f64 v[1:2], v[1:2], v[31:32], -v[34:35]
	v_fma_f64 v[3:4], v[3:4], v[31:32], v[29:30]
.LBB10_78:
	s_and_saveexec_b32 s5, s4
	s_cbranch_execz .LBB10_82
; %bb.79:
	v_add_nc_u32_e32 v29, -1, v0
	s_movk_i32 s19, 0xc0
	s_mov_b32 s4, 0
	s_mov_b32 s20, s16
	.p2align	6
.LBB10_80:                              ; =>This Inner Loop Header: Depth=1
	v_mov_b32_e32 v32, s20
	v_add_nc_u32_e32 v29, -1, v29
	s_add_i32 s20, s20, 16
	s_clause 0x3
	buffer_load_dword v30, v32, s[0:3], 0 offen offset:8
	buffer_load_dword v31, v32, s[0:3], 0 offen offset:12
	buffer_load_dword v38, v32, s[0:3], 0 offen
	buffer_load_dword v39, v32, s[0:3], 0 offen offset:4
	v_mov_b32_e32 v32, s19
	v_cmp_eq_u32_e32 vcc_lo, 0, v29
	s_add_i32 s19, s19, 16
	ds_read_b128 v[34:37], v32
	s_or_b32 s4, vcc_lo, s4
	s_waitcnt vmcnt(2) lgkmcnt(0)
	v_mul_f64 v[40:41], v[36:37], v[30:31]
	v_mul_f64 v[30:31], v[34:35], v[30:31]
	s_waitcnt vmcnt(0)
	v_fma_f64 v[34:35], v[34:35], v[38:39], -v[40:41]
	v_fma_f64 v[30:31], v[36:37], v[38:39], v[30:31]
	v_add_f64 v[1:2], v[1:2], v[34:35]
	v_add_f64 v[3:4], v[3:4], v[30:31]
	s_andn2_b32 exec_lo, exec_lo, s4
	s_cbranch_execnz .LBB10_80
; %bb.81:
	s_or_b32 exec_lo, exec_lo, s4
.LBB10_82:
	s_or_b32 exec_lo, exec_lo, s5
	v_mov_b32_e32 v29, 0
	s_mov_b32 s5, exec_lo
	s_or_b32 s19, 0, 8
	ds_read_b128 v[29:32], v29
	s_waitcnt lgkmcnt(0)
	v_mul_f64 v[34:35], v[3:4], v[31:32]
	v_mul_f64 v[31:32], v[1:2], v[31:32]
	v_fma_f64 v[34:35], v[1:2], v[29:30], -v[34:35]
	v_fma_f64 v[1:2], v[3:4], v[29:30], v[31:32]
	buffer_store_dword v35, off, s[0:3], 0 offset:4
	buffer_store_dword v34, off, s[0:3], 0
.LBB10_83:
	s_or_b32 exec_lo, exec_lo, s18
	s_and_b32 vcc_lo, exec_lo, s8
	s_cbranch_vccnz .LBB10_85
	s_branch .LBB10_160
.LBB10_84:
	s_mov_b32 s5, 0
                                        ; implicit-def: $vgpr1_vgpr2
                                        ; implicit-def: $sgpr19
	s_cbranch_execz .LBB10_160
.LBB10_85:
	v_mov_b32_e32 v4, s16
	v_cmp_eq_u32_e64 s4, 0, v0
	v_cndmask_b32_e64 v29, 0, 1, s17
	s_clause 0x3
	buffer_load_dword v1, v4, s[0:3], 0 offen
	buffer_load_dword v2, v4, s[0:3], 0 offen offset:4
	buffer_load_dword v3, v4, s[0:3], 0 offen offset:8
	;; [unrolled: 1-line block ×3, first 2 shown]
	s_waitcnt vmcnt(0)
	ds_write_b128 v28, v[1:4]
	s_waitcnt lgkmcnt(0)
	s_waitcnt_vscnt null, 0x0
	s_barrier
	buffer_gl0_inv
	s_and_saveexec_b32 s8, s4
	s_cbranch_execz .LBB10_89
; %bb.86:
	ds_read_b128 v[1:4], v28
	s_andn2_b32 vcc_lo, exec_lo, s17
	s_cbranch_vccnz .LBB10_88
; %bb.87:
	s_clause 0x3
	buffer_load_dword v30, v27, s[0:3], 0 offen offset:8
	buffer_load_dword v31, v27, s[0:3], 0 offen offset:12
	buffer_load_dword v34, v27, s[0:3], 0 offen
	buffer_load_dword v35, v27, s[0:3], 0 offen offset:4
	s_waitcnt vmcnt(2) lgkmcnt(0)
	v_mul_f64 v[36:37], v[3:4], v[30:31]
	v_mul_f64 v[30:31], v[1:2], v[30:31]
	s_waitcnt vmcnt(0)
	v_fma_f64 v[1:2], v[1:2], v[34:35], -v[36:37]
	v_fma_f64 v[3:4], v[3:4], v[34:35], v[30:31]
.LBB10_88:
	v_mov_b32_e32 v30, 0
	ds_read_b128 v[34:37], v30 offset:16
	s_waitcnt lgkmcnt(0)
	v_mul_f64 v[30:31], v[3:4], v[36:37]
	v_mul_f64 v[36:37], v[1:2], v[36:37]
	v_fma_f64 v[1:2], v[1:2], v[34:35], -v[30:31]
	v_fma_f64 v[3:4], v[3:4], v[34:35], v[36:37]
	buffer_store_dword v2, off, s[0:3], 0 offset:20
	buffer_store_dword v1, off, s[0:3], 0 offset:16
	;; [unrolled: 1-line block ×4, first 2 shown]
.LBB10_89:
	s_or_b32 exec_lo, exec_lo, s8
	v_mov_b32_e32 v4, s15
	s_mov_b32 s8, exec_lo
	s_clause 0x3
	buffer_load_dword v1, v4, s[0:3], 0 offen
	buffer_load_dword v2, v4, s[0:3], 0 offen offset:4
	buffer_load_dword v3, v4, s[0:3], 0 offen offset:8
	;; [unrolled: 1-line block ×3, first 2 shown]
	s_waitcnt vmcnt(0)
	ds_write_b128 v28, v[1:4]
	s_waitcnt lgkmcnt(0)
	s_waitcnt_vscnt null, 0x0
	s_barrier
	buffer_gl0_inv
	v_cmpx_gt_u32_e32 2, v0
	s_cbranch_execz .LBB10_95
; %bb.90:
	ds_read_b128 v[1:4], v28
	v_cmp_ne_u32_e32 vcc_lo, 1, v29
	s_cbranch_vccnz .LBB10_92
; %bb.91:
	s_clause 0x3
	buffer_load_dword v30, v27, s[0:3], 0 offen offset:8
	buffer_load_dword v31, v27, s[0:3], 0 offen offset:12
	buffer_load_dword v34, v27, s[0:3], 0 offen
	buffer_load_dword v35, v27, s[0:3], 0 offen offset:4
	s_waitcnt vmcnt(2) lgkmcnt(0)
	v_mul_f64 v[36:37], v[3:4], v[30:31]
	v_mul_f64 v[30:31], v[1:2], v[30:31]
	s_waitcnt vmcnt(0)
	v_fma_f64 v[1:2], v[1:2], v[34:35], -v[36:37]
	v_fma_f64 v[3:4], v[3:4], v[34:35], v[30:31]
.LBB10_92:
	s_and_saveexec_b32 s17, s4
	s_cbranch_execz .LBB10_94
; %bb.93:
	s_clause 0x3
	buffer_load_dword v30, off, s[0:3], 0 offset:24
	buffer_load_dword v31, off, s[0:3], 0 offset:28
	;; [unrolled: 1-line block ×4, first 2 shown]
	v_mov_b32_e32 v32, 0
	ds_read_b128 v[34:37], v32 offset:192
	s_waitcnt vmcnt(2) lgkmcnt(0)
	v_mul_f64 v[40:41], v[36:37], v[30:31]
	v_mul_f64 v[30:31], v[34:35], v[30:31]
	s_waitcnt vmcnt(0)
	v_fma_f64 v[34:35], v[34:35], v[38:39], -v[40:41]
	v_fma_f64 v[30:31], v[36:37], v[38:39], v[30:31]
	v_add_f64 v[1:2], v[1:2], v[34:35]
	v_add_f64 v[3:4], v[3:4], v[30:31]
.LBB10_94:
	s_or_b32 exec_lo, exec_lo, s17
	v_mov_b32_e32 v30, 0
	ds_read_b128 v[34:37], v30 offset:32
	s_waitcnt lgkmcnt(0)
	v_mul_f64 v[30:31], v[3:4], v[36:37]
	v_mul_f64 v[36:37], v[1:2], v[36:37]
	v_fma_f64 v[1:2], v[1:2], v[34:35], -v[30:31]
	v_fma_f64 v[3:4], v[3:4], v[34:35], v[36:37]
	buffer_store_dword v2, off, s[0:3], 0 offset:36
	buffer_store_dword v1, off, s[0:3], 0 offset:32
	;; [unrolled: 1-line block ×4, first 2 shown]
.LBB10_95:
	s_or_b32 exec_lo, exec_lo, s8
	v_mov_b32_e32 v4, s14
	s_mov_b32 s8, exec_lo
	s_clause 0x3
	buffer_load_dword v1, v4, s[0:3], 0 offen
	buffer_load_dword v2, v4, s[0:3], 0 offen offset:4
	buffer_load_dword v3, v4, s[0:3], 0 offen offset:8
	;; [unrolled: 1-line block ×3, first 2 shown]
	s_waitcnt vmcnt(0)
	ds_write_b128 v28, v[1:4]
	s_waitcnt lgkmcnt(0)
	s_waitcnt_vscnt null, 0x0
	s_barrier
	buffer_gl0_inv
	v_cmpx_gt_u32_e32 3, v0
	s_cbranch_execz .LBB10_103
; %bb.96:
	ds_read_b128 v[1:4], v28
	v_cmp_ne_u32_e32 vcc_lo, 1, v29
	s_cbranch_vccnz .LBB10_98
; %bb.97:
	s_clause 0x3
	buffer_load_dword v30, v27, s[0:3], 0 offen offset:8
	buffer_load_dword v31, v27, s[0:3], 0 offen offset:12
	buffer_load_dword v34, v27, s[0:3], 0 offen
	buffer_load_dword v35, v27, s[0:3], 0 offen offset:4
	s_waitcnt vmcnt(2) lgkmcnt(0)
	v_mul_f64 v[36:37], v[3:4], v[30:31]
	v_mul_f64 v[30:31], v[1:2], v[30:31]
	s_waitcnt vmcnt(0)
	v_fma_f64 v[1:2], v[1:2], v[34:35], -v[36:37]
	v_fma_f64 v[3:4], v[3:4], v[34:35], v[30:31]
.LBB10_98:
	s_mov_b32 s17, exec_lo
	v_cmpx_ne_u32_e32 2, v0
	s_cbranch_execz .LBB10_102
; %bb.99:
	s_clause 0x3
	buffer_load_dword v30, v27, s[0:3], 0 offen offset:24
	buffer_load_dword v31, v27, s[0:3], 0 offen offset:28
	;; [unrolled: 1-line block ×4, first 2 shown]
	ds_read_b128 v[34:37], v28 offset:16
	s_waitcnt vmcnt(2) lgkmcnt(0)
	v_mul_f64 v[40:41], v[36:37], v[30:31]
	v_mul_f64 v[30:31], v[34:35], v[30:31]
	s_waitcnt vmcnt(0)
	v_fma_f64 v[34:35], v[34:35], v[38:39], -v[40:41]
	v_fma_f64 v[30:31], v[36:37], v[38:39], v[30:31]
	v_add_f64 v[1:2], v[1:2], v[34:35]
	v_add_f64 v[3:4], v[3:4], v[30:31]
	s_and_saveexec_b32 s18, s4
	s_cbranch_execz .LBB10_101
; %bb.100:
	s_clause 0x3
	buffer_load_dword v30, off, s[0:3], 0 offset:40
	buffer_load_dword v31, off, s[0:3], 0 offset:44
	;; [unrolled: 1-line block ×4, first 2 shown]
	v_mov_b32_e32 v32, 0
	ds_read_b128 v[34:37], v32 offset:208
	s_waitcnt vmcnt(2) lgkmcnt(0)
	v_mul_f64 v[40:41], v[34:35], v[30:31]
	v_mul_f64 v[30:31], v[36:37], v[30:31]
	s_waitcnt vmcnt(0)
	v_fma_f64 v[36:37], v[36:37], v[38:39], v[40:41]
	v_fma_f64 v[30:31], v[34:35], v[38:39], -v[30:31]
	v_add_f64 v[3:4], v[3:4], v[36:37]
	v_add_f64 v[1:2], v[1:2], v[30:31]
.LBB10_101:
	s_or_b32 exec_lo, exec_lo, s18
.LBB10_102:
	s_or_b32 exec_lo, exec_lo, s17
	v_mov_b32_e32 v30, 0
	ds_read_b128 v[34:37], v30 offset:48
	s_waitcnt lgkmcnt(0)
	v_mul_f64 v[30:31], v[3:4], v[36:37]
	v_mul_f64 v[36:37], v[1:2], v[36:37]
	v_fma_f64 v[1:2], v[1:2], v[34:35], -v[30:31]
	v_fma_f64 v[3:4], v[3:4], v[34:35], v[36:37]
	buffer_store_dword v2, off, s[0:3], 0 offset:52
	buffer_store_dword v1, off, s[0:3], 0 offset:48
	;; [unrolled: 1-line block ×4, first 2 shown]
.LBB10_103:
	s_or_b32 exec_lo, exec_lo, s8
	v_mov_b32_e32 v4, s13
	s_mov_b32 s4, exec_lo
	s_clause 0x3
	buffer_load_dword v1, v4, s[0:3], 0 offen
	buffer_load_dword v2, v4, s[0:3], 0 offen offset:4
	buffer_load_dword v3, v4, s[0:3], 0 offen offset:8
	;; [unrolled: 1-line block ×3, first 2 shown]
	s_waitcnt vmcnt(0)
	ds_write_b128 v28, v[1:4]
	s_waitcnt lgkmcnt(0)
	s_waitcnt_vscnt null, 0x0
	s_barrier
	buffer_gl0_inv
	v_cmpx_gt_u32_e32 4, v0
	s_cbranch_execz .LBB10_111
; %bb.104:
	ds_read_b128 v[1:4], v28
	v_cmp_ne_u32_e32 vcc_lo, 1, v29
	s_cbranch_vccnz .LBB10_106
; %bb.105:
	s_clause 0x3
	buffer_load_dword v30, v27, s[0:3], 0 offen offset:8
	buffer_load_dword v31, v27, s[0:3], 0 offen offset:12
	buffer_load_dword v34, v27, s[0:3], 0 offen
	buffer_load_dword v35, v27, s[0:3], 0 offen offset:4
	s_waitcnt vmcnt(2) lgkmcnt(0)
	v_mul_f64 v[36:37], v[3:4], v[30:31]
	v_mul_f64 v[30:31], v[1:2], v[30:31]
	s_waitcnt vmcnt(0)
	v_fma_f64 v[1:2], v[1:2], v[34:35], -v[36:37]
	v_fma_f64 v[3:4], v[3:4], v[34:35], v[30:31]
.LBB10_106:
	s_mov_b32 s8, exec_lo
	v_cmpx_ne_u32_e32 3, v0
	s_cbranch_execz .LBB10_110
; %bb.107:
	v_add_nc_u32_e32 v30, 0xc0, v33
	v_add3_u32 v31, 0, v33, 16
	v_mov_b32_e32 v32, v0
	s_mov_b32 s17, 0
	.p2align	6
.LBB10_108:                             ; =>This Inner Loop Header: Depth=1
	s_clause 0x3
	buffer_load_dword v38, v31, s[0:3], 0 offen offset:8
	buffer_load_dword v39, v31, s[0:3], 0 offen offset:12
	buffer_load_dword v40, v31, s[0:3], 0 offen
	buffer_load_dword v41, v31, s[0:3], 0 offen offset:4
	ds_read_b128 v[34:37], v30
	v_add_nc_u32_e32 v32, 1, v32
	v_add_nc_u32_e32 v30, 16, v30
	;; [unrolled: 1-line block ×3, first 2 shown]
	v_cmp_lt_u32_e32 vcc_lo, 2, v32
	s_or_b32 s17, vcc_lo, s17
	s_waitcnt vmcnt(2) lgkmcnt(0)
	v_mul_f64 v[42:43], v[36:37], v[38:39]
	v_mul_f64 v[38:39], v[34:35], v[38:39]
	s_waitcnt vmcnt(0)
	v_fma_f64 v[34:35], v[34:35], v[40:41], -v[42:43]
	v_fma_f64 v[36:37], v[36:37], v[40:41], v[38:39]
	v_add_f64 v[1:2], v[1:2], v[34:35]
	v_add_f64 v[3:4], v[3:4], v[36:37]
	s_andn2_b32 exec_lo, exec_lo, s17
	s_cbranch_execnz .LBB10_108
; %bb.109:
	s_or_b32 exec_lo, exec_lo, s17
.LBB10_110:
	s_or_b32 exec_lo, exec_lo, s8
	v_mov_b32_e32 v30, 0
	ds_read_b128 v[34:37], v30 offset:64
	s_waitcnt lgkmcnt(0)
	v_mul_f64 v[30:31], v[3:4], v[36:37]
	v_mul_f64 v[36:37], v[1:2], v[36:37]
	v_fma_f64 v[1:2], v[1:2], v[34:35], -v[30:31]
	v_fma_f64 v[3:4], v[3:4], v[34:35], v[36:37]
	buffer_store_dword v2, off, s[0:3], 0 offset:68
	buffer_store_dword v1, off, s[0:3], 0 offset:64
	;; [unrolled: 1-line block ×4, first 2 shown]
.LBB10_111:
	s_or_b32 exec_lo, exec_lo, s4
	v_mov_b32_e32 v4, s12
	s_mov_b32 s4, exec_lo
	s_clause 0x3
	buffer_load_dword v1, v4, s[0:3], 0 offen
	buffer_load_dword v2, v4, s[0:3], 0 offen offset:4
	buffer_load_dword v3, v4, s[0:3], 0 offen offset:8
	;; [unrolled: 1-line block ×3, first 2 shown]
	s_waitcnt vmcnt(0)
	ds_write_b128 v28, v[1:4]
	s_waitcnt lgkmcnt(0)
	s_waitcnt_vscnt null, 0x0
	s_barrier
	buffer_gl0_inv
	v_cmpx_gt_u32_e32 5, v0
	s_cbranch_execz .LBB10_119
; %bb.112:
	ds_read_b128 v[1:4], v28
	v_cmp_ne_u32_e32 vcc_lo, 1, v29
	s_cbranch_vccnz .LBB10_114
; %bb.113:
	s_clause 0x3
	buffer_load_dword v30, v27, s[0:3], 0 offen offset:8
	buffer_load_dword v31, v27, s[0:3], 0 offen offset:12
	buffer_load_dword v34, v27, s[0:3], 0 offen
	buffer_load_dword v35, v27, s[0:3], 0 offen offset:4
	s_waitcnt vmcnt(2) lgkmcnt(0)
	v_mul_f64 v[36:37], v[3:4], v[30:31]
	v_mul_f64 v[30:31], v[1:2], v[30:31]
	s_waitcnt vmcnt(0)
	v_fma_f64 v[1:2], v[1:2], v[34:35], -v[36:37]
	v_fma_f64 v[3:4], v[3:4], v[34:35], v[30:31]
.LBB10_114:
	s_mov_b32 s8, exec_lo
	v_cmpx_ne_u32_e32 4, v0
	s_cbranch_execz .LBB10_118
; %bb.115:
	v_add_nc_u32_e32 v30, 0xc0, v33
	v_add3_u32 v31, 0, v33, 16
	v_mov_b32_e32 v32, v0
	s_mov_b32 s17, 0
	.p2align	6
.LBB10_116:                             ; =>This Inner Loop Header: Depth=1
	s_clause 0x3
	buffer_load_dword v38, v31, s[0:3], 0 offen offset:8
	buffer_load_dword v39, v31, s[0:3], 0 offen offset:12
	buffer_load_dword v40, v31, s[0:3], 0 offen
	buffer_load_dword v41, v31, s[0:3], 0 offen offset:4
	ds_read_b128 v[34:37], v30
	v_add_nc_u32_e32 v32, 1, v32
	v_add_nc_u32_e32 v30, 16, v30
	;; [unrolled: 1-line block ×3, first 2 shown]
	v_cmp_lt_u32_e32 vcc_lo, 3, v32
	s_or_b32 s17, vcc_lo, s17
	s_waitcnt vmcnt(2) lgkmcnt(0)
	v_mul_f64 v[42:43], v[36:37], v[38:39]
	v_mul_f64 v[38:39], v[34:35], v[38:39]
	s_waitcnt vmcnt(0)
	v_fma_f64 v[34:35], v[34:35], v[40:41], -v[42:43]
	v_fma_f64 v[36:37], v[36:37], v[40:41], v[38:39]
	v_add_f64 v[1:2], v[1:2], v[34:35]
	v_add_f64 v[3:4], v[3:4], v[36:37]
	s_andn2_b32 exec_lo, exec_lo, s17
	s_cbranch_execnz .LBB10_116
; %bb.117:
	s_or_b32 exec_lo, exec_lo, s17
.LBB10_118:
	s_or_b32 exec_lo, exec_lo, s8
	v_mov_b32_e32 v30, 0
	ds_read_b128 v[34:37], v30 offset:80
	s_waitcnt lgkmcnt(0)
	v_mul_f64 v[30:31], v[3:4], v[36:37]
	v_mul_f64 v[36:37], v[1:2], v[36:37]
	v_fma_f64 v[1:2], v[1:2], v[34:35], -v[30:31]
	v_fma_f64 v[3:4], v[3:4], v[34:35], v[36:37]
	buffer_store_dword v2, off, s[0:3], 0 offset:84
	buffer_store_dword v1, off, s[0:3], 0 offset:80
	buffer_store_dword v4, off, s[0:3], 0 offset:92
	buffer_store_dword v3, off, s[0:3], 0 offset:88
.LBB10_119:
	s_or_b32 exec_lo, exec_lo, s4
	v_mov_b32_e32 v4, s11
	s_mov_b32 s4, exec_lo
	s_clause 0x3
	buffer_load_dword v1, v4, s[0:3], 0 offen
	buffer_load_dword v2, v4, s[0:3], 0 offen offset:4
	buffer_load_dword v3, v4, s[0:3], 0 offen offset:8
	;; [unrolled: 1-line block ×3, first 2 shown]
	s_waitcnt vmcnt(0)
	ds_write_b128 v28, v[1:4]
	s_waitcnt lgkmcnt(0)
	s_waitcnt_vscnt null, 0x0
	s_barrier
	buffer_gl0_inv
	v_cmpx_gt_u32_e32 6, v0
	s_cbranch_execz .LBB10_127
; %bb.120:
	ds_read_b128 v[1:4], v28
	v_cmp_ne_u32_e32 vcc_lo, 1, v29
	s_cbranch_vccnz .LBB10_122
; %bb.121:
	s_clause 0x3
	buffer_load_dword v30, v27, s[0:3], 0 offen offset:8
	buffer_load_dword v31, v27, s[0:3], 0 offen offset:12
	buffer_load_dword v34, v27, s[0:3], 0 offen
	buffer_load_dword v35, v27, s[0:3], 0 offen offset:4
	s_waitcnt vmcnt(2) lgkmcnt(0)
	v_mul_f64 v[36:37], v[3:4], v[30:31]
	v_mul_f64 v[30:31], v[1:2], v[30:31]
	s_waitcnt vmcnt(0)
	v_fma_f64 v[1:2], v[1:2], v[34:35], -v[36:37]
	v_fma_f64 v[3:4], v[3:4], v[34:35], v[30:31]
.LBB10_122:
	s_mov_b32 s8, exec_lo
	v_cmpx_ne_u32_e32 5, v0
	s_cbranch_execz .LBB10_126
; %bb.123:
	v_add_nc_u32_e32 v30, 0xc0, v33
	v_add3_u32 v31, 0, v33, 16
	v_mov_b32_e32 v32, v0
	s_mov_b32 s17, 0
	.p2align	6
.LBB10_124:                             ; =>This Inner Loop Header: Depth=1
	s_clause 0x3
	buffer_load_dword v38, v31, s[0:3], 0 offen offset:8
	buffer_load_dword v39, v31, s[0:3], 0 offen offset:12
	buffer_load_dword v40, v31, s[0:3], 0 offen
	buffer_load_dword v41, v31, s[0:3], 0 offen offset:4
	ds_read_b128 v[34:37], v30
	v_add_nc_u32_e32 v32, 1, v32
	v_add_nc_u32_e32 v30, 16, v30
	;; [unrolled: 1-line block ×3, first 2 shown]
	v_cmp_lt_u32_e32 vcc_lo, 4, v32
	s_or_b32 s17, vcc_lo, s17
	s_waitcnt vmcnt(2) lgkmcnt(0)
	v_mul_f64 v[42:43], v[36:37], v[38:39]
	v_mul_f64 v[38:39], v[34:35], v[38:39]
	s_waitcnt vmcnt(0)
	v_fma_f64 v[34:35], v[34:35], v[40:41], -v[42:43]
	v_fma_f64 v[36:37], v[36:37], v[40:41], v[38:39]
	v_add_f64 v[1:2], v[1:2], v[34:35]
	v_add_f64 v[3:4], v[3:4], v[36:37]
	s_andn2_b32 exec_lo, exec_lo, s17
	s_cbranch_execnz .LBB10_124
; %bb.125:
	s_or_b32 exec_lo, exec_lo, s17
.LBB10_126:
	s_or_b32 exec_lo, exec_lo, s8
	v_mov_b32_e32 v30, 0
	ds_read_b128 v[34:37], v30 offset:96
	s_waitcnt lgkmcnt(0)
	v_mul_f64 v[30:31], v[3:4], v[36:37]
	v_mul_f64 v[36:37], v[1:2], v[36:37]
	v_fma_f64 v[1:2], v[1:2], v[34:35], -v[30:31]
	v_fma_f64 v[3:4], v[3:4], v[34:35], v[36:37]
	buffer_store_dword v2, off, s[0:3], 0 offset:100
	buffer_store_dword v1, off, s[0:3], 0 offset:96
	;; [unrolled: 1-line block ×4, first 2 shown]
.LBB10_127:
	s_or_b32 exec_lo, exec_lo, s4
	v_mov_b32_e32 v4, s10
	s_mov_b32 s4, exec_lo
	s_clause 0x3
	buffer_load_dword v1, v4, s[0:3], 0 offen
	buffer_load_dword v2, v4, s[0:3], 0 offen offset:4
	buffer_load_dword v3, v4, s[0:3], 0 offen offset:8
	;; [unrolled: 1-line block ×3, first 2 shown]
	s_waitcnt vmcnt(0)
	ds_write_b128 v28, v[1:4]
	s_waitcnt lgkmcnt(0)
	s_waitcnt_vscnt null, 0x0
	s_barrier
	buffer_gl0_inv
	v_cmpx_gt_u32_e32 7, v0
	s_cbranch_execz .LBB10_135
; %bb.128:
	ds_read_b128 v[1:4], v28
	v_cmp_ne_u32_e32 vcc_lo, 1, v29
	s_cbranch_vccnz .LBB10_130
; %bb.129:
	s_clause 0x3
	buffer_load_dword v30, v27, s[0:3], 0 offen offset:8
	buffer_load_dword v31, v27, s[0:3], 0 offen offset:12
	buffer_load_dword v34, v27, s[0:3], 0 offen
	buffer_load_dword v35, v27, s[0:3], 0 offen offset:4
	s_waitcnt vmcnt(2) lgkmcnt(0)
	v_mul_f64 v[36:37], v[3:4], v[30:31]
	v_mul_f64 v[30:31], v[1:2], v[30:31]
	s_waitcnt vmcnt(0)
	v_fma_f64 v[1:2], v[1:2], v[34:35], -v[36:37]
	v_fma_f64 v[3:4], v[3:4], v[34:35], v[30:31]
.LBB10_130:
	s_mov_b32 s8, exec_lo
	v_cmpx_ne_u32_e32 6, v0
	s_cbranch_execz .LBB10_134
; %bb.131:
	v_add_nc_u32_e32 v30, 0xc0, v33
	v_add3_u32 v31, 0, v33, 16
	v_mov_b32_e32 v32, v0
	s_mov_b32 s17, 0
	.p2align	6
.LBB10_132:                             ; =>This Inner Loop Header: Depth=1
	s_clause 0x3
	buffer_load_dword v38, v31, s[0:3], 0 offen offset:8
	buffer_load_dword v39, v31, s[0:3], 0 offen offset:12
	buffer_load_dword v40, v31, s[0:3], 0 offen
	buffer_load_dword v41, v31, s[0:3], 0 offen offset:4
	ds_read_b128 v[34:37], v30
	v_add_nc_u32_e32 v32, 1, v32
	v_add_nc_u32_e32 v30, 16, v30
	;; [unrolled: 1-line block ×3, first 2 shown]
	v_cmp_lt_u32_e32 vcc_lo, 5, v32
	s_or_b32 s17, vcc_lo, s17
	s_waitcnt vmcnt(2) lgkmcnt(0)
	v_mul_f64 v[42:43], v[36:37], v[38:39]
	v_mul_f64 v[38:39], v[34:35], v[38:39]
	s_waitcnt vmcnt(0)
	v_fma_f64 v[34:35], v[34:35], v[40:41], -v[42:43]
	v_fma_f64 v[36:37], v[36:37], v[40:41], v[38:39]
	v_add_f64 v[1:2], v[1:2], v[34:35]
	v_add_f64 v[3:4], v[3:4], v[36:37]
	s_andn2_b32 exec_lo, exec_lo, s17
	s_cbranch_execnz .LBB10_132
; %bb.133:
	s_or_b32 exec_lo, exec_lo, s17
.LBB10_134:
	s_or_b32 exec_lo, exec_lo, s8
	v_mov_b32_e32 v30, 0
	ds_read_b128 v[34:37], v30 offset:112
	s_waitcnt lgkmcnt(0)
	v_mul_f64 v[30:31], v[3:4], v[36:37]
	v_mul_f64 v[36:37], v[1:2], v[36:37]
	v_fma_f64 v[1:2], v[1:2], v[34:35], -v[30:31]
	v_fma_f64 v[3:4], v[3:4], v[34:35], v[36:37]
	buffer_store_dword v2, off, s[0:3], 0 offset:116
	buffer_store_dword v1, off, s[0:3], 0 offset:112
	;; [unrolled: 1-line block ×4, first 2 shown]
.LBB10_135:
	s_or_b32 exec_lo, exec_lo, s4
	v_mov_b32_e32 v4, s9
	s_mov_b32 s4, exec_lo
	s_clause 0x3
	buffer_load_dword v1, v4, s[0:3], 0 offen
	buffer_load_dword v2, v4, s[0:3], 0 offen offset:4
	buffer_load_dword v3, v4, s[0:3], 0 offen offset:8
	;; [unrolled: 1-line block ×3, first 2 shown]
	s_waitcnt vmcnt(0)
	ds_write_b128 v28, v[1:4]
	s_waitcnt lgkmcnt(0)
	s_waitcnt_vscnt null, 0x0
	s_barrier
	buffer_gl0_inv
	v_cmpx_gt_u32_e32 8, v0
	s_cbranch_execz .LBB10_143
; %bb.136:
	ds_read_b128 v[1:4], v28
	v_cmp_ne_u32_e32 vcc_lo, 1, v29
	s_cbranch_vccnz .LBB10_138
; %bb.137:
	s_clause 0x3
	buffer_load_dword v30, v27, s[0:3], 0 offen offset:8
	buffer_load_dword v31, v27, s[0:3], 0 offen offset:12
	buffer_load_dword v34, v27, s[0:3], 0 offen
	buffer_load_dword v35, v27, s[0:3], 0 offen offset:4
	s_waitcnt vmcnt(2) lgkmcnt(0)
	v_mul_f64 v[36:37], v[3:4], v[30:31]
	v_mul_f64 v[30:31], v[1:2], v[30:31]
	s_waitcnt vmcnt(0)
	v_fma_f64 v[1:2], v[1:2], v[34:35], -v[36:37]
	v_fma_f64 v[3:4], v[3:4], v[34:35], v[30:31]
.LBB10_138:
	s_mov_b32 s8, exec_lo
	v_cmpx_ne_u32_e32 7, v0
	s_cbranch_execz .LBB10_142
; %bb.139:
	v_add_nc_u32_e32 v30, 0xc0, v33
	v_add3_u32 v31, 0, v33, 16
	v_mov_b32_e32 v32, v0
	s_mov_b32 s17, 0
	.p2align	6
.LBB10_140:                             ; =>This Inner Loop Header: Depth=1
	s_clause 0x3
	buffer_load_dword v38, v31, s[0:3], 0 offen offset:8
	buffer_load_dword v39, v31, s[0:3], 0 offen offset:12
	buffer_load_dword v40, v31, s[0:3], 0 offen
	buffer_load_dword v41, v31, s[0:3], 0 offen offset:4
	ds_read_b128 v[34:37], v30
	v_add_nc_u32_e32 v32, 1, v32
	v_add_nc_u32_e32 v30, 16, v30
	;; [unrolled: 1-line block ×3, first 2 shown]
	v_cmp_lt_u32_e32 vcc_lo, 6, v32
	s_or_b32 s17, vcc_lo, s17
	s_waitcnt vmcnt(2) lgkmcnt(0)
	v_mul_f64 v[42:43], v[36:37], v[38:39]
	v_mul_f64 v[38:39], v[34:35], v[38:39]
	s_waitcnt vmcnt(0)
	v_fma_f64 v[34:35], v[34:35], v[40:41], -v[42:43]
	v_fma_f64 v[36:37], v[36:37], v[40:41], v[38:39]
	v_add_f64 v[1:2], v[1:2], v[34:35]
	v_add_f64 v[3:4], v[3:4], v[36:37]
	s_andn2_b32 exec_lo, exec_lo, s17
	s_cbranch_execnz .LBB10_140
; %bb.141:
	s_or_b32 exec_lo, exec_lo, s17
.LBB10_142:
	s_or_b32 exec_lo, exec_lo, s8
	v_mov_b32_e32 v30, 0
	ds_read_b128 v[34:37], v30 offset:128
	s_waitcnt lgkmcnt(0)
	v_mul_f64 v[30:31], v[3:4], v[36:37]
	v_mul_f64 v[36:37], v[1:2], v[36:37]
	v_fma_f64 v[1:2], v[1:2], v[34:35], -v[30:31]
	v_fma_f64 v[3:4], v[3:4], v[34:35], v[36:37]
	buffer_store_dword v2, off, s[0:3], 0 offset:132
	buffer_store_dword v1, off, s[0:3], 0 offset:128
	;; [unrolled: 1-line block ×4, first 2 shown]
.LBB10_143:
	s_or_b32 exec_lo, exec_lo, s4
	v_mov_b32_e32 v4, s7
	v_cmp_gt_u32_e64 s4, 9, v0
	s_clause 0x3
	buffer_load_dword v1, v4, s[0:3], 0 offen
	buffer_load_dword v2, v4, s[0:3], 0 offen offset:4
	buffer_load_dword v3, v4, s[0:3], 0 offen offset:8
	;; [unrolled: 1-line block ×3, first 2 shown]
	s_waitcnt vmcnt(0)
	ds_write_b128 v28, v[1:4]
	s_waitcnt lgkmcnt(0)
	s_waitcnt_vscnt null, 0x0
	s_barrier
	buffer_gl0_inv
	s_and_saveexec_b32 s8, s4
	s_cbranch_execz .LBB10_151
; %bb.144:
	ds_read_b128 v[1:4], v28
	v_cmp_ne_u32_e32 vcc_lo, 1, v29
	s_cbranch_vccnz .LBB10_146
; %bb.145:
	s_clause 0x3
	buffer_load_dword v30, v27, s[0:3], 0 offen offset:8
	buffer_load_dword v31, v27, s[0:3], 0 offen offset:12
	buffer_load_dword v34, v27, s[0:3], 0 offen
	buffer_load_dword v35, v27, s[0:3], 0 offen offset:4
	s_waitcnt vmcnt(2) lgkmcnt(0)
	v_mul_f64 v[36:37], v[3:4], v[30:31]
	v_mul_f64 v[30:31], v[1:2], v[30:31]
	s_waitcnt vmcnt(0)
	v_fma_f64 v[1:2], v[1:2], v[34:35], -v[36:37]
	v_fma_f64 v[3:4], v[3:4], v[34:35], v[30:31]
.LBB10_146:
	s_mov_b32 s17, exec_lo
	v_cmpx_ne_u32_e32 8, v0
	s_cbranch_execz .LBB10_150
; %bb.147:
	v_add_nc_u32_e32 v30, 0xc0, v33
	v_add3_u32 v31, 0, v33, 16
	v_mov_b32_e32 v32, v0
	s_mov_b32 s18, 0
	.p2align	6
.LBB10_148:                             ; =>This Inner Loop Header: Depth=1
	s_clause 0x3
	buffer_load_dword v38, v31, s[0:3], 0 offen offset:8
	buffer_load_dword v39, v31, s[0:3], 0 offen offset:12
	buffer_load_dword v40, v31, s[0:3], 0 offen
	buffer_load_dword v41, v31, s[0:3], 0 offen offset:4
	ds_read_b128 v[34:37], v30
	v_add_nc_u32_e32 v32, 1, v32
	v_add_nc_u32_e32 v30, 16, v30
	;; [unrolled: 1-line block ×3, first 2 shown]
	v_cmp_lt_u32_e32 vcc_lo, 7, v32
	s_or_b32 s18, vcc_lo, s18
	s_waitcnt vmcnt(2) lgkmcnt(0)
	v_mul_f64 v[42:43], v[36:37], v[38:39]
	v_mul_f64 v[38:39], v[34:35], v[38:39]
	s_waitcnt vmcnt(0)
	v_fma_f64 v[34:35], v[34:35], v[40:41], -v[42:43]
	v_fma_f64 v[36:37], v[36:37], v[40:41], v[38:39]
	v_add_f64 v[1:2], v[1:2], v[34:35]
	v_add_f64 v[3:4], v[3:4], v[36:37]
	s_andn2_b32 exec_lo, exec_lo, s18
	s_cbranch_execnz .LBB10_148
; %bb.149:
	s_or_b32 exec_lo, exec_lo, s18
.LBB10_150:
	s_or_b32 exec_lo, exec_lo, s17
	v_mov_b32_e32 v30, 0
	ds_read_b128 v[34:37], v30 offset:144
	s_waitcnt lgkmcnt(0)
	v_mul_f64 v[30:31], v[3:4], v[36:37]
	v_mul_f64 v[36:37], v[1:2], v[36:37]
	v_fma_f64 v[1:2], v[1:2], v[34:35], -v[30:31]
	v_fma_f64 v[3:4], v[3:4], v[34:35], v[36:37]
	buffer_store_dword v2, off, s[0:3], 0 offset:148
	buffer_store_dword v1, off, s[0:3], 0 offset:144
	;; [unrolled: 1-line block ×4, first 2 shown]
.LBB10_151:
	s_or_b32 exec_lo, exec_lo, s8
	v_mov_b32_e32 v4, s6
	s_mov_b32 s8, exec_lo
                                        ; implicit-def: $sgpr19
	s_clause 0x3
	buffer_load_dword v1, v4, s[0:3], 0 offen
	buffer_load_dword v2, v4, s[0:3], 0 offen offset:4
	buffer_load_dword v3, v4, s[0:3], 0 offen offset:8
	;; [unrolled: 1-line block ×3, first 2 shown]
	s_waitcnt vmcnt(0)
	ds_write_b128 v28, v[1:4]
	s_waitcnt lgkmcnt(0)
	s_waitcnt_vscnt null, 0x0
	s_barrier
	buffer_gl0_inv
                                        ; implicit-def: $vgpr1_vgpr2
	v_cmpx_ne_u32_e32 10, v0
	s_cbranch_execz .LBB10_159
; %bb.152:
	ds_read_b128 v[1:4], v28
	v_cmp_ne_u32_e32 vcc_lo, 1, v29
	s_cbranch_vccnz .LBB10_154
; %bb.153:
	s_clause 0x3
	buffer_load_dword v28, v27, s[0:3], 0 offen offset:8
	buffer_load_dword v29, v27, s[0:3], 0 offen offset:12
	buffer_load_dword v30, v27, s[0:3], 0 offen
	buffer_load_dword v31, v27, s[0:3], 0 offen offset:4
	s_waitcnt vmcnt(2) lgkmcnt(0)
	v_mul_f64 v[34:35], v[3:4], v[28:29]
	v_mul_f64 v[27:28], v[1:2], v[28:29]
	s_waitcnt vmcnt(0)
	v_fma_f64 v[1:2], v[1:2], v[30:31], -v[34:35]
	v_fma_f64 v[3:4], v[3:4], v[30:31], v[27:28]
.LBB10_154:
	s_and_saveexec_b32 s17, s4
	s_cbranch_execz .LBB10_158
; %bb.155:
	v_add_nc_u32_e32 v27, 0xc0, v33
	v_add3_u32 v28, 0, v33, 16
	s_mov_b32 s4, 0
	.p2align	6
.LBB10_156:                             ; =>This Inner Loop Header: Depth=1
	s_clause 0x3
	buffer_load_dword v33, v28, s[0:3], 0 offen offset:8
	buffer_load_dword v34, v28, s[0:3], 0 offen offset:12
	buffer_load_dword v35, v28, s[0:3], 0 offen
	buffer_load_dword v36, v28, s[0:3], 0 offen offset:4
	ds_read_b128 v[29:32], v27
	v_add_nc_u32_e32 v0, 1, v0
	v_add_nc_u32_e32 v27, 16, v27
	;; [unrolled: 1-line block ×3, first 2 shown]
	v_cmp_lt_u32_e32 vcc_lo, 8, v0
	s_or_b32 s4, vcc_lo, s4
	s_waitcnt vmcnt(2) lgkmcnt(0)
	v_mul_f64 v[37:38], v[31:32], v[33:34]
	v_mul_f64 v[33:34], v[29:30], v[33:34]
	s_waitcnt vmcnt(0)
	v_fma_f64 v[29:30], v[29:30], v[35:36], -v[37:38]
	v_fma_f64 v[31:32], v[31:32], v[35:36], v[33:34]
	v_add_f64 v[1:2], v[1:2], v[29:30]
	v_add_f64 v[3:4], v[3:4], v[31:32]
	s_andn2_b32 exec_lo, exec_lo, s4
	s_cbranch_execnz .LBB10_156
; %bb.157:
	s_or_b32 exec_lo, exec_lo, s4
.LBB10_158:
	s_or_b32 exec_lo, exec_lo, s17
	v_mov_b32_e32 v0, 0
	s_movk_i32 s19, 0xa8
	s_or_b32 s5, s5, exec_lo
	ds_read_b128 v[27:30], v0 offset:160
	s_waitcnt lgkmcnt(0)
	v_mul_f64 v[31:32], v[3:4], v[29:30]
	v_mul_f64 v[29:30], v[1:2], v[29:30]
	v_fma_f64 v[31:32], v[1:2], v[27:28], -v[31:32]
	v_fma_f64 v[1:2], v[3:4], v[27:28], v[29:30]
	buffer_store_dword v32, off, s[0:3], 0 offset:164
	buffer_store_dword v31, off, s[0:3], 0 offset:160
.LBB10_159:
	s_or_b32 exec_lo, exec_lo, s8
.LBB10_160:
	s_and_saveexec_b32 s4, s5
	s_cbranch_execz .LBB10_162
; %bb.161:
	v_mov_b32_e32 v0, s19
	buffer_store_dword v2, v0, s[0:3], 0 offen offset:4
	buffer_store_dword v1, v0, s[0:3], 0 offen
.LBB10_162:
	s_or_b32 exec_lo, exec_lo, s4
	s_clause 0x3
	buffer_load_dword v0, off, s[0:3], 0
	buffer_load_dword v1, off, s[0:3], 0 offset:4
	buffer_load_dword v2, off, s[0:3], 0 offset:8
	;; [unrolled: 1-line block ×3, first 2 shown]
	v_mov_b32_e32 v4, s16
	v_mov_b32_e32 v55, s9
	;; [unrolled: 1-line block ×10, first 2 shown]
	s_clause 0x1b
	buffer_load_dword v27, v4, s[0:3], 0 offen
	buffer_load_dword v28, v4, s[0:3], 0 offen offset:4
	buffer_load_dword v29, v4, s[0:3], 0 offen offset:8
	buffer_load_dword v30, v4, s[0:3], 0 offen offset:12
	buffer_load_dword v31, v34, s[0:3], 0 offen
	buffer_load_dword v32, v34, s[0:3], 0 offen offset:4
	buffer_load_dword v33, v34, s[0:3], 0 offen offset:8
	buffer_load_dword v34, v34, s[0:3], 0 offen offset:12
	;; [unrolled: 4-line block ×7, first 2 shown]
	s_waitcnt vmcnt(28)
	global_store_dwordx4 v[7:8], v[0:3], off
	s_clause 0xb
	buffer_load_dword v0, v55, s[0:3], 0 offen
	buffer_load_dword v1, v55, s[0:3], 0 offen offset:4
	buffer_load_dword v2, v55, s[0:3], 0 offen offset:8
	buffer_load_dword v3, v55, s[0:3], 0 offen offset:12
	buffer_load_dword v55, v58, s[0:3], 0 offen
	buffer_load_dword v56, v58, s[0:3], 0 offen offset:4
	buffer_load_dword v57, v58, s[0:3], 0 offen offset:8
	buffer_load_dword v58, v58, s[0:3], 0 offen offset:12
	;; [unrolled: 4-line block ×3, first 2 shown]
	s_waitcnt vmcnt(36)
	global_store_dwordx4 v[5:6], v[27:30], off
	s_waitcnt vmcnt(32)
	global_store_dwordx4 v[9:10], v[31:34], off
	;; [unrolled: 2-line block ×10, first 2 shown]
.LBB10_163:
	s_endpgm
	.section	.rodata,"a",@progbits
	.p2align	6, 0x0
	.amdhsa_kernel _ZN9rocsolver6v33100L18trti2_kernel_smallILi11E19rocblas_complex_numIdEPS3_EEv13rocblas_fill_17rocblas_diagonal_T1_iil
		.amdhsa_group_segment_fixed_size 352
		.amdhsa_private_segment_fixed_size 192
		.amdhsa_kernarg_size 32
		.amdhsa_user_sgpr_count 6
		.amdhsa_user_sgpr_private_segment_buffer 1
		.amdhsa_user_sgpr_dispatch_ptr 0
		.amdhsa_user_sgpr_queue_ptr 0
		.amdhsa_user_sgpr_kernarg_segment_ptr 1
		.amdhsa_user_sgpr_dispatch_id 0
		.amdhsa_user_sgpr_flat_scratch_init 0
		.amdhsa_user_sgpr_private_segment_size 0
		.amdhsa_wavefront_size32 1
		.amdhsa_uses_dynamic_stack 0
		.amdhsa_system_sgpr_private_segment_wavefront_offset 1
		.amdhsa_system_sgpr_workgroup_id_x 1
		.amdhsa_system_sgpr_workgroup_id_y 0
		.amdhsa_system_sgpr_workgroup_id_z 0
		.amdhsa_system_sgpr_workgroup_info 0
		.amdhsa_system_vgpr_workitem_id 0
		.amdhsa_next_free_vgpr 63
		.amdhsa_next_free_sgpr 21
		.amdhsa_reserve_vcc 1
		.amdhsa_reserve_flat_scratch 0
		.amdhsa_float_round_mode_32 0
		.amdhsa_float_round_mode_16_64 0
		.amdhsa_float_denorm_mode_32 3
		.amdhsa_float_denorm_mode_16_64 3
		.amdhsa_dx10_clamp 1
		.amdhsa_ieee_mode 1
		.amdhsa_fp16_overflow 0
		.amdhsa_workgroup_processor_mode 1
		.amdhsa_memory_ordered 1
		.amdhsa_forward_progress 1
		.amdhsa_shared_vgpr_count 0
		.amdhsa_exception_fp_ieee_invalid_op 0
		.amdhsa_exception_fp_denorm_src 0
		.amdhsa_exception_fp_ieee_div_zero 0
		.amdhsa_exception_fp_ieee_overflow 0
		.amdhsa_exception_fp_ieee_underflow 0
		.amdhsa_exception_fp_ieee_inexact 0
		.amdhsa_exception_int_div_zero 0
	.end_amdhsa_kernel
	.section	.text._ZN9rocsolver6v33100L18trti2_kernel_smallILi11E19rocblas_complex_numIdEPS3_EEv13rocblas_fill_17rocblas_diagonal_T1_iil,"axG",@progbits,_ZN9rocsolver6v33100L18trti2_kernel_smallILi11E19rocblas_complex_numIdEPS3_EEv13rocblas_fill_17rocblas_diagonal_T1_iil,comdat
.Lfunc_end10:
	.size	_ZN9rocsolver6v33100L18trti2_kernel_smallILi11E19rocblas_complex_numIdEPS3_EEv13rocblas_fill_17rocblas_diagonal_T1_iil, .Lfunc_end10-_ZN9rocsolver6v33100L18trti2_kernel_smallILi11E19rocblas_complex_numIdEPS3_EEv13rocblas_fill_17rocblas_diagonal_T1_iil
                                        ; -- End function
	.set _ZN9rocsolver6v33100L18trti2_kernel_smallILi11E19rocblas_complex_numIdEPS3_EEv13rocblas_fill_17rocblas_diagonal_T1_iil.num_vgpr, 63
	.set _ZN9rocsolver6v33100L18trti2_kernel_smallILi11E19rocblas_complex_numIdEPS3_EEv13rocblas_fill_17rocblas_diagonal_T1_iil.num_agpr, 0
	.set _ZN9rocsolver6v33100L18trti2_kernel_smallILi11E19rocblas_complex_numIdEPS3_EEv13rocblas_fill_17rocblas_diagonal_T1_iil.numbered_sgpr, 21
	.set _ZN9rocsolver6v33100L18trti2_kernel_smallILi11E19rocblas_complex_numIdEPS3_EEv13rocblas_fill_17rocblas_diagonal_T1_iil.num_named_barrier, 0
	.set _ZN9rocsolver6v33100L18trti2_kernel_smallILi11E19rocblas_complex_numIdEPS3_EEv13rocblas_fill_17rocblas_diagonal_T1_iil.private_seg_size, 192
	.set _ZN9rocsolver6v33100L18trti2_kernel_smallILi11E19rocblas_complex_numIdEPS3_EEv13rocblas_fill_17rocblas_diagonal_T1_iil.uses_vcc, 1
	.set _ZN9rocsolver6v33100L18trti2_kernel_smallILi11E19rocblas_complex_numIdEPS3_EEv13rocblas_fill_17rocblas_diagonal_T1_iil.uses_flat_scratch, 0
	.set _ZN9rocsolver6v33100L18trti2_kernel_smallILi11E19rocblas_complex_numIdEPS3_EEv13rocblas_fill_17rocblas_diagonal_T1_iil.has_dyn_sized_stack, 0
	.set _ZN9rocsolver6v33100L18trti2_kernel_smallILi11E19rocblas_complex_numIdEPS3_EEv13rocblas_fill_17rocblas_diagonal_T1_iil.has_recursion, 0
	.set _ZN9rocsolver6v33100L18trti2_kernel_smallILi11E19rocblas_complex_numIdEPS3_EEv13rocblas_fill_17rocblas_diagonal_T1_iil.has_indirect_call, 0
	.section	.AMDGPU.csdata,"",@progbits
; Kernel info:
; codeLenInByte = 10640
; TotalNumSgprs: 23
; NumVgprs: 63
; ScratchSize: 192
; MemoryBound: 0
; FloatMode: 240
; IeeeMode: 1
; LDSByteSize: 352 bytes/workgroup (compile time only)
; SGPRBlocks: 0
; VGPRBlocks: 7
; NumSGPRsForWavesPerEU: 23
; NumVGPRsForWavesPerEU: 63
; Occupancy: 16
; WaveLimiterHint : 0
; COMPUTE_PGM_RSRC2:SCRATCH_EN: 1
; COMPUTE_PGM_RSRC2:USER_SGPR: 6
; COMPUTE_PGM_RSRC2:TRAP_HANDLER: 0
; COMPUTE_PGM_RSRC2:TGID_X_EN: 1
; COMPUTE_PGM_RSRC2:TGID_Y_EN: 0
; COMPUTE_PGM_RSRC2:TGID_Z_EN: 0
; COMPUTE_PGM_RSRC2:TIDIG_COMP_CNT: 0
	.section	.text._ZN9rocsolver6v33100L18trti2_kernel_smallILi12E19rocblas_complex_numIdEPS3_EEv13rocblas_fill_17rocblas_diagonal_T1_iil,"axG",@progbits,_ZN9rocsolver6v33100L18trti2_kernel_smallILi12E19rocblas_complex_numIdEPS3_EEv13rocblas_fill_17rocblas_diagonal_T1_iil,comdat
	.globl	_ZN9rocsolver6v33100L18trti2_kernel_smallILi12E19rocblas_complex_numIdEPS3_EEv13rocblas_fill_17rocblas_diagonal_T1_iil ; -- Begin function _ZN9rocsolver6v33100L18trti2_kernel_smallILi12E19rocblas_complex_numIdEPS3_EEv13rocblas_fill_17rocblas_diagonal_T1_iil
	.p2align	8
	.type	_ZN9rocsolver6v33100L18trti2_kernel_smallILi12E19rocblas_complex_numIdEPS3_EEv13rocblas_fill_17rocblas_diagonal_T1_iil,@function
_ZN9rocsolver6v33100L18trti2_kernel_smallILi12E19rocblas_complex_numIdEPS3_EEv13rocblas_fill_17rocblas_diagonal_T1_iil: ; @_ZN9rocsolver6v33100L18trti2_kernel_smallILi12E19rocblas_complex_numIdEPS3_EEv13rocblas_fill_17rocblas_diagonal_T1_iil
; %bb.0:
	s_add_u32 s0, s0, s7
	s_addc_u32 s1, s1, 0
	s_mov_b32 s7, exec_lo
	v_cmpx_gt_u32_e32 12, v0
	s_cbranch_execz .LBB11_179
; %bb.1:
	s_load_dwordx8 s[8:15], s[4:5], 0x0
	s_ashr_i32 s7, s6, 31
	v_lshlrev_b32_e32 v35, 4, v0
	s_movk_i32 s20, 0xa0
	s_movk_i32 s21, 0xb0
	s_waitcnt lgkmcnt(0)
	s_ashr_i32 s5, s12, 31
	s_mov_b32 s4, s12
	s_mul_hi_u32 s12, s14, s6
	s_mul_i32 s7, s14, s7
	s_mul_i32 s15, s15, s6
	s_add_i32 s7, s12, s7
	s_mul_i32 s6, s14, s6
	s_add_i32 s7, s7, s15
	s_mov_b32 s14, s13
	s_lshl_b64 s[6:7], s[6:7], 4
	v_add3_u32 v5, s13, s13, v0
	s_add_u32 s6, s10, s6
	s_addc_u32 s7, s11, s7
	s_lshl_b64 s[4:5], s[4:5], 4
	s_movk_i32 s10, 0x90
	s_add_u32 s4, s6, s4
	s_addc_u32 s5, s7, s5
	v_add_co_u32 v11, s6, s4, v35
	s_ashr_i32 s15, s13, 31
	v_add_co_ci_u32_e64 v12, null, s5, 0, s6
	s_lshl_b64 s[6:7], s[14:15], 4
	global_load_dwordx4 v[1:4], v35, s[4:5]
	v_add_co_u32 v7, vcc_lo, v11, s6
	v_add_co_ci_u32_e64 v8, null, s7, v12, vcc_lo
	v_add_nc_u32_e32 v13, s13, v5
	v_ashrrev_i32_e32 v6, 31, v5
	s_cmpk_lg_i32 s9, 0x84
	global_load_dwordx4 v[25:28], v[7:8], off
	s_movk_i32 s6, 0x70
	v_ashrrev_i32_e32 v14, 31, v13
	v_lshlrev_b64 v[5:6], 4, v[5:6]
	s_movk_i32 s7, 0x80
	s_cselect_b32 s19, -1, 0
	s_cmpk_eq_i32 s9, 0x84
	v_lshlrev_b64 v[9:10], 4, v[13:14]
	v_add_nc_u32_e32 v13, s13, v13
	v_add_co_u32 v5, vcc_lo, s4, v5
	v_add_co_ci_u32_e64 v6, null, s5, v6, vcc_lo
	v_add_co_u32 v9, vcc_lo, s4, v9
	v_add_co_ci_u32_e64 v10, null, s5, v10, vcc_lo
	global_load_dwordx4 v[29:32], v[5:6], off
	v_add_nc_u32_e32 v15, s13, v13
	v_ashrrev_i32_e32 v14, 31, v13
	global_load_dwordx4 v[36:39], v[9:10], off
	v_add_nc_u32_e32 v17, s13, v15
	v_ashrrev_i32_e32 v16, 31, v15
	v_lshlrev_b64 v[13:14], 4, v[13:14]
	v_add_nc_u32_e32 v19, s13, v17
	v_ashrrev_i32_e32 v18, 31, v17
	v_lshlrev_b64 v[15:16], 4, v[15:16]
	v_add_co_u32 v13, vcc_lo, s4, v13
	v_add_nc_u32_e32 v21, s13, v19
	v_ashrrev_i32_e32 v20, 31, v19
	v_lshlrev_b64 v[17:18], 4, v[17:18]
	v_add_co_ci_u32_e64 v14, null, s5, v14, vcc_lo
	v_add_nc_u32_e32 v23, s13, v21
	v_ashrrev_i32_e32 v22, 31, v21
	v_lshlrev_b64 v[19:20], 4, v[19:20]
	v_add_co_u32 v15, vcc_lo, s4, v15
	v_add_nc_u32_e32 v33, s13, v23
	v_add_co_ci_u32_e64 v16, null, s5, v16, vcc_lo
	v_add_co_u32 v17, vcc_lo, s4, v17
	v_add_nc_u32_e32 v52, s13, v33
	v_lshlrev_b64 v[54:55], 4, v[21:22]
	v_ashrrev_i32_e32 v24, 31, v23
	v_add_co_ci_u32_e64 v18, null, s5, v18, vcc_lo
	v_ashrrev_i32_e32 v53, 31, v52
	v_add_co_u32 v21, vcc_lo, s4, v19
	v_add_co_ci_u32_e64 v22, null, s5, v20, vcc_lo
	v_lshlrev_b64 v[52:53], 4, v[52:53]
	v_lshlrev_b64 v[60:61], 4, v[23:24]
	s_clause 0x2
	global_load_dwordx4 v[40:43], v[13:14], off
	global_load_dwordx4 v[44:47], v[15:16], off
	;; [unrolled: 1-line block ×3, first 2 shown]
	v_ashrrev_i32_e32 v34, 31, v33
	v_add_co_u32 v19, vcc_lo, s4, v52
	v_add_co_ci_u32_e64 v20, null, s5, v53, vcc_lo
	v_add_co_u32 v23, vcc_lo, s4, v54
	v_add_co_ci_u32_e64 v24, null, s5, v55, vcc_lo
	global_load_dwordx4 v[52:55], v[19:20], off
	v_lshlrev_b64 v[33:34], 4, v[33:34]
	s_waitcnt vmcnt(7)
	buffer_store_dword v4, off, s[0:3], 0 offset:12
	buffer_store_dword v3, off, s[0:3], 0 offset:8
	;; [unrolled: 1-line block ×3, first 2 shown]
	buffer_store_dword v1, off, s[0:3], 0
	s_waitcnt vmcnt(6)
	buffer_store_dword v28, off, s[0:3], 0 offset:28
	buffer_store_dword v27, off, s[0:3], 0 offset:24
	;; [unrolled: 1-line block ×4, first 2 shown]
	s_clause 0x1
	global_load_dwordx4 v[1:4], v[21:22], off
	global_load_dwordx4 v[56:59], v[23:24], off
	v_add_co_u32 v25, vcc_lo, s4, v60
	v_add_co_ci_u32_e64 v26, null, s5, v61, vcc_lo
	v_add_co_u32 v27, vcc_lo, s4, v33
	s_waitcnt vmcnt(7)
	buffer_store_dword v32, off, s[0:3], 0 offset:44
	buffer_store_dword v31, off, s[0:3], 0 offset:40
	;; [unrolled: 1-line block ×4, first 2 shown]
	v_add_co_ci_u32_e64 v28, null, s5, v34, vcc_lo
	global_load_dwordx4 v[29:32], v[25:26], off
	s_waitcnt vmcnt(7)
	buffer_store_dword v39, off, s[0:3], 0 offset:60
	buffer_store_dword v38, off, s[0:3], 0 offset:56
	;; [unrolled: 1-line block ×4, first 2 shown]
	s_movk_i32 s4, 0x50
	global_load_dwordx4 v[36:39], v[27:28], off
	s_movk_i32 s5, 0x60
	s_waitcnt vmcnt(7)
	buffer_store_dword v43, off, s[0:3], 0 offset:76
	buffer_store_dword v42, off, s[0:3], 0 offset:72
	buffer_store_dword v41, off, s[0:3], 0 offset:68
	buffer_store_dword v40, off, s[0:3], 0 offset:64
	s_waitcnt vmcnt(6)
	buffer_store_dword v47, off, s[0:3], 0 offset:92
	buffer_store_dword v46, off, s[0:3], 0 offset:88
	buffer_store_dword v45, off, s[0:3], 0 offset:84
	buffer_store_dword v44, off, s[0:3], 0 offset:80
	;; [unrolled: 5-line block ×7, first 2 shown]
	buffer_store_dword v52, off, s[0:3], 0 offset:176
	buffer_store_dword v53, off, s[0:3], 0 offset:180
	;; [unrolled: 1-line block ×4, first 2 shown]
	s_cbranch_scc1 .LBB11_7
; %bb.2:
	v_lshl_add_u32 v36, v0, 4, 0
                                        ; implicit-def: $vgpr31_vgpr32
                                        ; implicit-def: $vgpr3_vgpr4
	s_clause 0x3
	buffer_load_dword v29, v36, s[0:3], 0 offen
	buffer_load_dword v30, v36, s[0:3], 0 offen offset:4
	buffer_load_dword v33, v36, s[0:3], 0 offen offset:8
	;; [unrolled: 1-line block ×3, first 2 shown]
	s_waitcnt vmcnt(0)
	v_cmp_ngt_f64_e64 s9, |v[29:30]|, |v[33:34]|
	s_and_saveexec_b32 s11, s9
	s_xor_b32 s9, exec_lo, s11
	s_cbranch_execz .LBB11_4
; %bb.3:
	v_div_scale_f64 v[1:2], null, v[33:34], v[33:34], v[29:30]
	v_div_scale_f64 v[37:38], vcc_lo, v[29:30], v[33:34], v[29:30]
	v_rcp_f64_e32 v[3:4], v[1:2]
	v_fma_f64 v[31:32], -v[1:2], v[3:4], 1.0
	v_fma_f64 v[3:4], v[3:4], v[31:32], v[3:4]
	v_fma_f64 v[31:32], -v[1:2], v[3:4], 1.0
	v_fma_f64 v[3:4], v[3:4], v[31:32], v[3:4]
	v_mul_f64 v[31:32], v[37:38], v[3:4]
	v_fma_f64 v[1:2], -v[1:2], v[31:32], v[37:38]
	v_div_fmas_f64 v[1:2], v[1:2], v[3:4], v[31:32]
	v_div_fixup_f64 v[1:2], v[1:2], v[33:34], v[29:30]
	v_fma_f64 v[3:4], v[29:30], v[1:2], v[33:34]
	v_div_scale_f64 v[29:30], null, v[3:4], v[3:4], 1.0
	v_div_scale_f64 v[37:38], vcc_lo, 1.0, v[3:4], 1.0
	v_rcp_f64_e32 v[31:32], v[29:30]
	v_fma_f64 v[33:34], -v[29:30], v[31:32], 1.0
	v_fma_f64 v[31:32], v[31:32], v[33:34], v[31:32]
	v_fma_f64 v[33:34], -v[29:30], v[31:32], 1.0
	v_fma_f64 v[31:32], v[31:32], v[33:34], v[31:32]
	v_mul_f64 v[33:34], v[37:38], v[31:32]
	v_fma_f64 v[29:30], -v[29:30], v[33:34], v[37:38]
	v_div_fmas_f64 v[29:30], v[29:30], v[31:32], v[33:34]
                                        ; implicit-def: $vgpr33_vgpr34
	v_div_fixup_f64 v[3:4], v[29:30], v[3:4], 1.0
                                        ; implicit-def: $vgpr29_vgpr30
	v_mul_f64 v[31:32], v[1:2], v[3:4]
	v_xor_b32_e32 v4, 0x80000000, v4
	v_xor_b32_e32 v2, 0x80000000, v32
	v_mov_b32_e32 v1, v31
.LBB11_4:
	s_andn2_saveexec_b32 s9, s9
	s_cbranch_execz .LBB11_6
; %bb.5:
	v_div_scale_f64 v[1:2], null, v[29:30], v[29:30], v[33:34]
	v_div_scale_f64 v[37:38], vcc_lo, v[33:34], v[29:30], v[33:34]
	v_rcp_f64_e32 v[3:4], v[1:2]
	v_fma_f64 v[31:32], -v[1:2], v[3:4], 1.0
	v_fma_f64 v[3:4], v[3:4], v[31:32], v[3:4]
	v_fma_f64 v[31:32], -v[1:2], v[3:4], 1.0
	v_fma_f64 v[3:4], v[3:4], v[31:32], v[3:4]
	v_mul_f64 v[31:32], v[37:38], v[3:4]
	v_fma_f64 v[1:2], -v[1:2], v[31:32], v[37:38]
	v_div_fmas_f64 v[1:2], v[1:2], v[3:4], v[31:32]
	v_div_fixup_f64 v[1:2], v[1:2], v[29:30], v[33:34]
	v_fma_f64 v[3:4], v[33:34], v[1:2], v[29:30]
	v_div_scale_f64 v[29:30], null, v[3:4], v[3:4], 1.0
	v_rcp_f64_e32 v[31:32], v[29:30]
	v_fma_f64 v[33:34], -v[29:30], v[31:32], 1.0
	v_fma_f64 v[31:32], v[31:32], v[33:34], v[31:32]
	v_fma_f64 v[33:34], -v[29:30], v[31:32], 1.0
	v_fma_f64 v[31:32], v[31:32], v[33:34], v[31:32]
	v_div_scale_f64 v[33:34], vcc_lo, 1.0, v[3:4], 1.0
	v_mul_f64 v[37:38], v[33:34], v[31:32]
	v_fma_f64 v[29:30], -v[29:30], v[37:38], v[33:34]
	v_div_fmas_f64 v[29:30], v[29:30], v[31:32], v[37:38]
	v_div_fixup_f64 v[31:32], v[29:30], v[3:4], 1.0
	v_mul_f64 v[3:4], v[1:2], -v[31:32]
	v_xor_b32_e32 v2, 0x80000000, v32
	v_mov_b32_e32 v1, v31
.LBB11_6:
	s_or_b32 exec_lo, exec_lo, s9
	buffer_store_dword v4, v36, s[0:3], 0 offen offset:12
	v_xor_b32_e32 v4, 0x80000000, v4
	buffer_store_dword v32, v36, s[0:3], 0 offen offset:4
	buffer_store_dword v31, v36, s[0:3], 0 offen
	buffer_store_dword v3, v36, s[0:3], 0 offen offset:8
	s_branch .LBB11_8
.LBB11_7:
	v_mov_b32_e32 v1, 0
	v_mov_b32_e32 v3, 0
	;; [unrolled: 1-line block ×4, first 2 shown]
.LBB11_8:
	v_add_nc_u32_e32 v30, 0xc0, v35
	v_mov_b32_e32 v29, v35
	s_mov_b32 s18, 16
	s_mov_b32 s17, 32
	;; [unrolled: 1-line block ×10, first 2 shown]
	s_cmpk_eq_i32 s8, 0x79
	ds_write_b128 v35, v[1:4]
	s_cbranch_scc1 .LBB11_92
; %bb.9:
	v_mov_b32_e32 v4, s9
	v_cmp_eq_u32_e64 s4, 11, v0
	s_clause 0x3
	buffer_load_dword v1, v4, s[0:3], 0 offen
	buffer_load_dword v2, v4, s[0:3], 0 offen offset:4
	buffer_load_dword v3, v4, s[0:3], 0 offen offset:8
	;; [unrolled: 1-line block ×3, first 2 shown]
	s_waitcnt vmcnt(0)
	ds_write_b128 v30, v[1:4]
	s_waitcnt lgkmcnt(0)
	s_waitcnt_vscnt null, 0x0
	s_barrier
	buffer_gl0_inv
	s_and_saveexec_b32 s5, s4
	s_cbranch_execz .LBB11_13
; %bb.10:
	ds_read_b128 v[1:4], v30
	s_andn2_b32 vcc_lo, exec_lo, s19
	s_cbranch_vccnz .LBB11_12
; %bb.11:
	s_clause 0x3
	buffer_load_dword v31, v29, s[0:3], 0 offen offset:8
	buffer_load_dword v32, v29, s[0:3], 0 offen offset:12
	buffer_load_dword v33, v29, s[0:3], 0 offen
	buffer_load_dword v34, v29, s[0:3], 0 offen offset:4
	s_waitcnt vmcnt(2) lgkmcnt(0)
	v_mul_f64 v[36:37], v[3:4], v[31:32]
	v_mul_f64 v[31:32], v[1:2], v[31:32]
	s_waitcnt vmcnt(0)
	v_fma_f64 v[1:2], v[1:2], v[33:34], -v[36:37]
	v_fma_f64 v[3:4], v[3:4], v[33:34], v[31:32]
.LBB11_12:
	v_mov_b32_e32 v31, 0
	ds_read_b128 v[31:34], v31 offset:160
	s_waitcnt lgkmcnt(0)
	v_mul_f64 v[36:37], v[3:4], v[33:34]
	v_mul_f64 v[33:34], v[1:2], v[33:34]
	v_fma_f64 v[1:2], v[1:2], v[31:32], -v[36:37]
	v_fma_f64 v[3:4], v[3:4], v[31:32], v[33:34]
	buffer_store_dword v2, off, s[0:3], 0 offset:164
	buffer_store_dword v1, off, s[0:3], 0 offset:160
	;; [unrolled: 1-line block ×4, first 2 shown]
.LBB11_13:
	s_or_b32 exec_lo, exec_lo, s5
	v_mov_b32_e32 v4, s10
	v_cmp_lt_u32_e64 s5, 9, v0
	s_clause 0x3
	buffer_load_dword v1, v4, s[0:3], 0 offen
	buffer_load_dword v2, v4, s[0:3], 0 offen offset:4
	buffer_load_dword v3, v4, s[0:3], 0 offen offset:8
	;; [unrolled: 1-line block ×3, first 2 shown]
	s_waitcnt vmcnt(0)
	ds_write_b128 v30, v[1:4]
	s_waitcnt lgkmcnt(0)
	s_waitcnt_vscnt null, 0x0
	s_barrier
	buffer_gl0_inv
	s_and_saveexec_b32 s6, s5
	s_cbranch_execz .LBB11_19
; %bb.14:
	ds_read_b128 v[1:4], v30
	s_andn2_b32 vcc_lo, exec_lo, s19
	s_cbranch_vccnz .LBB11_16
; %bb.15:
	s_clause 0x3
	buffer_load_dword v31, v29, s[0:3], 0 offen offset:8
	buffer_load_dword v32, v29, s[0:3], 0 offen offset:12
	buffer_load_dword v33, v29, s[0:3], 0 offen
	buffer_load_dword v34, v29, s[0:3], 0 offen offset:4
	s_waitcnt vmcnt(2) lgkmcnt(0)
	v_mul_f64 v[36:37], v[3:4], v[31:32]
	v_mul_f64 v[31:32], v[1:2], v[31:32]
	s_waitcnt vmcnt(0)
	v_fma_f64 v[1:2], v[1:2], v[33:34], -v[36:37]
	v_fma_f64 v[3:4], v[3:4], v[33:34], v[31:32]
.LBB11_16:
	s_and_saveexec_b32 s8, s4
	s_cbranch_execz .LBB11_18
; %bb.17:
	s_clause 0x3
	buffer_load_dword v36, off, s[0:3], 0 offset:168
	buffer_load_dword v37, off, s[0:3], 0 offset:172
	;; [unrolled: 1-line block ×4, first 2 shown]
	v_mov_b32_e32 v31, 0
	ds_read_b128 v[31:34], v31 offset:352
	s_waitcnt vmcnt(2) lgkmcnt(0)
	v_mul_f64 v[40:41], v[31:32], v[36:37]
	v_mul_f64 v[36:37], v[33:34], v[36:37]
	s_waitcnt vmcnt(0)
	v_fma_f64 v[33:34], v[33:34], v[38:39], v[40:41]
	v_fma_f64 v[31:32], v[31:32], v[38:39], -v[36:37]
	v_add_f64 v[3:4], v[3:4], v[33:34]
	v_add_f64 v[1:2], v[1:2], v[31:32]
.LBB11_18:
	s_or_b32 exec_lo, exec_lo, s8
	v_mov_b32_e32 v31, 0
	ds_read_b128 v[31:34], v31 offset:144
	s_waitcnt lgkmcnt(0)
	v_mul_f64 v[36:37], v[3:4], v[33:34]
	v_mul_f64 v[33:34], v[1:2], v[33:34]
	v_fma_f64 v[1:2], v[1:2], v[31:32], -v[36:37]
	v_fma_f64 v[3:4], v[3:4], v[31:32], v[33:34]
	buffer_store_dword v2, off, s[0:3], 0 offset:148
	buffer_store_dword v1, off, s[0:3], 0 offset:144
	;; [unrolled: 1-line block ×4, first 2 shown]
.LBB11_19:
	s_or_b32 exec_lo, exec_lo, s6
	v_mov_b32_e32 v4, s11
	v_cmp_lt_u32_e64 s4, 8, v0
	s_clause 0x3
	buffer_load_dword v1, v4, s[0:3], 0 offen
	buffer_load_dword v2, v4, s[0:3], 0 offen offset:4
	buffer_load_dword v3, v4, s[0:3], 0 offen offset:8
	;; [unrolled: 1-line block ×3, first 2 shown]
	s_waitcnt vmcnt(0)
	ds_write_b128 v30, v[1:4]
	s_waitcnt lgkmcnt(0)
	s_waitcnt_vscnt null, 0x0
	s_barrier
	buffer_gl0_inv
	s_and_saveexec_b32 s6, s4
	s_cbranch_execz .LBB11_27
; %bb.20:
	ds_read_b128 v[1:4], v30
	s_andn2_b32 vcc_lo, exec_lo, s19
	s_cbranch_vccnz .LBB11_22
; %bb.21:
	s_clause 0x3
	buffer_load_dword v31, v29, s[0:3], 0 offen offset:8
	buffer_load_dword v32, v29, s[0:3], 0 offen offset:12
	buffer_load_dword v33, v29, s[0:3], 0 offen
	buffer_load_dword v34, v29, s[0:3], 0 offen offset:4
	s_waitcnt vmcnt(2) lgkmcnt(0)
	v_mul_f64 v[36:37], v[3:4], v[31:32]
	v_mul_f64 v[31:32], v[1:2], v[31:32]
	s_waitcnt vmcnt(0)
	v_fma_f64 v[1:2], v[1:2], v[33:34], -v[36:37]
	v_fma_f64 v[3:4], v[3:4], v[33:34], v[31:32]
.LBB11_22:
	s_and_saveexec_b32 s8, s5
	s_cbranch_execz .LBB11_26
; %bb.23:
	v_add_nc_u32_e32 v31, -9, v0
	s_movk_i32 s20, 0x150
	s_mov_b32 s5, 0
	s_mov_b32 s21, s10
	.p2align	6
.LBB11_24:                              ; =>This Inner Loop Header: Depth=1
	v_mov_b32_e32 v34, s21
	v_add_nc_u32_e32 v31, -1, v31
	s_add_i32 s21, s21, 16
	s_clause 0x3
	buffer_load_dword v32, v34, s[0:3], 0 offen offset:8
	buffer_load_dword v33, v34, s[0:3], 0 offen offset:12
	buffer_load_dword v40, v34, s[0:3], 0 offen
	buffer_load_dword v41, v34, s[0:3], 0 offen offset:4
	v_mov_b32_e32 v34, s20
	v_cmp_eq_u32_e32 vcc_lo, 0, v31
	s_add_i32 s20, s20, 16
	ds_read_b128 v[36:39], v34
	s_or_b32 s5, vcc_lo, s5
	s_waitcnt vmcnt(2) lgkmcnt(0)
	v_mul_f64 v[42:43], v[38:39], v[32:33]
	v_mul_f64 v[32:33], v[36:37], v[32:33]
	s_waitcnt vmcnt(0)
	v_fma_f64 v[36:37], v[36:37], v[40:41], -v[42:43]
	v_fma_f64 v[32:33], v[38:39], v[40:41], v[32:33]
	v_add_f64 v[1:2], v[1:2], v[36:37]
	v_add_f64 v[3:4], v[3:4], v[32:33]
	s_andn2_b32 exec_lo, exec_lo, s5
	s_cbranch_execnz .LBB11_24
; %bb.25:
	s_or_b32 exec_lo, exec_lo, s5
.LBB11_26:
	s_or_b32 exec_lo, exec_lo, s8
	v_mov_b32_e32 v31, 0
	ds_read_b128 v[31:34], v31 offset:128
	s_waitcnt lgkmcnt(0)
	v_mul_f64 v[36:37], v[3:4], v[33:34]
	v_mul_f64 v[33:34], v[1:2], v[33:34]
	v_fma_f64 v[1:2], v[1:2], v[31:32], -v[36:37]
	v_fma_f64 v[3:4], v[3:4], v[31:32], v[33:34]
	buffer_store_dword v2, off, s[0:3], 0 offset:132
	buffer_store_dword v1, off, s[0:3], 0 offset:128
	;; [unrolled: 1-line block ×4, first 2 shown]
.LBB11_27:
	s_or_b32 exec_lo, exec_lo, s6
	v_mov_b32_e32 v4, s12
	v_cmp_lt_u32_e64 s5, 7, v0
	s_clause 0x3
	buffer_load_dword v1, v4, s[0:3], 0 offen
	buffer_load_dword v2, v4, s[0:3], 0 offen offset:4
	buffer_load_dword v3, v4, s[0:3], 0 offen offset:8
	;; [unrolled: 1-line block ×3, first 2 shown]
	s_waitcnt vmcnt(0)
	ds_write_b128 v30, v[1:4]
	s_waitcnt lgkmcnt(0)
	s_waitcnt_vscnt null, 0x0
	s_barrier
	buffer_gl0_inv
	s_and_saveexec_b32 s6, s5
	s_cbranch_execz .LBB11_35
; %bb.28:
	ds_read_b128 v[1:4], v30
	s_andn2_b32 vcc_lo, exec_lo, s19
	s_cbranch_vccnz .LBB11_30
; %bb.29:
	s_clause 0x3
	buffer_load_dword v31, v29, s[0:3], 0 offen offset:8
	buffer_load_dword v32, v29, s[0:3], 0 offen offset:12
	buffer_load_dword v33, v29, s[0:3], 0 offen
	buffer_load_dword v34, v29, s[0:3], 0 offen offset:4
	s_waitcnt vmcnt(2) lgkmcnt(0)
	v_mul_f64 v[36:37], v[3:4], v[31:32]
	v_mul_f64 v[31:32], v[1:2], v[31:32]
	s_waitcnt vmcnt(0)
	v_fma_f64 v[1:2], v[1:2], v[33:34], -v[36:37]
	v_fma_f64 v[3:4], v[3:4], v[33:34], v[31:32]
.LBB11_30:
	s_and_saveexec_b32 s8, s4
	s_cbranch_execz .LBB11_34
; %bb.31:
	v_add_nc_u32_e32 v31, -8, v0
	s_movk_i32 s20, 0x140
	s_mov_b32 s4, 0
	s_mov_b32 s21, s11
	.p2align	6
.LBB11_32:                              ; =>This Inner Loop Header: Depth=1
	v_mov_b32_e32 v34, s21
	v_add_nc_u32_e32 v31, -1, v31
	s_add_i32 s21, s21, 16
	s_clause 0x3
	buffer_load_dword v32, v34, s[0:3], 0 offen offset:8
	buffer_load_dword v33, v34, s[0:3], 0 offen offset:12
	buffer_load_dword v40, v34, s[0:3], 0 offen
	buffer_load_dword v41, v34, s[0:3], 0 offen offset:4
	v_mov_b32_e32 v34, s20
	v_cmp_eq_u32_e32 vcc_lo, 0, v31
	s_add_i32 s20, s20, 16
	ds_read_b128 v[36:39], v34
	s_or_b32 s4, vcc_lo, s4
	s_waitcnt vmcnt(2) lgkmcnt(0)
	v_mul_f64 v[42:43], v[38:39], v[32:33]
	v_mul_f64 v[32:33], v[36:37], v[32:33]
	s_waitcnt vmcnt(0)
	v_fma_f64 v[36:37], v[36:37], v[40:41], -v[42:43]
	v_fma_f64 v[32:33], v[38:39], v[40:41], v[32:33]
	v_add_f64 v[1:2], v[1:2], v[36:37]
	v_add_f64 v[3:4], v[3:4], v[32:33]
	s_andn2_b32 exec_lo, exec_lo, s4
	s_cbranch_execnz .LBB11_32
; %bb.33:
	s_or_b32 exec_lo, exec_lo, s4
.LBB11_34:
	s_or_b32 exec_lo, exec_lo, s8
	v_mov_b32_e32 v31, 0
	ds_read_b128 v[31:34], v31 offset:112
	s_waitcnt lgkmcnt(0)
	v_mul_f64 v[36:37], v[3:4], v[33:34]
	v_mul_f64 v[33:34], v[1:2], v[33:34]
	v_fma_f64 v[1:2], v[1:2], v[31:32], -v[36:37]
	v_fma_f64 v[3:4], v[3:4], v[31:32], v[33:34]
	buffer_store_dword v2, off, s[0:3], 0 offset:116
	buffer_store_dword v1, off, s[0:3], 0 offset:112
	;; [unrolled: 1-line block ×4, first 2 shown]
.LBB11_35:
	s_or_b32 exec_lo, exec_lo, s6
	v_mov_b32_e32 v4, s13
	v_cmp_lt_u32_e64 s4, 6, v0
	s_clause 0x3
	buffer_load_dword v1, v4, s[0:3], 0 offen
	buffer_load_dword v2, v4, s[0:3], 0 offen offset:4
	buffer_load_dword v3, v4, s[0:3], 0 offen offset:8
	;; [unrolled: 1-line block ×3, first 2 shown]
	s_waitcnt vmcnt(0)
	ds_write_b128 v30, v[1:4]
	s_waitcnt lgkmcnt(0)
	s_waitcnt_vscnt null, 0x0
	s_barrier
	buffer_gl0_inv
	s_and_saveexec_b32 s6, s4
	s_cbranch_execz .LBB11_43
; %bb.36:
	ds_read_b128 v[1:4], v30
	s_andn2_b32 vcc_lo, exec_lo, s19
	s_cbranch_vccnz .LBB11_38
; %bb.37:
	s_clause 0x3
	buffer_load_dword v31, v29, s[0:3], 0 offen offset:8
	buffer_load_dword v32, v29, s[0:3], 0 offen offset:12
	buffer_load_dword v33, v29, s[0:3], 0 offen
	buffer_load_dword v34, v29, s[0:3], 0 offen offset:4
	s_waitcnt vmcnt(2) lgkmcnt(0)
	v_mul_f64 v[36:37], v[3:4], v[31:32]
	v_mul_f64 v[31:32], v[1:2], v[31:32]
	s_waitcnt vmcnt(0)
	v_fma_f64 v[1:2], v[1:2], v[33:34], -v[36:37]
	v_fma_f64 v[3:4], v[3:4], v[33:34], v[31:32]
.LBB11_38:
	s_and_saveexec_b32 s8, s5
	s_cbranch_execz .LBB11_42
; %bb.39:
	v_add_nc_u32_e32 v31, -7, v0
	s_movk_i32 s20, 0x130
	s_mov_b32 s5, 0
	s_mov_b32 s21, s12
	.p2align	6
.LBB11_40:                              ; =>This Inner Loop Header: Depth=1
	v_mov_b32_e32 v34, s21
	v_add_nc_u32_e32 v31, -1, v31
	s_add_i32 s21, s21, 16
	s_clause 0x3
	buffer_load_dword v32, v34, s[0:3], 0 offen offset:8
	buffer_load_dword v33, v34, s[0:3], 0 offen offset:12
	buffer_load_dword v40, v34, s[0:3], 0 offen
	buffer_load_dword v41, v34, s[0:3], 0 offen offset:4
	v_mov_b32_e32 v34, s20
	v_cmp_eq_u32_e32 vcc_lo, 0, v31
	s_add_i32 s20, s20, 16
	ds_read_b128 v[36:39], v34
	s_or_b32 s5, vcc_lo, s5
	s_waitcnt vmcnt(2) lgkmcnt(0)
	v_mul_f64 v[42:43], v[38:39], v[32:33]
	v_mul_f64 v[32:33], v[36:37], v[32:33]
	s_waitcnt vmcnt(0)
	v_fma_f64 v[36:37], v[36:37], v[40:41], -v[42:43]
	v_fma_f64 v[32:33], v[38:39], v[40:41], v[32:33]
	v_add_f64 v[1:2], v[1:2], v[36:37]
	v_add_f64 v[3:4], v[3:4], v[32:33]
	s_andn2_b32 exec_lo, exec_lo, s5
	s_cbranch_execnz .LBB11_40
; %bb.41:
	s_or_b32 exec_lo, exec_lo, s5
.LBB11_42:
	s_or_b32 exec_lo, exec_lo, s8
	v_mov_b32_e32 v31, 0
	ds_read_b128 v[31:34], v31 offset:96
	s_waitcnt lgkmcnt(0)
	v_mul_f64 v[36:37], v[3:4], v[33:34]
	v_mul_f64 v[33:34], v[1:2], v[33:34]
	v_fma_f64 v[1:2], v[1:2], v[31:32], -v[36:37]
	v_fma_f64 v[3:4], v[3:4], v[31:32], v[33:34]
	buffer_store_dword v2, off, s[0:3], 0 offset:100
	buffer_store_dword v1, off, s[0:3], 0 offset:96
	;; [unrolled: 1-line block ×4, first 2 shown]
.LBB11_43:
	s_or_b32 exec_lo, exec_lo, s6
	v_mov_b32_e32 v4, s14
	v_cmp_lt_u32_e64 s5, 5, v0
	s_clause 0x3
	buffer_load_dword v1, v4, s[0:3], 0 offen
	buffer_load_dword v2, v4, s[0:3], 0 offen offset:4
	buffer_load_dword v3, v4, s[0:3], 0 offen offset:8
	;; [unrolled: 1-line block ×3, first 2 shown]
	s_waitcnt vmcnt(0)
	ds_write_b128 v30, v[1:4]
	s_waitcnt lgkmcnt(0)
	s_waitcnt_vscnt null, 0x0
	s_barrier
	buffer_gl0_inv
	s_and_saveexec_b32 s6, s5
	s_cbranch_execz .LBB11_51
; %bb.44:
	ds_read_b128 v[1:4], v30
	s_andn2_b32 vcc_lo, exec_lo, s19
	s_cbranch_vccnz .LBB11_46
; %bb.45:
	s_clause 0x3
	buffer_load_dword v31, v29, s[0:3], 0 offen offset:8
	buffer_load_dword v32, v29, s[0:3], 0 offen offset:12
	buffer_load_dword v33, v29, s[0:3], 0 offen
	buffer_load_dword v34, v29, s[0:3], 0 offen offset:4
	s_waitcnt vmcnt(2) lgkmcnt(0)
	v_mul_f64 v[36:37], v[3:4], v[31:32]
	v_mul_f64 v[31:32], v[1:2], v[31:32]
	s_waitcnt vmcnt(0)
	v_fma_f64 v[1:2], v[1:2], v[33:34], -v[36:37]
	v_fma_f64 v[3:4], v[3:4], v[33:34], v[31:32]
.LBB11_46:
	s_and_saveexec_b32 s8, s4
	s_cbranch_execz .LBB11_50
; %bb.47:
	v_add_nc_u32_e32 v31, -6, v0
	s_movk_i32 s20, 0x120
	s_mov_b32 s4, 0
	s_mov_b32 s21, s13
	.p2align	6
.LBB11_48:                              ; =>This Inner Loop Header: Depth=1
	v_mov_b32_e32 v34, s21
	v_add_nc_u32_e32 v31, -1, v31
	s_add_i32 s21, s21, 16
	s_clause 0x3
	buffer_load_dword v32, v34, s[0:3], 0 offen offset:8
	buffer_load_dword v33, v34, s[0:3], 0 offen offset:12
	buffer_load_dword v40, v34, s[0:3], 0 offen
	buffer_load_dword v41, v34, s[0:3], 0 offen offset:4
	v_mov_b32_e32 v34, s20
	v_cmp_eq_u32_e32 vcc_lo, 0, v31
	s_add_i32 s20, s20, 16
	ds_read_b128 v[36:39], v34
	s_or_b32 s4, vcc_lo, s4
	s_waitcnt vmcnt(2) lgkmcnt(0)
	v_mul_f64 v[42:43], v[38:39], v[32:33]
	v_mul_f64 v[32:33], v[36:37], v[32:33]
	s_waitcnt vmcnt(0)
	v_fma_f64 v[36:37], v[36:37], v[40:41], -v[42:43]
	v_fma_f64 v[32:33], v[38:39], v[40:41], v[32:33]
	v_add_f64 v[1:2], v[1:2], v[36:37]
	v_add_f64 v[3:4], v[3:4], v[32:33]
	s_andn2_b32 exec_lo, exec_lo, s4
	s_cbranch_execnz .LBB11_48
; %bb.49:
	s_or_b32 exec_lo, exec_lo, s4
.LBB11_50:
	s_or_b32 exec_lo, exec_lo, s8
	v_mov_b32_e32 v31, 0
	ds_read_b128 v[31:34], v31 offset:80
	s_waitcnt lgkmcnt(0)
	v_mul_f64 v[36:37], v[3:4], v[33:34]
	v_mul_f64 v[33:34], v[1:2], v[33:34]
	v_fma_f64 v[1:2], v[1:2], v[31:32], -v[36:37]
	v_fma_f64 v[3:4], v[3:4], v[31:32], v[33:34]
	buffer_store_dword v2, off, s[0:3], 0 offset:84
	buffer_store_dword v1, off, s[0:3], 0 offset:80
	;; [unrolled: 1-line block ×4, first 2 shown]
.LBB11_51:
	s_or_b32 exec_lo, exec_lo, s6
	v_mov_b32_e32 v4, s15
	v_cmp_lt_u32_e64 s4, 4, v0
	s_clause 0x3
	buffer_load_dword v1, v4, s[0:3], 0 offen
	buffer_load_dword v2, v4, s[0:3], 0 offen offset:4
	buffer_load_dword v3, v4, s[0:3], 0 offen offset:8
	buffer_load_dword v4, v4, s[0:3], 0 offen offset:12
	s_waitcnt vmcnt(0)
	ds_write_b128 v30, v[1:4]
	s_waitcnt lgkmcnt(0)
	s_waitcnt_vscnt null, 0x0
	s_barrier
	buffer_gl0_inv
	s_and_saveexec_b32 s6, s4
	s_cbranch_execz .LBB11_59
; %bb.52:
	ds_read_b128 v[1:4], v30
	s_andn2_b32 vcc_lo, exec_lo, s19
	s_cbranch_vccnz .LBB11_54
; %bb.53:
	s_clause 0x3
	buffer_load_dword v31, v29, s[0:3], 0 offen offset:8
	buffer_load_dword v32, v29, s[0:3], 0 offen offset:12
	buffer_load_dword v33, v29, s[0:3], 0 offen
	buffer_load_dword v34, v29, s[0:3], 0 offen offset:4
	s_waitcnt vmcnt(2) lgkmcnt(0)
	v_mul_f64 v[36:37], v[3:4], v[31:32]
	v_mul_f64 v[31:32], v[1:2], v[31:32]
	s_waitcnt vmcnt(0)
	v_fma_f64 v[1:2], v[1:2], v[33:34], -v[36:37]
	v_fma_f64 v[3:4], v[3:4], v[33:34], v[31:32]
.LBB11_54:
	s_and_saveexec_b32 s8, s5
	s_cbranch_execz .LBB11_58
; %bb.55:
	v_add_nc_u32_e32 v31, -5, v0
	s_movk_i32 s20, 0x110
	s_mov_b32 s5, 0
	s_mov_b32 s21, s14
	.p2align	6
.LBB11_56:                              ; =>This Inner Loop Header: Depth=1
	v_mov_b32_e32 v34, s21
	v_add_nc_u32_e32 v31, -1, v31
	s_add_i32 s21, s21, 16
	s_clause 0x3
	buffer_load_dword v32, v34, s[0:3], 0 offen offset:8
	buffer_load_dword v33, v34, s[0:3], 0 offen offset:12
	buffer_load_dword v40, v34, s[0:3], 0 offen
	buffer_load_dword v41, v34, s[0:3], 0 offen offset:4
	v_mov_b32_e32 v34, s20
	v_cmp_eq_u32_e32 vcc_lo, 0, v31
	s_add_i32 s20, s20, 16
	ds_read_b128 v[36:39], v34
	s_or_b32 s5, vcc_lo, s5
	s_waitcnt vmcnt(2) lgkmcnt(0)
	v_mul_f64 v[42:43], v[38:39], v[32:33]
	v_mul_f64 v[32:33], v[36:37], v[32:33]
	s_waitcnt vmcnt(0)
	v_fma_f64 v[36:37], v[36:37], v[40:41], -v[42:43]
	v_fma_f64 v[32:33], v[38:39], v[40:41], v[32:33]
	v_add_f64 v[1:2], v[1:2], v[36:37]
	v_add_f64 v[3:4], v[3:4], v[32:33]
	s_andn2_b32 exec_lo, exec_lo, s5
	s_cbranch_execnz .LBB11_56
; %bb.57:
	s_or_b32 exec_lo, exec_lo, s5
.LBB11_58:
	s_or_b32 exec_lo, exec_lo, s8
	v_mov_b32_e32 v31, 0
	ds_read_b128 v[31:34], v31 offset:64
	s_waitcnt lgkmcnt(0)
	v_mul_f64 v[36:37], v[3:4], v[33:34]
	v_mul_f64 v[33:34], v[1:2], v[33:34]
	v_fma_f64 v[1:2], v[1:2], v[31:32], -v[36:37]
	v_fma_f64 v[3:4], v[3:4], v[31:32], v[33:34]
	buffer_store_dword v2, off, s[0:3], 0 offset:68
	buffer_store_dword v1, off, s[0:3], 0 offset:64
	;; [unrolled: 1-line block ×4, first 2 shown]
.LBB11_59:
	s_or_b32 exec_lo, exec_lo, s6
	v_mov_b32_e32 v4, s16
	v_cmp_lt_u32_e64 s5, 3, v0
	s_clause 0x3
	buffer_load_dword v1, v4, s[0:3], 0 offen
	buffer_load_dword v2, v4, s[0:3], 0 offen offset:4
	buffer_load_dword v3, v4, s[0:3], 0 offen offset:8
	;; [unrolled: 1-line block ×3, first 2 shown]
	s_waitcnt vmcnt(0)
	ds_write_b128 v30, v[1:4]
	s_waitcnt lgkmcnt(0)
	s_waitcnt_vscnt null, 0x0
	s_barrier
	buffer_gl0_inv
	s_and_saveexec_b32 s6, s5
	s_cbranch_execz .LBB11_67
; %bb.60:
	ds_read_b128 v[1:4], v30
	s_andn2_b32 vcc_lo, exec_lo, s19
	s_cbranch_vccnz .LBB11_62
; %bb.61:
	s_clause 0x3
	buffer_load_dword v31, v29, s[0:3], 0 offen offset:8
	buffer_load_dword v32, v29, s[0:3], 0 offen offset:12
	buffer_load_dword v33, v29, s[0:3], 0 offen
	buffer_load_dword v34, v29, s[0:3], 0 offen offset:4
	s_waitcnt vmcnt(2) lgkmcnt(0)
	v_mul_f64 v[36:37], v[3:4], v[31:32]
	v_mul_f64 v[31:32], v[1:2], v[31:32]
	s_waitcnt vmcnt(0)
	v_fma_f64 v[1:2], v[1:2], v[33:34], -v[36:37]
	v_fma_f64 v[3:4], v[3:4], v[33:34], v[31:32]
.LBB11_62:
	s_and_saveexec_b32 s8, s4
	s_cbranch_execz .LBB11_66
; %bb.63:
	v_add_nc_u32_e32 v31, -4, v0
	s_movk_i32 s20, 0x100
	s_mov_b32 s4, 0
	s_mov_b32 s21, s15
	.p2align	6
.LBB11_64:                              ; =>This Inner Loop Header: Depth=1
	v_mov_b32_e32 v34, s21
	v_add_nc_u32_e32 v31, -1, v31
	s_add_i32 s21, s21, 16
	s_clause 0x3
	buffer_load_dword v32, v34, s[0:3], 0 offen offset:8
	buffer_load_dword v33, v34, s[0:3], 0 offen offset:12
	buffer_load_dword v40, v34, s[0:3], 0 offen
	buffer_load_dword v41, v34, s[0:3], 0 offen offset:4
	v_mov_b32_e32 v34, s20
	v_cmp_eq_u32_e32 vcc_lo, 0, v31
	s_add_i32 s20, s20, 16
	ds_read_b128 v[36:39], v34
	s_or_b32 s4, vcc_lo, s4
	s_waitcnt vmcnt(2) lgkmcnt(0)
	v_mul_f64 v[42:43], v[38:39], v[32:33]
	v_mul_f64 v[32:33], v[36:37], v[32:33]
	s_waitcnt vmcnt(0)
	v_fma_f64 v[36:37], v[36:37], v[40:41], -v[42:43]
	v_fma_f64 v[32:33], v[38:39], v[40:41], v[32:33]
	v_add_f64 v[1:2], v[1:2], v[36:37]
	v_add_f64 v[3:4], v[3:4], v[32:33]
	s_andn2_b32 exec_lo, exec_lo, s4
	s_cbranch_execnz .LBB11_64
; %bb.65:
	s_or_b32 exec_lo, exec_lo, s4
.LBB11_66:
	s_or_b32 exec_lo, exec_lo, s8
	v_mov_b32_e32 v31, 0
	ds_read_b128 v[31:34], v31 offset:48
	s_waitcnt lgkmcnt(0)
	v_mul_f64 v[36:37], v[3:4], v[33:34]
	v_mul_f64 v[33:34], v[1:2], v[33:34]
	v_fma_f64 v[1:2], v[1:2], v[31:32], -v[36:37]
	v_fma_f64 v[3:4], v[3:4], v[31:32], v[33:34]
	buffer_store_dword v2, off, s[0:3], 0 offset:52
	buffer_store_dword v1, off, s[0:3], 0 offset:48
	;; [unrolled: 1-line block ×4, first 2 shown]
.LBB11_67:
	s_or_b32 exec_lo, exec_lo, s6
	v_mov_b32_e32 v4, s17
	v_cmp_lt_u32_e64 s6, 2, v0
	s_clause 0x3
	buffer_load_dword v1, v4, s[0:3], 0 offen
	buffer_load_dword v2, v4, s[0:3], 0 offen offset:4
	buffer_load_dword v3, v4, s[0:3], 0 offen offset:8
	;; [unrolled: 1-line block ×3, first 2 shown]
	s_waitcnt vmcnt(0)
	ds_write_b128 v30, v[1:4]
	s_waitcnt lgkmcnt(0)
	s_waitcnt_vscnt null, 0x0
	s_barrier
	buffer_gl0_inv
	s_and_saveexec_b32 s4, s6
	s_cbranch_execz .LBB11_75
; %bb.68:
	ds_read_b128 v[1:4], v30
	s_andn2_b32 vcc_lo, exec_lo, s19
	s_cbranch_vccnz .LBB11_70
; %bb.69:
	s_clause 0x3
	buffer_load_dword v31, v29, s[0:3], 0 offen offset:8
	buffer_load_dword v32, v29, s[0:3], 0 offen offset:12
	buffer_load_dword v33, v29, s[0:3], 0 offen
	buffer_load_dword v34, v29, s[0:3], 0 offen offset:4
	s_waitcnt vmcnt(2) lgkmcnt(0)
	v_mul_f64 v[36:37], v[3:4], v[31:32]
	v_mul_f64 v[31:32], v[1:2], v[31:32]
	s_waitcnt vmcnt(0)
	v_fma_f64 v[1:2], v[1:2], v[33:34], -v[36:37]
	v_fma_f64 v[3:4], v[3:4], v[33:34], v[31:32]
.LBB11_70:
	s_and_saveexec_b32 s8, s5
	s_cbranch_execz .LBB11_74
; %bb.71:
	v_add_nc_u32_e32 v31, -3, v0
	s_movk_i32 s20, 0xf0
	s_mov_b32 s5, 0
	s_mov_b32 s21, s16
	.p2align	6
.LBB11_72:                              ; =>This Inner Loop Header: Depth=1
	v_mov_b32_e32 v34, s21
	v_add_nc_u32_e32 v31, -1, v31
	s_add_i32 s21, s21, 16
	s_clause 0x3
	buffer_load_dword v32, v34, s[0:3], 0 offen offset:8
	buffer_load_dword v33, v34, s[0:3], 0 offen offset:12
	buffer_load_dword v40, v34, s[0:3], 0 offen
	buffer_load_dword v41, v34, s[0:3], 0 offen offset:4
	v_mov_b32_e32 v34, s20
	v_cmp_eq_u32_e32 vcc_lo, 0, v31
	s_add_i32 s20, s20, 16
	ds_read_b128 v[36:39], v34
	s_or_b32 s5, vcc_lo, s5
	s_waitcnt vmcnt(2) lgkmcnt(0)
	v_mul_f64 v[42:43], v[38:39], v[32:33]
	v_mul_f64 v[32:33], v[36:37], v[32:33]
	s_waitcnt vmcnt(0)
	v_fma_f64 v[36:37], v[36:37], v[40:41], -v[42:43]
	v_fma_f64 v[32:33], v[38:39], v[40:41], v[32:33]
	v_add_f64 v[1:2], v[1:2], v[36:37]
	v_add_f64 v[3:4], v[3:4], v[32:33]
	s_andn2_b32 exec_lo, exec_lo, s5
	s_cbranch_execnz .LBB11_72
; %bb.73:
	s_or_b32 exec_lo, exec_lo, s5
.LBB11_74:
	s_or_b32 exec_lo, exec_lo, s8
	v_mov_b32_e32 v31, 0
	ds_read_b128 v[31:34], v31 offset:32
	s_waitcnt lgkmcnt(0)
	v_mul_f64 v[36:37], v[3:4], v[33:34]
	v_mul_f64 v[33:34], v[1:2], v[33:34]
	v_fma_f64 v[1:2], v[1:2], v[31:32], -v[36:37]
	v_fma_f64 v[3:4], v[3:4], v[31:32], v[33:34]
	buffer_store_dword v2, off, s[0:3], 0 offset:36
	buffer_store_dword v1, off, s[0:3], 0 offset:32
	;; [unrolled: 1-line block ×4, first 2 shown]
.LBB11_75:
	s_or_b32 exec_lo, exec_lo, s4
	v_mov_b32_e32 v4, s18
	v_cmp_lt_u32_e64 s4, 1, v0
	s_clause 0x3
	buffer_load_dword v1, v4, s[0:3], 0 offen
	buffer_load_dword v2, v4, s[0:3], 0 offen offset:4
	buffer_load_dword v3, v4, s[0:3], 0 offen offset:8
	;; [unrolled: 1-line block ×3, first 2 shown]
	s_waitcnt vmcnt(0)
	ds_write_b128 v30, v[1:4]
	s_waitcnt lgkmcnt(0)
	s_waitcnt_vscnt null, 0x0
	s_barrier
	buffer_gl0_inv
	s_and_saveexec_b32 s5, s4
	s_cbranch_execz .LBB11_83
; %bb.76:
	ds_read_b128 v[1:4], v30
	s_andn2_b32 vcc_lo, exec_lo, s19
	s_cbranch_vccnz .LBB11_78
; %bb.77:
	s_clause 0x3
	buffer_load_dword v31, v29, s[0:3], 0 offen offset:8
	buffer_load_dword v32, v29, s[0:3], 0 offen offset:12
	buffer_load_dword v33, v29, s[0:3], 0 offen
	buffer_load_dword v34, v29, s[0:3], 0 offen offset:4
	s_waitcnt vmcnt(2) lgkmcnt(0)
	v_mul_f64 v[36:37], v[3:4], v[31:32]
	v_mul_f64 v[31:32], v[1:2], v[31:32]
	s_waitcnt vmcnt(0)
	v_fma_f64 v[1:2], v[1:2], v[33:34], -v[36:37]
	v_fma_f64 v[3:4], v[3:4], v[33:34], v[31:32]
.LBB11_78:
	s_and_saveexec_b32 s8, s6
	s_cbranch_execz .LBB11_82
; %bb.79:
	v_add_nc_u32_e32 v31, -2, v0
	s_movk_i32 s20, 0xe0
	s_mov_b32 s6, 0
	s_mov_b32 s21, s17
	.p2align	6
.LBB11_80:                              ; =>This Inner Loop Header: Depth=1
	v_mov_b32_e32 v34, s21
	v_add_nc_u32_e32 v31, -1, v31
	s_add_i32 s21, s21, 16
	s_clause 0x3
	buffer_load_dword v32, v34, s[0:3], 0 offen offset:8
	buffer_load_dword v33, v34, s[0:3], 0 offen offset:12
	buffer_load_dword v40, v34, s[0:3], 0 offen
	buffer_load_dword v41, v34, s[0:3], 0 offen offset:4
	v_mov_b32_e32 v34, s20
	v_cmp_eq_u32_e32 vcc_lo, 0, v31
	s_add_i32 s20, s20, 16
	ds_read_b128 v[36:39], v34
	s_or_b32 s6, vcc_lo, s6
	s_waitcnt vmcnt(2) lgkmcnt(0)
	v_mul_f64 v[42:43], v[38:39], v[32:33]
	v_mul_f64 v[32:33], v[36:37], v[32:33]
	s_waitcnt vmcnt(0)
	v_fma_f64 v[36:37], v[36:37], v[40:41], -v[42:43]
	v_fma_f64 v[32:33], v[38:39], v[40:41], v[32:33]
	v_add_f64 v[1:2], v[1:2], v[36:37]
	v_add_f64 v[3:4], v[3:4], v[32:33]
	s_andn2_b32 exec_lo, exec_lo, s6
	s_cbranch_execnz .LBB11_80
; %bb.81:
	s_or_b32 exec_lo, exec_lo, s6
.LBB11_82:
	s_or_b32 exec_lo, exec_lo, s8
	v_mov_b32_e32 v31, 0
	ds_read_b128 v[31:34], v31 offset:16
	s_waitcnt lgkmcnt(0)
	v_mul_f64 v[36:37], v[3:4], v[33:34]
	v_mul_f64 v[33:34], v[1:2], v[33:34]
	v_fma_f64 v[1:2], v[1:2], v[31:32], -v[36:37]
	v_fma_f64 v[3:4], v[3:4], v[31:32], v[33:34]
	buffer_store_dword v2, off, s[0:3], 0 offset:20
	buffer_store_dword v1, off, s[0:3], 0 offset:16
	buffer_store_dword v4, off, s[0:3], 0 offset:28
	buffer_store_dword v3, off, s[0:3], 0 offset:24
.LBB11_83:
	s_or_b32 exec_lo, exec_lo, s5
	s_clause 0x3
	buffer_load_dword v1, off, s[0:3], 0
	buffer_load_dword v2, off, s[0:3], 0 offset:4
	buffer_load_dword v3, off, s[0:3], 0 offset:8
	;; [unrolled: 1-line block ×3, first 2 shown]
	s_mov_b32 s6, 0
	s_mov_b32 s5, 0
	s_mov_b32 s8, exec_lo
                                        ; implicit-def: $sgpr20
	s_waitcnt vmcnt(0)
	ds_write_b128 v30, v[1:4]
	s_waitcnt lgkmcnt(0)
	s_waitcnt_vscnt null, 0x0
	s_barrier
	buffer_gl0_inv
                                        ; implicit-def: $vgpr1_vgpr2
	v_cmpx_ne_u32_e32 0, v0
	s_cbranch_execz .LBB11_91
; %bb.84:
	ds_read_b128 v[1:4], v30
	s_andn2_b32 vcc_lo, exec_lo, s19
	s_cbranch_vccnz .LBB11_86
; %bb.85:
	s_clause 0x3
	buffer_load_dword v31, v29, s[0:3], 0 offen offset:8
	buffer_load_dword v32, v29, s[0:3], 0 offen offset:12
	buffer_load_dword v33, v29, s[0:3], 0 offen
	buffer_load_dword v34, v29, s[0:3], 0 offen offset:4
	s_waitcnt vmcnt(2) lgkmcnt(0)
	v_mul_f64 v[36:37], v[3:4], v[31:32]
	v_mul_f64 v[31:32], v[1:2], v[31:32]
	s_waitcnt vmcnt(0)
	v_fma_f64 v[1:2], v[1:2], v[33:34], -v[36:37]
	v_fma_f64 v[3:4], v[3:4], v[33:34], v[31:32]
.LBB11_86:
	s_and_saveexec_b32 s5, s4
	s_cbranch_execz .LBB11_90
; %bb.87:
	v_add_nc_u32_e32 v31, -1, v0
	s_movk_i32 s20, 0xd0
	s_mov_b32 s4, 0
	s_mov_b32 s21, s18
	.p2align	6
.LBB11_88:                              ; =>This Inner Loop Header: Depth=1
	v_mov_b32_e32 v34, s21
	v_add_nc_u32_e32 v31, -1, v31
	s_add_i32 s21, s21, 16
	s_clause 0x3
	buffer_load_dword v32, v34, s[0:3], 0 offen offset:8
	buffer_load_dword v33, v34, s[0:3], 0 offen offset:12
	buffer_load_dword v40, v34, s[0:3], 0 offen
	buffer_load_dword v41, v34, s[0:3], 0 offen offset:4
	v_mov_b32_e32 v34, s20
	v_cmp_eq_u32_e32 vcc_lo, 0, v31
	s_add_i32 s20, s20, 16
	ds_read_b128 v[36:39], v34
	s_or_b32 s4, vcc_lo, s4
	s_waitcnt vmcnt(2) lgkmcnt(0)
	v_mul_f64 v[42:43], v[38:39], v[32:33]
	v_mul_f64 v[32:33], v[36:37], v[32:33]
	s_waitcnt vmcnt(0)
	v_fma_f64 v[36:37], v[36:37], v[40:41], -v[42:43]
	v_fma_f64 v[32:33], v[38:39], v[40:41], v[32:33]
	v_add_f64 v[1:2], v[1:2], v[36:37]
	v_add_f64 v[3:4], v[3:4], v[32:33]
	s_andn2_b32 exec_lo, exec_lo, s4
	s_cbranch_execnz .LBB11_88
; %bb.89:
	s_or_b32 exec_lo, exec_lo, s4
.LBB11_90:
	s_or_b32 exec_lo, exec_lo, s5
	v_mov_b32_e32 v31, 0
	s_mov_b32 s5, exec_lo
	s_or_b32 s20, 0, 8
	ds_read_b128 v[31:34], v31
	s_waitcnt lgkmcnt(0)
	v_mul_f64 v[36:37], v[3:4], v[33:34]
	v_mul_f64 v[33:34], v[1:2], v[33:34]
	v_fma_f64 v[36:37], v[1:2], v[31:32], -v[36:37]
	v_fma_f64 v[1:2], v[3:4], v[31:32], v[33:34]
	buffer_store_dword v37, off, s[0:3], 0 offset:4
	buffer_store_dword v36, off, s[0:3], 0
.LBB11_91:
	s_or_b32 exec_lo, exec_lo, s8
	s_and_b32 vcc_lo, exec_lo, s6
	s_cbranch_vccnz .LBB11_93
	s_branch .LBB11_176
.LBB11_92:
	s_mov_b32 s5, 0
                                        ; implicit-def: $vgpr1_vgpr2
                                        ; implicit-def: $sgpr20
	s_cbranch_execz .LBB11_176
.LBB11_93:
	v_mov_b32_e32 v4, s18
	v_cmp_eq_u32_e64 s4, 0, v0
	v_cndmask_b32_e64 v31, 0, 1, s19
	s_clause 0x3
	buffer_load_dword v1, v4, s[0:3], 0 offen
	buffer_load_dword v2, v4, s[0:3], 0 offen offset:4
	buffer_load_dword v3, v4, s[0:3], 0 offen offset:8
	;; [unrolled: 1-line block ×3, first 2 shown]
	s_waitcnt vmcnt(0)
	ds_write_b128 v30, v[1:4]
	s_waitcnt lgkmcnt(0)
	s_waitcnt_vscnt null, 0x0
	s_barrier
	buffer_gl0_inv
	s_and_saveexec_b32 s6, s4
	s_cbranch_execz .LBB11_97
; %bb.94:
	ds_read_b128 v[1:4], v30
	s_andn2_b32 vcc_lo, exec_lo, s19
	s_cbranch_vccnz .LBB11_96
; %bb.95:
	s_clause 0x3
	buffer_load_dword v32, v29, s[0:3], 0 offen offset:8
	buffer_load_dword v33, v29, s[0:3], 0 offen offset:12
	buffer_load_dword v36, v29, s[0:3], 0 offen
	buffer_load_dword v37, v29, s[0:3], 0 offen offset:4
	s_waitcnt vmcnt(2) lgkmcnt(0)
	v_mul_f64 v[38:39], v[3:4], v[32:33]
	v_mul_f64 v[32:33], v[1:2], v[32:33]
	s_waitcnt vmcnt(0)
	v_fma_f64 v[1:2], v[1:2], v[36:37], -v[38:39]
	v_fma_f64 v[3:4], v[3:4], v[36:37], v[32:33]
.LBB11_96:
	v_mov_b32_e32 v32, 0
	ds_read_b128 v[36:39], v32 offset:16
	s_waitcnt lgkmcnt(0)
	v_mul_f64 v[32:33], v[3:4], v[38:39]
	v_mul_f64 v[38:39], v[1:2], v[38:39]
	v_fma_f64 v[1:2], v[1:2], v[36:37], -v[32:33]
	v_fma_f64 v[3:4], v[3:4], v[36:37], v[38:39]
	buffer_store_dword v2, off, s[0:3], 0 offset:20
	buffer_store_dword v1, off, s[0:3], 0 offset:16
	;; [unrolled: 1-line block ×4, first 2 shown]
.LBB11_97:
	s_or_b32 exec_lo, exec_lo, s6
	v_mov_b32_e32 v4, s17
	s_mov_b32 s6, exec_lo
	s_clause 0x3
	buffer_load_dword v1, v4, s[0:3], 0 offen
	buffer_load_dword v2, v4, s[0:3], 0 offen offset:4
	buffer_load_dword v3, v4, s[0:3], 0 offen offset:8
	;; [unrolled: 1-line block ×3, first 2 shown]
	s_waitcnt vmcnt(0)
	ds_write_b128 v30, v[1:4]
	s_waitcnt lgkmcnt(0)
	s_waitcnt_vscnt null, 0x0
	s_barrier
	buffer_gl0_inv
	v_cmpx_gt_u32_e32 2, v0
	s_cbranch_execz .LBB11_103
; %bb.98:
	ds_read_b128 v[1:4], v30
	v_cmp_ne_u32_e32 vcc_lo, 1, v31
	s_cbranch_vccnz .LBB11_100
; %bb.99:
	s_clause 0x3
	buffer_load_dword v32, v29, s[0:3], 0 offen offset:8
	buffer_load_dword v33, v29, s[0:3], 0 offen offset:12
	buffer_load_dword v36, v29, s[0:3], 0 offen
	buffer_load_dword v37, v29, s[0:3], 0 offen offset:4
	s_waitcnt vmcnt(2) lgkmcnt(0)
	v_mul_f64 v[38:39], v[3:4], v[32:33]
	v_mul_f64 v[32:33], v[1:2], v[32:33]
	s_waitcnt vmcnt(0)
	v_fma_f64 v[1:2], v[1:2], v[36:37], -v[38:39]
	v_fma_f64 v[3:4], v[3:4], v[36:37], v[32:33]
.LBB11_100:
	s_and_saveexec_b32 s8, s4
	s_cbranch_execz .LBB11_102
; %bb.101:
	s_clause 0x3
	buffer_load_dword v32, off, s[0:3], 0 offset:24
	buffer_load_dword v33, off, s[0:3], 0 offset:28
	;; [unrolled: 1-line block ×4, first 2 shown]
	v_mov_b32_e32 v34, 0
	ds_read_b128 v[36:39], v34 offset:208
	s_waitcnt vmcnt(2) lgkmcnt(0)
	v_mul_f64 v[42:43], v[38:39], v[32:33]
	v_mul_f64 v[32:33], v[36:37], v[32:33]
	s_waitcnt vmcnt(0)
	v_fma_f64 v[36:37], v[36:37], v[40:41], -v[42:43]
	v_fma_f64 v[32:33], v[38:39], v[40:41], v[32:33]
	v_add_f64 v[1:2], v[1:2], v[36:37]
	v_add_f64 v[3:4], v[3:4], v[32:33]
.LBB11_102:
	s_or_b32 exec_lo, exec_lo, s8
	v_mov_b32_e32 v32, 0
	ds_read_b128 v[36:39], v32 offset:32
	s_waitcnt lgkmcnt(0)
	v_mul_f64 v[32:33], v[3:4], v[38:39]
	v_mul_f64 v[38:39], v[1:2], v[38:39]
	v_fma_f64 v[1:2], v[1:2], v[36:37], -v[32:33]
	v_fma_f64 v[3:4], v[3:4], v[36:37], v[38:39]
	buffer_store_dword v2, off, s[0:3], 0 offset:36
	buffer_store_dword v1, off, s[0:3], 0 offset:32
	;; [unrolled: 1-line block ×4, first 2 shown]
.LBB11_103:
	s_or_b32 exec_lo, exec_lo, s6
	v_mov_b32_e32 v4, s16
	s_mov_b32 s6, exec_lo
	s_clause 0x3
	buffer_load_dword v1, v4, s[0:3], 0 offen
	buffer_load_dword v2, v4, s[0:3], 0 offen offset:4
	buffer_load_dword v3, v4, s[0:3], 0 offen offset:8
	;; [unrolled: 1-line block ×3, first 2 shown]
	s_waitcnt vmcnt(0)
	ds_write_b128 v30, v[1:4]
	s_waitcnt lgkmcnt(0)
	s_waitcnt_vscnt null, 0x0
	s_barrier
	buffer_gl0_inv
	v_cmpx_gt_u32_e32 3, v0
	s_cbranch_execz .LBB11_111
; %bb.104:
	ds_read_b128 v[1:4], v30
	v_cmp_ne_u32_e32 vcc_lo, 1, v31
	s_cbranch_vccnz .LBB11_106
; %bb.105:
	s_clause 0x3
	buffer_load_dword v32, v29, s[0:3], 0 offen offset:8
	buffer_load_dword v33, v29, s[0:3], 0 offen offset:12
	buffer_load_dword v36, v29, s[0:3], 0 offen
	buffer_load_dword v37, v29, s[0:3], 0 offen offset:4
	s_waitcnt vmcnt(2) lgkmcnt(0)
	v_mul_f64 v[38:39], v[3:4], v[32:33]
	v_mul_f64 v[32:33], v[1:2], v[32:33]
	s_waitcnt vmcnt(0)
	v_fma_f64 v[1:2], v[1:2], v[36:37], -v[38:39]
	v_fma_f64 v[3:4], v[3:4], v[36:37], v[32:33]
.LBB11_106:
	s_mov_b32 s8, exec_lo
	v_cmpx_ne_u32_e32 2, v0
	s_cbranch_execz .LBB11_110
; %bb.107:
	s_clause 0x3
	buffer_load_dword v32, v29, s[0:3], 0 offen offset:24
	buffer_load_dword v33, v29, s[0:3], 0 offen offset:28
	buffer_load_dword v40, v29, s[0:3], 0 offen offset:16
	buffer_load_dword v41, v29, s[0:3], 0 offen offset:20
	ds_read_b128 v[36:39], v30 offset:16
	s_waitcnt vmcnt(2) lgkmcnt(0)
	v_mul_f64 v[42:43], v[38:39], v[32:33]
	v_mul_f64 v[32:33], v[36:37], v[32:33]
	s_waitcnt vmcnt(0)
	v_fma_f64 v[36:37], v[36:37], v[40:41], -v[42:43]
	v_fma_f64 v[32:33], v[38:39], v[40:41], v[32:33]
	v_add_f64 v[1:2], v[1:2], v[36:37]
	v_add_f64 v[3:4], v[3:4], v[32:33]
	s_and_saveexec_b32 s19, s4
	s_cbranch_execz .LBB11_109
; %bb.108:
	s_clause 0x3
	buffer_load_dword v32, off, s[0:3], 0 offset:40
	buffer_load_dword v33, off, s[0:3], 0 offset:44
	;; [unrolled: 1-line block ×4, first 2 shown]
	v_mov_b32_e32 v34, 0
	ds_read_b128 v[36:39], v34 offset:224
	s_waitcnt vmcnt(2) lgkmcnt(0)
	v_mul_f64 v[42:43], v[36:37], v[32:33]
	v_mul_f64 v[32:33], v[38:39], v[32:33]
	s_waitcnt vmcnt(0)
	v_fma_f64 v[38:39], v[38:39], v[40:41], v[42:43]
	v_fma_f64 v[32:33], v[36:37], v[40:41], -v[32:33]
	v_add_f64 v[3:4], v[3:4], v[38:39]
	v_add_f64 v[1:2], v[1:2], v[32:33]
.LBB11_109:
	s_or_b32 exec_lo, exec_lo, s19
.LBB11_110:
	s_or_b32 exec_lo, exec_lo, s8
	v_mov_b32_e32 v32, 0
	ds_read_b128 v[36:39], v32 offset:48
	s_waitcnt lgkmcnt(0)
	v_mul_f64 v[32:33], v[3:4], v[38:39]
	v_mul_f64 v[38:39], v[1:2], v[38:39]
	v_fma_f64 v[1:2], v[1:2], v[36:37], -v[32:33]
	v_fma_f64 v[3:4], v[3:4], v[36:37], v[38:39]
	buffer_store_dword v2, off, s[0:3], 0 offset:52
	buffer_store_dword v1, off, s[0:3], 0 offset:48
	;; [unrolled: 1-line block ×4, first 2 shown]
.LBB11_111:
	s_or_b32 exec_lo, exec_lo, s6
	v_mov_b32_e32 v4, s15
	s_mov_b32 s4, exec_lo
	s_clause 0x3
	buffer_load_dword v1, v4, s[0:3], 0 offen
	buffer_load_dword v2, v4, s[0:3], 0 offen offset:4
	buffer_load_dword v3, v4, s[0:3], 0 offen offset:8
	;; [unrolled: 1-line block ×3, first 2 shown]
	s_waitcnt vmcnt(0)
	ds_write_b128 v30, v[1:4]
	s_waitcnt lgkmcnt(0)
	s_waitcnt_vscnt null, 0x0
	s_barrier
	buffer_gl0_inv
	v_cmpx_gt_u32_e32 4, v0
	s_cbranch_execz .LBB11_119
; %bb.112:
	ds_read_b128 v[1:4], v30
	v_cmp_ne_u32_e32 vcc_lo, 1, v31
	s_cbranch_vccnz .LBB11_114
; %bb.113:
	s_clause 0x3
	buffer_load_dword v32, v29, s[0:3], 0 offen offset:8
	buffer_load_dword v33, v29, s[0:3], 0 offen offset:12
	buffer_load_dword v36, v29, s[0:3], 0 offen
	buffer_load_dword v37, v29, s[0:3], 0 offen offset:4
	s_waitcnt vmcnt(2) lgkmcnt(0)
	v_mul_f64 v[38:39], v[3:4], v[32:33]
	v_mul_f64 v[32:33], v[1:2], v[32:33]
	s_waitcnt vmcnt(0)
	v_fma_f64 v[1:2], v[1:2], v[36:37], -v[38:39]
	v_fma_f64 v[3:4], v[3:4], v[36:37], v[32:33]
.LBB11_114:
	s_mov_b32 s6, exec_lo
	v_cmpx_ne_u32_e32 3, v0
	s_cbranch_execz .LBB11_118
; %bb.115:
	v_add_nc_u32_e32 v32, 0xd0, v35
	v_add3_u32 v33, 0, v35, 16
	v_mov_b32_e32 v34, v0
	s_mov_b32 s8, 0
	.p2align	6
.LBB11_116:                             ; =>This Inner Loop Header: Depth=1
	s_clause 0x3
	buffer_load_dword v40, v33, s[0:3], 0 offen offset:8
	buffer_load_dword v41, v33, s[0:3], 0 offen offset:12
	buffer_load_dword v42, v33, s[0:3], 0 offen
	buffer_load_dword v43, v33, s[0:3], 0 offen offset:4
	ds_read_b128 v[36:39], v32
	v_add_nc_u32_e32 v34, 1, v34
	v_add_nc_u32_e32 v32, 16, v32
	;; [unrolled: 1-line block ×3, first 2 shown]
	v_cmp_lt_u32_e32 vcc_lo, 2, v34
	s_or_b32 s8, vcc_lo, s8
	s_waitcnt vmcnt(2) lgkmcnt(0)
	v_mul_f64 v[44:45], v[38:39], v[40:41]
	v_mul_f64 v[40:41], v[36:37], v[40:41]
	s_waitcnt vmcnt(0)
	v_fma_f64 v[36:37], v[36:37], v[42:43], -v[44:45]
	v_fma_f64 v[38:39], v[38:39], v[42:43], v[40:41]
	v_add_f64 v[1:2], v[1:2], v[36:37]
	v_add_f64 v[3:4], v[3:4], v[38:39]
	s_andn2_b32 exec_lo, exec_lo, s8
	s_cbranch_execnz .LBB11_116
; %bb.117:
	s_or_b32 exec_lo, exec_lo, s8
.LBB11_118:
	s_or_b32 exec_lo, exec_lo, s6
	v_mov_b32_e32 v32, 0
	ds_read_b128 v[36:39], v32 offset:64
	s_waitcnt lgkmcnt(0)
	v_mul_f64 v[32:33], v[3:4], v[38:39]
	v_mul_f64 v[38:39], v[1:2], v[38:39]
	v_fma_f64 v[1:2], v[1:2], v[36:37], -v[32:33]
	v_fma_f64 v[3:4], v[3:4], v[36:37], v[38:39]
	buffer_store_dword v2, off, s[0:3], 0 offset:68
	buffer_store_dword v1, off, s[0:3], 0 offset:64
	;; [unrolled: 1-line block ×4, first 2 shown]
.LBB11_119:
	s_or_b32 exec_lo, exec_lo, s4
	v_mov_b32_e32 v4, s14
	s_mov_b32 s4, exec_lo
	s_clause 0x3
	buffer_load_dword v1, v4, s[0:3], 0 offen
	buffer_load_dword v2, v4, s[0:3], 0 offen offset:4
	buffer_load_dword v3, v4, s[0:3], 0 offen offset:8
	buffer_load_dword v4, v4, s[0:3], 0 offen offset:12
	s_waitcnt vmcnt(0)
	ds_write_b128 v30, v[1:4]
	s_waitcnt lgkmcnt(0)
	s_waitcnt_vscnt null, 0x0
	s_barrier
	buffer_gl0_inv
	v_cmpx_gt_u32_e32 5, v0
	s_cbranch_execz .LBB11_127
; %bb.120:
	ds_read_b128 v[1:4], v30
	v_cmp_ne_u32_e32 vcc_lo, 1, v31
	s_cbranch_vccnz .LBB11_122
; %bb.121:
	s_clause 0x3
	buffer_load_dword v32, v29, s[0:3], 0 offen offset:8
	buffer_load_dword v33, v29, s[0:3], 0 offen offset:12
	buffer_load_dword v36, v29, s[0:3], 0 offen
	buffer_load_dword v37, v29, s[0:3], 0 offen offset:4
	s_waitcnt vmcnt(2) lgkmcnt(0)
	v_mul_f64 v[38:39], v[3:4], v[32:33]
	v_mul_f64 v[32:33], v[1:2], v[32:33]
	s_waitcnt vmcnt(0)
	v_fma_f64 v[1:2], v[1:2], v[36:37], -v[38:39]
	v_fma_f64 v[3:4], v[3:4], v[36:37], v[32:33]
.LBB11_122:
	s_mov_b32 s6, exec_lo
	v_cmpx_ne_u32_e32 4, v0
	s_cbranch_execz .LBB11_126
; %bb.123:
	v_add_nc_u32_e32 v32, 0xd0, v35
	v_add3_u32 v33, 0, v35, 16
	v_mov_b32_e32 v34, v0
	s_mov_b32 s8, 0
	.p2align	6
.LBB11_124:                             ; =>This Inner Loop Header: Depth=1
	s_clause 0x3
	buffer_load_dword v40, v33, s[0:3], 0 offen offset:8
	buffer_load_dword v41, v33, s[0:3], 0 offen offset:12
	buffer_load_dword v42, v33, s[0:3], 0 offen
	buffer_load_dword v43, v33, s[0:3], 0 offen offset:4
	ds_read_b128 v[36:39], v32
	v_add_nc_u32_e32 v34, 1, v34
	v_add_nc_u32_e32 v32, 16, v32
	;; [unrolled: 1-line block ×3, first 2 shown]
	v_cmp_lt_u32_e32 vcc_lo, 3, v34
	s_or_b32 s8, vcc_lo, s8
	s_waitcnt vmcnt(2) lgkmcnt(0)
	v_mul_f64 v[44:45], v[38:39], v[40:41]
	v_mul_f64 v[40:41], v[36:37], v[40:41]
	s_waitcnt vmcnt(0)
	v_fma_f64 v[36:37], v[36:37], v[42:43], -v[44:45]
	v_fma_f64 v[38:39], v[38:39], v[42:43], v[40:41]
	v_add_f64 v[1:2], v[1:2], v[36:37]
	v_add_f64 v[3:4], v[3:4], v[38:39]
	s_andn2_b32 exec_lo, exec_lo, s8
	s_cbranch_execnz .LBB11_124
; %bb.125:
	s_or_b32 exec_lo, exec_lo, s8
.LBB11_126:
	s_or_b32 exec_lo, exec_lo, s6
	v_mov_b32_e32 v32, 0
	ds_read_b128 v[36:39], v32 offset:80
	s_waitcnt lgkmcnt(0)
	v_mul_f64 v[32:33], v[3:4], v[38:39]
	v_mul_f64 v[38:39], v[1:2], v[38:39]
	v_fma_f64 v[1:2], v[1:2], v[36:37], -v[32:33]
	v_fma_f64 v[3:4], v[3:4], v[36:37], v[38:39]
	buffer_store_dword v2, off, s[0:3], 0 offset:84
	buffer_store_dword v1, off, s[0:3], 0 offset:80
	buffer_store_dword v4, off, s[0:3], 0 offset:92
	buffer_store_dword v3, off, s[0:3], 0 offset:88
.LBB11_127:
	s_or_b32 exec_lo, exec_lo, s4
	v_mov_b32_e32 v4, s13
	s_mov_b32 s4, exec_lo
	s_clause 0x3
	buffer_load_dword v1, v4, s[0:3], 0 offen
	buffer_load_dword v2, v4, s[0:3], 0 offen offset:4
	buffer_load_dword v3, v4, s[0:3], 0 offen offset:8
	;; [unrolled: 1-line block ×3, first 2 shown]
	s_waitcnt vmcnt(0)
	ds_write_b128 v30, v[1:4]
	s_waitcnt lgkmcnt(0)
	s_waitcnt_vscnt null, 0x0
	s_barrier
	buffer_gl0_inv
	v_cmpx_gt_u32_e32 6, v0
	s_cbranch_execz .LBB11_135
; %bb.128:
	ds_read_b128 v[1:4], v30
	v_cmp_ne_u32_e32 vcc_lo, 1, v31
	s_cbranch_vccnz .LBB11_130
; %bb.129:
	s_clause 0x3
	buffer_load_dword v32, v29, s[0:3], 0 offen offset:8
	buffer_load_dword v33, v29, s[0:3], 0 offen offset:12
	buffer_load_dword v36, v29, s[0:3], 0 offen
	buffer_load_dword v37, v29, s[0:3], 0 offen offset:4
	s_waitcnt vmcnt(2) lgkmcnt(0)
	v_mul_f64 v[38:39], v[3:4], v[32:33]
	v_mul_f64 v[32:33], v[1:2], v[32:33]
	s_waitcnt vmcnt(0)
	v_fma_f64 v[1:2], v[1:2], v[36:37], -v[38:39]
	v_fma_f64 v[3:4], v[3:4], v[36:37], v[32:33]
.LBB11_130:
	s_mov_b32 s6, exec_lo
	v_cmpx_ne_u32_e32 5, v0
	s_cbranch_execz .LBB11_134
; %bb.131:
	v_add_nc_u32_e32 v32, 0xd0, v35
	v_add3_u32 v33, 0, v35, 16
	v_mov_b32_e32 v34, v0
	s_mov_b32 s8, 0
	.p2align	6
.LBB11_132:                             ; =>This Inner Loop Header: Depth=1
	s_clause 0x3
	buffer_load_dword v40, v33, s[0:3], 0 offen offset:8
	buffer_load_dword v41, v33, s[0:3], 0 offen offset:12
	buffer_load_dword v42, v33, s[0:3], 0 offen
	buffer_load_dword v43, v33, s[0:3], 0 offen offset:4
	ds_read_b128 v[36:39], v32
	v_add_nc_u32_e32 v34, 1, v34
	v_add_nc_u32_e32 v32, 16, v32
	;; [unrolled: 1-line block ×3, first 2 shown]
	v_cmp_lt_u32_e32 vcc_lo, 4, v34
	s_or_b32 s8, vcc_lo, s8
	s_waitcnt vmcnt(2) lgkmcnt(0)
	v_mul_f64 v[44:45], v[38:39], v[40:41]
	v_mul_f64 v[40:41], v[36:37], v[40:41]
	s_waitcnt vmcnt(0)
	v_fma_f64 v[36:37], v[36:37], v[42:43], -v[44:45]
	v_fma_f64 v[38:39], v[38:39], v[42:43], v[40:41]
	v_add_f64 v[1:2], v[1:2], v[36:37]
	v_add_f64 v[3:4], v[3:4], v[38:39]
	s_andn2_b32 exec_lo, exec_lo, s8
	s_cbranch_execnz .LBB11_132
; %bb.133:
	s_or_b32 exec_lo, exec_lo, s8
.LBB11_134:
	s_or_b32 exec_lo, exec_lo, s6
	v_mov_b32_e32 v32, 0
	ds_read_b128 v[36:39], v32 offset:96
	s_waitcnt lgkmcnt(0)
	v_mul_f64 v[32:33], v[3:4], v[38:39]
	v_mul_f64 v[38:39], v[1:2], v[38:39]
	v_fma_f64 v[1:2], v[1:2], v[36:37], -v[32:33]
	v_fma_f64 v[3:4], v[3:4], v[36:37], v[38:39]
	buffer_store_dword v2, off, s[0:3], 0 offset:100
	buffer_store_dword v1, off, s[0:3], 0 offset:96
	;; [unrolled: 1-line block ×4, first 2 shown]
.LBB11_135:
	s_or_b32 exec_lo, exec_lo, s4
	v_mov_b32_e32 v4, s12
	s_mov_b32 s4, exec_lo
	s_clause 0x3
	buffer_load_dword v1, v4, s[0:3], 0 offen
	buffer_load_dword v2, v4, s[0:3], 0 offen offset:4
	buffer_load_dword v3, v4, s[0:3], 0 offen offset:8
	buffer_load_dword v4, v4, s[0:3], 0 offen offset:12
	s_waitcnt vmcnt(0)
	ds_write_b128 v30, v[1:4]
	s_waitcnt lgkmcnt(0)
	s_waitcnt_vscnt null, 0x0
	s_barrier
	buffer_gl0_inv
	v_cmpx_gt_u32_e32 7, v0
	s_cbranch_execz .LBB11_143
; %bb.136:
	ds_read_b128 v[1:4], v30
	v_cmp_ne_u32_e32 vcc_lo, 1, v31
	s_cbranch_vccnz .LBB11_138
; %bb.137:
	s_clause 0x3
	buffer_load_dword v32, v29, s[0:3], 0 offen offset:8
	buffer_load_dword v33, v29, s[0:3], 0 offen offset:12
	buffer_load_dword v36, v29, s[0:3], 0 offen
	buffer_load_dword v37, v29, s[0:3], 0 offen offset:4
	s_waitcnt vmcnt(2) lgkmcnt(0)
	v_mul_f64 v[38:39], v[3:4], v[32:33]
	v_mul_f64 v[32:33], v[1:2], v[32:33]
	s_waitcnt vmcnt(0)
	v_fma_f64 v[1:2], v[1:2], v[36:37], -v[38:39]
	v_fma_f64 v[3:4], v[3:4], v[36:37], v[32:33]
.LBB11_138:
	s_mov_b32 s6, exec_lo
	v_cmpx_ne_u32_e32 6, v0
	s_cbranch_execz .LBB11_142
; %bb.139:
	v_add_nc_u32_e32 v32, 0xd0, v35
	v_add3_u32 v33, 0, v35, 16
	v_mov_b32_e32 v34, v0
	s_mov_b32 s8, 0
	.p2align	6
.LBB11_140:                             ; =>This Inner Loop Header: Depth=1
	s_clause 0x3
	buffer_load_dword v40, v33, s[0:3], 0 offen offset:8
	buffer_load_dword v41, v33, s[0:3], 0 offen offset:12
	buffer_load_dword v42, v33, s[0:3], 0 offen
	buffer_load_dword v43, v33, s[0:3], 0 offen offset:4
	ds_read_b128 v[36:39], v32
	v_add_nc_u32_e32 v34, 1, v34
	v_add_nc_u32_e32 v32, 16, v32
	;; [unrolled: 1-line block ×3, first 2 shown]
	v_cmp_lt_u32_e32 vcc_lo, 5, v34
	s_or_b32 s8, vcc_lo, s8
	s_waitcnt vmcnt(2) lgkmcnt(0)
	v_mul_f64 v[44:45], v[38:39], v[40:41]
	v_mul_f64 v[40:41], v[36:37], v[40:41]
	s_waitcnt vmcnt(0)
	v_fma_f64 v[36:37], v[36:37], v[42:43], -v[44:45]
	v_fma_f64 v[38:39], v[38:39], v[42:43], v[40:41]
	v_add_f64 v[1:2], v[1:2], v[36:37]
	v_add_f64 v[3:4], v[3:4], v[38:39]
	s_andn2_b32 exec_lo, exec_lo, s8
	s_cbranch_execnz .LBB11_140
; %bb.141:
	s_or_b32 exec_lo, exec_lo, s8
.LBB11_142:
	s_or_b32 exec_lo, exec_lo, s6
	v_mov_b32_e32 v32, 0
	ds_read_b128 v[36:39], v32 offset:112
	s_waitcnt lgkmcnt(0)
	v_mul_f64 v[32:33], v[3:4], v[38:39]
	v_mul_f64 v[38:39], v[1:2], v[38:39]
	v_fma_f64 v[1:2], v[1:2], v[36:37], -v[32:33]
	v_fma_f64 v[3:4], v[3:4], v[36:37], v[38:39]
	buffer_store_dword v2, off, s[0:3], 0 offset:116
	buffer_store_dword v1, off, s[0:3], 0 offset:112
	;; [unrolled: 1-line block ×4, first 2 shown]
.LBB11_143:
	s_or_b32 exec_lo, exec_lo, s4
	v_mov_b32_e32 v4, s11
	s_mov_b32 s4, exec_lo
	s_clause 0x3
	buffer_load_dword v1, v4, s[0:3], 0 offen
	buffer_load_dword v2, v4, s[0:3], 0 offen offset:4
	buffer_load_dword v3, v4, s[0:3], 0 offen offset:8
	;; [unrolled: 1-line block ×3, first 2 shown]
	s_waitcnt vmcnt(0)
	ds_write_b128 v30, v[1:4]
	s_waitcnt lgkmcnt(0)
	s_waitcnt_vscnt null, 0x0
	s_barrier
	buffer_gl0_inv
	v_cmpx_gt_u32_e32 8, v0
	s_cbranch_execz .LBB11_151
; %bb.144:
	ds_read_b128 v[1:4], v30
	v_cmp_ne_u32_e32 vcc_lo, 1, v31
	s_cbranch_vccnz .LBB11_146
; %bb.145:
	s_clause 0x3
	buffer_load_dword v32, v29, s[0:3], 0 offen offset:8
	buffer_load_dword v33, v29, s[0:3], 0 offen offset:12
	buffer_load_dword v36, v29, s[0:3], 0 offen
	buffer_load_dword v37, v29, s[0:3], 0 offen offset:4
	s_waitcnt vmcnt(2) lgkmcnt(0)
	v_mul_f64 v[38:39], v[3:4], v[32:33]
	v_mul_f64 v[32:33], v[1:2], v[32:33]
	s_waitcnt vmcnt(0)
	v_fma_f64 v[1:2], v[1:2], v[36:37], -v[38:39]
	v_fma_f64 v[3:4], v[3:4], v[36:37], v[32:33]
.LBB11_146:
	s_mov_b32 s6, exec_lo
	v_cmpx_ne_u32_e32 7, v0
	s_cbranch_execz .LBB11_150
; %bb.147:
	v_add_nc_u32_e32 v32, 0xd0, v35
	v_add3_u32 v33, 0, v35, 16
	v_mov_b32_e32 v34, v0
	s_mov_b32 s8, 0
	.p2align	6
.LBB11_148:                             ; =>This Inner Loop Header: Depth=1
	s_clause 0x3
	buffer_load_dword v40, v33, s[0:3], 0 offen offset:8
	buffer_load_dword v41, v33, s[0:3], 0 offen offset:12
	buffer_load_dword v42, v33, s[0:3], 0 offen
	buffer_load_dword v43, v33, s[0:3], 0 offen offset:4
	ds_read_b128 v[36:39], v32
	v_add_nc_u32_e32 v34, 1, v34
	v_add_nc_u32_e32 v32, 16, v32
	;; [unrolled: 1-line block ×3, first 2 shown]
	v_cmp_lt_u32_e32 vcc_lo, 6, v34
	s_or_b32 s8, vcc_lo, s8
	s_waitcnt vmcnt(2) lgkmcnt(0)
	v_mul_f64 v[44:45], v[38:39], v[40:41]
	v_mul_f64 v[40:41], v[36:37], v[40:41]
	s_waitcnt vmcnt(0)
	v_fma_f64 v[36:37], v[36:37], v[42:43], -v[44:45]
	v_fma_f64 v[38:39], v[38:39], v[42:43], v[40:41]
	v_add_f64 v[1:2], v[1:2], v[36:37]
	v_add_f64 v[3:4], v[3:4], v[38:39]
	s_andn2_b32 exec_lo, exec_lo, s8
	s_cbranch_execnz .LBB11_148
; %bb.149:
	s_or_b32 exec_lo, exec_lo, s8
.LBB11_150:
	s_or_b32 exec_lo, exec_lo, s6
	v_mov_b32_e32 v32, 0
	ds_read_b128 v[36:39], v32 offset:128
	s_waitcnt lgkmcnt(0)
	v_mul_f64 v[32:33], v[3:4], v[38:39]
	v_mul_f64 v[38:39], v[1:2], v[38:39]
	v_fma_f64 v[1:2], v[1:2], v[36:37], -v[32:33]
	v_fma_f64 v[3:4], v[3:4], v[36:37], v[38:39]
	buffer_store_dword v2, off, s[0:3], 0 offset:132
	buffer_store_dword v1, off, s[0:3], 0 offset:128
	;; [unrolled: 1-line block ×4, first 2 shown]
.LBB11_151:
	s_or_b32 exec_lo, exec_lo, s4
	v_mov_b32_e32 v4, s10
	s_mov_b32 s4, exec_lo
	s_clause 0x3
	buffer_load_dword v1, v4, s[0:3], 0 offen
	buffer_load_dword v2, v4, s[0:3], 0 offen offset:4
	buffer_load_dword v3, v4, s[0:3], 0 offen offset:8
	;; [unrolled: 1-line block ×3, first 2 shown]
	s_waitcnt vmcnt(0)
	ds_write_b128 v30, v[1:4]
	s_waitcnt lgkmcnt(0)
	s_waitcnt_vscnt null, 0x0
	s_barrier
	buffer_gl0_inv
	v_cmpx_gt_u32_e32 9, v0
	s_cbranch_execz .LBB11_159
; %bb.152:
	ds_read_b128 v[1:4], v30
	v_cmp_ne_u32_e32 vcc_lo, 1, v31
	s_cbranch_vccnz .LBB11_154
; %bb.153:
	s_clause 0x3
	buffer_load_dword v32, v29, s[0:3], 0 offen offset:8
	buffer_load_dword v33, v29, s[0:3], 0 offen offset:12
	buffer_load_dword v36, v29, s[0:3], 0 offen
	buffer_load_dword v37, v29, s[0:3], 0 offen offset:4
	s_waitcnt vmcnt(2) lgkmcnt(0)
	v_mul_f64 v[38:39], v[3:4], v[32:33]
	v_mul_f64 v[32:33], v[1:2], v[32:33]
	s_waitcnt vmcnt(0)
	v_fma_f64 v[1:2], v[1:2], v[36:37], -v[38:39]
	v_fma_f64 v[3:4], v[3:4], v[36:37], v[32:33]
.LBB11_154:
	s_mov_b32 s6, exec_lo
	v_cmpx_ne_u32_e32 8, v0
	s_cbranch_execz .LBB11_158
; %bb.155:
	v_add_nc_u32_e32 v32, 0xd0, v35
	v_add3_u32 v33, 0, v35, 16
	v_mov_b32_e32 v34, v0
	s_mov_b32 s8, 0
	.p2align	6
.LBB11_156:                             ; =>This Inner Loop Header: Depth=1
	s_clause 0x3
	buffer_load_dword v40, v33, s[0:3], 0 offen offset:8
	buffer_load_dword v41, v33, s[0:3], 0 offen offset:12
	buffer_load_dword v42, v33, s[0:3], 0 offen
	buffer_load_dword v43, v33, s[0:3], 0 offen offset:4
	ds_read_b128 v[36:39], v32
	v_add_nc_u32_e32 v34, 1, v34
	v_add_nc_u32_e32 v32, 16, v32
	;; [unrolled: 1-line block ×3, first 2 shown]
	v_cmp_lt_u32_e32 vcc_lo, 7, v34
	s_or_b32 s8, vcc_lo, s8
	s_waitcnt vmcnt(2) lgkmcnt(0)
	v_mul_f64 v[44:45], v[38:39], v[40:41]
	v_mul_f64 v[40:41], v[36:37], v[40:41]
	s_waitcnt vmcnt(0)
	v_fma_f64 v[36:37], v[36:37], v[42:43], -v[44:45]
	v_fma_f64 v[38:39], v[38:39], v[42:43], v[40:41]
	v_add_f64 v[1:2], v[1:2], v[36:37]
	v_add_f64 v[3:4], v[3:4], v[38:39]
	s_andn2_b32 exec_lo, exec_lo, s8
	s_cbranch_execnz .LBB11_156
; %bb.157:
	s_or_b32 exec_lo, exec_lo, s8
.LBB11_158:
	s_or_b32 exec_lo, exec_lo, s6
	v_mov_b32_e32 v32, 0
	ds_read_b128 v[36:39], v32 offset:144
	s_waitcnt lgkmcnt(0)
	v_mul_f64 v[32:33], v[3:4], v[38:39]
	v_mul_f64 v[38:39], v[1:2], v[38:39]
	v_fma_f64 v[1:2], v[1:2], v[36:37], -v[32:33]
	v_fma_f64 v[3:4], v[3:4], v[36:37], v[38:39]
	buffer_store_dword v2, off, s[0:3], 0 offset:148
	buffer_store_dword v1, off, s[0:3], 0 offset:144
	buffer_store_dword v4, off, s[0:3], 0 offset:156
	buffer_store_dword v3, off, s[0:3], 0 offset:152
.LBB11_159:
	s_or_b32 exec_lo, exec_lo, s4
	v_mov_b32_e32 v4, s9
	v_cmp_gt_u32_e64 s4, 10, v0
	s_clause 0x3
	buffer_load_dword v1, v4, s[0:3], 0 offen
	buffer_load_dword v2, v4, s[0:3], 0 offen offset:4
	buffer_load_dword v3, v4, s[0:3], 0 offen offset:8
	;; [unrolled: 1-line block ×3, first 2 shown]
	s_waitcnt vmcnt(0)
	ds_write_b128 v30, v[1:4]
	s_waitcnt lgkmcnt(0)
	s_waitcnt_vscnt null, 0x0
	s_barrier
	buffer_gl0_inv
	s_and_saveexec_b32 s6, s4
	s_cbranch_execz .LBB11_167
; %bb.160:
	ds_read_b128 v[1:4], v30
	v_cmp_ne_u32_e32 vcc_lo, 1, v31
	s_cbranch_vccnz .LBB11_162
; %bb.161:
	s_clause 0x3
	buffer_load_dword v32, v29, s[0:3], 0 offen offset:8
	buffer_load_dword v33, v29, s[0:3], 0 offen offset:12
	buffer_load_dword v36, v29, s[0:3], 0 offen
	buffer_load_dword v37, v29, s[0:3], 0 offen offset:4
	s_waitcnt vmcnt(2) lgkmcnt(0)
	v_mul_f64 v[38:39], v[3:4], v[32:33]
	v_mul_f64 v[32:33], v[1:2], v[32:33]
	s_waitcnt vmcnt(0)
	v_fma_f64 v[1:2], v[1:2], v[36:37], -v[38:39]
	v_fma_f64 v[3:4], v[3:4], v[36:37], v[32:33]
.LBB11_162:
	s_mov_b32 s8, exec_lo
	v_cmpx_ne_u32_e32 9, v0
	s_cbranch_execz .LBB11_166
; %bb.163:
	v_add_nc_u32_e32 v32, 0xd0, v35
	v_add3_u32 v33, 0, v35, 16
	v_mov_b32_e32 v34, v0
	s_mov_b32 s19, 0
	.p2align	6
.LBB11_164:                             ; =>This Inner Loop Header: Depth=1
	s_clause 0x3
	buffer_load_dword v40, v33, s[0:3], 0 offen offset:8
	buffer_load_dword v41, v33, s[0:3], 0 offen offset:12
	buffer_load_dword v42, v33, s[0:3], 0 offen
	buffer_load_dword v43, v33, s[0:3], 0 offen offset:4
	ds_read_b128 v[36:39], v32
	v_add_nc_u32_e32 v34, 1, v34
	v_add_nc_u32_e32 v32, 16, v32
	;; [unrolled: 1-line block ×3, first 2 shown]
	v_cmp_lt_u32_e32 vcc_lo, 8, v34
	s_or_b32 s19, vcc_lo, s19
	s_waitcnt vmcnt(2) lgkmcnt(0)
	v_mul_f64 v[44:45], v[38:39], v[40:41]
	v_mul_f64 v[40:41], v[36:37], v[40:41]
	s_waitcnt vmcnt(0)
	v_fma_f64 v[36:37], v[36:37], v[42:43], -v[44:45]
	v_fma_f64 v[38:39], v[38:39], v[42:43], v[40:41]
	v_add_f64 v[1:2], v[1:2], v[36:37]
	v_add_f64 v[3:4], v[3:4], v[38:39]
	s_andn2_b32 exec_lo, exec_lo, s19
	s_cbranch_execnz .LBB11_164
; %bb.165:
	s_or_b32 exec_lo, exec_lo, s19
.LBB11_166:
	s_or_b32 exec_lo, exec_lo, s8
	v_mov_b32_e32 v32, 0
	ds_read_b128 v[36:39], v32 offset:160
	s_waitcnt lgkmcnt(0)
	v_mul_f64 v[32:33], v[3:4], v[38:39]
	v_mul_f64 v[38:39], v[1:2], v[38:39]
	v_fma_f64 v[1:2], v[1:2], v[36:37], -v[32:33]
	v_fma_f64 v[3:4], v[3:4], v[36:37], v[38:39]
	buffer_store_dword v2, off, s[0:3], 0 offset:164
	buffer_store_dword v1, off, s[0:3], 0 offset:160
	;; [unrolled: 1-line block ×4, first 2 shown]
.LBB11_167:
	s_or_b32 exec_lo, exec_lo, s6
	v_mov_b32_e32 v4, s7
	s_mov_b32 s6, exec_lo
                                        ; implicit-def: $sgpr20
	s_clause 0x3
	buffer_load_dword v1, v4, s[0:3], 0 offen
	buffer_load_dword v2, v4, s[0:3], 0 offen offset:4
	buffer_load_dword v3, v4, s[0:3], 0 offen offset:8
	;; [unrolled: 1-line block ×3, first 2 shown]
	s_waitcnt vmcnt(0)
	ds_write_b128 v30, v[1:4]
	s_waitcnt lgkmcnt(0)
	s_waitcnt_vscnt null, 0x0
	s_barrier
	buffer_gl0_inv
                                        ; implicit-def: $vgpr1_vgpr2
	v_cmpx_ne_u32_e32 11, v0
	s_cbranch_execz .LBB11_175
; %bb.168:
	ds_read_b128 v[1:4], v30
	v_cmp_ne_u32_e32 vcc_lo, 1, v31
	s_cbranch_vccnz .LBB11_170
; %bb.169:
	s_clause 0x3
	buffer_load_dword v30, v29, s[0:3], 0 offen offset:8
	buffer_load_dword v31, v29, s[0:3], 0 offen offset:12
	buffer_load_dword v32, v29, s[0:3], 0 offen
	buffer_load_dword v33, v29, s[0:3], 0 offen offset:4
	s_waitcnt vmcnt(2) lgkmcnt(0)
	v_mul_f64 v[36:37], v[3:4], v[30:31]
	v_mul_f64 v[29:30], v[1:2], v[30:31]
	s_waitcnt vmcnt(0)
	v_fma_f64 v[1:2], v[1:2], v[32:33], -v[36:37]
	v_fma_f64 v[3:4], v[3:4], v[32:33], v[29:30]
.LBB11_170:
	s_and_saveexec_b32 s8, s4
	s_cbranch_execz .LBB11_174
; %bb.171:
	v_add_nc_u32_e32 v29, 0xd0, v35
	v_add3_u32 v30, 0, v35, 16
	s_mov_b32 s4, 0
	.p2align	6
.LBB11_172:                             ; =>This Inner Loop Header: Depth=1
	s_clause 0x3
	buffer_load_dword v35, v30, s[0:3], 0 offen offset:8
	buffer_load_dword v36, v30, s[0:3], 0 offen offset:12
	buffer_load_dword v37, v30, s[0:3], 0 offen
	buffer_load_dword v38, v30, s[0:3], 0 offen offset:4
	ds_read_b128 v[31:34], v29
	v_add_nc_u32_e32 v0, 1, v0
	v_add_nc_u32_e32 v29, 16, v29
	;; [unrolled: 1-line block ×3, first 2 shown]
	v_cmp_lt_u32_e32 vcc_lo, 9, v0
	s_or_b32 s4, vcc_lo, s4
	s_waitcnt vmcnt(2) lgkmcnt(0)
	v_mul_f64 v[39:40], v[33:34], v[35:36]
	v_mul_f64 v[35:36], v[31:32], v[35:36]
	s_waitcnt vmcnt(0)
	v_fma_f64 v[31:32], v[31:32], v[37:38], -v[39:40]
	v_fma_f64 v[33:34], v[33:34], v[37:38], v[35:36]
	v_add_f64 v[1:2], v[1:2], v[31:32]
	v_add_f64 v[3:4], v[3:4], v[33:34]
	s_andn2_b32 exec_lo, exec_lo, s4
	s_cbranch_execnz .LBB11_172
; %bb.173:
	s_or_b32 exec_lo, exec_lo, s4
.LBB11_174:
	s_or_b32 exec_lo, exec_lo, s8
	v_mov_b32_e32 v0, 0
	s_movk_i32 s20, 0xb8
	s_or_b32 s5, s5, exec_lo
	ds_read_b128 v[29:32], v0 offset:176
	s_waitcnt lgkmcnt(0)
	v_mul_f64 v[33:34], v[3:4], v[31:32]
	v_mul_f64 v[31:32], v[1:2], v[31:32]
	v_fma_f64 v[33:34], v[1:2], v[29:30], -v[33:34]
	v_fma_f64 v[1:2], v[3:4], v[29:30], v[31:32]
	buffer_store_dword v34, off, s[0:3], 0 offset:180
	buffer_store_dword v33, off, s[0:3], 0 offset:176
.LBB11_175:
	s_or_b32 exec_lo, exec_lo, s6
.LBB11_176:
	s_and_saveexec_b32 s4, s5
	s_cbranch_execz .LBB11_178
; %bb.177:
	v_mov_b32_e32 v0, s20
	buffer_store_dword v2, v0, s[0:3], 0 offen offset:4
	buffer_store_dword v1, v0, s[0:3], 0 offen
.LBB11_178:
	s_or_b32 exec_lo, exec_lo, s4
	v_mov_b32_e32 v4, s18
	s_clause 0x3
	buffer_load_dword v0, off, s[0:3], 0
	buffer_load_dword v1, off, s[0:3], 0 offset:4
	buffer_load_dword v2, off, s[0:3], 0 offset:8
	;; [unrolled: 1-line block ×3, first 2 shown]
	v_mov_b32_e32 v57, s11
	v_mov_b32_e32 v61, s9
	;; [unrolled: 1-line block ×3, first 2 shown]
	s_clause 0x3
	buffer_load_dword v29, v4, s[0:3], 0 offen
	buffer_load_dword v30, v4, s[0:3], 0 offen offset:4
	buffer_load_dword v31, v4, s[0:3], 0 offen offset:8
	;; [unrolled: 1-line block ×3, first 2 shown]
	v_mov_b32_e32 v4, s17
	v_mov_b32_e32 v44, s15
	;; [unrolled: 1-line block ×6, first 2 shown]
	s_clause 0x17
	buffer_load_dword v33, v4, s[0:3], 0 offen
	buffer_load_dword v34, v4, s[0:3], 0 offen offset:4
	buffer_load_dword v35, v4, s[0:3], 0 offen offset:8
	buffer_load_dword v36, v4, s[0:3], 0 offen offset:12
	buffer_load_dword v37, v40, s[0:3], 0 offen
	buffer_load_dword v38, v40, s[0:3], 0 offen offset:4
	buffer_load_dword v39, v40, s[0:3], 0 offen offset:8
	buffer_load_dword v40, v40, s[0:3], 0 offen offset:12
	;; [unrolled: 4-line block ×6, first 2 shown]
	v_mov_b32_e32 v4, s7
	s_waitcnt vmcnt(28)
	global_store_dwordx4 v[11:12], v[0:3], off
	s_clause 0x7
	buffer_load_dword v0, v57, s[0:3], 0 offen
	buffer_load_dword v1, v57, s[0:3], 0 offen offset:4
	buffer_load_dword v2, v57, s[0:3], 0 offen offset:8
	buffer_load_dword v3, v57, s[0:3], 0 offen offset:12
	buffer_load_dword v57, v60, s[0:3], 0 offen
	buffer_load_dword v58, v60, s[0:3], 0 offen offset:4
	buffer_load_dword v59, v60, s[0:3], 0 offen offset:8
	;; [unrolled: 1-line block ×3, first 2 shown]
	s_waitcnt vmcnt(32)
	global_store_dwordx4 v[7:8], v[29:32], off
	s_clause 0x7
	buffer_load_dword v29, v61, s[0:3], 0 offen
	buffer_load_dword v30, v61, s[0:3], 0 offen offset:4
	buffer_load_dword v31, v61, s[0:3], 0 offen offset:8
	;; [unrolled: 1-line block ×3, first 2 shown]
	buffer_load_dword v61, v4, s[0:3], 0 offen
	buffer_load_dword v62, v4, s[0:3], 0 offen offset:4
	buffer_load_dword v63, v4, s[0:3], 0 offen offset:8
	;; [unrolled: 1-line block ×3, first 2 shown]
	s_waitcnt vmcnt(36)
	global_store_dwordx4 v[5:6], v[33:36], off
	s_waitcnt vmcnt(32)
	global_store_dwordx4 v[9:10], v[37:40], off
	s_waitcnt vmcnt(28)
	global_store_dwordx4 v[13:14], v[41:44], off
	s_waitcnt vmcnt(24)
	global_store_dwordx4 v[15:16], v[45:48], off
	s_waitcnt vmcnt(20)
	global_store_dwordx4 v[17:18], v[49:52], off
	s_waitcnt vmcnt(16)
	global_store_dwordx4 v[21:22], v[53:56], off
	s_waitcnt vmcnt(12)
	global_store_dwordx4 v[23:24], v[0:3], off
	s_waitcnt vmcnt(8)
	global_store_dwordx4 v[25:26], v[57:60], off
	s_waitcnt vmcnt(4)
	global_store_dwordx4 v[27:28], v[29:32], off
	s_waitcnt vmcnt(0)
	global_store_dwordx4 v[19:20], v[61:64], off
.LBB11_179:
	s_endpgm
	.section	.rodata,"a",@progbits
	.p2align	6, 0x0
	.amdhsa_kernel _ZN9rocsolver6v33100L18trti2_kernel_smallILi12E19rocblas_complex_numIdEPS3_EEv13rocblas_fill_17rocblas_diagonal_T1_iil
		.amdhsa_group_segment_fixed_size 384
		.amdhsa_private_segment_fixed_size 208
		.amdhsa_kernarg_size 32
		.amdhsa_user_sgpr_count 6
		.amdhsa_user_sgpr_private_segment_buffer 1
		.amdhsa_user_sgpr_dispatch_ptr 0
		.amdhsa_user_sgpr_queue_ptr 0
		.amdhsa_user_sgpr_kernarg_segment_ptr 1
		.amdhsa_user_sgpr_dispatch_id 0
		.amdhsa_user_sgpr_flat_scratch_init 0
		.amdhsa_user_sgpr_private_segment_size 0
		.amdhsa_wavefront_size32 1
		.amdhsa_uses_dynamic_stack 0
		.amdhsa_system_sgpr_private_segment_wavefront_offset 1
		.amdhsa_system_sgpr_workgroup_id_x 1
		.amdhsa_system_sgpr_workgroup_id_y 0
		.amdhsa_system_sgpr_workgroup_id_z 0
		.amdhsa_system_sgpr_workgroup_info 0
		.amdhsa_system_vgpr_workitem_id 0
		.amdhsa_next_free_vgpr 65
		.amdhsa_next_free_sgpr 22
		.amdhsa_reserve_vcc 1
		.amdhsa_reserve_flat_scratch 0
		.amdhsa_float_round_mode_32 0
		.amdhsa_float_round_mode_16_64 0
		.amdhsa_float_denorm_mode_32 3
		.amdhsa_float_denorm_mode_16_64 3
		.amdhsa_dx10_clamp 1
		.amdhsa_ieee_mode 1
		.amdhsa_fp16_overflow 0
		.amdhsa_workgroup_processor_mode 1
		.amdhsa_memory_ordered 1
		.amdhsa_forward_progress 1
		.amdhsa_shared_vgpr_count 0
		.amdhsa_exception_fp_ieee_invalid_op 0
		.amdhsa_exception_fp_denorm_src 0
		.amdhsa_exception_fp_ieee_div_zero 0
		.amdhsa_exception_fp_ieee_overflow 0
		.amdhsa_exception_fp_ieee_underflow 0
		.amdhsa_exception_fp_ieee_inexact 0
		.amdhsa_exception_int_div_zero 0
	.end_amdhsa_kernel
	.section	.text._ZN9rocsolver6v33100L18trti2_kernel_smallILi12E19rocblas_complex_numIdEPS3_EEv13rocblas_fill_17rocblas_diagonal_T1_iil,"axG",@progbits,_ZN9rocsolver6v33100L18trti2_kernel_smallILi12E19rocblas_complex_numIdEPS3_EEv13rocblas_fill_17rocblas_diagonal_T1_iil,comdat
.Lfunc_end11:
	.size	_ZN9rocsolver6v33100L18trti2_kernel_smallILi12E19rocblas_complex_numIdEPS3_EEv13rocblas_fill_17rocblas_diagonal_T1_iil, .Lfunc_end11-_ZN9rocsolver6v33100L18trti2_kernel_smallILi12E19rocblas_complex_numIdEPS3_EEv13rocblas_fill_17rocblas_diagonal_T1_iil
                                        ; -- End function
	.set _ZN9rocsolver6v33100L18trti2_kernel_smallILi12E19rocblas_complex_numIdEPS3_EEv13rocblas_fill_17rocblas_diagonal_T1_iil.num_vgpr, 65
	.set _ZN9rocsolver6v33100L18trti2_kernel_smallILi12E19rocblas_complex_numIdEPS3_EEv13rocblas_fill_17rocblas_diagonal_T1_iil.num_agpr, 0
	.set _ZN9rocsolver6v33100L18trti2_kernel_smallILi12E19rocblas_complex_numIdEPS3_EEv13rocblas_fill_17rocblas_diagonal_T1_iil.numbered_sgpr, 22
	.set _ZN9rocsolver6v33100L18trti2_kernel_smallILi12E19rocblas_complex_numIdEPS3_EEv13rocblas_fill_17rocblas_diagonal_T1_iil.num_named_barrier, 0
	.set _ZN9rocsolver6v33100L18trti2_kernel_smallILi12E19rocblas_complex_numIdEPS3_EEv13rocblas_fill_17rocblas_diagonal_T1_iil.private_seg_size, 208
	.set _ZN9rocsolver6v33100L18trti2_kernel_smallILi12E19rocblas_complex_numIdEPS3_EEv13rocblas_fill_17rocblas_diagonal_T1_iil.uses_vcc, 1
	.set _ZN9rocsolver6v33100L18trti2_kernel_smallILi12E19rocblas_complex_numIdEPS3_EEv13rocblas_fill_17rocblas_diagonal_T1_iil.uses_flat_scratch, 0
	.set _ZN9rocsolver6v33100L18trti2_kernel_smallILi12E19rocblas_complex_numIdEPS3_EEv13rocblas_fill_17rocblas_diagonal_T1_iil.has_dyn_sized_stack, 0
	.set _ZN9rocsolver6v33100L18trti2_kernel_smallILi12E19rocblas_complex_numIdEPS3_EEv13rocblas_fill_17rocblas_diagonal_T1_iil.has_recursion, 0
	.set _ZN9rocsolver6v33100L18trti2_kernel_smallILi12E19rocblas_complex_numIdEPS3_EEv13rocblas_fill_17rocblas_diagonal_T1_iil.has_indirect_call, 0
	.section	.AMDGPU.csdata,"",@progbits
; Kernel info:
; codeLenInByte = 11720
; TotalNumSgprs: 24
; NumVgprs: 65
; ScratchSize: 208
; MemoryBound: 0
; FloatMode: 240
; IeeeMode: 1
; LDSByteSize: 384 bytes/workgroup (compile time only)
; SGPRBlocks: 0
; VGPRBlocks: 8
; NumSGPRsForWavesPerEU: 24
; NumVGPRsForWavesPerEU: 65
; Occupancy: 12
; WaveLimiterHint : 0
; COMPUTE_PGM_RSRC2:SCRATCH_EN: 1
; COMPUTE_PGM_RSRC2:USER_SGPR: 6
; COMPUTE_PGM_RSRC2:TRAP_HANDLER: 0
; COMPUTE_PGM_RSRC2:TGID_X_EN: 1
; COMPUTE_PGM_RSRC2:TGID_Y_EN: 0
; COMPUTE_PGM_RSRC2:TGID_Z_EN: 0
; COMPUTE_PGM_RSRC2:TIDIG_COMP_CNT: 0
	.section	.text._ZN9rocsolver6v33100L18trti2_kernel_smallILi13E19rocblas_complex_numIdEPS3_EEv13rocblas_fill_17rocblas_diagonal_T1_iil,"axG",@progbits,_ZN9rocsolver6v33100L18trti2_kernel_smallILi13E19rocblas_complex_numIdEPS3_EEv13rocblas_fill_17rocblas_diagonal_T1_iil,comdat
	.globl	_ZN9rocsolver6v33100L18trti2_kernel_smallILi13E19rocblas_complex_numIdEPS3_EEv13rocblas_fill_17rocblas_diagonal_T1_iil ; -- Begin function _ZN9rocsolver6v33100L18trti2_kernel_smallILi13E19rocblas_complex_numIdEPS3_EEv13rocblas_fill_17rocblas_diagonal_T1_iil
	.p2align	8
	.type	_ZN9rocsolver6v33100L18trti2_kernel_smallILi13E19rocblas_complex_numIdEPS3_EEv13rocblas_fill_17rocblas_diagonal_T1_iil,@function
_ZN9rocsolver6v33100L18trti2_kernel_smallILi13E19rocblas_complex_numIdEPS3_EEv13rocblas_fill_17rocblas_diagonal_T1_iil: ; @_ZN9rocsolver6v33100L18trti2_kernel_smallILi13E19rocblas_complex_numIdEPS3_EEv13rocblas_fill_17rocblas_diagonal_T1_iil
; %bb.0:
	s_add_u32 s0, s0, s7
	s_addc_u32 s1, s1, 0
	s_mov_b32 s7, exec_lo
	v_cmpx_gt_u32_e32 13, v0
	s_cbranch_execz .LBB12_195
; %bb.1:
	s_load_dwordx8 s[8:15], s[4:5], 0x0
	s_ashr_i32 s7, s6, 31
	v_lshlrev_b32_e32 v37, 4, v0
	s_movk_i32 s20, 0xa0
	s_movk_i32 s21, 0xb0
	;; [unrolled: 1-line block ×3, first 2 shown]
	s_waitcnt lgkmcnt(0)
	s_ashr_i32 s5, s12, 31
	s_mov_b32 s4, s12
	s_mul_hi_u32 s12, s14, s6
	s_mul_i32 s7, s14, s7
	s_mul_i32 s15, s15, s6
	s_add_i32 s7, s12, s7
	v_add3_u32 v1, s13, s13, v0
	s_mul_i32 s6, s14, s6
	s_add_i32 s7, s7, s15
	s_mov_b32 s14, s13
	s_lshl_b64 s[6:7], s[6:7], 4
	v_ashrrev_i32_e32 v2, 31, v1
	s_add_u32 s6, s10, s6
	s_addc_u32 s7, s11, s7
	s_lshl_b64 s[4:5], s[4:5], 4
	v_add_nc_u32_e32 v5, s13, v1
	s_add_u32 s4, s6, s4
	s_addc_u32 s5, s7, s5
	v_lshlrev_b64 v[7:8], 4, v[1:2]
	global_load_dwordx4 v[1:4], v37, s[4:5]
	v_add_nc_u32_e32 v15, s13, v5
	v_add_co_u32 v13, s6, s4, v37
	s_ashr_i32 s15, s13, 31
	v_ashrrev_i32_e32 v6, 31, v5
	v_add_co_ci_u32_e64 v14, null, s5, 0, s6
	s_lshl_b64 s[6:7], s[14:15], 4
	v_ashrrev_i32_e32 v16, 31, v15
	v_add_co_u32 v11, vcc_lo, v13, s6
	v_lshlrev_b64 v[5:6], 4, v[5:6]
	v_add_co_ci_u32_e64 v12, null, s7, v14, vcc_lo
	v_add_co_u32 v9, vcc_lo, s4, v7
	v_add_co_ci_u32_e64 v10, null, s5, v8, vcc_lo
	v_lshlrev_b64 v[7:8], 4, v[15:16]
	global_load_dwordx4 v[31:34], v[11:12], off
	v_add_co_u32 v5, vcc_lo, s4, v5
	v_add_co_ci_u32_e64 v6, null, s5, v6, vcc_lo
	v_add_co_u32 v7, vcc_lo, s4, v7
	global_load_dwordx4 v[38:41], v[9:10], off
	v_add_co_ci_u32_e64 v8, null, s5, v8, vcc_lo
	s_clause 0x1
	global_load_dwordx4 v[42:45], v[5:6], off
	global_load_dwordx4 v[46:49], v[7:8], off
	v_add_nc_u32_e32 v15, s13, v15
	s_cmpk_lg_i32 s9, 0x84
	s_movk_i32 s6, 0x70
	s_movk_i32 s7, 0x80
	;; [unrolled: 1-line block ×3, first 2 shown]
	v_add_nc_u32_e32 v17, s13, v15
	v_ashrrev_i32_e32 v16, 31, v15
	s_cselect_b32 s19, -1, 0
	s_cmpk_eq_i32 s9, 0x84
	v_add_nc_u32_e32 v19, s13, v17
	v_ashrrev_i32_e32 v18, 31, v17
	v_lshlrev_b64 v[15:16], 4, v[15:16]
	v_add_nc_u32_e32 v21, s13, v19
	v_ashrrev_i32_e32 v20, 31, v19
	v_lshlrev_b64 v[17:18], 4, v[17:18]
	v_add_co_u32 v15, vcc_lo, s4, v15
	v_ashrrev_i32_e32 v22, 31, v21
	v_lshlrev_b64 v[19:20], 4, v[19:20]
	v_add_nc_u32_e32 v23, s13, v21
	v_add_co_ci_u32_e64 v16, null, s5, v16, vcc_lo
	v_lshlrev_b64 v[21:22], 4, v[21:22]
	v_add_co_u32 v17, vcc_lo, s4, v17
	v_add_co_ci_u32_e64 v18, null, s5, v18, vcc_lo
	v_add_co_u32 v19, vcc_lo, s4, v19
	v_add_co_ci_u32_e64 v20, null, s5, v20, vcc_lo
	v_add_co_u32 v21, vcc_lo, s4, v21
	v_add_nc_u32_e32 v25, s13, v23
	v_add_co_ci_u32_e64 v22, null, s5, v22, vcc_lo
	v_ashrrev_i32_e32 v24, 31, v23
	s_clause 0x1
	global_load_dwordx4 v[50:53], v[15:16], off
	global_load_dwordx4 v[54:57], v[17:18], off
	v_add_nc_u32_e32 v27, s13, v25
	v_ashrrev_i32_e32 v26, 31, v25
	s_waitcnt vmcnt(6)
	buffer_store_dword v4, off, s[0:3], 0 offset:12
	buffer_store_dword v3, off, s[0:3], 0 offset:8
	;; [unrolled: 1-line block ×3, first 2 shown]
	buffer_store_dword v1, off, s[0:3], 0
	s_clause 0x1
	global_load_dwordx4 v[1:4], v[19:20], off
	global_load_dwordx4 v[58:61], v[21:22], off
	v_lshlrev_b64 v[23:24], 4, v[23:24]
	v_add_nc_u32_e32 v29, s13, v27
	v_ashrrev_i32_e32 v28, 31, v27
	v_lshlrev_b64 v[25:26], 4, v[25:26]
	s_waitcnt vmcnt(7)
	buffer_store_dword v34, off, s[0:3], 0 offset:28
	buffer_store_dword v33, off, s[0:3], 0 offset:24
	;; [unrolled: 1-line block ×4, first 2 shown]
	v_add_co_u32 v23, vcc_lo, s4, v23
	v_ashrrev_i32_e32 v30, 31, v29
	v_add_co_ci_u32_e64 v24, null, s5, v24, vcc_lo
	v_lshlrev_b64 v[27:28], 4, v[27:28]
	v_add_co_u32 v25, vcc_lo, s4, v25
	v_add_co_ci_u32_e64 v26, null, s5, v26, vcc_lo
	v_lshlrev_b64 v[35:36], 4, v[29:30]
	global_load_dwordx4 v[31:34], v[23:24], off
	v_add_co_u32 v29, vcc_lo, s4, v27
	v_add_co_ci_u32_e64 v30, null, s5, v28, vcc_lo
	s_waitcnt vmcnt(7)
	buffer_store_dword v41, off, s[0:3], 0 offset:44
	buffer_store_dword v40, off, s[0:3], 0 offset:40
	;; [unrolled: 1-line block ×4, first 2 shown]
	global_load_dwordx4 v[38:41], v[25:26], off
	v_add_co_u32 v27, vcc_lo, s4, v35
	v_add_co_ci_u32_e64 v28, null, s5, v36, vcc_lo
	s_waitcnt vmcnt(7)
	buffer_store_dword v45, off, s[0:3], 0 offset:60
	buffer_store_dword v44, off, s[0:3], 0 offset:56
	;; [unrolled: 1-line block ×4, first 2 shown]
	global_load_dwordx4 v[42:45], v[29:30], off
	s_waitcnt vmcnt(7)
	buffer_store_dword v49, off, s[0:3], 0 offset:76
	buffer_store_dword v48, off, s[0:3], 0 offset:72
	;; [unrolled: 1-line block ×4, first 2 shown]
	global_load_dwordx4 v[46:49], v[27:28], off
	s_movk_i32 s4, 0x50
	s_movk_i32 s5, 0x60
	s_waitcnt vmcnt(7)
	buffer_store_dword v53, off, s[0:3], 0 offset:92
	buffer_store_dword v52, off, s[0:3], 0 offset:88
	buffer_store_dword v51, off, s[0:3], 0 offset:84
	buffer_store_dword v50, off, s[0:3], 0 offset:80
	s_waitcnt vmcnt(6)
	buffer_store_dword v57, off, s[0:3], 0 offset:108
	buffer_store_dword v56, off, s[0:3], 0 offset:104
	buffer_store_dword v55, off, s[0:3], 0 offset:100
	buffer_store_dword v54, off, s[0:3], 0 offset:96
	;; [unrolled: 5-line block ×8, first 2 shown]
	s_cbranch_scc1 .LBB12_7
; %bb.2:
	v_lshl_add_u32 v38, v0, 4, 0
                                        ; implicit-def: $vgpr33_vgpr34
                                        ; implicit-def: $vgpr3_vgpr4
	s_clause 0x3
	buffer_load_dword v31, v38, s[0:3], 0 offen
	buffer_load_dword v32, v38, s[0:3], 0 offen offset:4
	buffer_load_dword v35, v38, s[0:3], 0 offen offset:8
	;; [unrolled: 1-line block ×3, first 2 shown]
	s_waitcnt vmcnt(0)
	v_cmp_ngt_f64_e64 s9, |v[31:32]|, |v[35:36]|
	s_and_saveexec_b32 s11, s9
	s_xor_b32 s9, exec_lo, s11
	s_cbranch_execz .LBB12_4
; %bb.3:
	v_div_scale_f64 v[1:2], null, v[35:36], v[35:36], v[31:32]
	v_div_scale_f64 v[39:40], vcc_lo, v[31:32], v[35:36], v[31:32]
	v_rcp_f64_e32 v[3:4], v[1:2]
	v_fma_f64 v[33:34], -v[1:2], v[3:4], 1.0
	v_fma_f64 v[3:4], v[3:4], v[33:34], v[3:4]
	v_fma_f64 v[33:34], -v[1:2], v[3:4], 1.0
	v_fma_f64 v[3:4], v[3:4], v[33:34], v[3:4]
	v_mul_f64 v[33:34], v[39:40], v[3:4]
	v_fma_f64 v[1:2], -v[1:2], v[33:34], v[39:40]
	v_div_fmas_f64 v[1:2], v[1:2], v[3:4], v[33:34]
	v_div_fixup_f64 v[1:2], v[1:2], v[35:36], v[31:32]
	v_fma_f64 v[3:4], v[31:32], v[1:2], v[35:36]
	v_div_scale_f64 v[31:32], null, v[3:4], v[3:4], 1.0
	v_div_scale_f64 v[39:40], vcc_lo, 1.0, v[3:4], 1.0
	v_rcp_f64_e32 v[33:34], v[31:32]
	v_fma_f64 v[35:36], -v[31:32], v[33:34], 1.0
	v_fma_f64 v[33:34], v[33:34], v[35:36], v[33:34]
	v_fma_f64 v[35:36], -v[31:32], v[33:34], 1.0
	v_fma_f64 v[33:34], v[33:34], v[35:36], v[33:34]
	v_mul_f64 v[35:36], v[39:40], v[33:34]
	v_fma_f64 v[31:32], -v[31:32], v[35:36], v[39:40]
	v_div_fmas_f64 v[31:32], v[31:32], v[33:34], v[35:36]
                                        ; implicit-def: $vgpr35_vgpr36
	v_div_fixup_f64 v[3:4], v[31:32], v[3:4], 1.0
                                        ; implicit-def: $vgpr31_vgpr32
	v_mul_f64 v[33:34], v[1:2], v[3:4]
	v_xor_b32_e32 v4, 0x80000000, v4
	v_xor_b32_e32 v2, 0x80000000, v34
	v_mov_b32_e32 v1, v33
.LBB12_4:
	s_andn2_saveexec_b32 s9, s9
	s_cbranch_execz .LBB12_6
; %bb.5:
	v_div_scale_f64 v[1:2], null, v[31:32], v[31:32], v[35:36]
	v_div_scale_f64 v[39:40], vcc_lo, v[35:36], v[31:32], v[35:36]
	v_rcp_f64_e32 v[3:4], v[1:2]
	v_fma_f64 v[33:34], -v[1:2], v[3:4], 1.0
	v_fma_f64 v[3:4], v[3:4], v[33:34], v[3:4]
	v_fma_f64 v[33:34], -v[1:2], v[3:4], 1.0
	v_fma_f64 v[3:4], v[3:4], v[33:34], v[3:4]
	v_mul_f64 v[33:34], v[39:40], v[3:4]
	v_fma_f64 v[1:2], -v[1:2], v[33:34], v[39:40]
	v_div_fmas_f64 v[1:2], v[1:2], v[3:4], v[33:34]
	v_div_fixup_f64 v[1:2], v[1:2], v[31:32], v[35:36]
	v_fma_f64 v[3:4], v[35:36], v[1:2], v[31:32]
	v_div_scale_f64 v[31:32], null, v[3:4], v[3:4], 1.0
	v_rcp_f64_e32 v[33:34], v[31:32]
	v_fma_f64 v[35:36], -v[31:32], v[33:34], 1.0
	v_fma_f64 v[33:34], v[33:34], v[35:36], v[33:34]
	v_fma_f64 v[35:36], -v[31:32], v[33:34], 1.0
	v_fma_f64 v[33:34], v[33:34], v[35:36], v[33:34]
	v_div_scale_f64 v[35:36], vcc_lo, 1.0, v[3:4], 1.0
	v_mul_f64 v[39:40], v[35:36], v[33:34]
	v_fma_f64 v[31:32], -v[31:32], v[39:40], v[35:36]
	v_div_fmas_f64 v[31:32], v[31:32], v[33:34], v[39:40]
	v_div_fixup_f64 v[33:34], v[31:32], v[3:4], 1.0
	v_mul_f64 v[3:4], v[1:2], -v[33:34]
	v_xor_b32_e32 v2, 0x80000000, v34
	v_mov_b32_e32 v1, v33
.LBB12_6:
	s_or_b32 exec_lo, exec_lo, s9
	buffer_store_dword v4, v38, s[0:3], 0 offen offset:12
	v_xor_b32_e32 v4, 0x80000000, v4
	buffer_store_dword v34, v38, s[0:3], 0 offen offset:4
	buffer_store_dword v33, v38, s[0:3], 0 offen
	buffer_store_dword v3, v38, s[0:3], 0 offen offset:8
	s_branch .LBB12_8
.LBB12_7:
	v_mov_b32_e32 v1, 0
	v_mov_b32_e32 v3, 0
	;; [unrolled: 1-line block ×4, first 2 shown]
.LBB12_8:
	v_add_nc_u32_e32 v32, 0xd0, v37
	v_mov_b32_e32 v31, v37
	s_mov_b32 s18, 16
	s_mov_b32 s17, 32
	;; [unrolled: 1-line block ×11, first 2 shown]
	s_cmpk_eq_i32 s8, 0x79
	ds_write_b128 v37, v[1:4]
	s_cbranch_scc1 .LBB12_100
; %bb.9:
	v_mov_b32_e32 v4, s7
	v_cmp_eq_u32_e64 s4, 12, v0
	s_clause 0x3
	buffer_load_dword v1, v4, s[0:3], 0 offen
	buffer_load_dword v2, v4, s[0:3], 0 offen offset:4
	buffer_load_dword v3, v4, s[0:3], 0 offen offset:8
	;; [unrolled: 1-line block ×3, first 2 shown]
	s_waitcnt vmcnt(0)
	ds_write_b128 v32, v[1:4]
	s_waitcnt lgkmcnt(0)
	s_waitcnt_vscnt null, 0x0
	s_barrier
	buffer_gl0_inv
	s_and_saveexec_b32 s5, s4
	s_cbranch_execz .LBB12_13
; %bb.10:
	ds_read_b128 v[1:4], v32
	s_andn2_b32 vcc_lo, exec_lo, s19
	s_cbranch_vccnz .LBB12_12
; %bb.11:
	s_clause 0x3
	buffer_load_dword v33, v31, s[0:3], 0 offen offset:8
	buffer_load_dword v34, v31, s[0:3], 0 offen offset:12
	buffer_load_dword v35, v31, s[0:3], 0 offen
	buffer_load_dword v36, v31, s[0:3], 0 offen offset:4
	s_waitcnt vmcnt(2) lgkmcnt(0)
	v_mul_f64 v[38:39], v[3:4], v[33:34]
	v_mul_f64 v[33:34], v[1:2], v[33:34]
	s_waitcnt vmcnt(0)
	v_fma_f64 v[1:2], v[1:2], v[35:36], -v[38:39]
	v_fma_f64 v[3:4], v[3:4], v[35:36], v[33:34]
.LBB12_12:
	v_mov_b32_e32 v33, 0
	ds_read_b128 v[33:36], v33 offset:176
	s_waitcnt lgkmcnt(0)
	v_mul_f64 v[38:39], v[3:4], v[35:36]
	v_mul_f64 v[35:36], v[1:2], v[35:36]
	v_fma_f64 v[1:2], v[1:2], v[33:34], -v[38:39]
	v_fma_f64 v[3:4], v[3:4], v[33:34], v[35:36]
	buffer_store_dword v2, off, s[0:3], 0 offset:180
	buffer_store_dword v1, off, s[0:3], 0 offset:176
	;; [unrolled: 1-line block ×4, first 2 shown]
.LBB12_13:
	s_or_b32 exec_lo, exec_lo, s5
	v_mov_b32_e32 v4, s9
	v_cmp_lt_u32_e64 s5, 10, v0
	s_clause 0x3
	buffer_load_dword v1, v4, s[0:3], 0 offen
	buffer_load_dword v2, v4, s[0:3], 0 offen offset:4
	buffer_load_dword v3, v4, s[0:3], 0 offen offset:8
	;; [unrolled: 1-line block ×3, first 2 shown]
	s_waitcnt vmcnt(0)
	ds_write_b128 v32, v[1:4]
	s_waitcnt lgkmcnt(0)
	s_waitcnt_vscnt null, 0x0
	s_barrier
	buffer_gl0_inv
	s_and_saveexec_b32 s8, s5
	s_cbranch_execz .LBB12_19
; %bb.14:
	ds_read_b128 v[1:4], v32
	s_andn2_b32 vcc_lo, exec_lo, s19
	s_cbranch_vccnz .LBB12_16
; %bb.15:
	s_clause 0x3
	buffer_load_dword v33, v31, s[0:3], 0 offen offset:8
	buffer_load_dword v34, v31, s[0:3], 0 offen offset:12
	buffer_load_dword v35, v31, s[0:3], 0 offen
	buffer_load_dword v36, v31, s[0:3], 0 offen offset:4
	s_waitcnt vmcnt(2) lgkmcnt(0)
	v_mul_f64 v[38:39], v[3:4], v[33:34]
	v_mul_f64 v[33:34], v[1:2], v[33:34]
	s_waitcnt vmcnt(0)
	v_fma_f64 v[1:2], v[1:2], v[35:36], -v[38:39]
	v_fma_f64 v[3:4], v[3:4], v[35:36], v[33:34]
.LBB12_16:
	s_and_saveexec_b32 s20, s4
	s_cbranch_execz .LBB12_18
; %bb.17:
	s_clause 0x3
	buffer_load_dword v38, off, s[0:3], 0 offset:184
	buffer_load_dword v39, off, s[0:3], 0 offset:188
	;; [unrolled: 1-line block ×4, first 2 shown]
	v_mov_b32_e32 v33, 0
	ds_read_b128 v[33:36], v33 offset:384
	s_waitcnt vmcnt(2) lgkmcnt(0)
	v_mul_f64 v[42:43], v[33:34], v[38:39]
	v_mul_f64 v[38:39], v[35:36], v[38:39]
	s_waitcnt vmcnt(0)
	v_fma_f64 v[35:36], v[35:36], v[40:41], v[42:43]
	v_fma_f64 v[33:34], v[33:34], v[40:41], -v[38:39]
	v_add_f64 v[3:4], v[3:4], v[35:36]
	v_add_f64 v[1:2], v[1:2], v[33:34]
.LBB12_18:
	s_or_b32 exec_lo, exec_lo, s20
	v_mov_b32_e32 v33, 0
	ds_read_b128 v[33:36], v33 offset:160
	s_waitcnt lgkmcnt(0)
	v_mul_f64 v[38:39], v[3:4], v[35:36]
	v_mul_f64 v[35:36], v[1:2], v[35:36]
	v_fma_f64 v[1:2], v[1:2], v[33:34], -v[38:39]
	v_fma_f64 v[3:4], v[3:4], v[33:34], v[35:36]
	buffer_store_dword v2, off, s[0:3], 0 offset:164
	buffer_store_dword v1, off, s[0:3], 0 offset:160
	buffer_store_dword v4, off, s[0:3], 0 offset:172
	buffer_store_dword v3, off, s[0:3], 0 offset:168
.LBB12_19:
	s_or_b32 exec_lo, exec_lo, s8
	v_mov_b32_e32 v4, s10
	v_cmp_lt_u32_e64 s4, 9, v0
	s_clause 0x3
	buffer_load_dword v1, v4, s[0:3], 0 offen
	buffer_load_dword v2, v4, s[0:3], 0 offen offset:4
	buffer_load_dword v3, v4, s[0:3], 0 offen offset:8
	;; [unrolled: 1-line block ×3, first 2 shown]
	s_waitcnt vmcnt(0)
	ds_write_b128 v32, v[1:4]
	s_waitcnt lgkmcnt(0)
	s_waitcnt_vscnt null, 0x0
	s_barrier
	buffer_gl0_inv
	s_and_saveexec_b32 s8, s4
	s_cbranch_execz .LBB12_27
; %bb.20:
	ds_read_b128 v[1:4], v32
	s_andn2_b32 vcc_lo, exec_lo, s19
	s_cbranch_vccnz .LBB12_22
; %bb.21:
	s_clause 0x3
	buffer_load_dword v33, v31, s[0:3], 0 offen offset:8
	buffer_load_dword v34, v31, s[0:3], 0 offen offset:12
	buffer_load_dword v35, v31, s[0:3], 0 offen
	buffer_load_dword v36, v31, s[0:3], 0 offen offset:4
	s_waitcnt vmcnt(2) lgkmcnt(0)
	v_mul_f64 v[38:39], v[3:4], v[33:34]
	v_mul_f64 v[33:34], v[1:2], v[33:34]
	s_waitcnt vmcnt(0)
	v_fma_f64 v[1:2], v[1:2], v[35:36], -v[38:39]
	v_fma_f64 v[3:4], v[3:4], v[35:36], v[33:34]
.LBB12_22:
	s_and_saveexec_b32 s20, s5
	s_cbranch_execz .LBB12_26
; %bb.23:
	v_add_nc_u32_e32 v33, -10, v0
	s_movk_i32 s21, 0x170
	s_mov_b32 s5, 0
	s_mov_b32 s22, s9
	.p2align	6
.LBB12_24:                              ; =>This Inner Loop Header: Depth=1
	v_mov_b32_e32 v36, s22
	v_add_nc_u32_e32 v33, -1, v33
	s_add_i32 s22, s22, 16
	s_clause 0x3
	buffer_load_dword v34, v36, s[0:3], 0 offen offset:8
	buffer_load_dword v35, v36, s[0:3], 0 offen offset:12
	buffer_load_dword v42, v36, s[0:3], 0 offen
	buffer_load_dword v43, v36, s[0:3], 0 offen offset:4
	v_mov_b32_e32 v36, s21
	v_cmp_eq_u32_e32 vcc_lo, 0, v33
	s_add_i32 s21, s21, 16
	ds_read_b128 v[38:41], v36
	s_or_b32 s5, vcc_lo, s5
	s_waitcnt vmcnt(2) lgkmcnt(0)
	v_mul_f64 v[44:45], v[40:41], v[34:35]
	v_mul_f64 v[34:35], v[38:39], v[34:35]
	s_waitcnt vmcnt(0)
	v_fma_f64 v[38:39], v[38:39], v[42:43], -v[44:45]
	v_fma_f64 v[34:35], v[40:41], v[42:43], v[34:35]
	v_add_f64 v[1:2], v[1:2], v[38:39]
	v_add_f64 v[3:4], v[3:4], v[34:35]
	s_andn2_b32 exec_lo, exec_lo, s5
	s_cbranch_execnz .LBB12_24
; %bb.25:
	s_or_b32 exec_lo, exec_lo, s5
.LBB12_26:
	s_or_b32 exec_lo, exec_lo, s20
	v_mov_b32_e32 v33, 0
	ds_read_b128 v[33:36], v33 offset:144
	s_waitcnt lgkmcnt(0)
	v_mul_f64 v[38:39], v[3:4], v[35:36]
	v_mul_f64 v[35:36], v[1:2], v[35:36]
	v_fma_f64 v[1:2], v[1:2], v[33:34], -v[38:39]
	v_fma_f64 v[3:4], v[3:4], v[33:34], v[35:36]
	buffer_store_dword v2, off, s[0:3], 0 offset:148
	buffer_store_dword v1, off, s[0:3], 0 offset:144
	;; [unrolled: 1-line block ×4, first 2 shown]
.LBB12_27:
	s_or_b32 exec_lo, exec_lo, s8
	v_mov_b32_e32 v4, s11
	v_cmp_lt_u32_e64 s5, 8, v0
	s_clause 0x3
	buffer_load_dword v1, v4, s[0:3], 0 offen
	buffer_load_dword v2, v4, s[0:3], 0 offen offset:4
	buffer_load_dword v3, v4, s[0:3], 0 offen offset:8
	;; [unrolled: 1-line block ×3, first 2 shown]
	s_waitcnt vmcnt(0)
	ds_write_b128 v32, v[1:4]
	s_waitcnt lgkmcnt(0)
	s_waitcnt_vscnt null, 0x0
	s_barrier
	buffer_gl0_inv
	s_and_saveexec_b32 s8, s5
	s_cbranch_execz .LBB12_35
; %bb.28:
	ds_read_b128 v[1:4], v32
	s_andn2_b32 vcc_lo, exec_lo, s19
	s_cbranch_vccnz .LBB12_30
; %bb.29:
	s_clause 0x3
	buffer_load_dword v33, v31, s[0:3], 0 offen offset:8
	buffer_load_dword v34, v31, s[0:3], 0 offen offset:12
	buffer_load_dword v35, v31, s[0:3], 0 offen
	buffer_load_dword v36, v31, s[0:3], 0 offen offset:4
	s_waitcnt vmcnt(2) lgkmcnt(0)
	v_mul_f64 v[38:39], v[3:4], v[33:34]
	v_mul_f64 v[33:34], v[1:2], v[33:34]
	s_waitcnt vmcnt(0)
	v_fma_f64 v[1:2], v[1:2], v[35:36], -v[38:39]
	v_fma_f64 v[3:4], v[3:4], v[35:36], v[33:34]
.LBB12_30:
	s_and_saveexec_b32 s20, s4
	s_cbranch_execz .LBB12_34
; %bb.31:
	v_add_nc_u32_e32 v33, -9, v0
	s_movk_i32 s21, 0x160
	s_mov_b32 s4, 0
	s_mov_b32 s22, s10
	.p2align	6
.LBB12_32:                              ; =>This Inner Loop Header: Depth=1
	v_mov_b32_e32 v36, s22
	v_add_nc_u32_e32 v33, -1, v33
	s_add_i32 s22, s22, 16
	s_clause 0x3
	buffer_load_dword v34, v36, s[0:3], 0 offen offset:8
	buffer_load_dword v35, v36, s[0:3], 0 offen offset:12
	buffer_load_dword v42, v36, s[0:3], 0 offen
	buffer_load_dword v43, v36, s[0:3], 0 offen offset:4
	v_mov_b32_e32 v36, s21
	v_cmp_eq_u32_e32 vcc_lo, 0, v33
	s_add_i32 s21, s21, 16
	ds_read_b128 v[38:41], v36
	s_or_b32 s4, vcc_lo, s4
	s_waitcnt vmcnt(2) lgkmcnt(0)
	v_mul_f64 v[44:45], v[40:41], v[34:35]
	v_mul_f64 v[34:35], v[38:39], v[34:35]
	s_waitcnt vmcnt(0)
	v_fma_f64 v[38:39], v[38:39], v[42:43], -v[44:45]
	v_fma_f64 v[34:35], v[40:41], v[42:43], v[34:35]
	v_add_f64 v[1:2], v[1:2], v[38:39]
	v_add_f64 v[3:4], v[3:4], v[34:35]
	s_andn2_b32 exec_lo, exec_lo, s4
	s_cbranch_execnz .LBB12_32
; %bb.33:
	s_or_b32 exec_lo, exec_lo, s4
.LBB12_34:
	s_or_b32 exec_lo, exec_lo, s20
	v_mov_b32_e32 v33, 0
	ds_read_b128 v[33:36], v33 offset:128
	s_waitcnt lgkmcnt(0)
	v_mul_f64 v[38:39], v[3:4], v[35:36]
	v_mul_f64 v[35:36], v[1:2], v[35:36]
	v_fma_f64 v[1:2], v[1:2], v[33:34], -v[38:39]
	v_fma_f64 v[3:4], v[3:4], v[33:34], v[35:36]
	buffer_store_dword v2, off, s[0:3], 0 offset:132
	buffer_store_dword v1, off, s[0:3], 0 offset:128
	;; [unrolled: 1-line block ×4, first 2 shown]
.LBB12_35:
	s_or_b32 exec_lo, exec_lo, s8
	v_mov_b32_e32 v4, s12
	v_cmp_lt_u32_e64 s4, 7, v0
	s_clause 0x3
	buffer_load_dword v1, v4, s[0:3], 0 offen
	buffer_load_dword v2, v4, s[0:3], 0 offen offset:4
	buffer_load_dword v3, v4, s[0:3], 0 offen offset:8
	;; [unrolled: 1-line block ×3, first 2 shown]
	s_waitcnt vmcnt(0)
	ds_write_b128 v32, v[1:4]
	s_waitcnt lgkmcnt(0)
	s_waitcnt_vscnt null, 0x0
	s_barrier
	buffer_gl0_inv
	s_and_saveexec_b32 s8, s4
	s_cbranch_execz .LBB12_43
; %bb.36:
	ds_read_b128 v[1:4], v32
	s_andn2_b32 vcc_lo, exec_lo, s19
	s_cbranch_vccnz .LBB12_38
; %bb.37:
	s_clause 0x3
	buffer_load_dword v33, v31, s[0:3], 0 offen offset:8
	buffer_load_dword v34, v31, s[0:3], 0 offen offset:12
	buffer_load_dword v35, v31, s[0:3], 0 offen
	buffer_load_dword v36, v31, s[0:3], 0 offen offset:4
	s_waitcnt vmcnt(2) lgkmcnt(0)
	v_mul_f64 v[38:39], v[3:4], v[33:34]
	v_mul_f64 v[33:34], v[1:2], v[33:34]
	s_waitcnt vmcnt(0)
	v_fma_f64 v[1:2], v[1:2], v[35:36], -v[38:39]
	v_fma_f64 v[3:4], v[3:4], v[35:36], v[33:34]
.LBB12_38:
	s_and_saveexec_b32 s20, s5
	s_cbranch_execz .LBB12_42
; %bb.39:
	v_add_nc_u32_e32 v33, -8, v0
	s_movk_i32 s21, 0x150
	s_mov_b32 s5, 0
	s_mov_b32 s22, s11
	.p2align	6
.LBB12_40:                              ; =>This Inner Loop Header: Depth=1
	v_mov_b32_e32 v36, s22
	v_add_nc_u32_e32 v33, -1, v33
	s_add_i32 s22, s22, 16
	s_clause 0x3
	buffer_load_dword v34, v36, s[0:3], 0 offen offset:8
	buffer_load_dword v35, v36, s[0:3], 0 offen offset:12
	buffer_load_dword v42, v36, s[0:3], 0 offen
	buffer_load_dword v43, v36, s[0:3], 0 offen offset:4
	v_mov_b32_e32 v36, s21
	v_cmp_eq_u32_e32 vcc_lo, 0, v33
	s_add_i32 s21, s21, 16
	ds_read_b128 v[38:41], v36
	s_or_b32 s5, vcc_lo, s5
	s_waitcnt vmcnt(2) lgkmcnt(0)
	v_mul_f64 v[44:45], v[40:41], v[34:35]
	v_mul_f64 v[34:35], v[38:39], v[34:35]
	s_waitcnt vmcnt(0)
	v_fma_f64 v[38:39], v[38:39], v[42:43], -v[44:45]
	v_fma_f64 v[34:35], v[40:41], v[42:43], v[34:35]
	v_add_f64 v[1:2], v[1:2], v[38:39]
	v_add_f64 v[3:4], v[3:4], v[34:35]
	s_andn2_b32 exec_lo, exec_lo, s5
	s_cbranch_execnz .LBB12_40
; %bb.41:
	s_or_b32 exec_lo, exec_lo, s5
.LBB12_42:
	s_or_b32 exec_lo, exec_lo, s20
	v_mov_b32_e32 v33, 0
	ds_read_b128 v[33:36], v33 offset:112
	s_waitcnt lgkmcnt(0)
	v_mul_f64 v[38:39], v[3:4], v[35:36]
	v_mul_f64 v[35:36], v[1:2], v[35:36]
	v_fma_f64 v[1:2], v[1:2], v[33:34], -v[38:39]
	v_fma_f64 v[3:4], v[3:4], v[33:34], v[35:36]
	buffer_store_dword v2, off, s[0:3], 0 offset:116
	buffer_store_dword v1, off, s[0:3], 0 offset:112
	buffer_store_dword v4, off, s[0:3], 0 offset:124
	buffer_store_dword v3, off, s[0:3], 0 offset:120
.LBB12_43:
	s_or_b32 exec_lo, exec_lo, s8
	v_mov_b32_e32 v4, s13
	v_cmp_lt_u32_e64 s5, 6, v0
	s_clause 0x3
	buffer_load_dword v1, v4, s[0:3], 0 offen
	buffer_load_dword v2, v4, s[0:3], 0 offen offset:4
	buffer_load_dword v3, v4, s[0:3], 0 offen offset:8
	;; [unrolled: 1-line block ×3, first 2 shown]
	s_waitcnt vmcnt(0)
	ds_write_b128 v32, v[1:4]
	s_waitcnt lgkmcnt(0)
	s_waitcnt_vscnt null, 0x0
	s_barrier
	buffer_gl0_inv
	s_and_saveexec_b32 s8, s5
	s_cbranch_execz .LBB12_51
; %bb.44:
	ds_read_b128 v[1:4], v32
	s_andn2_b32 vcc_lo, exec_lo, s19
	s_cbranch_vccnz .LBB12_46
; %bb.45:
	s_clause 0x3
	buffer_load_dword v33, v31, s[0:3], 0 offen offset:8
	buffer_load_dword v34, v31, s[0:3], 0 offen offset:12
	buffer_load_dword v35, v31, s[0:3], 0 offen
	buffer_load_dword v36, v31, s[0:3], 0 offen offset:4
	s_waitcnt vmcnt(2) lgkmcnt(0)
	v_mul_f64 v[38:39], v[3:4], v[33:34]
	v_mul_f64 v[33:34], v[1:2], v[33:34]
	s_waitcnt vmcnt(0)
	v_fma_f64 v[1:2], v[1:2], v[35:36], -v[38:39]
	v_fma_f64 v[3:4], v[3:4], v[35:36], v[33:34]
.LBB12_46:
	s_and_saveexec_b32 s20, s4
	s_cbranch_execz .LBB12_50
; %bb.47:
	v_add_nc_u32_e32 v33, -7, v0
	s_movk_i32 s21, 0x140
	s_mov_b32 s4, 0
	s_mov_b32 s22, s12
	.p2align	6
.LBB12_48:                              ; =>This Inner Loop Header: Depth=1
	v_mov_b32_e32 v36, s22
	v_add_nc_u32_e32 v33, -1, v33
	s_add_i32 s22, s22, 16
	s_clause 0x3
	buffer_load_dword v34, v36, s[0:3], 0 offen offset:8
	buffer_load_dword v35, v36, s[0:3], 0 offen offset:12
	buffer_load_dword v42, v36, s[0:3], 0 offen
	buffer_load_dword v43, v36, s[0:3], 0 offen offset:4
	v_mov_b32_e32 v36, s21
	v_cmp_eq_u32_e32 vcc_lo, 0, v33
	s_add_i32 s21, s21, 16
	ds_read_b128 v[38:41], v36
	s_or_b32 s4, vcc_lo, s4
	s_waitcnt vmcnt(2) lgkmcnt(0)
	v_mul_f64 v[44:45], v[40:41], v[34:35]
	v_mul_f64 v[34:35], v[38:39], v[34:35]
	s_waitcnt vmcnt(0)
	v_fma_f64 v[38:39], v[38:39], v[42:43], -v[44:45]
	v_fma_f64 v[34:35], v[40:41], v[42:43], v[34:35]
	v_add_f64 v[1:2], v[1:2], v[38:39]
	v_add_f64 v[3:4], v[3:4], v[34:35]
	s_andn2_b32 exec_lo, exec_lo, s4
	s_cbranch_execnz .LBB12_48
; %bb.49:
	s_or_b32 exec_lo, exec_lo, s4
.LBB12_50:
	s_or_b32 exec_lo, exec_lo, s20
	v_mov_b32_e32 v33, 0
	ds_read_b128 v[33:36], v33 offset:96
	s_waitcnt lgkmcnt(0)
	v_mul_f64 v[38:39], v[3:4], v[35:36]
	v_mul_f64 v[35:36], v[1:2], v[35:36]
	v_fma_f64 v[1:2], v[1:2], v[33:34], -v[38:39]
	v_fma_f64 v[3:4], v[3:4], v[33:34], v[35:36]
	buffer_store_dword v2, off, s[0:3], 0 offset:100
	buffer_store_dword v1, off, s[0:3], 0 offset:96
	;; [unrolled: 1-line block ×4, first 2 shown]
.LBB12_51:
	s_or_b32 exec_lo, exec_lo, s8
	v_mov_b32_e32 v4, s14
	v_cmp_lt_u32_e64 s4, 5, v0
	s_clause 0x3
	buffer_load_dword v1, v4, s[0:3], 0 offen
	buffer_load_dword v2, v4, s[0:3], 0 offen offset:4
	buffer_load_dword v3, v4, s[0:3], 0 offen offset:8
	;; [unrolled: 1-line block ×3, first 2 shown]
	s_waitcnt vmcnt(0)
	ds_write_b128 v32, v[1:4]
	s_waitcnt lgkmcnt(0)
	s_waitcnt_vscnt null, 0x0
	s_barrier
	buffer_gl0_inv
	s_and_saveexec_b32 s8, s4
	s_cbranch_execz .LBB12_59
; %bb.52:
	ds_read_b128 v[1:4], v32
	s_andn2_b32 vcc_lo, exec_lo, s19
	s_cbranch_vccnz .LBB12_54
; %bb.53:
	s_clause 0x3
	buffer_load_dword v33, v31, s[0:3], 0 offen offset:8
	buffer_load_dword v34, v31, s[0:3], 0 offen offset:12
	buffer_load_dword v35, v31, s[0:3], 0 offen
	buffer_load_dword v36, v31, s[0:3], 0 offen offset:4
	s_waitcnt vmcnt(2) lgkmcnt(0)
	v_mul_f64 v[38:39], v[3:4], v[33:34]
	v_mul_f64 v[33:34], v[1:2], v[33:34]
	s_waitcnt vmcnt(0)
	v_fma_f64 v[1:2], v[1:2], v[35:36], -v[38:39]
	v_fma_f64 v[3:4], v[3:4], v[35:36], v[33:34]
.LBB12_54:
	s_and_saveexec_b32 s20, s5
	s_cbranch_execz .LBB12_58
; %bb.55:
	v_add_nc_u32_e32 v33, -6, v0
	s_movk_i32 s21, 0x130
	s_mov_b32 s5, 0
	s_mov_b32 s22, s13
	.p2align	6
.LBB12_56:                              ; =>This Inner Loop Header: Depth=1
	v_mov_b32_e32 v36, s22
	v_add_nc_u32_e32 v33, -1, v33
	s_add_i32 s22, s22, 16
	s_clause 0x3
	buffer_load_dword v34, v36, s[0:3], 0 offen offset:8
	buffer_load_dword v35, v36, s[0:3], 0 offen offset:12
	buffer_load_dword v42, v36, s[0:3], 0 offen
	buffer_load_dword v43, v36, s[0:3], 0 offen offset:4
	v_mov_b32_e32 v36, s21
	v_cmp_eq_u32_e32 vcc_lo, 0, v33
	s_add_i32 s21, s21, 16
	ds_read_b128 v[38:41], v36
	s_or_b32 s5, vcc_lo, s5
	s_waitcnt vmcnt(2) lgkmcnt(0)
	v_mul_f64 v[44:45], v[40:41], v[34:35]
	v_mul_f64 v[34:35], v[38:39], v[34:35]
	s_waitcnt vmcnt(0)
	v_fma_f64 v[38:39], v[38:39], v[42:43], -v[44:45]
	v_fma_f64 v[34:35], v[40:41], v[42:43], v[34:35]
	v_add_f64 v[1:2], v[1:2], v[38:39]
	v_add_f64 v[3:4], v[3:4], v[34:35]
	s_andn2_b32 exec_lo, exec_lo, s5
	s_cbranch_execnz .LBB12_56
; %bb.57:
	s_or_b32 exec_lo, exec_lo, s5
.LBB12_58:
	s_or_b32 exec_lo, exec_lo, s20
	v_mov_b32_e32 v33, 0
	ds_read_b128 v[33:36], v33 offset:80
	s_waitcnt lgkmcnt(0)
	v_mul_f64 v[38:39], v[3:4], v[35:36]
	v_mul_f64 v[35:36], v[1:2], v[35:36]
	v_fma_f64 v[1:2], v[1:2], v[33:34], -v[38:39]
	v_fma_f64 v[3:4], v[3:4], v[33:34], v[35:36]
	buffer_store_dword v2, off, s[0:3], 0 offset:84
	buffer_store_dword v1, off, s[0:3], 0 offset:80
	;; [unrolled: 1-line block ×4, first 2 shown]
.LBB12_59:
	s_or_b32 exec_lo, exec_lo, s8
	v_mov_b32_e32 v4, s15
	v_cmp_lt_u32_e64 s5, 4, v0
	s_clause 0x3
	buffer_load_dword v1, v4, s[0:3], 0 offen
	buffer_load_dword v2, v4, s[0:3], 0 offen offset:4
	buffer_load_dword v3, v4, s[0:3], 0 offen offset:8
	;; [unrolled: 1-line block ×3, first 2 shown]
	s_waitcnt vmcnt(0)
	ds_write_b128 v32, v[1:4]
	s_waitcnt lgkmcnt(0)
	s_waitcnt_vscnt null, 0x0
	s_barrier
	buffer_gl0_inv
	s_and_saveexec_b32 s8, s5
	s_cbranch_execz .LBB12_67
; %bb.60:
	ds_read_b128 v[1:4], v32
	s_andn2_b32 vcc_lo, exec_lo, s19
	s_cbranch_vccnz .LBB12_62
; %bb.61:
	s_clause 0x3
	buffer_load_dword v33, v31, s[0:3], 0 offen offset:8
	buffer_load_dword v34, v31, s[0:3], 0 offen offset:12
	buffer_load_dword v35, v31, s[0:3], 0 offen
	buffer_load_dword v36, v31, s[0:3], 0 offen offset:4
	s_waitcnt vmcnt(2) lgkmcnt(0)
	v_mul_f64 v[38:39], v[3:4], v[33:34]
	v_mul_f64 v[33:34], v[1:2], v[33:34]
	s_waitcnt vmcnt(0)
	v_fma_f64 v[1:2], v[1:2], v[35:36], -v[38:39]
	v_fma_f64 v[3:4], v[3:4], v[35:36], v[33:34]
.LBB12_62:
	s_and_saveexec_b32 s20, s4
	s_cbranch_execz .LBB12_66
; %bb.63:
	v_add_nc_u32_e32 v33, -5, v0
	s_movk_i32 s21, 0x120
	s_mov_b32 s4, 0
	s_mov_b32 s22, s14
	.p2align	6
.LBB12_64:                              ; =>This Inner Loop Header: Depth=1
	v_mov_b32_e32 v36, s22
	v_add_nc_u32_e32 v33, -1, v33
	s_add_i32 s22, s22, 16
	s_clause 0x3
	buffer_load_dword v34, v36, s[0:3], 0 offen offset:8
	buffer_load_dword v35, v36, s[0:3], 0 offen offset:12
	buffer_load_dword v42, v36, s[0:3], 0 offen
	buffer_load_dword v43, v36, s[0:3], 0 offen offset:4
	v_mov_b32_e32 v36, s21
	v_cmp_eq_u32_e32 vcc_lo, 0, v33
	s_add_i32 s21, s21, 16
	ds_read_b128 v[38:41], v36
	s_or_b32 s4, vcc_lo, s4
	s_waitcnt vmcnt(2) lgkmcnt(0)
	v_mul_f64 v[44:45], v[40:41], v[34:35]
	v_mul_f64 v[34:35], v[38:39], v[34:35]
	s_waitcnt vmcnt(0)
	v_fma_f64 v[38:39], v[38:39], v[42:43], -v[44:45]
	v_fma_f64 v[34:35], v[40:41], v[42:43], v[34:35]
	v_add_f64 v[1:2], v[1:2], v[38:39]
	v_add_f64 v[3:4], v[3:4], v[34:35]
	s_andn2_b32 exec_lo, exec_lo, s4
	s_cbranch_execnz .LBB12_64
; %bb.65:
	s_or_b32 exec_lo, exec_lo, s4
.LBB12_66:
	s_or_b32 exec_lo, exec_lo, s20
	v_mov_b32_e32 v33, 0
	ds_read_b128 v[33:36], v33 offset:64
	s_waitcnt lgkmcnt(0)
	v_mul_f64 v[38:39], v[3:4], v[35:36]
	v_mul_f64 v[35:36], v[1:2], v[35:36]
	v_fma_f64 v[1:2], v[1:2], v[33:34], -v[38:39]
	v_fma_f64 v[3:4], v[3:4], v[33:34], v[35:36]
	buffer_store_dword v2, off, s[0:3], 0 offset:68
	buffer_store_dword v1, off, s[0:3], 0 offset:64
	;; [unrolled: 1-line block ×4, first 2 shown]
.LBB12_67:
	s_or_b32 exec_lo, exec_lo, s8
	v_mov_b32_e32 v4, s16
	v_cmp_lt_u32_e64 s4, 3, v0
	s_clause 0x3
	buffer_load_dword v1, v4, s[0:3], 0 offen
	buffer_load_dword v2, v4, s[0:3], 0 offen offset:4
	buffer_load_dword v3, v4, s[0:3], 0 offen offset:8
	;; [unrolled: 1-line block ×3, first 2 shown]
	s_waitcnt vmcnt(0)
	ds_write_b128 v32, v[1:4]
	s_waitcnt lgkmcnt(0)
	s_waitcnt_vscnt null, 0x0
	s_barrier
	buffer_gl0_inv
	s_and_saveexec_b32 s8, s4
	s_cbranch_execz .LBB12_75
; %bb.68:
	ds_read_b128 v[1:4], v32
	s_andn2_b32 vcc_lo, exec_lo, s19
	s_cbranch_vccnz .LBB12_70
; %bb.69:
	s_clause 0x3
	buffer_load_dword v33, v31, s[0:3], 0 offen offset:8
	buffer_load_dword v34, v31, s[0:3], 0 offen offset:12
	buffer_load_dword v35, v31, s[0:3], 0 offen
	buffer_load_dword v36, v31, s[0:3], 0 offen offset:4
	s_waitcnt vmcnt(2) lgkmcnt(0)
	v_mul_f64 v[38:39], v[3:4], v[33:34]
	v_mul_f64 v[33:34], v[1:2], v[33:34]
	s_waitcnt vmcnt(0)
	v_fma_f64 v[1:2], v[1:2], v[35:36], -v[38:39]
	v_fma_f64 v[3:4], v[3:4], v[35:36], v[33:34]
.LBB12_70:
	s_and_saveexec_b32 s20, s5
	s_cbranch_execz .LBB12_74
; %bb.71:
	v_add_nc_u32_e32 v33, -4, v0
	s_movk_i32 s21, 0x110
	s_mov_b32 s5, 0
	s_mov_b32 s22, s15
	.p2align	6
.LBB12_72:                              ; =>This Inner Loop Header: Depth=1
	v_mov_b32_e32 v36, s22
	v_add_nc_u32_e32 v33, -1, v33
	s_add_i32 s22, s22, 16
	s_clause 0x3
	buffer_load_dword v34, v36, s[0:3], 0 offen offset:8
	buffer_load_dword v35, v36, s[0:3], 0 offen offset:12
	buffer_load_dword v42, v36, s[0:3], 0 offen
	buffer_load_dword v43, v36, s[0:3], 0 offen offset:4
	v_mov_b32_e32 v36, s21
	v_cmp_eq_u32_e32 vcc_lo, 0, v33
	s_add_i32 s21, s21, 16
	ds_read_b128 v[38:41], v36
	s_or_b32 s5, vcc_lo, s5
	s_waitcnt vmcnt(2) lgkmcnt(0)
	v_mul_f64 v[44:45], v[40:41], v[34:35]
	v_mul_f64 v[34:35], v[38:39], v[34:35]
	s_waitcnt vmcnt(0)
	v_fma_f64 v[38:39], v[38:39], v[42:43], -v[44:45]
	v_fma_f64 v[34:35], v[40:41], v[42:43], v[34:35]
	v_add_f64 v[1:2], v[1:2], v[38:39]
	v_add_f64 v[3:4], v[3:4], v[34:35]
	s_andn2_b32 exec_lo, exec_lo, s5
	s_cbranch_execnz .LBB12_72
; %bb.73:
	s_or_b32 exec_lo, exec_lo, s5
.LBB12_74:
	s_or_b32 exec_lo, exec_lo, s20
	v_mov_b32_e32 v33, 0
	ds_read_b128 v[33:36], v33 offset:48
	s_waitcnt lgkmcnt(0)
	v_mul_f64 v[38:39], v[3:4], v[35:36]
	v_mul_f64 v[35:36], v[1:2], v[35:36]
	v_fma_f64 v[1:2], v[1:2], v[33:34], -v[38:39]
	v_fma_f64 v[3:4], v[3:4], v[33:34], v[35:36]
	buffer_store_dword v2, off, s[0:3], 0 offset:52
	buffer_store_dword v1, off, s[0:3], 0 offset:48
	;; [unrolled: 1-line block ×4, first 2 shown]
.LBB12_75:
	s_or_b32 exec_lo, exec_lo, s8
	v_mov_b32_e32 v4, s17
	v_cmp_lt_u32_e64 s5, 2, v0
	s_clause 0x3
	buffer_load_dword v1, v4, s[0:3], 0 offen
	buffer_load_dword v2, v4, s[0:3], 0 offen offset:4
	buffer_load_dword v3, v4, s[0:3], 0 offen offset:8
	;; [unrolled: 1-line block ×3, first 2 shown]
	s_waitcnt vmcnt(0)
	ds_write_b128 v32, v[1:4]
	s_waitcnt lgkmcnt(0)
	s_waitcnt_vscnt null, 0x0
	s_barrier
	buffer_gl0_inv
	s_and_saveexec_b32 s8, s5
	s_cbranch_execz .LBB12_83
; %bb.76:
	ds_read_b128 v[1:4], v32
	s_andn2_b32 vcc_lo, exec_lo, s19
	s_cbranch_vccnz .LBB12_78
; %bb.77:
	s_clause 0x3
	buffer_load_dword v33, v31, s[0:3], 0 offen offset:8
	buffer_load_dword v34, v31, s[0:3], 0 offen offset:12
	buffer_load_dword v35, v31, s[0:3], 0 offen
	buffer_load_dword v36, v31, s[0:3], 0 offen offset:4
	s_waitcnt vmcnt(2) lgkmcnt(0)
	v_mul_f64 v[38:39], v[3:4], v[33:34]
	v_mul_f64 v[33:34], v[1:2], v[33:34]
	s_waitcnt vmcnt(0)
	v_fma_f64 v[1:2], v[1:2], v[35:36], -v[38:39]
	v_fma_f64 v[3:4], v[3:4], v[35:36], v[33:34]
.LBB12_78:
	s_and_saveexec_b32 s20, s4
	s_cbranch_execz .LBB12_82
; %bb.79:
	v_add_nc_u32_e32 v33, -3, v0
	s_movk_i32 s21, 0x100
	s_mov_b32 s4, 0
	s_mov_b32 s22, s16
	.p2align	6
.LBB12_80:                              ; =>This Inner Loop Header: Depth=1
	v_mov_b32_e32 v36, s22
	v_add_nc_u32_e32 v33, -1, v33
	s_add_i32 s22, s22, 16
	s_clause 0x3
	buffer_load_dword v34, v36, s[0:3], 0 offen offset:8
	buffer_load_dword v35, v36, s[0:3], 0 offen offset:12
	buffer_load_dword v42, v36, s[0:3], 0 offen
	buffer_load_dword v43, v36, s[0:3], 0 offen offset:4
	v_mov_b32_e32 v36, s21
	v_cmp_eq_u32_e32 vcc_lo, 0, v33
	s_add_i32 s21, s21, 16
	ds_read_b128 v[38:41], v36
	s_or_b32 s4, vcc_lo, s4
	s_waitcnt vmcnt(2) lgkmcnt(0)
	v_mul_f64 v[44:45], v[40:41], v[34:35]
	v_mul_f64 v[34:35], v[38:39], v[34:35]
	s_waitcnt vmcnt(0)
	v_fma_f64 v[38:39], v[38:39], v[42:43], -v[44:45]
	v_fma_f64 v[34:35], v[40:41], v[42:43], v[34:35]
	v_add_f64 v[1:2], v[1:2], v[38:39]
	v_add_f64 v[3:4], v[3:4], v[34:35]
	s_andn2_b32 exec_lo, exec_lo, s4
	s_cbranch_execnz .LBB12_80
; %bb.81:
	s_or_b32 exec_lo, exec_lo, s4
.LBB12_82:
	s_or_b32 exec_lo, exec_lo, s20
	v_mov_b32_e32 v33, 0
	ds_read_b128 v[33:36], v33 offset:32
	s_waitcnt lgkmcnt(0)
	v_mul_f64 v[38:39], v[3:4], v[35:36]
	v_mul_f64 v[35:36], v[1:2], v[35:36]
	v_fma_f64 v[1:2], v[1:2], v[33:34], -v[38:39]
	v_fma_f64 v[3:4], v[3:4], v[33:34], v[35:36]
	buffer_store_dword v2, off, s[0:3], 0 offset:36
	buffer_store_dword v1, off, s[0:3], 0 offset:32
	;; [unrolled: 1-line block ×4, first 2 shown]
.LBB12_83:
	s_or_b32 exec_lo, exec_lo, s8
	v_mov_b32_e32 v4, s18
	v_cmp_lt_u32_e64 s4, 1, v0
	s_clause 0x3
	buffer_load_dword v1, v4, s[0:3], 0 offen
	buffer_load_dword v2, v4, s[0:3], 0 offen offset:4
	buffer_load_dword v3, v4, s[0:3], 0 offen offset:8
	;; [unrolled: 1-line block ×3, first 2 shown]
	s_waitcnt vmcnt(0)
	ds_write_b128 v32, v[1:4]
	s_waitcnt lgkmcnt(0)
	s_waitcnt_vscnt null, 0x0
	s_barrier
	buffer_gl0_inv
	s_and_saveexec_b32 s8, s4
	s_cbranch_execz .LBB12_91
; %bb.84:
	ds_read_b128 v[1:4], v32
	s_andn2_b32 vcc_lo, exec_lo, s19
	s_cbranch_vccnz .LBB12_86
; %bb.85:
	s_clause 0x3
	buffer_load_dword v33, v31, s[0:3], 0 offen offset:8
	buffer_load_dword v34, v31, s[0:3], 0 offen offset:12
	buffer_load_dword v35, v31, s[0:3], 0 offen
	buffer_load_dword v36, v31, s[0:3], 0 offen offset:4
	s_waitcnt vmcnt(2) lgkmcnt(0)
	v_mul_f64 v[38:39], v[3:4], v[33:34]
	v_mul_f64 v[33:34], v[1:2], v[33:34]
	s_waitcnt vmcnt(0)
	v_fma_f64 v[1:2], v[1:2], v[35:36], -v[38:39]
	v_fma_f64 v[3:4], v[3:4], v[35:36], v[33:34]
.LBB12_86:
	s_and_saveexec_b32 s20, s5
	s_cbranch_execz .LBB12_90
; %bb.87:
	v_add_nc_u32_e32 v33, -2, v0
	s_movk_i32 s21, 0xf0
	s_mov_b32 s5, 0
	s_mov_b32 s22, s17
	.p2align	6
.LBB12_88:                              ; =>This Inner Loop Header: Depth=1
	v_mov_b32_e32 v36, s22
	v_add_nc_u32_e32 v33, -1, v33
	s_add_i32 s22, s22, 16
	s_clause 0x3
	buffer_load_dword v34, v36, s[0:3], 0 offen offset:8
	buffer_load_dword v35, v36, s[0:3], 0 offen offset:12
	buffer_load_dword v42, v36, s[0:3], 0 offen
	buffer_load_dword v43, v36, s[0:3], 0 offen offset:4
	v_mov_b32_e32 v36, s21
	v_cmp_eq_u32_e32 vcc_lo, 0, v33
	s_add_i32 s21, s21, 16
	ds_read_b128 v[38:41], v36
	s_or_b32 s5, vcc_lo, s5
	s_waitcnt vmcnt(2) lgkmcnt(0)
	v_mul_f64 v[44:45], v[40:41], v[34:35]
	v_mul_f64 v[34:35], v[38:39], v[34:35]
	s_waitcnt vmcnt(0)
	v_fma_f64 v[38:39], v[38:39], v[42:43], -v[44:45]
	v_fma_f64 v[34:35], v[40:41], v[42:43], v[34:35]
	v_add_f64 v[1:2], v[1:2], v[38:39]
	v_add_f64 v[3:4], v[3:4], v[34:35]
	s_andn2_b32 exec_lo, exec_lo, s5
	s_cbranch_execnz .LBB12_88
; %bb.89:
	s_or_b32 exec_lo, exec_lo, s5
.LBB12_90:
	s_or_b32 exec_lo, exec_lo, s20
	v_mov_b32_e32 v33, 0
	ds_read_b128 v[33:36], v33 offset:16
	s_waitcnt lgkmcnt(0)
	v_mul_f64 v[38:39], v[3:4], v[35:36]
	v_mul_f64 v[35:36], v[1:2], v[35:36]
	v_fma_f64 v[1:2], v[1:2], v[33:34], -v[38:39]
	v_fma_f64 v[3:4], v[3:4], v[33:34], v[35:36]
	buffer_store_dword v2, off, s[0:3], 0 offset:20
	buffer_store_dword v1, off, s[0:3], 0 offset:16
	;; [unrolled: 1-line block ×4, first 2 shown]
.LBB12_91:
	s_or_b32 exec_lo, exec_lo, s8
	s_clause 0x3
	buffer_load_dword v1, off, s[0:3], 0
	buffer_load_dword v2, off, s[0:3], 0 offset:4
	buffer_load_dword v3, off, s[0:3], 0 offset:8
	;; [unrolled: 1-line block ×3, first 2 shown]
	s_mov_b32 s8, 0
	s_mov_b32 s5, 0
	s_mov_b32 s20, exec_lo
                                        ; implicit-def: $sgpr21
	s_waitcnt vmcnt(0)
	ds_write_b128 v32, v[1:4]
	s_waitcnt lgkmcnt(0)
	s_waitcnt_vscnt null, 0x0
	s_barrier
	buffer_gl0_inv
                                        ; implicit-def: $vgpr1_vgpr2
	v_cmpx_ne_u32_e32 0, v0
	s_cbranch_execz .LBB12_99
; %bb.92:
	ds_read_b128 v[1:4], v32
	s_andn2_b32 vcc_lo, exec_lo, s19
	s_cbranch_vccnz .LBB12_94
; %bb.93:
	s_clause 0x3
	buffer_load_dword v33, v31, s[0:3], 0 offen offset:8
	buffer_load_dword v34, v31, s[0:3], 0 offen offset:12
	buffer_load_dword v35, v31, s[0:3], 0 offen
	buffer_load_dword v36, v31, s[0:3], 0 offen offset:4
	s_waitcnt vmcnt(2) lgkmcnt(0)
	v_mul_f64 v[38:39], v[3:4], v[33:34]
	v_mul_f64 v[33:34], v[1:2], v[33:34]
	s_waitcnt vmcnt(0)
	v_fma_f64 v[1:2], v[1:2], v[35:36], -v[38:39]
	v_fma_f64 v[3:4], v[3:4], v[35:36], v[33:34]
.LBB12_94:
	s_and_saveexec_b32 s5, s4
	s_cbranch_execz .LBB12_98
; %bb.95:
	v_add_nc_u32_e32 v33, -1, v0
	s_movk_i32 s21, 0xe0
	s_mov_b32 s4, 0
	s_mov_b32 s22, s18
	.p2align	6
.LBB12_96:                              ; =>This Inner Loop Header: Depth=1
	v_mov_b32_e32 v36, s22
	v_add_nc_u32_e32 v33, -1, v33
	s_add_i32 s22, s22, 16
	s_clause 0x3
	buffer_load_dword v34, v36, s[0:3], 0 offen offset:8
	buffer_load_dword v35, v36, s[0:3], 0 offen offset:12
	buffer_load_dword v42, v36, s[0:3], 0 offen
	buffer_load_dword v43, v36, s[0:3], 0 offen offset:4
	v_mov_b32_e32 v36, s21
	v_cmp_eq_u32_e32 vcc_lo, 0, v33
	s_add_i32 s21, s21, 16
	ds_read_b128 v[38:41], v36
	s_or_b32 s4, vcc_lo, s4
	s_waitcnt vmcnt(2) lgkmcnt(0)
	v_mul_f64 v[44:45], v[40:41], v[34:35]
	v_mul_f64 v[34:35], v[38:39], v[34:35]
	s_waitcnt vmcnt(0)
	v_fma_f64 v[38:39], v[38:39], v[42:43], -v[44:45]
	v_fma_f64 v[34:35], v[40:41], v[42:43], v[34:35]
	v_add_f64 v[1:2], v[1:2], v[38:39]
	v_add_f64 v[3:4], v[3:4], v[34:35]
	s_andn2_b32 exec_lo, exec_lo, s4
	s_cbranch_execnz .LBB12_96
; %bb.97:
	s_or_b32 exec_lo, exec_lo, s4
.LBB12_98:
	s_or_b32 exec_lo, exec_lo, s5
	v_mov_b32_e32 v33, 0
	s_mov_b32 s5, exec_lo
	s_or_b32 s21, 0, 8
	ds_read_b128 v[33:36], v33
	s_waitcnt lgkmcnt(0)
	v_mul_f64 v[38:39], v[3:4], v[35:36]
	v_mul_f64 v[35:36], v[1:2], v[35:36]
	v_fma_f64 v[38:39], v[1:2], v[33:34], -v[38:39]
	v_fma_f64 v[1:2], v[3:4], v[33:34], v[35:36]
	buffer_store_dword v39, off, s[0:3], 0 offset:4
	buffer_store_dword v38, off, s[0:3], 0
.LBB12_99:
	s_or_b32 exec_lo, exec_lo, s20
	s_and_b32 vcc_lo, exec_lo, s8
	s_cbranch_vccnz .LBB12_101
	s_branch .LBB12_192
.LBB12_100:
	s_mov_b32 s5, 0
                                        ; implicit-def: $vgpr1_vgpr2
                                        ; implicit-def: $sgpr21
	s_cbranch_execz .LBB12_192
.LBB12_101:
	v_mov_b32_e32 v4, s18
	v_cmp_eq_u32_e64 s4, 0, v0
	v_cndmask_b32_e64 v33, 0, 1, s19
	s_clause 0x3
	buffer_load_dword v1, v4, s[0:3], 0 offen
	buffer_load_dword v2, v4, s[0:3], 0 offen offset:4
	buffer_load_dword v3, v4, s[0:3], 0 offen offset:8
	;; [unrolled: 1-line block ×3, first 2 shown]
	s_waitcnt vmcnt(0)
	ds_write_b128 v32, v[1:4]
	s_waitcnt lgkmcnt(0)
	s_waitcnt_vscnt null, 0x0
	s_barrier
	buffer_gl0_inv
	s_and_saveexec_b32 s8, s4
	s_cbranch_execz .LBB12_105
; %bb.102:
	ds_read_b128 v[1:4], v32
	s_andn2_b32 vcc_lo, exec_lo, s19
	s_cbranch_vccnz .LBB12_104
; %bb.103:
	s_clause 0x3
	buffer_load_dword v34, v31, s[0:3], 0 offen offset:8
	buffer_load_dword v35, v31, s[0:3], 0 offen offset:12
	buffer_load_dword v38, v31, s[0:3], 0 offen
	buffer_load_dword v39, v31, s[0:3], 0 offen offset:4
	s_waitcnt vmcnt(2) lgkmcnt(0)
	v_mul_f64 v[40:41], v[3:4], v[34:35]
	v_mul_f64 v[34:35], v[1:2], v[34:35]
	s_waitcnt vmcnt(0)
	v_fma_f64 v[1:2], v[1:2], v[38:39], -v[40:41]
	v_fma_f64 v[3:4], v[3:4], v[38:39], v[34:35]
.LBB12_104:
	v_mov_b32_e32 v34, 0
	ds_read_b128 v[38:41], v34 offset:16
	s_waitcnt lgkmcnt(0)
	v_mul_f64 v[34:35], v[3:4], v[40:41]
	v_mul_f64 v[40:41], v[1:2], v[40:41]
	v_fma_f64 v[1:2], v[1:2], v[38:39], -v[34:35]
	v_fma_f64 v[3:4], v[3:4], v[38:39], v[40:41]
	buffer_store_dword v2, off, s[0:3], 0 offset:20
	buffer_store_dword v1, off, s[0:3], 0 offset:16
	;; [unrolled: 1-line block ×4, first 2 shown]
.LBB12_105:
	s_or_b32 exec_lo, exec_lo, s8
	v_mov_b32_e32 v4, s17
	s_mov_b32 s8, exec_lo
	s_clause 0x3
	buffer_load_dword v1, v4, s[0:3], 0 offen
	buffer_load_dword v2, v4, s[0:3], 0 offen offset:4
	buffer_load_dword v3, v4, s[0:3], 0 offen offset:8
	;; [unrolled: 1-line block ×3, first 2 shown]
	s_waitcnt vmcnt(0)
	ds_write_b128 v32, v[1:4]
	s_waitcnt lgkmcnt(0)
	s_waitcnt_vscnt null, 0x0
	s_barrier
	buffer_gl0_inv
	v_cmpx_gt_u32_e32 2, v0
	s_cbranch_execz .LBB12_111
; %bb.106:
	ds_read_b128 v[1:4], v32
	v_cmp_ne_u32_e32 vcc_lo, 1, v33
	s_cbranch_vccnz .LBB12_108
; %bb.107:
	s_clause 0x3
	buffer_load_dword v34, v31, s[0:3], 0 offen offset:8
	buffer_load_dword v35, v31, s[0:3], 0 offen offset:12
	buffer_load_dword v38, v31, s[0:3], 0 offen
	buffer_load_dword v39, v31, s[0:3], 0 offen offset:4
	s_waitcnt vmcnt(2) lgkmcnt(0)
	v_mul_f64 v[40:41], v[3:4], v[34:35]
	v_mul_f64 v[34:35], v[1:2], v[34:35]
	s_waitcnt vmcnt(0)
	v_fma_f64 v[1:2], v[1:2], v[38:39], -v[40:41]
	v_fma_f64 v[3:4], v[3:4], v[38:39], v[34:35]
.LBB12_108:
	s_and_saveexec_b32 s19, s4
	s_cbranch_execz .LBB12_110
; %bb.109:
	s_clause 0x3
	buffer_load_dword v34, off, s[0:3], 0 offset:24
	buffer_load_dword v35, off, s[0:3], 0 offset:28
	;; [unrolled: 1-line block ×4, first 2 shown]
	v_mov_b32_e32 v36, 0
	ds_read_b128 v[38:41], v36 offset:224
	s_waitcnt vmcnt(2) lgkmcnt(0)
	v_mul_f64 v[44:45], v[40:41], v[34:35]
	v_mul_f64 v[34:35], v[38:39], v[34:35]
	s_waitcnt vmcnt(0)
	v_fma_f64 v[38:39], v[38:39], v[42:43], -v[44:45]
	v_fma_f64 v[34:35], v[40:41], v[42:43], v[34:35]
	v_add_f64 v[1:2], v[1:2], v[38:39]
	v_add_f64 v[3:4], v[3:4], v[34:35]
.LBB12_110:
	s_or_b32 exec_lo, exec_lo, s19
	v_mov_b32_e32 v34, 0
	ds_read_b128 v[38:41], v34 offset:32
	s_waitcnt lgkmcnt(0)
	v_mul_f64 v[34:35], v[3:4], v[40:41]
	v_mul_f64 v[40:41], v[1:2], v[40:41]
	v_fma_f64 v[1:2], v[1:2], v[38:39], -v[34:35]
	v_fma_f64 v[3:4], v[3:4], v[38:39], v[40:41]
	buffer_store_dword v2, off, s[0:3], 0 offset:36
	buffer_store_dword v1, off, s[0:3], 0 offset:32
	;; [unrolled: 1-line block ×4, first 2 shown]
.LBB12_111:
	s_or_b32 exec_lo, exec_lo, s8
	v_mov_b32_e32 v4, s16
	s_mov_b32 s8, exec_lo
	s_clause 0x3
	buffer_load_dword v1, v4, s[0:3], 0 offen
	buffer_load_dword v2, v4, s[0:3], 0 offen offset:4
	buffer_load_dword v3, v4, s[0:3], 0 offen offset:8
	;; [unrolled: 1-line block ×3, first 2 shown]
	s_waitcnt vmcnt(0)
	ds_write_b128 v32, v[1:4]
	s_waitcnt lgkmcnt(0)
	s_waitcnt_vscnt null, 0x0
	s_barrier
	buffer_gl0_inv
	v_cmpx_gt_u32_e32 3, v0
	s_cbranch_execz .LBB12_119
; %bb.112:
	ds_read_b128 v[1:4], v32
	v_cmp_ne_u32_e32 vcc_lo, 1, v33
	s_cbranch_vccnz .LBB12_114
; %bb.113:
	s_clause 0x3
	buffer_load_dword v34, v31, s[0:3], 0 offen offset:8
	buffer_load_dword v35, v31, s[0:3], 0 offen offset:12
	buffer_load_dword v38, v31, s[0:3], 0 offen
	buffer_load_dword v39, v31, s[0:3], 0 offen offset:4
	s_waitcnt vmcnt(2) lgkmcnt(0)
	v_mul_f64 v[40:41], v[3:4], v[34:35]
	v_mul_f64 v[34:35], v[1:2], v[34:35]
	s_waitcnt vmcnt(0)
	v_fma_f64 v[1:2], v[1:2], v[38:39], -v[40:41]
	v_fma_f64 v[3:4], v[3:4], v[38:39], v[34:35]
.LBB12_114:
	s_mov_b32 s19, exec_lo
	v_cmpx_ne_u32_e32 2, v0
	s_cbranch_execz .LBB12_118
; %bb.115:
	s_clause 0x3
	buffer_load_dword v34, v31, s[0:3], 0 offen offset:24
	buffer_load_dword v35, v31, s[0:3], 0 offen offset:28
	;; [unrolled: 1-line block ×4, first 2 shown]
	ds_read_b128 v[38:41], v32 offset:16
	s_waitcnt vmcnt(2) lgkmcnt(0)
	v_mul_f64 v[44:45], v[40:41], v[34:35]
	v_mul_f64 v[34:35], v[38:39], v[34:35]
	s_waitcnt vmcnt(0)
	v_fma_f64 v[38:39], v[38:39], v[42:43], -v[44:45]
	v_fma_f64 v[34:35], v[40:41], v[42:43], v[34:35]
	v_add_f64 v[1:2], v[1:2], v[38:39]
	v_add_f64 v[3:4], v[3:4], v[34:35]
	s_and_saveexec_b32 s20, s4
	s_cbranch_execz .LBB12_117
; %bb.116:
	s_clause 0x3
	buffer_load_dword v34, off, s[0:3], 0 offset:40
	buffer_load_dword v35, off, s[0:3], 0 offset:44
	;; [unrolled: 1-line block ×4, first 2 shown]
	v_mov_b32_e32 v36, 0
	ds_read_b128 v[38:41], v36 offset:240
	s_waitcnt vmcnt(2) lgkmcnt(0)
	v_mul_f64 v[44:45], v[38:39], v[34:35]
	v_mul_f64 v[34:35], v[40:41], v[34:35]
	s_waitcnt vmcnt(0)
	v_fma_f64 v[40:41], v[40:41], v[42:43], v[44:45]
	v_fma_f64 v[34:35], v[38:39], v[42:43], -v[34:35]
	v_add_f64 v[3:4], v[3:4], v[40:41]
	v_add_f64 v[1:2], v[1:2], v[34:35]
.LBB12_117:
	s_or_b32 exec_lo, exec_lo, s20
.LBB12_118:
	s_or_b32 exec_lo, exec_lo, s19
	v_mov_b32_e32 v34, 0
	ds_read_b128 v[38:41], v34 offset:48
	s_waitcnt lgkmcnt(0)
	v_mul_f64 v[34:35], v[3:4], v[40:41]
	v_mul_f64 v[40:41], v[1:2], v[40:41]
	v_fma_f64 v[1:2], v[1:2], v[38:39], -v[34:35]
	v_fma_f64 v[3:4], v[3:4], v[38:39], v[40:41]
	buffer_store_dword v2, off, s[0:3], 0 offset:52
	buffer_store_dword v1, off, s[0:3], 0 offset:48
	;; [unrolled: 1-line block ×4, first 2 shown]
.LBB12_119:
	s_or_b32 exec_lo, exec_lo, s8
	v_mov_b32_e32 v4, s15
	s_mov_b32 s4, exec_lo
	s_clause 0x3
	buffer_load_dword v1, v4, s[0:3], 0 offen
	buffer_load_dword v2, v4, s[0:3], 0 offen offset:4
	buffer_load_dword v3, v4, s[0:3], 0 offen offset:8
	;; [unrolled: 1-line block ×3, first 2 shown]
	s_waitcnt vmcnt(0)
	ds_write_b128 v32, v[1:4]
	s_waitcnt lgkmcnt(0)
	s_waitcnt_vscnt null, 0x0
	s_barrier
	buffer_gl0_inv
	v_cmpx_gt_u32_e32 4, v0
	s_cbranch_execz .LBB12_127
; %bb.120:
	ds_read_b128 v[1:4], v32
	v_cmp_ne_u32_e32 vcc_lo, 1, v33
	s_cbranch_vccnz .LBB12_122
; %bb.121:
	s_clause 0x3
	buffer_load_dword v34, v31, s[0:3], 0 offen offset:8
	buffer_load_dword v35, v31, s[0:3], 0 offen offset:12
	buffer_load_dword v38, v31, s[0:3], 0 offen
	buffer_load_dword v39, v31, s[0:3], 0 offen offset:4
	s_waitcnt vmcnt(2) lgkmcnt(0)
	v_mul_f64 v[40:41], v[3:4], v[34:35]
	v_mul_f64 v[34:35], v[1:2], v[34:35]
	s_waitcnt vmcnt(0)
	v_fma_f64 v[1:2], v[1:2], v[38:39], -v[40:41]
	v_fma_f64 v[3:4], v[3:4], v[38:39], v[34:35]
.LBB12_122:
	s_mov_b32 s8, exec_lo
	v_cmpx_ne_u32_e32 3, v0
	s_cbranch_execz .LBB12_126
; %bb.123:
	v_add_nc_u32_e32 v34, 0xe0, v37
	v_add3_u32 v35, 0, v37, 16
	v_mov_b32_e32 v36, v0
	s_mov_b32 s19, 0
	.p2align	6
.LBB12_124:                             ; =>This Inner Loop Header: Depth=1
	s_clause 0x3
	buffer_load_dword v42, v35, s[0:3], 0 offen offset:8
	buffer_load_dword v43, v35, s[0:3], 0 offen offset:12
	buffer_load_dword v44, v35, s[0:3], 0 offen
	buffer_load_dword v45, v35, s[0:3], 0 offen offset:4
	ds_read_b128 v[38:41], v34
	v_add_nc_u32_e32 v36, 1, v36
	v_add_nc_u32_e32 v34, 16, v34
	v_add_nc_u32_e32 v35, 16, v35
	v_cmp_lt_u32_e32 vcc_lo, 2, v36
	s_or_b32 s19, vcc_lo, s19
	s_waitcnt vmcnt(2) lgkmcnt(0)
	v_mul_f64 v[46:47], v[40:41], v[42:43]
	v_mul_f64 v[42:43], v[38:39], v[42:43]
	s_waitcnt vmcnt(0)
	v_fma_f64 v[38:39], v[38:39], v[44:45], -v[46:47]
	v_fma_f64 v[40:41], v[40:41], v[44:45], v[42:43]
	v_add_f64 v[1:2], v[1:2], v[38:39]
	v_add_f64 v[3:4], v[3:4], v[40:41]
	s_andn2_b32 exec_lo, exec_lo, s19
	s_cbranch_execnz .LBB12_124
; %bb.125:
	s_or_b32 exec_lo, exec_lo, s19
.LBB12_126:
	s_or_b32 exec_lo, exec_lo, s8
	v_mov_b32_e32 v34, 0
	ds_read_b128 v[38:41], v34 offset:64
	s_waitcnt lgkmcnt(0)
	v_mul_f64 v[34:35], v[3:4], v[40:41]
	v_mul_f64 v[40:41], v[1:2], v[40:41]
	v_fma_f64 v[1:2], v[1:2], v[38:39], -v[34:35]
	v_fma_f64 v[3:4], v[3:4], v[38:39], v[40:41]
	buffer_store_dword v2, off, s[0:3], 0 offset:68
	buffer_store_dword v1, off, s[0:3], 0 offset:64
	;; [unrolled: 1-line block ×4, first 2 shown]
.LBB12_127:
	s_or_b32 exec_lo, exec_lo, s4
	v_mov_b32_e32 v4, s14
	s_mov_b32 s4, exec_lo
	s_clause 0x3
	buffer_load_dword v1, v4, s[0:3], 0 offen
	buffer_load_dword v2, v4, s[0:3], 0 offen offset:4
	buffer_load_dword v3, v4, s[0:3], 0 offen offset:8
	;; [unrolled: 1-line block ×3, first 2 shown]
	s_waitcnt vmcnt(0)
	ds_write_b128 v32, v[1:4]
	s_waitcnt lgkmcnt(0)
	s_waitcnt_vscnt null, 0x0
	s_barrier
	buffer_gl0_inv
	v_cmpx_gt_u32_e32 5, v0
	s_cbranch_execz .LBB12_135
; %bb.128:
	ds_read_b128 v[1:4], v32
	v_cmp_ne_u32_e32 vcc_lo, 1, v33
	s_cbranch_vccnz .LBB12_130
; %bb.129:
	s_clause 0x3
	buffer_load_dword v34, v31, s[0:3], 0 offen offset:8
	buffer_load_dword v35, v31, s[0:3], 0 offen offset:12
	buffer_load_dword v38, v31, s[0:3], 0 offen
	buffer_load_dword v39, v31, s[0:3], 0 offen offset:4
	s_waitcnt vmcnt(2) lgkmcnt(0)
	v_mul_f64 v[40:41], v[3:4], v[34:35]
	v_mul_f64 v[34:35], v[1:2], v[34:35]
	s_waitcnt vmcnt(0)
	v_fma_f64 v[1:2], v[1:2], v[38:39], -v[40:41]
	v_fma_f64 v[3:4], v[3:4], v[38:39], v[34:35]
.LBB12_130:
	s_mov_b32 s8, exec_lo
	v_cmpx_ne_u32_e32 4, v0
	s_cbranch_execz .LBB12_134
; %bb.131:
	v_add_nc_u32_e32 v34, 0xe0, v37
	v_add3_u32 v35, 0, v37, 16
	v_mov_b32_e32 v36, v0
	s_mov_b32 s19, 0
	.p2align	6
.LBB12_132:                             ; =>This Inner Loop Header: Depth=1
	s_clause 0x3
	buffer_load_dword v42, v35, s[0:3], 0 offen offset:8
	buffer_load_dword v43, v35, s[0:3], 0 offen offset:12
	buffer_load_dword v44, v35, s[0:3], 0 offen
	buffer_load_dword v45, v35, s[0:3], 0 offen offset:4
	ds_read_b128 v[38:41], v34
	v_add_nc_u32_e32 v36, 1, v36
	v_add_nc_u32_e32 v34, 16, v34
	;; [unrolled: 1-line block ×3, first 2 shown]
	v_cmp_lt_u32_e32 vcc_lo, 3, v36
	s_or_b32 s19, vcc_lo, s19
	s_waitcnt vmcnt(2) lgkmcnt(0)
	v_mul_f64 v[46:47], v[40:41], v[42:43]
	v_mul_f64 v[42:43], v[38:39], v[42:43]
	s_waitcnt vmcnt(0)
	v_fma_f64 v[38:39], v[38:39], v[44:45], -v[46:47]
	v_fma_f64 v[40:41], v[40:41], v[44:45], v[42:43]
	v_add_f64 v[1:2], v[1:2], v[38:39]
	v_add_f64 v[3:4], v[3:4], v[40:41]
	s_andn2_b32 exec_lo, exec_lo, s19
	s_cbranch_execnz .LBB12_132
; %bb.133:
	s_or_b32 exec_lo, exec_lo, s19
.LBB12_134:
	s_or_b32 exec_lo, exec_lo, s8
	v_mov_b32_e32 v34, 0
	ds_read_b128 v[38:41], v34 offset:80
	s_waitcnt lgkmcnt(0)
	v_mul_f64 v[34:35], v[3:4], v[40:41]
	v_mul_f64 v[40:41], v[1:2], v[40:41]
	v_fma_f64 v[1:2], v[1:2], v[38:39], -v[34:35]
	v_fma_f64 v[3:4], v[3:4], v[38:39], v[40:41]
	buffer_store_dword v2, off, s[0:3], 0 offset:84
	buffer_store_dword v1, off, s[0:3], 0 offset:80
	;; [unrolled: 1-line block ×4, first 2 shown]
.LBB12_135:
	s_or_b32 exec_lo, exec_lo, s4
	v_mov_b32_e32 v4, s13
	s_mov_b32 s4, exec_lo
	s_clause 0x3
	buffer_load_dword v1, v4, s[0:3], 0 offen
	buffer_load_dword v2, v4, s[0:3], 0 offen offset:4
	buffer_load_dword v3, v4, s[0:3], 0 offen offset:8
	;; [unrolled: 1-line block ×3, first 2 shown]
	s_waitcnt vmcnt(0)
	ds_write_b128 v32, v[1:4]
	s_waitcnt lgkmcnt(0)
	s_waitcnt_vscnt null, 0x0
	s_barrier
	buffer_gl0_inv
	v_cmpx_gt_u32_e32 6, v0
	s_cbranch_execz .LBB12_143
; %bb.136:
	ds_read_b128 v[1:4], v32
	v_cmp_ne_u32_e32 vcc_lo, 1, v33
	s_cbranch_vccnz .LBB12_138
; %bb.137:
	s_clause 0x3
	buffer_load_dword v34, v31, s[0:3], 0 offen offset:8
	buffer_load_dword v35, v31, s[0:3], 0 offen offset:12
	buffer_load_dword v38, v31, s[0:3], 0 offen
	buffer_load_dword v39, v31, s[0:3], 0 offen offset:4
	s_waitcnt vmcnt(2) lgkmcnt(0)
	v_mul_f64 v[40:41], v[3:4], v[34:35]
	v_mul_f64 v[34:35], v[1:2], v[34:35]
	s_waitcnt vmcnt(0)
	v_fma_f64 v[1:2], v[1:2], v[38:39], -v[40:41]
	v_fma_f64 v[3:4], v[3:4], v[38:39], v[34:35]
.LBB12_138:
	s_mov_b32 s8, exec_lo
	v_cmpx_ne_u32_e32 5, v0
	s_cbranch_execz .LBB12_142
; %bb.139:
	v_add_nc_u32_e32 v34, 0xe0, v37
	v_add3_u32 v35, 0, v37, 16
	v_mov_b32_e32 v36, v0
	s_mov_b32 s19, 0
	.p2align	6
.LBB12_140:                             ; =>This Inner Loop Header: Depth=1
	s_clause 0x3
	buffer_load_dword v42, v35, s[0:3], 0 offen offset:8
	buffer_load_dword v43, v35, s[0:3], 0 offen offset:12
	buffer_load_dword v44, v35, s[0:3], 0 offen
	buffer_load_dword v45, v35, s[0:3], 0 offen offset:4
	ds_read_b128 v[38:41], v34
	v_add_nc_u32_e32 v36, 1, v36
	v_add_nc_u32_e32 v34, 16, v34
	;; [unrolled: 1-line block ×3, first 2 shown]
	v_cmp_lt_u32_e32 vcc_lo, 4, v36
	s_or_b32 s19, vcc_lo, s19
	s_waitcnt vmcnt(2) lgkmcnt(0)
	v_mul_f64 v[46:47], v[40:41], v[42:43]
	v_mul_f64 v[42:43], v[38:39], v[42:43]
	s_waitcnt vmcnt(0)
	v_fma_f64 v[38:39], v[38:39], v[44:45], -v[46:47]
	v_fma_f64 v[40:41], v[40:41], v[44:45], v[42:43]
	v_add_f64 v[1:2], v[1:2], v[38:39]
	v_add_f64 v[3:4], v[3:4], v[40:41]
	s_andn2_b32 exec_lo, exec_lo, s19
	s_cbranch_execnz .LBB12_140
; %bb.141:
	s_or_b32 exec_lo, exec_lo, s19
.LBB12_142:
	s_or_b32 exec_lo, exec_lo, s8
	v_mov_b32_e32 v34, 0
	ds_read_b128 v[38:41], v34 offset:96
	s_waitcnt lgkmcnt(0)
	v_mul_f64 v[34:35], v[3:4], v[40:41]
	v_mul_f64 v[40:41], v[1:2], v[40:41]
	v_fma_f64 v[1:2], v[1:2], v[38:39], -v[34:35]
	v_fma_f64 v[3:4], v[3:4], v[38:39], v[40:41]
	buffer_store_dword v2, off, s[0:3], 0 offset:100
	buffer_store_dword v1, off, s[0:3], 0 offset:96
	;; [unrolled: 1-line block ×4, first 2 shown]
.LBB12_143:
	s_or_b32 exec_lo, exec_lo, s4
	v_mov_b32_e32 v4, s12
	s_mov_b32 s4, exec_lo
	s_clause 0x3
	buffer_load_dword v1, v4, s[0:3], 0 offen
	buffer_load_dword v2, v4, s[0:3], 0 offen offset:4
	buffer_load_dword v3, v4, s[0:3], 0 offen offset:8
	;; [unrolled: 1-line block ×3, first 2 shown]
	s_waitcnt vmcnt(0)
	ds_write_b128 v32, v[1:4]
	s_waitcnt lgkmcnt(0)
	s_waitcnt_vscnt null, 0x0
	s_barrier
	buffer_gl0_inv
	v_cmpx_gt_u32_e32 7, v0
	s_cbranch_execz .LBB12_151
; %bb.144:
	ds_read_b128 v[1:4], v32
	v_cmp_ne_u32_e32 vcc_lo, 1, v33
	s_cbranch_vccnz .LBB12_146
; %bb.145:
	s_clause 0x3
	buffer_load_dword v34, v31, s[0:3], 0 offen offset:8
	buffer_load_dword v35, v31, s[0:3], 0 offen offset:12
	buffer_load_dword v38, v31, s[0:3], 0 offen
	buffer_load_dword v39, v31, s[0:3], 0 offen offset:4
	s_waitcnt vmcnt(2) lgkmcnt(0)
	v_mul_f64 v[40:41], v[3:4], v[34:35]
	v_mul_f64 v[34:35], v[1:2], v[34:35]
	s_waitcnt vmcnt(0)
	v_fma_f64 v[1:2], v[1:2], v[38:39], -v[40:41]
	v_fma_f64 v[3:4], v[3:4], v[38:39], v[34:35]
.LBB12_146:
	s_mov_b32 s8, exec_lo
	v_cmpx_ne_u32_e32 6, v0
	s_cbranch_execz .LBB12_150
; %bb.147:
	v_add_nc_u32_e32 v34, 0xe0, v37
	v_add3_u32 v35, 0, v37, 16
	v_mov_b32_e32 v36, v0
	s_mov_b32 s19, 0
	.p2align	6
.LBB12_148:                             ; =>This Inner Loop Header: Depth=1
	s_clause 0x3
	buffer_load_dword v42, v35, s[0:3], 0 offen offset:8
	buffer_load_dword v43, v35, s[0:3], 0 offen offset:12
	buffer_load_dword v44, v35, s[0:3], 0 offen
	buffer_load_dword v45, v35, s[0:3], 0 offen offset:4
	ds_read_b128 v[38:41], v34
	v_add_nc_u32_e32 v36, 1, v36
	v_add_nc_u32_e32 v34, 16, v34
	;; [unrolled: 1-line block ×3, first 2 shown]
	v_cmp_lt_u32_e32 vcc_lo, 5, v36
	s_or_b32 s19, vcc_lo, s19
	s_waitcnt vmcnt(2) lgkmcnt(0)
	v_mul_f64 v[46:47], v[40:41], v[42:43]
	v_mul_f64 v[42:43], v[38:39], v[42:43]
	s_waitcnt vmcnt(0)
	v_fma_f64 v[38:39], v[38:39], v[44:45], -v[46:47]
	v_fma_f64 v[40:41], v[40:41], v[44:45], v[42:43]
	v_add_f64 v[1:2], v[1:2], v[38:39]
	v_add_f64 v[3:4], v[3:4], v[40:41]
	s_andn2_b32 exec_lo, exec_lo, s19
	s_cbranch_execnz .LBB12_148
; %bb.149:
	s_or_b32 exec_lo, exec_lo, s19
.LBB12_150:
	s_or_b32 exec_lo, exec_lo, s8
	v_mov_b32_e32 v34, 0
	ds_read_b128 v[38:41], v34 offset:112
	s_waitcnt lgkmcnt(0)
	v_mul_f64 v[34:35], v[3:4], v[40:41]
	v_mul_f64 v[40:41], v[1:2], v[40:41]
	v_fma_f64 v[1:2], v[1:2], v[38:39], -v[34:35]
	v_fma_f64 v[3:4], v[3:4], v[38:39], v[40:41]
	buffer_store_dword v2, off, s[0:3], 0 offset:116
	buffer_store_dword v1, off, s[0:3], 0 offset:112
	;; [unrolled: 1-line block ×4, first 2 shown]
.LBB12_151:
	s_or_b32 exec_lo, exec_lo, s4
	v_mov_b32_e32 v4, s11
	s_mov_b32 s4, exec_lo
	s_clause 0x3
	buffer_load_dword v1, v4, s[0:3], 0 offen
	buffer_load_dword v2, v4, s[0:3], 0 offen offset:4
	buffer_load_dword v3, v4, s[0:3], 0 offen offset:8
	;; [unrolled: 1-line block ×3, first 2 shown]
	s_waitcnt vmcnt(0)
	ds_write_b128 v32, v[1:4]
	s_waitcnt lgkmcnt(0)
	s_waitcnt_vscnt null, 0x0
	s_barrier
	buffer_gl0_inv
	v_cmpx_gt_u32_e32 8, v0
	s_cbranch_execz .LBB12_159
; %bb.152:
	ds_read_b128 v[1:4], v32
	v_cmp_ne_u32_e32 vcc_lo, 1, v33
	s_cbranch_vccnz .LBB12_154
; %bb.153:
	s_clause 0x3
	buffer_load_dword v34, v31, s[0:3], 0 offen offset:8
	buffer_load_dword v35, v31, s[0:3], 0 offen offset:12
	buffer_load_dword v38, v31, s[0:3], 0 offen
	buffer_load_dword v39, v31, s[0:3], 0 offen offset:4
	s_waitcnt vmcnt(2) lgkmcnt(0)
	v_mul_f64 v[40:41], v[3:4], v[34:35]
	v_mul_f64 v[34:35], v[1:2], v[34:35]
	s_waitcnt vmcnt(0)
	v_fma_f64 v[1:2], v[1:2], v[38:39], -v[40:41]
	v_fma_f64 v[3:4], v[3:4], v[38:39], v[34:35]
.LBB12_154:
	s_mov_b32 s8, exec_lo
	v_cmpx_ne_u32_e32 7, v0
	s_cbranch_execz .LBB12_158
; %bb.155:
	v_add_nc_u32_e32 v34, 0xe0, v37
	v_add3_u32 v35, 0, v37, 16
	v_mov_b32_e32 v36, v0
	s_mov_b32 s19, 0
	.p2align	6
.LBB12_156:                             ; =>This Inner Loop Header: Depth=1
	s_clause 0x3
	buffer_load_dword v42, v35, s[0:3], 0 offen offset:8
	buffer_load_dword v43, v35, s[0:3], 0 offen offset:12
	buffer_load_dword v44, v35, s[0:3], 0 offen
	buffer_load_dword v45, v35, s[0:3], 0 offen offset:4
	ds_read_b128 v[38:41], v34
	v_add_nc_u32_e32 v36, 1, v36
	v_add_nc_u32_e32 v34, 16, v34
	;; [unrolled: 1-line block ×3, first 2 shown]
	v_cmp_lt_u32_e32 vcc_lo, 6, v36
	s_or_b32 s19, vcc_lo, s19
	s_waitcnt vmcnt(2) lgkmcnt(0)
	v_mul_f64 v[46:47], v[40:41], v[42:43]
	v_mul_f64 v[42:43], v[38:39], v[42:43]
	s_waitcnt vmcnt(0)
	v_fma_f64 v[38:39], v[38:39], v[44:45], -v[46:47]
	v_fma_f64 v[40:41], v[40:41], v[44:45], v[42:43]
	v_add_f64 v[1:2], v[1:2], v[38:39]
	v_add_f64 v[3:4], v[3:4], v[40:41]
	s_andn2_b32 exec_lo, exec_lo, s19
	s_cbranch_execnz .LBB12_156
; %bb.157:
	s_or_b32 exec_lo, exec_lo, s19
.LBB12_158:
	s_or_b32 exec_lo, exec_lo, s8
	v_mov_b32_e32 v34, 0
	ds_read_b128 v[38:41], v34 offset:128
	s_waitcnt lgkmcnt(0)
	v_mul_f64 v[34:35], v[3:4], v[40:41]
	v_mul_f64 v[40:41], v[1:2], v[40:41]
	v_fma_f64 v[1:2], v[1:2], v[38:39], -v[34:35]
	v_fma_f64 v[3:4], v[3:4], v[38:39], v[40:41]
	buffer_store_dword v2, off, s[0:3], 0 offset:132
	buffer_store_dword v1, off, s[0:3], 0 offset:128
	buffer_store_dword v4, off, s[0:3], 0 offset:140
	buffer_store_dword v3, off, s[0:3], 0 offset:136
.LBB12_159:
	s_or_b32 exec_lo, exec_lo, s4
	v_mov_b32_e32 v4, s10
	s_mov_b32 s4, exec_lo
	s_clause 0x3
	buffer_load_dword v1, v4, s[0:3], 0 offen
	buffer_load_dword v2, v4, s[0:3], 0 offen offset:4
	buffer_load_dword v3, v4, s[0:3], 0 offen offset:8
	;; [unrolled: 1-line block ×3, first 2 shown]
	s_waitcnt vmcnt(0)
	ds_write_b128 v32, v[1:4]
	s_waitcnt lgkmcnt(0)
	s_waitcnt_vscnt null, 0x0
	s_barrier
	buffer_gl0_inv
	v_cmpx_gt_u32_e32 9, v0
	s_cbranch_execz .LBB12_167
; %bb.160:
	ds_read_b128 v[1:4], v32
	v_cmp_ne_u32_e32 vcc_lo, 1, v33
	s_cbranch_vccnz .LBB12_162
; %bb.161:
	s_clause 0x3
	buffer_load_dword v34, v31, s[0:3], 0 offen offset:8
	buffer_load_dword v35, v31, s[0:3], 0 offen offset:12
	buffer_load_dword v38, v31, s[0:3], 0 offen
	buffer_load_dword v39, v31, s[0:3], 0 offen offset:4
	s_waitcnt vmcnt(2) lgkmcnt(0)
	v_mul_f64 v[40:41], v[3:4], v[34:35]
	v_mul_f64 v[34:35], v[1:2], v[34:35]
	s_waitcnt vmcnt(0)
	v_fma_f64 v[1:2], v[1:2], v[38:39], -v[40:41]
	v_fma_f64 v[3:4], v[3:4], v[38:39], v[34:35]
.LBB12_162:
	s_mov_b32 s8, exec_lo
	v_cmpx_ne_u32_e32 8, v0
	s_cbranch_execz .LBB12_166
; %bb.163:
	v_add_nc_u32_e32 v34, 0xe0, v37
	v_add3_u32 v35, 0, v37, 16
	v_mov_b32_e32 v36, v0
	s_mov_b32 s19, 0
	.p2align	6
.LBB12_164:                             ; =>This Inner Loop Header: Depth=1
	s_clause 0x3
	buffer_load_dword v42, v35, s[0:3], 0 offen offset:8
	buffer_load_dword v43, v35, s[0:3], 0 offen offset:12
	buffer_load_dword v44, v35, s[0:3], 0 offen
	buffer_load_dword v45, v35, s[0:3], 0 offen offset:4
	ds_read_b128 v[38:41], v34
	v_add_nc_u32_e32 v36, 1, v36
	v_add_nc_u32_e32 v34, 16, v34
	;; [unrolled: 1-line block ×3, first 2 shown]
	v_cmp_lt_u32_e32 vcc_lo, 7, v36
	s_or_b32 s19, vcc_lo, s19
	s_waitcnt vmcnt(2) lgkmcnt(0)
	v_mul_f64 v[46:47], v[40:41], v[42:43]
	v_mul_f64 v[42:43], v[38:39], v[42:43]
	s_waitcnt vmcnt(0)
	v_fma_f64 v[38:39], v[38:39], v[44:45], -v[46:47]
	v_fma_f64 v[40:41], v[40:41], v[44:45], v[42:43]
	v_add_f64 v[1:2], v[1:2], v[38:39]
	v_add_f64 v[3:4], v[3:4], v[40:41]
	s_andn2_b32 exec_lo, exec_lo, s19
	s_cbranch_execnz .LBB12_164
; %bb.165:
	s_or_b32 exec_lo, exec_lo, s19
.LBB12_166:
	s_or_b32 exec_lo, exec_lo, s8
	v_mov_b32_e32 v34, 0
	ds_read_b128 v[38:41], v34 offset:144
	s_waitcnt lgkmcnt(0)
	v_mul_f64 v[34:35], v[3:4], v[40:41]
	v_mul_f64 v[40:41], v[1:2], v[40:41]
	v_fma_f64 v[1:2], v[1:2], v[38:39], -v[34:35]
	v_fma_f64 v[3:4], v[3:4], v[38:39], v[40:41]
	buffer_store_dword v2, off, s[0:3], 0 offset:148
	buffer_store_dword v1, off, s[0:3], 0 offset:144
	;; [unrolled: 1-line block ×4, first 2 shown]
.LBB12_167:
	s_or_b32 exec_lo, exec_lo, s4
	v_mov_b32_e32 v4, s9
	s_mov_b32 s4, exec_lo
	s_clause 0x3
	buffer_load_dword v1, v4, s[0:3], 0 offen
	buffer_load_dword v2, v4, s[0:3], 0 offen offset:4
	buffer_load_dword v3, v4, s[0:3], 0 offen offset:8
	;; [unrolled: 1-line block ×3, first 2 shown]
	s_waitcnt vmcnt(0)
	ds_write_b128 v32, v[1:4]
	s_waitcnt lgkmcnt(0)
	s_waitcnt_vscnt null, 0x0
	s_barrier
	buffer_gl0_inv
	v_cmpx_gt_u32_e32 10, v0
	s_cbranch_execz .LBB12_175
; %bb.168:
	ds_read_b128 v[1:4], v32
	v_cmp_ne_u32_e32 vcc_lo, 1, v33
	s_cbranch_vccnz .LBB12_170
; %bb.169:
	s_clause 0x3
	buffer_load_dword v34, v31, s[0:3], 0 offen offset:8
	buffer_load_dword v35, v31, s[0:3], 0 offen offset:12
	buffer_load_dword v38, v31, s[0:3], 0 offen
	buffer_load_dword v39, v31, s[0:3], 0 offen offset:4
	s_waitcnt vmcnt(2) lgkmcnt(0)
	v_mul_f64 v[40:41], v[3:4], v[34:35]
	v_mul_f64 v[34:35], v[1:2], v[34:35]
	s_waitcnt vmcnt(0)
	v_fma_f64 v[1:2], v[1:2], v[38:39], -v[40:41]
	v_fma_f64 v[3:4], v[3:4], v[38:39], v[34:35]
.LBB12_170:
	s_mov_b32 s8, exec_lo
	v_cmpx_ne_u32_e32 9, v0
	s_cbranch_execz .LBB12_174
; %bb.171:
	v_add_nc_u32_e32 v34, 0xe0, v37
	v_add3_u32 v35, 0, v37, 16
	v_mov_b32_e32 v36, v0
	s_mov_b32 s19, 0
	.p2align	6
.LBB12_172:                             ; =>This Inner Loop Header: Depth=1
	s_clause 0x3
	buffer_load_dword v42, v35, s[0:3], 0 offen offset:8
	buffer_load_dword v43, v35, s[0:3], 0 offen offset:12
	buffer_load_dword v44, v35, s[0:3], 0 offen
	buffer_load_dword v45, v35, s[0:3], 0 offen offset:4
	ds_read_b128 v[38:41], v34
	v_add_nc_u32_e32 v36, 1, v36
	v_add_nc_u32_e32 v34, 16, v34
	;; [unrolled: 1-line block ×3, first 2 shown]
	v_cmp_lt_u32_e32 vcc_lo, 8, v36
	s_or_b32 s19, vcc_lo, s19
	s_waitcnt vmcnt(2) lgkmcnt(0)
	v_mul_f64 v[46:47], v[40:41], v[42:43]
	v_mul_f64 v[42:43], v[38:39], v[42:43]
	s_waitcnt vmcnt(0)
	v_fma_f64 v[38:39], v[38:39], v[44:45], -v[46:47]
	v_fma_f64 v[40:41], v[40:41], v[44:45], v[42:43]
	v_add_f64 v[1:2], v[1:2], v[38:39]
	v_add_f64 v[3:4], v[3:4], v[40:41]
	s_andn2_b32 exec_lo, exec_lo, s19
	s_cbranch_execnz .LBB12_172
; %bb.173:
	s_or_b32 exec_lo, exec_lo, s19
.LBB12_174:
	s_or_b32 exec_lo, exec_lo, s8
	v_mov_b32_e32 v34, 0
	ds_read_b128 v[38:41], v34 offset:160
	s_waitcnt lgkmcnt(0)
	v_mul_f64 v[34:35], v[3:4], v[40:41]
	v_mul_f64 v[40:41], v[1:2], v[40:41]
	v_fma_f64 v[1:2], v[1:2], v[38:39], -v[34:35]
	v_fma_f64 v[3:4], v[3:4], v[38:39], v[40:41]
	buffer_store_dword v2, off, s[0:3], 0 offset:164
	buffer_store_dword v1, off, s[0:3], 0 offset:160
	;; [unrolled: 1-line block ×4, first 2 shown]
.LBB12_175:
	s_or_b32 exec_lo, exec_lo, s4
	v_mov_b32_e32 v4, s7
	v_cmp_gt_u32_e64 s4, 11, v0
	s_clause 0x3
	buffer_load_dword v1, v4, s[0:3], 0 offen
	buffer_load_dword v2, v4, s[0:3], 0 offen offset:4
	buffer_load_dword v3, v4, s[0:3], 0 offen offset:8
	;; [unrolled: 1-line block ×3, first 2 shown]
	s_waitcnt vmcnt(0)
	ds_write_b128 v32, v[1:4]
	s_waitcnt lgkmcnt(0)
	s_waitcnt_vscnt null, 0x0
	s_barrier
	buffer_gl0_inv
	s_and_saveexec_b32 s8, s4
	s_cbranch_execz .LBB12_183
; %bb.176:
	ds_read_b128 v[1:4], v32
	v_cmp_ne_u32_e32 vcc_lo, 1, v33
	s_cbranch_vccnz .LBB12_178
; %bb.177:
	s_clause 0x3
	buffer_load_dword v34, v31, s[0:3], 0 offen offset:8
	buffer_load_dword v35, v31, s[0:3], 0 offen offset:12
	buffer_load_dword v38, v31, s[0:3], 0 offen
	buffer_load_dword v39, v31, s[0:3], 0 offen offset:4
	s_waitcnt vmcnt(2) lgkmcnt(0)
	v_mul_f64 v[40:41], v[3:4], v[34:35]
	v_mul_f64 v[34:35], v[1:2], v[34:35]
	s_waitcnt vmcnt(0)
	v_fma_f64 v[1:2], v[1:2], v[38:39], -v[40:41]
	v_fma_f64 v[3:4], v[3:4], v[38:39], v[34:35]
.LBB12_178:
	s_mov_b32 s19, exec_lo
	v_cmpx_ne_u32_e32 10, v0
	s_cbranch_execz .LBB12_182
; %bb.179:
	v_add_nc_u32_e32 v34, 0xe0, v37
	v_add3_u32 v35, 0, v37, 16
	v_mov_b32_e32 v36, v0
	s_mov_b32 s20, 0
	.p2align	6
.LBB12_180:                             ; =>This Inner Loop Header: Depth=1
	s_clause 0x3
	buffer_load_dword v42, v35, s[0:3], 0 offen offset:8
	buffer_load_dword v43, v35, s[0:3], 0 offen offset:12
	buffer_load_dword v44, v35, s[0:3], 0 offen
	buffer_load_dword v45, v35, s[0:3], 0 offen offset:4
	ds_read_b128 v[38:41], v34
	v_add_nc_u32_e32 v36, 1, v36
	v_add_nc_u32_e32 v34, 16, v34
	;; [unrolled: 1-line block ×3, first 2 shown]
	v_cmp_lt_u32_e32 vcc_lo, 9, v36
	s_or_b32 s20, vcc_lo, s20
	s_waitcnt vmcnt(2) lgkmcnt(0)
	v_mul_f64 v[46:47], v[40:41], v[42:43]
	v_mul_f64 v[42:43], v[38:39], v[42:43]
	s_waitcnt vmcnt(0)
	v_fma_f64 v[38:39], v[38:39], v[44:45], -v[46:47]
	v_fma_f64 v[40:41], v[40:41], v[44:45], v[42:43]
	v_add_f64 v[1:2], v[1:2], v[38:39]
	v_add_f64 v[3:4], v[3:4], v[40:41]
	s_andn2_b32 exec_lo, exec_lo, s20
	s_cbranch_execnz .LBB12_180
; %bb.181:
	s_or_b32 exec_lo, exec_lo, s20
.LBB12_182:
	s_or_b32 exec_lo, exec_lo, s19
	v_mov_b32_e32 v34, 0
	ds_read_b128 v[38:41], v34 offset:176
	s_waitcnt lgkmcnt(0)
	v_mul_f64 v[34:35], v[3:4], v[40:41]
	v_mul_f64 v[40:41], v[1:2], v[40:41]
	v_fma_f64 v[1:2], v[1:2], v[38:39], -v[34:35]
	v_fma_f64 v[3:4], v[3:4], v[38:39], v[40:41]
	buffer_store_dword v2, off, s[0:3], 0 offset:180
	buffer_store_dword v1, off, s[0:3], 0 offset:176
	buffer_store_dword v4, off, s[0:3], 0 offset:188
	buffer_store_dword v3, off, s[0:3], 0 offset:184
.LBB12_183:
	s_or_b32 exec_lo, exec_lo, s8
	v_mov_b32_e32 v4, s6
	s_mov_b32 s8, exec_lo
                                        ; implicit-def: $sgpr21
	s_clause 0x3
	buffer_load_dword v1, v4, s[0:3], 0 offen
	buffer_load_dword v2, v4, s[0:3], 0 offen offset:4
	buffer_load_dword v3, v4, s[0:3], 0 offen offset:8
	;; [unrolled: 1-line block ×3, first 2 shown]
	s_waitcnt vmcnt(0)
	ds_write_b128 v32, v[1:4]
	s_waitcnt lgkmcnt(0)
	s_waitcnt_vscnt null, 0x0
	s_barrier
	buffer_gl0_inv
                                        ; implicit-def: $vgpr1_vgpr2
	v_cmpx_ne_u32_e32 12, v0
	s_cbranch_execz .LBB12_191
; %bb.184:
	ds_read_b128 v[1:4], v32
	v_cmp_ne_u32_e32 vcc_lo, 1, v33
	s_cbranch_vccnz .LBB12_186
; %bb.185:
	s_clause 0x3
	buffer_load_dword v32, v31, s[0:3], 0 offen offset:8
	buffer_load_dword v33, v31, s[0:3], 0 offen offset:12
	buffer_load_dword v34, v31, s[0:3], 0 offen
	buffer_load_dword v35, v31, s[0:3], 0 offen offset:4
	s_waitcnt vmcnt(2) lgkmcnt(0)
	v_mul_f64 v[38:39], v[3:4], v[32:33]
	v_mul_f64 v[31:32], v[1:2], v[32:33]
	s_waitcnt vmcnt(0)
	v_fma_f64 v[1:2], v[1:2], v[34:35], -v[38:39]
	v_fma_f64 v[3:4], v[3:4], v[34:35], v[31:32]
.LBB12_186:
	s_and_saveexec_b32 s19, s4
	s_cbranch_execz .LBB12_190
; %bb.187:
	v_add_nc_u32_e32 v31, 0xe0, v37
	v_add3_u32 v32, 0, v37, 16
	s_mov_b32 s4, 0
	.p2align	6
.LBB12_188:                             ; =>This Inner Loop Header: Depth=1
	s_clause 0x3
	buffer_load_dword v37, v32, s[0:3], 0 offen offset:8
	buffer_load_dword v38, v32, s[0:3], 0 offen offset:12
	buffer_load_dword v39, v32, s[0:3], 0 offen
	buffer_load_dword v40, v32, s[0:3], 0 offen offset:4
	ds_read_b128 v[33:36], v31
	v_add_nc_u32_e32 v0, 1, v0
	v_add_nc_u32_e32 v31, 16, v31
	;; [unrolled: 1-line block ×3, first 2 shown]
	v_cmp_lt_u32_e32 vcc_lo, 10, v0
	s_or_b32 s4, vcc_lo, s4
	s_waitcnt vmcnt(2) lgkmcnt(0)
	v_mul_f64 v[41:42], v[35:36], v[37:38]
	v_mul_f64 v[37:38], v[33:34], v[37:38]
	s_waitcnt vmcnt(0)
	v_fma_f64 v[33:34], v[33:34], v[39:40], -v[41:42]
	v_fma_f64 v[35:36], v[35:36], v[39:40], v[37:38]
	v_add_f64 v[1:2], v[1:2], v[33:34]
	v_add_f64 v[3:4], v[3:4], v[35:36]
	s_andn2_b32 exec_lo, exec_lo, s4
	s_cbranch_execnz .LBB12_188
; %bb.189:
	s_or_b32 exec_lo, exec_lo, s4
.LBB12_190:
	s_or_b32 exec_lo, exec_lo, s19
	v_mov_b32_e32 v0, 0
	s_movk_i32 s21, 0xc8
	s_or_b32 s5, s5, exec_lo
	ds_read_b128 v[31:34], v0 offset:192
	s_waitcnt lgkmcnt(0)
	v_mul_f64 v[35:36], v[3:4], v[33:34]
	v_mul_f64 v[33:34], v[1:2], v[33:34]
	v_fma_f64 v[35:36], v[1:2], v[31:32], -v[35:36]
	v_fma_f64 v[1:2], v[3:4], v[31:32], v[33:34]
	buffer_store_dword v36, off, s[0:3], 0 offset:196
	buffer_store_dword v35, off, s[0:3], 0 offset:192
.LBB12_191:
	s_or_b32 exec_lo, exec_lo, s8
.LBB12_192:
	s_and_saveexec_b32 s4, s5
	s_cbranch_execz .LBB12_194
; %bb.193:
	v_mov_b32_e32 v0, s21
	buffer_store_dword v2, v0, s[0:3], 0 offen offset:4
	buffer_store_dword v1, v0, s[0:3], 0 offen
.LBB12_194:
	s_or_b32 exec_lo, exec_lo, s4
	v_mov_b32_e32 v4, s18
	s_clause 0x3
	buffer_load_dword v0, off, s[0:3], 0
	buffer_load_dword v1, off, s[0:3], 0 offset:4
	buffer_load_dword v2, off, s[0:3], 0 offset:8
	;; [unrolled: 1-line block ×3, first 2 shown]
	v_mov_b32_e32 v51, s13
	v_mov_b32_e32 v55, s11
	;; [unrolled: 1-line block ×3, first 2 shown]
	s_clause 0x3
	buffer_load_dword v31, v4, s[0:3], 0 offen
	buffer_load_dword v32, v4, s[0:3], 0 offen offset:4
	buffer_load_dword v33, v4, s[0:3], 0 offen offset:8
	;; [unrolled: 1-line block ×3, first 2 shown]
	v_mov_b32_e32 v4, s17
	v_mov_b32_e32 v46, s15
	;; [unrolled: 1-line block ×4, first 2 shown]
	s_clause 0x3
	buffer_load_dword v35, v4, s[0:3], 0 offen
	buffer_load_dword v36, v4, s[0:3], 0 offen offset:4
	buffer_load_dword v37, v4, s[0:3], 0 offen offset:8
	buffer_load_dword v38, v4, s[0:3], 0 offen offset:12
	v_mov_b32_e32 v4, s16
	v_mov_b32_e32 v56, s10
	;; [unrolled: 1-line block ×3, first 2 shown]
	s_clause 0xb
	buffer_load_dword v39, v4, s[0:3], 0 offen
	buffer_load_dword v40, v4, s[0:3], 0 offen offset:4
	buffer_load_dword v41, v4, s[0:3], 0 offen offset:8
	buffer_load_dword v42, v4, s[0:3], 0 offen offset:12
	buffer_load_dword v43, v46, s[0:3], 0 offen
	buffer_load_dword v44, v46, s[0:3], 0 offen offset:4
	buffer_load_dword v45, v46, s[0:3], 0 offen offset:8
	buffer_load_dword v46, v46, s[0:3], 0 offen offset:12
	;; [unrolled: 4-line block ×3, first 2 shown]
	v_mov_b32_e32 v62, s6
	s_waitcnt vmcnt(20)
	global_store_dwordx4 v[13:14], v[0:3], off
	s_clause 0x7
	buffer_load_dword v0, v51, s[0:3], 0 offen
	buffer_load_dword v1, v51, s[0:3], 0 offen offset:4
	buffer_load_dword v2, v51, s[0:3], 0 offen offset:8
	buffer_load_dword v3, v51, s[0:3], 0 offen offset:12
	buffer_load_dword v51, v54, s[0:3], 0 offen
	buffer_load_dword v52, v54, s[0:3], 0 offen offset:4
	buffer_load_dword v53, v54, s[0:3], 0 offen offset:8
	buffer_load_dword v54, v54, s[0:3], 0 offen offset:12
	s_waitcnt vmcnt(24)
	global_store_dwordx4 v[11:12], v[31:34], off
	s_clause 0x7
	buffer_load_dword v11, v55, s[0:3], 0 offen
	buffer_load_dword v12, v55, s[0:3], 0 offen offset:4
	buffer_load_dword v13, v55, s[0:3], 0 offen offset:8
	buffer_load_dword v14, v55, s[0:3], 0 offen offset:12
	buffer_load_dword v31, v56, s[0:3], 0 offen
	buffer_load_dword v32, v56, s[0:3], 0 offen offset:4
	buffer_load_dword v33, v56, s[0:3], 0 offen offset:8
	buffer_load_dword v34, v56, s[0:3], 0 offen offset:12
	;; [unrolled: 11-line block ×3, first 2 shown]
	buffer_load_dword v59, v62, s[0:3], 0 offen
	buffer_load_dword v60, v62, s[0:3], 0 offen offset:4
	buffer_load_dword v61, v62, s[0:3], 0 offen offset:8
	;; [unrolled: 1-line block ×3, first 2 shown]
	s_waitcnt vmcnt(36)
	global_store_dwordx4 v[5:6], v[39:42], off
	s_waitcnt vmcnt(32)
	global_store_dwordx4 v[7:8], v[43:46], off
	;; [unrolled: 2-line block ×10, first 2 shown]
.LBB12_195:
	s_endpgm
	.section	.rodata,"a",@progbits
	.p2align	6, 0x0
	.amdhsa_kernel _ZN9rocsolver6v33100L18trti2_kernel_smallILi13E19rocblas_complex_numIdEPS3_EEv13rocblas_fill_17rocblas_diagonal_T1_iil
		.amdhsa_group_segment_fixed_size 416
		.amdhsa_private_segment_fixed_size 224
		.amdhsa_kernarg_size 32
		.amdhsa_user_sgpr_count 6
		.amdhsa_user_sgpr_private_segment_buffer 1
		.amdhsa_user_sgpr_dispatch_ptr 0
		.amdhsa_user_sgpr_queue_ptr 0
		.amdhsa_user_sgpr_kernarg_segment_ptr 1
		.amdhsa_user_sgpr_dispatch_id 0
		.amdhsa_user_sgpr_flat_scratch_init 0
		.amdhsa_user_sgpr_private_segment_size 0
		.amdhsa_wavefront_size32 1
		.amdhsa_uses_dynamic_stack 0
		.amdhsa_system_sgpr_private_segment_wavefront_offset 1
		.amdhsa_system_sgpr_workgroup_id_x 1
		.amdhsa_system_sgpr_workgroup_id_y 0
		.amdhsa_system_sgpr_workgroup_id_z 0
		.amdhsa_system_sgpr_workgroup_info 0
		.amdhsa_system_vgpr_workitem_id 0
		.amdhsa_next_free_vgpr 63
		.amdhsa_next_free_sgpr 23
		.amdhsa_reserve_vcc 1
		.amdhsa_reserve_flat_scratch 0
		.amdhsa_float_round_mode_32 0
		.amdhsa_float_round_mode_16_64 0
		.amdhsa_float_denorm_mode_32 3
		.amdhsa_float_denorm_mode_16_64 3
		.amdhsa_dx10_clamp 1
		.amdhsa_ieee_mode 1
		.amdhsa_fp16_overflow 0
		.amdhsa_workgroup_processor_mode 1
		.amdhsa_memory_ordered 1
		.amdhsa_forward_progress 1
		.amdhsa_shared_vgpr_count 0
		.amdhsa_exception_fp_ieee_invalid_op 0
		.amdhsa_exception_fp_denorm_src 0
		.amdhsa_exception_fp_ieee_div_zero 0
		.amdhsa_exception_fp_ieee_overflow 0
		.amdhsa_exception_fp_ieee_underflow 0
		.amdhsa_exception_fp_ieee_inexact 0
		.amdhsa_exception_int_div_zero 0
	.end_amdhsa_kernel
	.section	.text._ZN9rocsolver6v33100L18trti2_kernel_smallILi13E19rocblas_complex_numIdEPS3_EEv13rocblas_fill_17rocblas_diagonal_T1_iil,"axG",@progbits,_ZN9rocsolver6v33100L18trti2_kernel_smallILi13E19rocblas_complex_numIdEPS3_EEv13rocblas_fill_17rocblas_diagonal_T1_iil,comdat
.Lfunc_end12:
	.size	_ZN9rocsolver6v33100L18trti2_kernel_smallILi13E19rocblas_complex_numIdEPS3_EEv13rocblas_fill_17rocblas_diagonal_T1_iil, .Lfunc_end12-_ZN9rocsolver6v33100L18trti2_kernel_smallILi13E19rocblas_complex_numIdEPS3_EEv13rocblas_fill_17rocblas_diagonal_T1_iil
                                        ; -- End function
	.set _ZN9rocsolver6v33100L18trti2_kernel_smallILi13E19rocblas_complex_numIdEPS3_EEv13rocblas_fill_17rocblas_diagonal_T1_iil.num_vgpr, 63
	.set _ZN9rocsolver6v33100L18trti2_kernel_smallILi13E19rocblas_complex_numIdEPS3_EEv13rocblas_fill_17rocblas_diagonal_T1_iil.num_agpr, 0
	.set _ZN9rocsolver6v33100L18trti2_kernel_smallILi13E19rocblas_complex_numIdEPS3_EEv13rocblas_fill_17rocblas_diagonal_T1_iil.numbered_sgpr, 23
	.set _ZN9rocsolver6v33100L18trti2_kernel_smallILi13E19rocblas_complex_numIdEPS3_EEv13rocblas_fill_17rocblas_diagonal_T1_iil.num_named_barrier, 0
	.set _ZN9rocsolver6v33100L18trti2_kernel_smallILi13E19rocblas_complex_numIdEPS3_EEv13rocblas_fill_17rocblas_diagonal_T1_iil.private_seg_size, 224
	.set _ZN9rocsolver6v33100L18trti2_kernel_smallILi13E19rocblas_complex_numIdEPS3_EEv13rocblas_fill_17rocblas_diagonal_T1_iil.uses_vcc, 1
	.set _ZN9rocsolver6v33100L18trti2_kernel_smallILi13E19rocblas_complex_numIdEPS3_EEv13rocblas_fill_17rocblas_diagonal_T1_iil.uses_flat_scratch, 0
	.set _ZN9rocsolver6v33100L18trti2_kernel_smallILi13E19rocblas_complex_numIdEPS3_EEv13rocblas_fill_17rocblas_diagonal_T1_iil.has_dyn_sized_stack, 0
	.set _ZN9rocsolver6v33100L18trti2_kernel_smallILi13E19rocblas_complex_numIdEPS3_EEv13rocblas_fill_17rocblas_diagonal_T1_iil.has_recursion, 0
	.set _ZN9rocsolver6v33100L18trti2_kernel_smallILi13E19rocblas_complex_numIdEPS3_EEv13rocblas_fill_17rocblas_diagonal_T1_iil.has_indirect_call, 0
	.section	.AMDGPU.csdata,"",@progbits
; Kernel info:
; codeLenInByte = 12736
; TotalNumSgprs: 25
; NumVgprs: 63
; ScratchSize: 224
; MemoryBound: 0
; FloatMode: 240
; IeeeMode: 1
; LDSByteSize: 416 bytes/workgroup (compile time only)
; SGPRBlocks: 0
; VGPRBlocks: 7
; NumSGPRsForWavesPerEU: 25
; NumVGPRsForWavesPerEU: 63
; Occupancy: 16
; WaveLimiterHint : 0
; COMPUTE_PGM_RSRC2:SCRATCH_EN: 1
; COMPUTE_PGM_RSRC2:USER_SGPR: 6
; COMPUTE_PGM_RSRC2:TRAP_HANDLER: 0
; COMPUTE_PGM_RSRC2:TGID_X_EN: 1
; COMPUTE_PGM_RSRC2:TGID_Y_EN: 0
; COMPUTE_PGM_RSRC2:TGID_Z_EN: 0
; COMPUTE_PGM_RSRC2:TIDIG_COMP_CNT: 0
	.section	.text._ZN9rocsolver6v33100L18trti2_kernel_smallILi14E19rocblas_complex_numIdEPS3_EEv13rocblas_fill_17rocblas_diagonal_T1_iil,"axG",@progbits,_ZN9rocsolver6v33100L18trti2_kernel_smallILi14E19rocblas_complex_numIdEPS3_EEv13rocblas_fill_17rocblas_diagonal_T1_iil,comdat
	.globl	_ZN9rocsolver6v33100L18trti2_kernel_smallILi14E19rocblas_complex_numIdEPS3_EEv13rocblas_fill_17rocblas_diagonal_T1_iil ; -- Begin function _ZN9rocsolver6v33100L18trti2_kernel_smallILi14E19rocblas_complex_numIdEPS3_EEv13rocblas_fill_17rocblas_diagonal_T1_iil
	.p2align	8
	.type	_ZN9rocsolver6v33100L18trti2_kernel_smallILi14E19rocblas_complex_numIdEPS3_EEv13rocblas_fill_17rocblas_diagonal_T1_iil,@function
_ZN9rocsolver6v33100L18trti2_kernel_smallILi14E19rocblas_complex_numIdEPS3_EEv13rocblas_fill_17rocblas_diagonal_T1_iil: ; @_ZN9rocsolver6v33100L18trti2_kernel_smallILi14E19rocblas_complex_numIdEPS3_EEv13rocblas_fill_17rocblas_diagonal_T1_iil
; %bb.0:
	s_add_u32 s0, s0, s7
	s_addc_u32 s1, s1, 0
	s_mov_b32 s7, exec_lo
	v_cmpx_gt_u32_e32 14, v0
	s_cbranch_execz .LBB13_211
; %bb.1:
	s_load_dwordx8 s[8:15], s[4:5], 0x0
	s_ashr_i32 s4, s6, 31
	v_lshlrev_b32_e32 v39, 4, v0
	s_movk_i32 s22, 0xb0
	s_movk_i32 s23, 0xc0
	;; [unrolled: 1-line block ×3, first 2 shown]
	s_waitcnt lgkmcnt(0)
	s_mul_hi_u32 s5, s14, s6
	s_mul_i32 s4, s14, s4
	s_mul_i32 s7, s15, s6
	s_add_i32 s5, s5, s4
	s_mul_i32 s4, s14, s6
	s_add_i32 s5, s5, s7
	s_ashr_i32 s7, s12, 31
	s_lshl_b64 s[4:5], s[4:5], 4
	s_mov_b32 s6, s12
	s_add_u32 s10, s10, s4
	s_addc_u32 s11, s11, s5
	s_lshl_b64 s[4:5], s[6:7], 4
	v_add3_u32 v5, s13, s13, v0
	s_add_u32 s4, s10, s4
	s_addc_u32 s5, s11, s5
	s_mov_b32 s6, s13
	global_load_dwordx4 v[1:4], v39, s[4:5]
	v_add_nc_u32_e32 v11, s13, v5
	v_ashrrev_i32_e32 v6, 31, v5
	s_ashr_i32 s7, s13, 31
	s_movk_i32 s11, 0xa0
	s_lshl_b64 s[6:7], s[6:7], 4
	v_add_nc_u32_e32 v13, s13, v11
	v_lshlrev_b64 v[9:10], 4, v[5:6]
	v_ashrrev_i32_e32 v12, 31, v11
	v_add_co_u32 v5, s10, s4, v39
	v_add_nc_u32_e32 v15, s13, v13
	v_add_co_ci_u32_e64 v6, null, s5, 0, s10
	v_ashrrev_i32_e32 v14, 31, v13
	v_add_co_u32 v7, vcc_lo, v5, s6
	v_add_nc_u32_e32 v19, s13, v15
	v_lshlrev_b64 v[11:12], 4, v[11:12]
	v_add_co_ci_u32_e64 v8, null, s7, v6, vcc_lo
	v_lshlrev_b64 v[13:14], 4, v[13:14]
	v_add_nc_u32_e32 v21, s13, v19
	v_add_co_u32 v9, vcc_lo, s4, v9
	v_add_co_ci_u32_e64 v10, null, s5, v10, vcc_lo
	v_add_nc_u32_e32 v23, s13, v21
	v_ashrrev_i32_e32 v16, 31, v15
	v_add_co_u32 v11, vcc_lo, s4, v11
	global_load_dwordx4 v[25:28], v[7:8], off
	v_add_nc_u32_e32 v37, s13, v23
	v_add_co_ci_u32_e64 v12, null, s5, v12, vcc_lo
	v_add_co_u32 v13, vcc_lo, s4, v13
	v_add_nc_u32_e32 v52, s13, v37
	v_add_co_ci_u32_e64 v14, null, s5, v14, vcc_lo
	global_load_dwordx4 v[29:32], v[9:10], off
	v_lshlrev_b64 v[15:16], 4, v[15:16]
	v_add_nc_u32_e32 v60, s13, v52
	s_clause 0x1
	global_load_dwordx4 v[33:36], v[11:12], off
	global_load_dwordx4 v[40:43], v[13:14], off
	v_ashrrev_i32_e32 v20, 31, v19
	v_ashrrev_i32_e32 v22, 31, v21
	;; [unrolled: 1-line block ×3, first 2 shown]
	v_add_nc_u32_e32 v62, s13, v60
	v_add_co_u32 v17, vcc_lo, s4, v15
	v_add_co_ci_u32_e64 v18, null, s5, v16, vcc_lo
	v_add_nc_u32_e32 v44, s13, v62
	v_lshlrev_b64 v[19:20], 4, v[19:20]
	v_ashrrev_i32_e32 v38, 31, v37
	v_lshlrev_b64 v[21:22], 4, v[21:22]
	v_ashrrev_i32_e32 v53, 31, v52
	v_ashrrev_i32_e32 v45, 31, v44
	v_lshlrev_b64 v[23:24], 4, v[23:24]
	v_lshlrev_b64 v[37:38], 4, v[37:38]
	v_ashrrev_i32_e32 v61, 31, v60
	v_lshlrev_b64 v[64:65], 4, v[52:53]
	v_lshlrev_b64 v[15:16], 4, v[44:45]
	global_load_dwordx4 v[44:47], v[17:18], off
	v_ashrrev_i32_e32 v63, 31, v62
	s_cmpk_lg_i32 s9, 0x84
	s_movk_i32 s6, 0x70
	s_movk_i32 s7, 0x80
	v_add_co_u32 v15, vcc_lo, s4, v15
	v_add_co_ci_u32_e64 v16, null, s5, v16, vcc_lo
	v_add_co_u32 v19, vcc_lo, s4, v19
	v_add_co_ci_u32_e64 v20, null, s5, v20, vcc_lo
	global_load_dwordx4 v[48:51], v[15:16], off
	v_add_co_u32 v21, vcc_lo, s4, v21
	v_add_co_ci_u32_e64 v22, null, s5, v22, vcc_lo
	v_add_co_u32 v23, vcc_lo, s4, v23
	v_add_co_ci_u32_e64 v24, null, s5, v24, vcc_lo
	s_movk_i32 s10, 0x90
	s_cselect_b32 s21, -1, 0
	s_cmpk_eq_i32 s9, 0x84
	s_waitcnt vmcnt(6)
	buffer_store_dword v4, off, s[0:3], 0 offset:12
	buffer_store_dword v3, off, s[0:3], 0 offset:8
	;; [unrolled: 1-line block ×3, first 2 shown]
	buffer_store_dword v1, off, s[0:3], 0
	global_load_dwordx4 v[1:4], v[19:20], off
	s_waitcnt vmcnt(6)
	buffer_store_dword v28, off, s[0:3], 0 offset:28
	buffer_store_dword v27, off, s[0:3], 0 offset:24
	;; [unrolled: 1-line block ×4, first 2 shown]
	s_waitcnt vmcnt(5)
	buffer_store_dword v32, off, s[0:3], 0 offset:44
	buffer_store_dword v31, off, s[0:3], 0 offset:40
	;; [unrolled: 1-line block ×4, first 2 shown]
	v_add_co_u32 v25, vcc_lo, s4, v37
	v_add_co_ci_u32_e64 v26, null, s5, v38, vcc_lo
	v_add_co_u32 v27, vcc_lo, s4, v64
	v_add_co_ci_u32_e64 v28, null, s5, v65, vcc_lo
	s_clause 0x1
	global_load_dwordx4 v[52:55], v[21:22], off
	global_load_dwordx4 v[56:59], v[23:24], off
	s_waitcnt vmcnt(6)
	buffer_store_dword v36, off, s[0:3], 0 offset:60
	buffer_store_dword v35, off, s[0:3], 0 offset:56
	buffer_store_dword v34, off, s[0:3], 0 offset:52
	buffer_store_dword v33, off, s[0:3], 0 offset:48
	s_waitcnt vmcnt(5)
	buffer_store_dword v43, off, s[0:3], 0 offset:76
	buffer_store_dword v42, off, s[0:3], 0 offset:72
	;; [unrolled: 1-line block ×4, first 2 shown]
	s_clause 0x1
	global_load_dwordx4 v[33:36], v[25:26], off
	global_load_dwordx4 v[40:43], v[27:28], off
	v_lshlrev_b64 v[29:30], 4, v[60:61]
	v_lshlrev_b64 v[31:32], 4, v[62:63]
	s_waitcnt vmcnt(6)
	buffer_store_dword v47, off, s[0:3], 0 offset:92
	buffer_store_dword v46, off, s[0:3], 0 offset:88
	;; [unrolled: 1-line block ×4, first 2 shown]
	v_add_co_u32 v29, vcc_lo, s4, v29
	v_add_co_ci_u32_e64 v30, null, s5, v30, vcc_lo
	v_add_co_u32 v31, vcc_lo, s4, v31
	v_add_co_ci_u32_e64 v32, null, s5, v32, vcc_lo
	global_load_dwordx4 v[44:47], v[29:30], off
	s_movk_i32 s4, 0x50
	s_movk_i32 s5, 0x60
	s_waitcnt vmcnt(5)
	buffer_store_dword v4, off, s[0:3], 0 offset:108
	buffer_store_dword v3, off, s[0:3], 0 offset:104
	;; [unrolled: 1-line block ×4, first 2 shown]
	global_load_dwordx4 v[1:4], v[31:32], off
	s_waitcnt vmcnt(5)
	buffer_store_dword v55, off, s[0:3], 0 offset:124
	buffer_store_dword v54, off, s[0:3], 0 offset:120
	buffer_store_dword v53, off, s[0:3], 0 offset:116
	buffer_store_dword v52, off, s[0:3], 0 offset:112
	s_waitcnt vmcnt(4)
	buffer_store_dword v59, off, s[0:3], 0 offset:140
	buffer_store_dword v58, off, s[0:3], 0 offset:136
	buffer_store_dword v57, off, s[0:3], 0 offset:132
	buffer_store_dword v56, off, s[0:3], 0 offset:128
	;; [unrolled: 5-line block ×6, first 2 shown]
	buffer_store_dword v51, off, s[0:3], 0 offset:220
	buffer_store_dword v50, off, s[0:3], 0 offset:216
	;; [unrolled: 1-line block ×4, first 2 shown]
	s_cbranch_scc1 .LBB13_7
; %bb.2:
	v_lshl_add_u32 v40, v0, 4, 0
                                        ; implicit-def: $vgpr35_vgpr36
                                        ; implicit-def: $vgpr3_vgpr4
	s_clause 0x3
	buffer_load_dword v33, v40, s[0:3], 0 offen
	buffer_load_dword v34, v40, s[0:3], 0 offen offset:4
	buffer_load_dword v37, v40, s[0:3], 0 offen offset:8
	;; [unrolled: 1-line block ×3, first 2 shown]
	s_waitcnt vmcnt(0)
	v_cmp_ngt_f64_e64 s9, |v[33:34]|, |v[37:38]|
	s_and_saveexec_b32 s12, s9
	s_xor_b32 s9, exec_lo, s12
	s_cbranch_execz .LBB13_4
; %bb.3:
	v_div_scale_f64 v[1:2], null, v[37:38], v[37:38], v[33:34]
	v_div_scale_f64 v[41:42], vcc_lo, v[33:34], v[37:38], v[33:34]
	v_rcp_f64_e32 v[3:4], v[1:2]
	v_fma_f64 v[35:36], -v[1:2], v[3:4], 1.0
	v_fma_f64 v[3:4], v[3:4], v[35:36], v[3:4]
	v_fma_f64 v[35:36], -v[1:2], v[3:4], 1.0
	v_fma_f64 v[3:4], v[3:4], v[35:36], v[3:4]
	v_mul_f64 v[35:36], v[41:42], v[3:4]
	v_fma_f64 v[1:2], -v[1:2], v[35:36], v[41:42]
	v_div_fmas_f64 v[1:2], v[1:2], v[3:4], v[35:36]
	v_div_fixup_f64 v[1:2], v[1:2], v[37:38], v[33:34]
	v_fma_f64 v[3:4], v[33:34], v[1:2], v[37:38]
	v_div_scale_f64 v[33:34], null, v[3:4], v[3:4], 1.0
	v_div_scale_f64 v[41:42], vcc_lo, 1.0, v[3:4], 1.0
	v_rcp_f64_e32 v[35:36], v[33:34]
	v_fma_f64 v[37:38], -v[33:34], v[35:36], 1.0
	v_fma_f64 v[35:36], v[35:36], v[37:38], v[35:36]
	v_fma_f64 v[37:38], -v[33:34], v[35:36], 1.0
	v_fma_f64 v[35:36], v[35:36], v[37:38], v[35:36]
	v_mul_f64 v[37:38], v[41:42], v[35:36]
	v_fma_f64 v[33:34], -v[33:34], v[37:38], v[41:42]
	v_div_fmas_f64 v[33:34], v[33:34], v[35:36], v[37:38]
                                        ; implicit-def: $vgpr37_vgpr38
	v_div_fixup_f64 v[3:4], v[33:34], v[3:4], 1.0
                                        ; implicit-def: $vgpr33_vgpr34
	v_mul_f64 v[35:36], v[1:2], v[3:4]
	v_xor_b32_e32 v4, 0x80000000, v4
	v_xor_b32_e32 v2, 0x80000000, v36
	v_mov_b32_e32 v1, v35
.LBB13_4:
	s_andn2_saveexec_b32 s9, s9
	s_cbranch_execz .LBB13_6
; %bb.5:
	v_div_scale_f64 v[1:2], null, v[33:34], v[33:34], v[37:38]
	v_div_scale_f64 v[41:42], vcc_lo, v[37:38], v[33:34], v[37:38]
	v_rcp_f64_e32 v[3:4], v[1:2]
	v_fma_f64 v[35:36], -v[1:2], v[3:4], 1.0
	v_fma_f64 v[3:4], v[3:4], v[35:36], v[3:4]
	v_fma_f64 v[35:36], -v[1:2], v[3:4], 1.0
	v_fma_f64 v[3:4], v[3:4], v[35:36], v[3:4]
	v_mul_f64 v[35:36], v[41:42], v[3:4]
	v_fma_f64 v[1:2], -v[1:2], v[35:36], v[41:42]
	v_div_fmas_f64 v[1:2], v[1:2], v[3:4], v[35:36]
	v_div_fixup_f64 v[1:2], v[1:2], v[33:34], v[37:38]
	v_fma_f64 v[3:4], v[37:38], v[1:2], v[33:34]
	v_div_scale_f64 v[33:34], null, v[3:4], v[3:4], 1.0
	v_rcp_f64_e32 v[35:36], v[33:34]
	v_fma_f64 v[37:38], -v[33:34], v[35:36], 1.0
	v_fma_f64 v[35:36], v[35:36], v[37:38], v[35:36]
	v_fma_f64 v[37:38], -v[33:34], v[35:36], 1.0
	v_fma_f64 v[35:36], v[35:36], v[37:38], v[35:36]
	v_div_scale_f64 v[37:38], vcc_lo, 1.0, v[3:4], 1.0
	v_mul_f64 v[41:42], v[37:38], v[35:36]
	v_fma_f64 v[33:34], -v[33:34], v[41:42], v[37:38]
	v_div_fmas_f64 v[33:34], v[33:34], v[35:36], v[41:42]
	v_div_fixup_f64 v[35:36], v[33:34], v[3:4], 1.0
	v_mul_f64 v[3:4], v[1:2], -v[35:36]
	v_xor_b32_e32 v2, 0x80000000, v36
	v_mov_b32_e32 v1, v35
.LBB13_6:
	s_or_b32 exec_lo, exec_lo, s9
	buffer_store_dword v4, v40, s[0:3], 0 offen offset:12
	v_xor_b32_e32 v4, 0x80000000, v4
	buffer_store_dword v36, v40, s[0:3], 0 offen offset:4
	buffer_store_dword v35, v40, s[0:3], 0 offen
	buffer_store_dword v3, v40, s[0:3], 0 offen offset:8
	s_branch .LBB13_8
.LBB13_7:
	v_mov_b32_e32 v1, 0
	v_mov_b32_e32 v3, 0
	;; [unrolled: 1-line block ×4, first 2 shown]
.LBB13_8:
	v_add_nc_u32_e32 v34, 0xe0, v39
	v_mov_b32_e32 v33, v39
	s_mov_b32 s20, 16
	s_mov_b32 s19, 32
	;; [unrolled: 1-line block ×12, first 2 shown]
	s_cmpk_eq_i32 s8, 0x79
	ds_write_b128 v39, v[1:4]
	s_cbranch_scc1 .LBB13_108
; %bb.9:
	v_mov_b32_e32 v4, s9
	v_cmp_eq_u32_e64 s4, 13, v0
	s_clause 0x3
	buffer_load_dword v1, v4, s[0:3], 0 offen
	buffer_load_dword v2, v4, s[0:3], 0 offen offset:4
	buffer_load_dword v3, v4, s[0:3], 0 offen offset:8
	;; [unrolled: 1-line block ×3, first 2 shown]
	s_waitcnt vmcnt(0)
	ds_write_b128 v34, v[1:4]
	s_waitcnt lgkmcnt(0)
	s_waitcnt_vscnt null, 0x0
	s_barrier
	buffer_gl0_inv
	s_and_saveexec_b32 s5, s4
	s_cbranch_execz .LBB13_13
; %bb.10:
	ds_read_b128 v[1:4], v34
	s_andn2_b32 vcc_lo, exec_lo, s21
	s_cbranch_vccnz .LBB13_12
; %bb.11:
	s_clause 0x3
	buffer_load_dword v35, v33, s[0:3], 0 offen offset:8
	buffer_load_dword v36, v33, s[0:3], 0 offen offset:12
	buffer_load_dword v37, v33, s[0:3], 0 offen
	buffer_load_dword v38, v33, s[0:3], 0 offen offset:4
	s_waitcnt vmcnt(2) lgkmcnt(0)
	v_mul_f64 v[40:41], v[3:4], v[35:36]
	v_mul_f64 v[35:36], v[1:2], v[35:36]
	s_waitcnt vmcnt(0)
	v_fma_f64 v[1:2], v[1:2], v[37:38], -v[40:41]
	v_fma_f64 v[3:4], v[3:4], v[37:38], v[35:36]
.LBB13_12:
	v_mov_b32_e32 v35, 0
	ds_read_b128 v[35:38], v35 offset:192
	s_waitcnt lgkmcnt(0)
	v_mul_f64 v[40:41], v[3:4], v[37:38]
	v_mul_f64 v[37:38], v[1:2], v[37:38]
	v_fma_f64 v[1:2], v[1:2], v[35:36], -v[40:41]
	v_fma_f64 v[3:4], v[3:4], v[35:36], v[37:38]
	buffer_store_dword v2, off, s[0:3], 0 offset:196
	buffer_store_dword v1, off, s[0:3], 0 offset:192
	buffer_store_dword v4, off, s[0:3], 0 offset:204
	buffer_store_dword v3, off, s[0:3], 0 offset:200
.LBB13_13:
	s_or_b32 exec_lo, exec_lo, s5
	v_mov_b32_e32 v4, s10
	v_cmp_lt_u32_e64 s5, 11, v0
	s_clause 0x3
	buffer_load_dword v1, v4, s[0:3], 0 offen
	buffer_load_dword v2, v4, s[0:3], 0 offen offset:4
	buffer_load_dword v3, v4, s[0:3], 0 offen offset:8
	buffer_load_dword v4, v4, s[0:3], 0 offen offset:12
	s_waitcnt vmcnt(0)
	ds_write_b128 v34, v[1:4]
	s_waitcnt lgkmcnt(0)
	s_waitcnt_vscnt null, 0x0
	s_barrier
	buffer_gl0_inv
	s_and_saveexec_b32 s6, s5
	s_cbranch_execz .LBB13_19
; %bb.14:
	ds_read_b128 v[1:4], v34
	s_andn2_b32 vcc_lo, exec_lo, s21
	s_cbranch_vccnz .LBB13_16
; %bb.15:
	s_clause 0x3
	buffer_load_dword v35, v33, s[0:3], 0 offen offset:8
	buffer_load_dword v36, v33, s[0:3], 0 offen offset:12
	buffer_load_dword v37, v33, s[0:3], 0 offen
	buffer_load_dword v38, v33, s[0:3], 0 offen offset:4
	s_waitcnt vmcnt(2) lgkmcnt(0)
	v_mul_f64 v[40:41], v[3:4], v[35:36]
	v_mul_f64 v[35:36], v[1:2], v[35:36]
	s_waitcnt vmcnt(0)
	v_fma_f64 v[1:2], v[1:2], v[37:38], -v[40:41]
	v_fma_f64 v[3:4], v[3:4], v[37:38], v[35:36]
.LBB13_16:
	s_and_saveexec_b32 s8, s4
	s_cbranch_execz .LBB13_18
; %bb.17:
	s_clause 0x3
	buffer_load_dword v40, off, s[0:3], 0 offset:200
	buffer_load_dword v41, off, s[0:3], 0 offset:204
	buffer_load_dword v42, off, s[0:3], 0 offset:192
	buffer_load_dword v43, off, s[0:3], 0 offset:196
	v_mov_b32_e32 v35, 0
	ds_read_b128 v[35:38], v35 offset:416
	s_waitcnt vmcnt(2) lgkmcnt(0)
	v_mul_f64 v[44:45], v[35:36], v[40:41]
	v_mul_f64 v[40:41], v[37:38], v[40:41]
	s_waitcnt vmcnt(0)
	v_fma_f64 v[37:38], v[37:38], v[42:43], v[44:45]
	v_fma_f64 v[35:36], v[35:36], v[42:43], -v[40:41]
	v_add_f64 v[3:4], v[3:4], v[37:38]
	v_add_f64 v[1:2], v[1:2], v[35:36]
.LBB13_18:
	s_or_b32 exec_lo, exec_lo, s8
	v_mov_b32_e32 v35, 0
	ds_read_b128 v[35:38], v35 offset:176
	s_waitcnt lgkmcnt(0)
	v_mul_f64 v[40:41], v[3:4], v[37:38]
	v_mul_f64 v[37:38], v[1:2], v[37:38]
	v_fma_f64 v[1:2], v[1:2], v[35:36], -v[40:41]
	v_fma_f64 v[3:4], v[3:4], v[35:36], v[37:38]
	buffer_store_dword v2, off, s[0:3], 0 offset:180
	buffer_store_dword v1, off, s[0:3], 0 offset:176
	;; [unrolled: 1-line block ×4, first 2 shown]
.LBB13_19:
	s_or_b32 exec_lo, exec_lo, s6
	v_mov_b32_e32 v4, s11
	v_cmp_lt_u32_e64 s4, 10, v0
	s_clause 0x3
	buffer_load_dword v1, v4, s[0:3], 0 offen
	buffer_load_dword v2, v4, s[0:3], 0 offen offset:4
	buffer_load_dword v3, v4, s[0:3], 0 offen offset:8
	;; [unrolled: 1-line block ×3, first 2 shown]
	s_waitcnt vmcnt(0)
	ds_write_b128 v34, v[1:4]
	s_waitcnt lgkmcnt(0)
	s_waitcnt_vscnt null, 0x0
	s_barrier
	buffer_gl0_inv
	s_and_saveexec_b32 s6, s4
	s_cbranch_execz .LBB13_27
; %bb.20:
	ds_read_b128 v[1:4], v34
	s_andn2_b32 vcc_lo, exec_lo, s21
	s_cbranch_vccnz .LBB13_22
; %bb.21:
	s_clause 0x3
	buffer_load_dword v35, v33, s[0:3], 0 offen offset:8
	buffer_load_dword v36, v33, s[0:3], 0 offen offset:12
	buffer_load_dword v37, v33, s[0:3], 0 offen
	buffer_load_dword v38, v33, s[0:3], 0 offen offset:4
	s_waitcnt vmcnt(2) lgkmcnt(0)
	v_mul_f64 v[40:41], v[3:4], v[35:36]
	v_mul_f64 v[35:36], v[1:2], v[35:36]
	s_waitcnt vmcnt(0)
	v_fma_f64 v[1:2], v[1:2], v[37:38], -v[40:41]
	v_fma_f64 v[3:4], v[3:4], v[37:38], v[35:36]
.LBB13_22:
	s_and_saveexec_b32 s8, s5
	s_cbranch_execz .LBB13_26
; %bb.23:
	v_add_nc_u32_e32 v35, -11, v0
	s_movk_i32 s22, 0x190
	s_mov_b32 s5, 0
	s_mov_b32 s23, s10
	.p2align	6
.LBB13_24:                              ; =>This Inner Loop Header: Depth=1
	v_mov_b32_e32 v38, s23
	v_add_nc_u32_e32 v35, -1, v35
	s_add_i32 s23, s23, 16
	s_clause 0x3
	buffer_load_dword v36, v38, s[0:3], 0 offen offset:8
	buffer_load_dword v37, v38, s[0:3], 0 offen offset:12
	buffer_load_dword v44, v38, s[0:3], 0 offen
	buffer_load_dword v45, v38, s[0:3], 0 offen offset:4
	v_mov_b32_e32 v38, s22
	v_cmp_eq_u32_e32 vcc_lo, 0, v35
	s_add_i32 s22, s22, 16
	ds_read_b128 v[40:43], v38
	s_or_b32 s5, vcc_lo, s5
	s_waitcnt vmcnt(2) lgkmcnt(0)
	v_mul_f64 v[46:47], v[42:43], v[36:37]
	v_mul_f64 v[36:37], v[40:41], v[36:37]
	s_waitcnt vmcnt(0)
	v_fma_f64 v[40:41], v[40:41], v[44:45], -v[46:47]
	v_fma_f64 v[36:37], v[42:43], v[44:45], v[36:37]
	v_add_f64 v[1:2], v[1:2], v[40:41]
	v_add_f64 v[3:4], v[3:4], v[36:37]
	s_andn2_b32 exec_lo, exec_lo, s5
	s_cbranch_execnz .LBB13_24
; %bb.25:
	s_or_b32 exec_lo, exec_lo, s5
.LBB13_26:
	s_or_b32 exec_lo, exec_lo, s8
	v_mov_b32_e32 v35, 0
	ds_read_b128 v[35:38], v35 offset:160
	s_waitcnt lgkmcnt(0)
	v_mul_f64 v[40:41], v[3:4], v[37:38]
	v_mul_f64 v[37:38], v[1:2], v[37:38]
	v_fma_f64 v[1:2], v[1:2], v[35:36], -v[40:41]
	v_fma_f64 v[3:4], v[3:4], v[35:36], v[37:38]
	buffer_store_dword v2, off, s[0:3], 0 offset:164
	buffer_store_dword v1, off, s[0:3], 0 offset:160
	;; [unrolled: 1-line block ×4, first 2 shown]
.LBB13_27:
	s_or_b32 exec_lo, exec_lo, s6
	v_mov_b32_e32 v4, s12
	v_cmp_lt_u32_e64 s5, 9, v0
	s_clause 0x3
	buffer_load_dword v1, v4, s[0:3], 0 offen
	buffer_load_dword v2, v4, s[0:3], 0 offen offset:4
	buffer_load_dword v3, v4, s[0:3], 0 offen offset:8
	;; [unrolled: 1-line block ×3, first 2 shown]
	s_waitcnt vmcnt(0)
	ds_write_b128 v34, v[1:4]
	s_waitcnt lgkmcnt(0)
	s_waitcnt_vscnt null, 0x0
	s_barrier
	buffer_gl0_inv
	s_and_saveexec_b32 s6, s5
	s_cbranch_execz .LBB13_35
; %bb.28:
	ds_read_b128 v[1:4], v34
	s_andn2_b32 vcc_lo, exec_lo, s21
	s_cbranch_vccnz .LBB13_30
; %bb.29:
	s_clause 0x3
	buffer_load_dword v35, v33, s[0:3], 0 offen offset:8
	buffer_load_dword v36, v33, s[0:3], 0 offen offset:12
	buffer_load_dword v37, v33, s[0:3], 0 offen
	buffer_load_dword v38, v33, s[0:3], 0 offen offset:4
	s_waitcnt vmcnt(2) lgkmcnt(0)
	v_mul_f64 v[40:41], v[3:4], v[35:36]
	v_mul_f64 v[35:36], v[1:2], v[35:36]
	s_waitcnt vmcnt(0)
	v_fma_f64 v[1:2], v[1:2], v[37:38], -v[40:41]
	v_fma_f64 v[3:4], v[3:4], v[37:38], v[35:36]
.LBB13_30:
	s_and_saveexec_b32 s8, s4
	s_cbranch_execz .LBB13_34
; %bb.31:
	v_add_nc_u32_e32 v35, -10, v0
	s_movk_i32 s22, 0x180
	s_mov_b32 s4, 0
	s_mov_b32 s23, s11
	.p2align	6
.LBB13_32:                              ; =>This Inner Loop Header: Depth=1
	v_mov_b32_e32 v38, s23
	v_add_nc_u32_e32 v35, -1, v35
	s_add_i32 s23, s23, 16
	s_clause 0x3
	buffer_load_dword v36, v38, s[0:3], 0 offen offset:8
	buffer_load_dword v37, v38, s[0:3], 0 offen offset:12
	buffer_load_dword v44, v38, s[0:3], 0 offen
	buffer_load_dword v45, v38, s[0:3], 0 offen offset:4
	v_mov_b32_e32 v38, s22
	v_cmp_eq_u32_e32 vcc_lo, 0, v35
	s_add_i32 s22, s22, 16
	ds_read_b128 v[40:43], v38
	s_or_b32 s4, vcc_lo, s4
	s_waitcnt vmcnt(2) lgkmcnt(0)
	v_mul_f64 v[46:47], v[42:43], v[36:37]
	v_mul_f64 v[36:37], v[40:41], v[36:37]
	s_waitcnt vmcnt(0)
	v_fma_f64 v[40:41], v[40:41], v[44:45], -v[46:47]
	v_fma_f64 v[36:37], v[42:43], v[44:45], v[36:37]
	v_add_f64 v[1:2], v[1:2], v[40:41]
	v_add_f64 v[3:4], v[3:4], v[36:37]
	s_andn2_b32 exec_lo, exec_lo, s4
	s_cbranch_execnz .LBB13_32
; %bb.33:
	s_or_b32 exec_lo, exec_lo, s4
.LBB13_34:
	s_or_b32 exec_lo, exec_lo, s8
	v_mov_b32_e32 v35, 0
	ds_read_b128 v[35:38], v35 offset:144
	s_waitcnt lgkmcnt(0)
	v_mul_f64 v[40:41], v[3:4], v[37:38]
	v_mul_f64 v[37:38], v[1:2], v[37:38]
	v_fma_f64 v[1:2], v[1:2], v[35:36], -v[40:41]
	v_fma_f64 v[3:4], v[3:4], v[35:36], v[37:38]
	buffer_store_dword v2, off, s[0:3], 0 offset:148
	buffer_store_dword v1, off, s[0:3], 0 offset:144
	;; [unrolled: 1-line block ×4, first 2 shown]
.LBB13_35:
	s_or_b32 exec_lo, exec_lo, s6
	v_mov_b32_e32 v4, s13
	v_cmp_lt_u32_e64 s4, 8, v0
	s_clause 0x3
	buffer_load_dword v1, v4, s[0:3], 0 offen
	buffer_load_dword v2, v4, s[0:3], 0 offen offset:4
	buffer_load_dword v3, v4, s[0:3], 0 offen offset:8
	;; [unrolled: 1-line block ×3, first 2 shown]
	s_waitcnt vmcnt(0)
	ds_write_b128 v34, v[1:4]
	s_waitcnt lgkmcnt(0)
	s_waitcnt_vscnt null, 0x0
	s_barrier
	buffer_gl0_inv
	s_and_saveexec_b32 s6, s4
	s_cbranch_execz .LBB13_43
; %bb.36:
	ds_read_b128 v[1:4], v34
	s_andn2_b32 vcc_lo, exec_lo, s21
	s_cbranch_vccnz .LBB13_38
; %bb.37:
	s_clause 0x3
	buffer_load_dword v35, v33, s[0:3], 0 offen offset:8
	buffer_load_dword v36, v33, s[0:3], 0 offen offset:12
	buffer_load_dword v37, v33, s[0:3], 0 offen
	buffer_load_dword v38, v33, s[0:3], 0 offen offset:4
	s_waitcnt vmcnt(2) lgkmcnt(0)
	v_mul_f64 v[40:41], v[3:4], v[35:36]
	v_mul_f64 v[35:36], v[1:2], v[35:36]
	s_waitcnt vmcnt(0)
	v_fma_f64 v[1:2], v[1:2], v[37:38], -v[40:41]
	v_fma_f64 v[3:4], v[3:4], v[37:38], v[35:36]
.LBB13_38:
	s_and_saveexec_b32 s8, s5
	s_cbranch_execz .LBB13_42
; %bb.39:
	v_add_nc_u32_e32 v35, -9, v0
	s_movk_i32 s22, 0x170
	s_mov_b32 s5, 0
	s_mov_b32 s23, s12
	.p2align	6
.LBB13_40:                              ; =>This Inner Loop Header: Depth=1
	v_mov_b32_e32 v38, s23
	v_add_nc_u32_e32 v35, -1, v35
	s_add_i32 s23, s23, 16
	s_clause 0x3
	buffer_load_dword v36, v38, s[0:3], 0 offen offset:8
	buffer_load_dword v37, v38, s[0:3], 0 offen offset:12
	buffer_load_dword v44, v38, s[0:3], 0 offen
	buffer_load_dword v45, v38, s[0:3], 0 offen offset:4
	v_mov_b32_e32 v38, s22
	v_cmp_eq_u32_e32 vcc_lo, 0, v35
	s_add_i32 s22, s22, 16
	ds_read_b128 v[40:43], v38
	s_or_b32 s5, vcc_lo, s5
	s_waitcnt vmcnt(2) lgkmcnt(0)
	v_mul_f64 v[46:47], v[42:43], v[36:37]
	v_mul_f64 v[36:37], v[40:41], v[36:37]
	s_waitcnt vmcnt(0)
	v_fma_f64 v[40:41], v[40:41], v[44:45], -v[46:47]
	v_fma_f64 v[36:37], v[42:43], v[44:45], v[36:37]
	v_add_f64 v[1:2], v[1:2], v[40:41]
	v_add_f64 v[3:4], v[3:4], v[36:37]
	s_andn2_b32 exec_lo, exec_lo, s5
	s_cbranch_execnz .LBB13_40
; %bb.41:
	s_or_b32 exec_lo, exec_lo, s5
.LBB13_42:
	s_or_b32 exec_lo, exec_lo, s8
	v_mov_b32_e32 v35, 0
	ds_read_b128 v[35:38], v35 offset:128
	s_waitcnt lgkmcnt(0)
	v_mul_f64 v[40:41], v[3:4], v[37:38]
	v_mul_f64 v[37:38], v[1:2], v[37:38]
	v_fma_f64 v[1:2], v[1:2], v[35:36], -v[40:41]
	v_fma_f64 v[3:4], v[3:4], v[35:36], v[37:38]
	buffer_store_dword v2, off, s[0:3], 0 offset:132
	buffer_store_dword v1, off, s[0:3], 0 offset:128
	;; [unrolled: 1-line block ×4, first 2 shown]
.LBB13_43:
	s_or_b32 exec_lo, exec_lo, s6
	v_mov_b32_e32 v4, s14
	v_cmp_lt_u32_e64 s5, 7, v0
	s_clause 0x3
	buffer_load_dword v1, v4, s[0:3], 0 offen
	buffer_load_dword v2, v4, s[0:3], 0 offen offset:4
	buffer_load_dword v3, v4, s[0:3], 0 offen offset:8
	;; [unrolled: 1-line block ×3, first 2 shown]
	s_waitcnt vmcnt(0)
	ds_write_b128 v34, v[1:4]
	s_waitcnt lgkmcnt(0)
	s_waitcnt_vscnt null, 0x0
	s_barrier
	buffer_gl0_inv
	s_and_saveexec_b32 s6, s5
	s_cbranch_execz .LBB13_51
; %bb.44:
	ds_read_b128 v[1:4], v34
	s_andn2_b32 vcc_lo, exec_lo, s21
	s_cbranch_vccnz .LBB13_46
; %bb.45:
	s_clause 0x3
	buffer_load_dword v35, v33, s[0:3], 0 offen offset:8
	buffer_load_dword v36, v33, s[0:3], 0 offen offset:12
	buffer_load_dword v37, v33, s[0:3], 0 offen
	buffer_load_dword v38, v33, s[0:3], 0 offen offset:4
	s_waitcnt vmcnt(2) lgkmcnt(0)
	v_mul_f64 v[40:41], v[3:4], v[35:36]
	v_mul_f64 v[35:36], v[1:2], v[35:36]
	s_waitcnt vmcnt(0)
	v_fma_f64 v[1:2], v[1:2], v[37:38], -v[40:41]
	v_fma_f64 v[3:4], v[3:4], v[37:38], v[35:36]
.LBB13_46:
	s_and_saveexec_b32 s8, s4
	s_cbranch_execz .LBB13_50
; %bb.47:
	v_add_nc_u32_e32 v35, -8, v0
	s_movk_i32 s22, 0x160
	s_mov_b32 s4, 0
	s_mov_b32 s23, s13
	.p2align	6
.LBB13_48:                              ; =>This Inner Loop Header: Depth=1
	v_mov_b32_e32 v38, s23
	v_add_nc_u32_e32 v35, -1, v35
	s_add_i32 s23, s23, 16
	s_clause 0x3
	buffer_load_dword v36, v38, s[0:3], 0 offen offset:8
	buffer_load_dword v37, v38, s[0:3], 0 offen offset:12
	buffer_load_dword v44, v38, s[0:3], 0 offen
	buffer_load_dword v45, v38, s[0:3], 0 offen offset:4
	v_mov_b32_e32 v38, s22
	v_cmp_eq_u32_e32 vcc_lo, 0, v35
	s_add_i32 s22, s22, 16
	ds_read_b128 v[40:43], v38
	s_or_b32 s4, vcc_lo, s4
	s_waitcnt vmcnt(2) lgkmcnt(0)
	v_mul_f64 v[46:47], v[42:43], v[36:37]
	v_mul_f64 v[36:37], v[40:41], v[36:37]
	s_waitcnt vmcnt(0)
	v_fma_f64 v[40:41], v[40:41], v[44:45], -v[46:47]
	v_fma_f64 v[36:37], v[42:43], v[44:45], v[36:37]
	v_add_f64 v[1:2], v[1:2], v[40:41]
	v_add_f64 v[3:4], v[3:4], v[36:37]
	s_andn2_b32 exec_lo, exec_lo, s4
	s_cbranch_execnz .LBB13_48
; %bb.49:
	s_or_b32 exec_lo, exec_lo, s4
.LBB13_50:
	s_or_b32 exec_lo, exec_lo, s8
	v_mov_b32_e32 v35, 0
	ds_read_b128 v[35:38], v35 offset:112
	s_waitcnt lgkmcnt(0)
	v_mul_f64 v[40:41], v[3:4], v[37:38]
	v_mul_f64 v[37:38], v[1:2], v[37:38]
	v_fma_f64 v[1:2], v[1:2], v[35:36], -v[40:41]
	v_fma_f64 v[3:4], v[3:4], v[35:36], v[37:38]
	buffer_store_dword v2, off, s[0:3], 0 offset:116
	buffer_store_dword v1, off, s[0:3], 0 offset:112
	;; [unrolled: 1-line block ×4, first 2 shown]
.LBB13_51:
	s_or_b32 exec_lo, exec_lo, s6
	v_mov_b32_e32 v4, s15
	v_cmp_lt_u32_e64 s4, 6, v0
	s_clause 0x3
	buffer_load_dword v1, v4, s[0:3], 0 offen
	buffer_load_dword v2, v4, s[0:3], 0 offen offset:4
	buffer_load_dword v3, v4, s[0:3], 0 offen offset:8
	;; [unrolled: 1-line block ×3, first 2 shown]
	s_waitcnt vmcnt(0)
	ds_write_b128 v34, v[1:4]
	s_waitcnt lgkmcnt(0)
	s_waitcnt_vscnt null, 0x0
	s_barrier
	buffer_gl0_inv
	s_and_saveexec_b32 s6, s4
	s_cbranch_execz .LBB13_59
; %bb.52:
	ds_read_b128 v[1:4], v34
	s_andn2_b32 vcc_lo, exec_lo, s21
	s_cbranch_vccnz .LBB13_54
; %bb.53:
	s_clause 0x3
	buffer_load_dword v35, v33, s[0:3], 0 offen offset:8
	buffer_load_dword v36, v33, s[0:3], 0 offen offset:12
	buffer_load_dword v37, v33, s[0:3], 0 offen
	buffer_load_dword v38, v33, s[0:3], 0 offen offset:4
	s_waitcnt vmcnt(2) lgkmcnt(0)
	v_mul_f64 v[40:41], v[3:4], v[35:36]
	v_mul_f64 v[35:36], v[1:2], v[35:36]
	s_waitcnt vmcnt(0)
	v_fma_f64 v[1:2], v[1:2], v[37:38], -v[40:41]
	v_fma_f64 v[3:4], v[3:4], v[37:38], v[35:36]
.LBB13_54:
	s_and_saveexec_b32 s8, s5
	s_cbranch_execz .LBB13_58
; %bb.55:
	v_add_nc_u32_e32 v35, -7, v0
	s_movk_i32 s22, 0x150
	s_mov_b32 s5, 0
	s_mov_b32 s23, s14
	.p2align	6
.LBB13_56:                              ; =>This Inner Loop Header: Depth=1
	v_mov_b32_e32 v38, s23
	v_add_nc_u32_e32 v35, -1, v35
	s_add_i32 s23, s23, 16
	s_clause 0x3
	buffer_load_dword v36, v38, s[0:3], 0 offen offset:8
	buffer_load_dword v37, v38, s[0:3], 0 offen offset:12
	buffer_load_dword v44, v38, s[0:3], 0 offen
	buffer_load_dword v45, v38, s[0:3], 0 offen offset:4
	v_mov_b32_e32 v38, s22
	v_cmp_eq_u32_e32 vcc_lo, 0, v35
	s_add_i32 s22, s22, 16
	ds_read_b128 v[40:43], v38
	s_or_b32 s5, vcc_lo, s5
	s_waitcnt vmcnt(2) lgkmcnt(0)
	v_mul_f64 v[46:47], v[42:43], v[36:37]
	v_mul_f64 v[36:37], v[40:41], v[36:37]
	s_waitcnt vmcnt(0)
	v_fma_f64 v[40:41], v[40:41], v[44:45], -v[46:47]
	v_fma_f64 v[36:37], v[42:43], v[44:45], v[36:37]
	v_add_f64 v[1:2], v[1:2], v[40:41]
	v_add_f64 v[3:4], v[3:4], v[36:37]
	s_andn2_b32 exec_lo, exec_lo, s5
	s_cbranch_execnz .LBB13_56
; %bb.57:
	s_or_b32 exec_lo, exec_lo, s5
.LBB13_58:
	s_or_b32 exec_lo, exec_lo, s8
	v_mov_b32_e32 v35, 0
	ds_read_b128 v[35:38], v35 offset:96
	s_waitcnt lgkmcnt(0)
	v_mul_f64 v[40:41], v[3:4], v[37:38]
	v_mul_f64 v[37:38], v[1:2], v[37:38]
	v_fma_f64 v[1:2], v[1:2], v[35:36], -v[40:41]
	v_fma_f64 v[3:4], v[3:4], v[35:36], v[37:38]
	buffer_store_dword v2, off, s[0:3], 0 offset:100
	buffer_store_dword v1, off, s[0:3], 0 offset:96
	;; [unrolled: 1-line block ×4, first 2 shown]
.LBB13_59:
	s_or_b32 exec_lo, exec_lo, s6
	v_mov_b32_e32 v4, s16
	v_cmp_lt_u32_e64 s5, 5, v0
	s_clause 0x3
	buffer_load_dword v1, v4, s[0:3], 0 offen
	buffer_load_dword v2, v4, s[0:3], 0 offen offset:4
	buffer_load_dword v3, v4, s[0:3], 0 offen offset:8
	;; [unrolled: 1-line block ×3, first 2 shown]
	s_waitcnt vmcnt(0)
	ds_write_b128 v34, v[1:4]
	s_waitcnt lgkmcnt(0)
	s_waitcnt_vscnt null, 0x0
	s_barrier
	buffer_gl0_inv
	s_and_saveexec_b32 s6, s5
	s_cbranch_execz .LBB13_67
; %bb.60:
	ds_read_b128 v[1:4], v34
	s_andn2_b32 vcc_lo, exec_lo, s21
	s_cbranch_vccnz .LBB13_62
; %bb.61:
	s_clause 0x3
	buffer_load_dword v35, v33, s[0:3], 0 offen offset:8
	buffer_load_dword v36, v33, s[0:3], 0 offen offset:12
	buffer_load_dword v37, v33, s[0:3], 0 offen
	buffer_load_dword v38, v33, s[0:3], 0 offen offset:4
	s_waitcnt vmcnt(2) lgkmcnt(0)
	v_mul_f64 v[40:41], v[3:4], v[35:36]
	v_mul_f64 v[35:36], v[1:2], v[35:36]
	s_waitcnt vmcnt(0)
	v_fma_f64 v[1:2], v[1:2], v[37:38], -v[40:41]
	v_fma_f64 v[3:4], v[3:4], v[37:38], v[35:36]
.LBB13_62:
	s_and_saveexec_b32 s8, s4
	s_cbranch_execz .LBB13_66
; %bb.63:
	v_add_nc_u32_e32 v35, -6, v0
	s_movk_i32 s22, 0x140
	s_mov_b32 s4, 0
	s_mov_b32 s23, s15
	.p2align	6
.LBB13_64:                              ; =>This Inner Loop Header: Depth=1
	v_mov_b32_e32 v38, s23
	v_add_nc_u32_e32 v35, -1, v35
	s_add_i32 s23, s23, 16
	s_clause 0x3
	buffer_load_dword v36, v38, s[0:3], 0 offen offset:8
	buffer_load_dword v37, v38, s[0:3], 0 offen offset:12
	buffer_load_dword v44, v38, s[0:3], 0 offen
	buffer_load_dword v45, v38, s[0:3], 0 offen offset:4
	v_mov_b32_e32 v38, s22
	v_cmp_eq_u32_e32 vcc_lo, 0, v35
	s_add_i32 s22, s22, 16
	ds_read_b128 v[40:43], v38
	s_or_b32 s4, vcc_lo, s4
	s_waitcnt vmcnt(2) lgkmcnt(0)
	v_mul_f64 v[46:47], v[42:43], v[36:37]
	v_mul_f64 v[36:37], v[40:41], v[36:37]
	s_waitcnt vmcnt(0)
	v_fma_f64 v[40:41], v[40:41], v[44:45], -v[46:47]
	v_fma_f64 v[36:37], v[42:43], v[44:45], v[36:37]
	v_add_f64 v[1:2], v[1:2], v[40:41]
	v_add_f64 v[3:4], v[3:4], v[36:37]
	s_andn2_b32 exec_lo, exec_lo, s4
	s_cbranch_execnz .LBB13_64
; %bb.65:
	s_or_b32 exec_lo, exec_lo, s4
.LBB13_66:
	s_or_b32 exec_lo, exec_lo, s8
	v_mov_b32_e32 v35, 0
	ds_read_b128 v[35:38], v35 offset:80
	s_waitcnt lgkmcnt(0)
	v_mul_f64 v[40:41], v[3:4], v[37:38]
	v_mul_f64 v[37:38], v[1:2], v[37:38]
	v_fma_f64 v[1:2], v[1:2], v[35:36], -v[40:41]
	v_fma_f64 v[3:4], v[3:4], v[35:36], v[37:38]
	buffer_store_dword v2, off, s[0:3], 0 offset:84
	buffer_store_dword v1, off, s[0:3], 0 offset:80
	;; [unrolled: 1-line block ×4, first 2 shown]
.LBB13_67:
	s_or_b32 exec_lo, exec_lo, s6
	v_mov_b32_e32 v4, s17
	v_cmp_lt_u32_e64 s4, 4, v0
	s_clause 0x3
	buffer_load_dword v1, v4, s[0:3], 0 offen
	buffer_load_dword v2, v4, s[0:3], 0 offen offset:4
	buffer_load_dword v3, v4, s[0:3], 0 offen offset:8
	;; [unrolled: 1-line block ×3, first 2 shown]
	s_waitcnt vmcnt(0)
	ds_write_b128 v34, v[1:4]
	s_waitcnt lgkmcnt(0)
	s_waitcnt_vscnt null, 0x0
	s_barrier
	buffer_gl0_inv
	s_and_saveexec_b32 s6, s4
	s_cbranch_execz .LBB13_75
; %bb.68:
	ds_read_b128 v[1:4], v34
	s_andn2_b32 vcc_lo, exec_lo, s21
	s_cbranch_vccnz .LBB13_70
; %bb.69:
	s_clause 0x3
	buffer_load_dword v35, v33, s[0:3], 0 offen offset:8
	buffer_load_dword v36, v33, s[0:3], 0 offen offset:12
	buffer_load_dword v37, v33, s[0:3], 0 offen
	buffer_load_dword v38, v33, s[0:3], 0 offen offset:4
	s_waitcnt vmcnt(2) lgkmcnt(0)
	v_mul_f64 v[40:41], v[3:4], v[35:36]
	v_mul_f64 v[35:36], v[1:2], v[35:36]
	s_waitcnt vmcnt(0)
	v_fma_f64 v[1:2], v[1:2], v[37:38], -v[40:41]
	v_fma_f64 v[3:4], v[3:4], v[37:38], v[35:36]
.LBB13_70:
	s_and_saveexec_b32 s8, s5
	s_cbranch_execz .LBB13_74
; %bb.71:
	v_add_nc_u32_e32 v35, -5, v0
	s_movk_i32 s22, 0x130
	s_mov_b32 s5, 0
	s_mov_b32 s23, s16
	.p2align	6
.LBB13_72:                              ; =>This Inner Loop Header: Depth=1
	v_mov_b32_e32 v38, s23
	v_add_nc_u32_e32 v35, -1, v35
	s_add_i32 s23, s23, 16
	s_clause 0x3
	buffer_load_dword v36, v38, s[0:3], 0 offen offset:8
	buffer_load_dword v37, v38, s[0:3], 0 offen offset:12
	buffer_load_dword v44, v38, s[0:3], 0 offen
	buffer_load_dword v45, v38, s[0:3], 0 offen offset:4
	v_mov_b32_e32 v38, s22
	v_cmp_eq_u32_e32 vcc_lo, 0, v35
	s_add_i32 s22, s22, 16
	ds_read_b128 v[40:43], v38
	s_or_b32 s5, vcc_lo, s5
	s_waitcnt vmcnt(2) lgkmcnt(0)
	v_mul_f64 v[46:47], v[42:43], v[36:37]
	v_mul_f64 v[36:37], v[40:41], v[36:37]
	s_waitcnt vmcnt(0)
	v_fma_f64 v[40:41], v[40:41], v[44:45], -v[46:47]
	v_fma_f64 v[36:37], v[42:43], v[44:45], v[36:37]
	v_add_f64 v[1:2], v[1:2], v[40:41]
	v_add_f64 v[3:4], v[3:4], v[36:37]
	s_andn2_b32 exec_lo, exec_lo, s5
	s_cbranch_execnz .LBB13_72
; %bb.73:
	s_or_b32 exec_lo, exec_lo, s5
.LBB13_74:
	s_or_b32 exec_lo, exec_lo, s8
	v_mov_b32_e32 v35, 0
	ds_read_b128 v[35:38], v35 offset:64
	s_waitcnt lgkmcnt(0)
	v_mul_f64 v[40:41], v[3:4], v[37:38]
	v_mul_f64 v[37:38], v[1:2], v[37:38]
	v_fma_f64 v[1:2], v[1:2], v[35:36], -v[40:41]
	v_fma_f64 v[3:4], v[3:4], v[35:36], v[37:38]
	buffer_store_dword v2, off, s[0:3], 0 offset:68
	buffer_store_dword v1, off, s[0:3], 0 offset:64
	;; [unrolled: 1-line block ×4, first 2 shown]
.LBB13_75:
	s_or_b32 exec_lo, exec_lo, s6
	v_mov_b32_e32 v4, s18
	v_cmp_lt_u32_e64 s5, 3, v0
	s_clause 0x3
	buffer_load_dword v1, v4, s[0:3], 0 offen
	buffer_load_dword v2, v4, s[0:3], 0 offen offset:4
	buffer_load_dword v3, v4, s[0:3], 0 offen offset:8
	;; [unrolled: 1-line block ×3, first 2 shown]
	s_waitcnt vmcnt(0)
	ds_write_b128 v34, v[1:4]
	s_waitcnt lgkmcnt(0)
	s_waitcnt_vscnt null, 0x0
	s_barrier
	buffer_gl0_inv
	s_and_saveexec_b32 s6, s5
	s_cbranch_execz .LBB13_83
; %bb.76:
	ds_read_b128 v[1:4], v34
	s_andn2_b32 vcc_lo, exec_lo, s21
	s_cbranch_vccnz .LBB13_78
; %bb.77:
	s_clause 0x3
	buffer_load_dword v35, v33, s[0:3], 0 offen offset:8
	buffer_load_dword v36, v33, s[0:3], 0 offen offset:12
	buffer_load_dword v37, v33, s[0:3], 0 offen
	buffer_load_dword v38, v33, s[0:3], 0 offen offset:4
	s_waitcnt vmcnt(2) lgkmcnt(0)
	v_mul_f64 v[40:41], v[3:4], v[35:36]
	v_mul_f64 v[35:36], v[1:2], v[35:36]
	s_waitcnt vmcnt(0)
	v_fma_f64 v[1:2], v[1:2], v[37:38], -v[40:41]
	v_fma_f64 v[3:4], v[3:4], v[37:38], v[35:36]
.LBB13_78:
	s_and_saveexec_b32 s8, s4
	s_cbranch_execz .LBB13_82
; %bb.79:
	v_add_nc_u32_e32 v35, -4, v0
	s_movk_i32 s22, 0x120
	s_mov_b32 s4, 0
	s_mov_b32 s23, s17
	.p2align	6
.LBB13_80:                              ; =>This Inner Loop Header: Depth=1
	v_mov_b32_e32 v38, s23
	v_add_nc_u32_e32 v35, -1, v35
	s_add_i32 s23, s23, 16
	s_clause 0x3
	buffer_load_dword v36, v38, s[0:3], 0 offen offset:8
	buffer_load_dword v37, v38, s[0:3], 0 offen offset:12
	buffer_load_dword v44, v38, s[0:3], 0 offen
	buffer_load_dword v45, v38, s[0:3], 0 offen offset:4
	v_mov_b32_e32 v38, s22
	v_cmp_eq_u32_e32 vcc_lo, 0, v35
	s_add_i32 s22, s22, 16
	ds_read_b128 v[40:43], v38
	s_or_b32 s4, vcc_lo, s4
	s_waitcnt vmcnt(2) lgkmcnt(0)
	v_mul_f64 v[46:47], v[42:43], v[36:37]
	v_mul_f64 v[36:37], v[40:41], v[36:37]
	s_waitcnt vmcnt(0)
	v_fma_f64 v[40:41], v[40:41], v[44:45], -v[46:47]
	v_fma_f64 v[36:37], v[42:43], v[44:45], v[36:37]
	v_add_f64 v[1:2], v[1:2], v[40:41]
	v_add_f64 v[3:4], v[3:4], v[36:37]
	s_andn2_b32 exec_lo, exec_lo, s4
	s_cbranch_execnz .LBB13_80
; %bb.81:
	s_or_b32 exec_lo, exec_lo, s4
.LBB13_82:
	s_or_b32 exec_lo, exec_lo, s8
	v_mov_b32_e32 v35, 0
	ds_read_b128 v[35:38], v35 offset:48
	s_waitcnt lgkmcnt(0)
	v_mul_f64 v[40:41], v[3:4], v[37:38]
	v_mul_f64 v[37:38], v[1:2], v[37:38]
	v_fma_f64 v[1:2], v[1:2], v[35:36], -v[40:41]
	v_fma_f64 v[3:4], v[3:4], v[35:36], v[37:38]
	buffer_store_dword v2, off, s[0:3], 0 offset:52
	buffer_store_dword v1, off, s[0:3], 0 offset:48
	;; [unrolled: 1-line block ×4, first 2 shown]
.LBB13_83:
	s_or_b32 exec_lo, exec_lo, s6
	v_mov_b32_e32 v4, s19
	v_cmp_lt_u32_e64 s6, 2, v0
	s_clause 0x3
	buffer_load_dword v1, v4, s[0:3], 0 offen
	buffer_load_dword v2, v4, s[0:3], 0 offen offset:4
	buffer_load_dword v3, v4, s[0:3], 0 offen offset:8
	;; [unrolled: 1-line block ×3, first 2 shown]
	s_waitcnt vmcnt(0)
	ds_write_b128 v34, v[1:4]
	s_waitcnt lgkmcnt(0)
	s_waitcnt_vscnt null, 0x0
	s_barrier
	buffer_gl0_inv
	s_and_saveexec_b32 s4, s6
	s_cbranch_execz .LBB13_91
; %bb.84:
	ds_read_b128 v[1:4], v34
	s_andn2_b32 vcc_lo, exec_lo, s21
	s_cbranch_vccnz .LBB13_86
; %bb.85:
	s_clause 0x3
	buffer_load_dword v35, v33, s[0:3], 0 offen offset:8
	buffer_load_dword v36, v33, s[0:3], 0 offen offset:12
	buffer_load_dword v37, v33, s[0:3], 0 offen
	buffer_load_dword v38, v33, s[0:3], 0 offen offset:4
	s_waitcnt vmcnt(2) lgkmcnt(0)
	v_mul_f64 v[40:41], v[3:4], v[35:36]
	v_mul_f64 v[35:36], v[1:2], v[35:36]
	s_waitcnt vmcnt(0)
	v_fma_f64 v[1:2], v[1:2], v[37:38], -v[40:41]
	v_fma_f64 v[3:4], v[3:4], v[37:38], v[35:36]
.LBB13_86:
	s_and_saveexec_b32 s8, s5
	s_cbranch_execz .LBB13_90
; %bb.87:
	v_add_nc_u32_e32 v35, -3, v0
	s_movk_i32 s22, 0x110
	s_mov_b32 s5, 0
	s_mov_b32 s23, s18
	.p2align	6
.LBB13_88:                              ; =>This Inner Loop Header: Depth=1
	v_mov_b32_e32 v38, s23
	v_add_nc_u32_e32 v35, -1, v35
	s_add_i32 s23, s23, 16
	s_clause 0x3
	buffer_load_dword v36, v38, s[0:3], 0 offen offset:8
	buffer_load_dword v37, v38, s[0:3], 0 offen offset:12
	buffer_load_dword v44, v38, s[0:3], 0 offen
	buffer_load_dword v45, v38, s[0:3], 0 offen offset:4
	v_mov_b32_e32 v38, s22
	v_cmp_eq_u32_e32 vcc_lo, 0, v35
	s_add_i32 s22, s22, 16
	ds_read_b128 v[40:43], v38
	s_or_b32 s5, vcc_lo, s5
	s_waitcnt vmcnt(2) lgkmcnt(0)
	v_mul_f64 v[46:47], v[42:43], v[36:37]
	v_mul_f64 v[36:37], v[40:41], v[36:37]
	s_waitcnt vmcnt(0)
	v_fma_f64 v[40:41], v[40:41], v[44:45], -v[46:47]
	v_fma_f64 v[36:37], v[42:43], v[44:45], v[36:37]
	v_add_f64 v[1:2], v[1:2], v[40:41]
	v_add_f64 v[3:4], v[3:4], v[36:37]
	s_andn2_b32 exec_lo, exec_lo, s5
	s_cbranch_execnz .LBB13_88
; %bb.89:
	s_or_b32 exec_lo, exec_lo, s5
.LBB13_90:
	s_or_b32 exec_lo, exec_lo, s8
	v_mov_b32_e32 v35, 0
	ds_read_b128 v[35:38], v35 offset:32
	s_waitcnt lgkmcnt(0)
	v_mul_f64 v[40:41], v[3:4], v[37:38]
	v_mul_f64 v[37:38], v[1:2], v[37:38]
	v_fma_f64 v[1:2], v[1:2], v[35:36], -v[40:41]
	v_fma_f64 v[3:4], v[3:4], v[35:36], v[37:38]
	buffer_store_dword v2, off, s[0:3], 0 offset:36
	buffer_store_dword v1, off, s[0:3], 0 offset:32
	;; [unrolled: 1-line block ×4, first 2 shown]
.LBB13_91:
	s_or_b32 exec_lo, exec_lo, s4
	v_mov_b32_e32 v4, s20
	v_cmp_lt_u32_e64 s4, 1, v0
	s_clause 0x3
	buffer_load_dword v1, v4, s[0:3], 0 offen
	buffer_load_dword v2, v4, s[0:3], 0 offen offset:4
	buffer_load_dword v3, v4, s[0:3], 0 offen offset:8
	;; [unrolled: 1-line block ×3, first 2 shown]
	s_waitcnt vmcnt(0)
	ds_write_b128 v34, v[1:4]
	s_waitcnt lgkmcnt(0)
	s_waitcnt_vscnt null, 0x0
	s_barrier
	buffer_gl0_inv
	s_and_saveexec_b32 s5, s4
	s_cbranch_execz .LBB13_99
; %bb.92:
	ds_read_b128 v[1:4], v34
	s_andn2_b32 vcc_lo, exec_lo, s21
	s_cbranch_vccnz .LBB13_94
; %bb.93:
	s_clause 0x3
	buffer_load_dword v35, v33, s[0:3], 0 offen offset:8
	buffer_load_dword v36, v33, s[0:3], 0 offen offset:12
	buffer_load_dword v37, v33, s[0:3], 0 offen
	buffer_load_dword v38, v33, s[0:3], 0 offen offset:4
	s_waitcnt vmcnt(2) lgkmcnt(0)
	v_mul_f64 v[40:41], v[3:4], v[35:36]
	v_mul_f64 v[35:36], v[1:2], v[35:36]
	s_waitcnt vmcnt(0)
	v_fma_f64 v[1:2], v[1:2], v[37:38], -v[40:41]
	v_fma_f64 v[3:4], v[3:4], v[37:38], v[35:36]
.LBB13_94:
	s_and_saveexec_b32 s8, s6
	s_cbranch_execz .LBB13_98
; %bb.95:
	v_add_nc_u32_e32 v35, -2, v0
	s_movk_i32 s22, 0x100
	s_mov_b32 s6, 0
	s_mov_b32 s23, s19
	.p2align	6
.LBB13_96:                              ; =>This Inner Loop Header: Depth=1
	v_mov_b32_e32 v38, s23
	v_add_nc_u32_e32 v35, -1, v35
	s_add_i32 s23, s23, 16
	s_clause 0x3
	buffer_load_dword v36, v38, s[0:3], 0 offen offset:8
	buffer_load_dword v37, v38, s[0:3], 0 offen offset:12
	buffer_load_dword v44, v38, s[0:3], 0 offen
	buffer_load_dword v45, v38, s[0:3], 0 offen offset:4
	v_mov_b32_e32 v38, s22
	v_cmp_eq_u32_e32 vcc_lo, 0, v35
	s_add_i32 s22, s22, 16
	ds_read_b128 v[40:43], v38
	s_or_b32 s6, vcc_lo, s6
	s_waitcnt vmcnt(2) lgkmcnt(0)
	v_mul_f64 v[46:47], v[42:43], v[36:37]
	v_mul_f64 v[36:37], v[40:41], v[36:37]
	s_waitcnt vmcnt(0)
	v_fma_f64 v[40:41], v[40:41], v[44:45], -v[46:47]
	v_fma_f64 v[36:37], v[42:43], v[44:45], v[36:37]
	v_add_f64 v[1:2], v[1:2], v[40:41]
	v_add_f64 v[3:4], v[3:4], v[36:37]
	s_andn2_b32 exec_lo, exec_lo, s6
	s_cbranch_execnz .LBB13_96
; %bb.97:
	s_or_b32 exec_lo, exec_lo, s6
.LBB13_98:
	s_or_b32 exec_lo, exec_lo, s8
	v_mov_b32_e32 v35, 0
	ds_read_b128 v[35:38], v35 offset:16
	s_waitcnt lgkmcnt(0)
	v_mul_f64 v[40:41], v[3:4], v[37:38]
	v_mul_f64 v[37:38], v[1:2], v[37:38]
	v_fma_f64 v[1:2], v[1:2], v[35:36], -v[40:41]
	v_fma_f64 v[3:4], v[3:4], v[35:36], v[37:38]
	buffer_store_dword v2, off, s[0:3], 0 offset:20
	buffer_store_dword v1, off, s[0:3], 0 offset:16
	;; [unrolled: 1-line block ×4, first 2 shown]
.LBB13_99:
	s_or_b32 exec_lo, exec_lo, s5
	s_clause 0x3
	buffer_load_dword v1, off, s[0:3], 0
	buffer_load_dword v2, off, s[0:3], 0 offset:4
	buffer_load_dword v3, off, s[0:3], 0 offset:8
	;; [unrolled: 1-line block ×3, first 2 shown]
	s_mov_b32 s6, 0
	s_mov_b32 s5, 0
	s_mov_b32 s8, exec_lo
                                        ; implicit-def: $sgpr22
	s_waitcnt vmcnt(0)
	ds_write_b128 v34, v[1:4]
	s_waitcnt lgkmcnt(0)
	s_waitcnt_vscnt null, 0x0
	s_barrier
	buffer_gl0_inv
                                        ; implicit-def: $vgpr1_vgpr2
	v_cmpx_ne_u32_e32 0, v0
	s_cbranch_execz .LBB13_107
; %bb.100:
	ds_read_b128 v[1:4], v34
	s_andn2_b32 vcc_lo, exec_lo, s21
	s_cbranch_vccnz .LBB13_102
; %bb.101:
	s_clause 0x3
	buffer_load_dword v35, v33, s[0:3], 0 offen offset:8
	buffer_load_dword v36, v33, s[0:3], 0 offen offset:12
	buffer_load_dword v37, v33, s[0:3], 0 offen
	buffer_load_dword v38, v33, s[0:3], 0 offen offset:4
	s_waitcnt vmcnt(2) lgkmcnt(0)
	v_mul_f64 v[40:41], v[3:4], v[35:36]
	v_mul_f64 v[35:36], v[1:2], v[35:36]
	s_waitcnt vmcnt(0)
	v_fma_f64 v[1:2], v[1:2], v[37:38], -v[40:41]
	v_fma_f64 v[3:4], v[3:4], v[37:38], v[35:36]
.LBB13_102:
	s_and_saveexec_b32 s5, s4
	s_cbranch_execz .LBB13_106
; %bb.103:
	v_add_nc_u32_e32 v35, -1, v0
	s_movk_i32 s22, 0xf0
	s_mov_b32 s4, 0
	s_mov_b32 s23, s20
	.p2align	6
.LBB13_104:                             ; =>This Inner Loop Header: Depth=1
	v_mov_b32_e32 v38, s23
	v_add_nc_u32_e32 v35, -1, v35
	s_add_i32 s23, s23, 16
	s_clause 0x3
	buffer_load_dword v36, v38, s[0:3], 0 offen offset:8
	buffer_load_dword v37, v38, s[0:3], 0 offen offset:12
	buffer_load_dword v44, v38, s[0:3], 0 offen
	buffer_load_dword v45, v38, s[0:3], 0 offen offset:4
	v_mov_b32_e32 v38, s22
	v_cmp_eq_u32_e32 vcc_lo, 0, v35
	s_add_i32 s22, s22, 16
	ds_read_b128 v[40:43], v38
	s_or_b32 s4, vcc_lo, s4
	s_waitcnt vmcnt(2) lgkmcnt(0)
	v_mul_f64 v[46:47], v[42:43], v[36:37]
	v_mul_f64 v[36:37], v[40:41], v[36:37]
	s_waitcnt vmcnt(0)
	v_fma_f64 v[40:41], v[40:41], v[44:45], -v[46:47]
	v_fma_f64 v[36:37], v[42:43], v[44:45], v[36:37]
	v_add_f64 v[1:2], v[1:2], v[40:41]
	v_add_f64 v[3:4], v[3:4], v[36:37]
	s_andn2_b32 exec_lo, exec_lo, s4
	s_cbranch_execnz .LBB13_104
; %bb.105:
	s_or_b32 exec_lo, exec_lo, s4
.LBB13_106:
	s_or_b32 exec_lo, exec_lo, s5
	v_mov_b32_e32 v35, 0
	s_mov_b32 s5, exec_lo
	s_or_b32 s22, 0, 8
	ds_read_b128 v[35:38], v35
	s_waitcnt lgkmcnt(0)
	v_mul_f64 v[40:41], v[3:4], v[37:38]
	v_mul_f64 v[37:38], v[1:2], v[37:38]
	v_fma_f64 v[40:41], v[1:2], v[35:36], -v[40:41]
	v_fma_f64 v[1:2], v[3:4], v[35:36], v[37:38]
	buffer_store_dword v41, off, s[0:3], 0 offset:4
	buffer_store_dword v40, off, s[0:3], 0
.LBB13_107:
	s_or_b32 exec_lo, exec_lo, s8
	s_and_b32 vcc_lo, exec_lo, s6
	s_cbranch_vccnz .LBB13_109
	s_branch .LBB13_208
.LBB13_108:
	s_mov_b32 s5, 0
                                        ; implicit-def: $vgpr1_vgpr2
                                        ; implicit-def: $sgpr22
	s_cbranch_execz .LBB13_208
.LBB13_109:
	v_mov_b32_e32 v4, s20
	v_cmp_eq_u32_e64 s4, 0, v0
	v_cndmask_b32_e64 v35, 0, 1, s21
	s_clause 0x3
	buffer_load_dword v1, v4, s[0:3], 0 offen
	buffer_load_dword v2, v4, s[0:3], 0 offen offset:4
	buffer_load_dword v3, v4, s[0:3], 0 offen offset:8
	;; [unrolled: 1-line block ×3, first 2 shown]
	s_waitcnt vmcnt(0)
	ds_write_b128 v34, v[1:4]
	s_waitcnt lgkmcnt(0)
	s_waitcnt_vscnt null, 0x0
	s_barrier
	buffer_gl0_inv
	s_and_saveexec_b32 s6, s4
	s_cbranch_execz .LBB13_113
; %bb.110:
	ds_read_b128 v[1:4], v34
	s_andn2_b32 vcc_lo, exec_lo, s21
	s_cbranch_vccnz .LBB13_112
; %bb.111:
	s_clause 0x3
	buffer_load_dword v36, v33, s[0:3], 0 offen offset:8
	buffer_load_dword v37, v33, s[0:3], 0 offen offset:12
	buffer_load_dword v40, v33, s[0:3], 0 offen
	buffer_load_dword v41, v33, s[0:3], 0 offen offset:4
	s_waitcnt vmcnt(2) lgkmcnt(0)
	v_mul_f64 v[42:43], v[3:4], v[36:37]
	v_mul_f64 v[36:37], v[1:2], v[36:37]
	s_waitcnt vmcnt(0)
	v_fma_f64 v[1:2], v[1:2], v[40:41], -v[42:43]
	v_fma_f64 v[3:4], v[3:4], v[40:41], v[36:37]
.LBB13_112:
	v_mov_b32_e32 v36, 0
	ds_read_b128 v[40:43], v36 offset:16
	s_waitcnt lgkmcnt(0)
	v_mul_f64 v[36:37], v[3:4], v[42:43]
	v_mul_f64 v[42:43], v[1:2], v[42:43]
	v_fma_f64 v[1:2], v[1:2], v[40:41], -v[36:37]
	v_fma_f64 v[3:4], v[3:4], v[40:41], v[42:43]
	buffer_store_dword v2, off, s[0:3], 0 offset:20
	buffer_store_dword v1, off, s[0:3], 0 offset:16
	;; [unrolled: 1-line block ×4, first 2 shown]
.LBB13_113:
	s_or_b32 exec_lo, exec_lo, s6
	v_mov_b32_e32 v4, s19
	s_mov_b32 s6, exec_lo
	s_clause 0x3
	buffer_load_dword v1, v4, s[0:3], 0 offen
	buffer_load_dword v2, v4, s[0:3], 0 offen offset:4
	buffer_load_dword v3, v4, s[0:3], 0 offen offset:8
	;; [unrolled: 1-line block ×3, first 2 shown]
	s_waitcnt vmcnt(0)
	ds_write_b128 v34, v[1:4]
	s_waitcnt lgkmcnt(0)
	s_waitcnt_vscnt null, 0x0
	s_barrier
	buffer_gl0_inv
	v_cmpx_gt_u32_e32 2, v0
	s_cbranch_execz .LBB13_119
; %bb.114:
	ds_read_b128 v[1:4], v34
	v_cmp_ne_u32_e32 vcc_lo, 1, v35
	s_cbranch_vccnz .LBB13_116
; %bb.115:
	s_clause 0x3
	buffer_load_dword v36, v33, s[0:3], 0 offen offset:8
	buffer_load_dword v37, v33, s[0:3], 0 offen offset:12
	buffer_load_dword v40, v33, s[0:3], 0 offen
	buffer_load_dword v41, v33, s[0:3], 0 offen offset:4
	s_waitcnt vmcnt(2) lgkmcnt(0)
	v_mul_f64 v[42:43], v[3:4], v[36:37]
	v_mul_f64 v[36:37], v[1:2], v[36:37]
	s_waitcnt vmcnt(0)
	v_fma_f64 v[1:2], v[1:2], v[40:41], -v[42:43]
	v_fma_f64 v[3:4], v[3:4], v[40:41], v[36:37]
.LBB13_116:
	s_and_saveexec_b32 s8, s4
	s_cbranch_execz .LBB13_118
; %bb.117:
	s_clause 0x3
	buffer_load_dword v36, off, s[0:3], 0 offset:24
	buffer_load_dword v37, off, s[0:3], 0 offset:28
	;; [unrolled: 1-line block ×4, first 2 shown]
	v_mov_b32_e32 v38, 0
	ds_read_b128 v[40:43], v38 offset:240
	s_waitcnt vmcnt(2) lgkmcnt(0)
	v_mul_f64 v[46:47], v[42:43], v[36:37]
	v_mul_f64 v[36:37], v[40:41], v[36:37]
	s_waitcnt vmcnt(0)
	v_fma_f64 v[40:41], v[40:41], v[44:45], -v[46:47]
	v_fma_f64 v[36:37], v[42:43], v[44:45], v[36:37]
	v_add_f64 v[1:2], v[1:2], v[40:41]
	v_add_f64 v[3:4], v[3:4], v[36:37]
.LBB13_118:
	s_or_b32 exec_lo, exec_lo, s8
	v_mov_b32_e32 v36, 0
	ds_read_b128 v[40:43], v36 offset:32
	s_waitcnt lgkmcnt(0)
	v_mul_f64 v[36:37], v[3:4], v[42:43]
	v_mul_f64 v[42:43], v[1:2], v[42:43]
	v_fma_f64 v[1:2], v[1:2], v[40:41], -v[36:37]
	v_fma_f64 v[3:4], v[3:4], v[40:41], v[42:43]
	buffer_store_dword v2, off, s[0:3], 0 offset:36
	buffer_store_dword v1, off, s[0:3], 0 offset:32
	;; [unrolled: 1-line block ×4, first 2 shown]
.LBB13_119:
	s_or_b32 exec_lo, exec_lo, s6
	v_mov_b32_e32 v4, s18
	s_mov_b32 s6, exec_lo
	s_clause 0x3
	buffer_load_dword v1, v4, s[0:3], 0 offen
	buffer_load_dword v2, v4, s[0:3], 0 offen offset:4
	buffer_load_dword v3, v4, s[0:3], 0 offen offset:8
	;; [unrolled: 1-line block ×3, first 2 shown]
	s_waitcnt vmcnt(0)
	ds_write_b128 v34, v[1:4]
	s_waitcnt lgkmcnt(0)
	s_waitcnt_vscnt null, 0x0
	s_barrier
	buffer_gl0_inv
	v_cmpx_gt_u32_e32 3, v0
	s_cbranch_execz .LBB13_127
; %bb.120:
	ds_read_b128 v[1:4], v34
	v_cmp_ne_u32_e32 vcc_lo, 1, v35
	s_cbranch_vccnz .LBB13_122
; %bb.121:
	s_clause 0x3
	buffer_load_dword v36, v33, s[0:3], 0 offen offset:8
	buffer_load_dword v37, v33, s[0:3], 0 offen offset:12
	buffer_load_dword v40, v33, s[0:3], 0 offen
	buffer_load_dword v41, v33, s[0:3], 0 offen offset:4
	s_waitcnt vmcnt(2) lgkmcnt(0)
	v_mul_f64 v[42:43], v[3:4], v[36:37]
	v_mul_f64 v[36:37], v[1:2], v[36:37]
	s_waitcnt vmcnt(0)
	v_fma_f64 v[1:2], v[1:2], v[40:41], -v[42:43]
	v_fma_f64 v[3:4], v[3:4], v[40:41], v[36:37]
.LBB13_122:
	s_mov_b32 s8, exec_lo
	v_cmpx_ne_u32_e32 2, v0
	s_cbranch_execz .LBB13_126
; %bb.123:
	s_clause 0x3
	buffer_load_dword v36, v33, s[0:3], 0 offen offset:24
	buffer_load_dword v37, v33, s[0:3], 0 offen offset:28
	;; [unrolled: 1-line block ×4, first 2 shown]
	ds_read_b128 v[40:43], v34 offset:16
	s_waitcnt vmcnt(2) lgkmcnt(0)
	v_mul_f64 v[46:47], v[42:43], v[36:37]
	v_mul_f64 v[36:37], v[40:41], v[36:37]
	s_waitcnt vmcnt(0)
	v_fma_f64 v[40:41], v[40:41], v[44:45], -v[46:47]
	v_fma_f64 v[36:37], v[42:43], v[44:45], v[36:37]
	v_add_f64 v[1:2], v[1:2], v[40:41]
	v_add_f64 v[3:4], v[3:4], v[36:37]
	s_and_saveexec_b32 s21, s4
	s_cbranch_execz .LBB13_125
; %bb.124:
	s_clause 0x3
	buffer_load_dword v36, off, s[0:3], 0 offset:40
	buffer_load_dword v37, off, s[0:3], 0 offset:44
	;; [unrolled: 1-line block ×4, first 2 shown]
	v_mov_b32_e32 v38, 0
	ds_read_b128 v[40:43], v38 offset:256
	s_waitcnt vmcnt(2) lgkmcnt(0)
	v_mul_f64 v[46:47], v[40:41], v[36:37]
	v_mul_f64 v[36:37], v[42:43], v[36:37]
	s_waitcnt vmcnt(0)
	v_fma_f64 v[42:43], v[42:43], v[44:45], v[46:47]
	v_fma_f64 v[36:37], v[40:41], v[44:45], -v[36:37]
	v_add_f64 v[3:4], v[3:4], v[42:43]
	v_add_f64 v[1:2], v[1:2], v[36:37]
.LBB13_125:
	s_or_b32 exec_lo, exec_lo, s21
.LBB13_126:
	s_or_b32 exec_lo, exec_lo, s8
	v_mov_b32_e32 v36, 0
	ds_read_b128 v[40:43], v36 offset:48
	s_waitcnt lgkmcnt(0)
	v_mul_f64 v[36:37], v[3:4], v[42:43]
	v_mul_f64 v[42:43], v[1:2], v[42:43]
	v_fma_f64 v[1:2], v[1:2], v[40:41], -v[36:37]
	v_fma_f64 v[3:4], v[3:4], v[40:41], v[42:43]
	buffer_store_dword v2, off, s[0:3], 0 offset:52
	buffer_store_dword v1, off, s[0:3], 0 offset:48
	buffer_store_dword v4, off, s[0:3], 0 offset:60
	buffer_store_dword v3, off, s[0:3], 0 offset:56
.LBB13_127:
	s_or_b32 exec_lo, exec_lo, s6
	v_mov_b32_e32 v4, s17
	s_mov_b32 s4, exec_lo
	s_clause 0x3
	buffer_load_dword v1, v4, s[0:3], 0 offen
	buffer_load_dword v2, v4, s[0:3], 0 offen offset:4
	buffer_load_dword v3, v4, s[0:3], 0 offen offset:8
	;; [unrolled: 1-line block ×3, first 2 shown]
	s_waitcnt vmcnt(0)
	ds_write_b128 v34, v[1:4]
	s_waitcnt lgkmcnt(0)
	s_waitcnt_vscnt null, 0x0
	s_barrier
	buffer_gl0_inv
	v_cmpx_gt_u32_e32 4, v0
	s_cbranch_execz .LBB13_135
; %bb.128:
	ds_read_b128 v[1:4], v34
	v_cmp_ne_u32_e32 vcc_lo, 1, v35
	s_cbranch_vccnz .LBB13_130
; %bb.129:
	s_clause 0x3
	buffer_load_dword v36, v33, s[0:3], 0 offen offset:8
	buffer_load_dword v37, v33, s[0:3], 0 offen offset:12
	buffer_load_dword v40, v33, s[0:3], 0 offen
	buffer_load_dword v41, v33, s[0:3], 0 offen offset:4
	s_waitcnt vmcnt(2) lgkmcnt(0)
	v_mul_f64 v[42:43], v[3:4], v[36:37]
	v_mul_f64 v[36:37], v[1:2], v[36:37]
	s_waitcnt vmcnt(0)
	v_fma_f64 v[1:2], v[1:2], v[40:41], -v[42:43]
	v_fma_f64 v[3:4], v[3:4], v[40:41], v[36:37]
.LBB13_130:
	s_mov_b32 s6, exec_lo
	v_cmpx_ne_u32_e32 3, v0
	s_cbranch_execz .LBB13_134
; %bb.131:
	v_add_nc_u32_e32 v36, 0xf0, v39
	v_add3_u32 v37, 0, v39, 16
	v_mov_b32_e32 v38, v0
	s_mov_b32 s8, 0
	.p2align	6
.LBB13_132:                             ; =>This Inner Loop Header: Depth=1
	s_clause 0x3
	buffer_load_dword v44, v37, s[0:3], 0 offen offset:8
	buffer_load_dword v45, v37, s[0:3], 0 offen offset:12
	buffer_load_dword v46, v37, s[0:3], 0 offen
	buffer_load_dword v47, v37, s[0:3], 0 offen offset:4
	ds_read_b128 v[40:43], v36
	v_add_nc_u32_e32 v38, 1, v38
	v_add_nc_u32_e32 v36, 16, v36
	;; [unrolled: 1-line block ×3, first 2 shown]
	v_cmp_lt_u32_e32 vcc_lo, 2, v38
	s_or_b32 s8, vcc_lo, s8
	s_waitcnt vmcnt(2) lgkmcnt(0)
	v_mul_f64 v[48:49], v[42:43], v[44:45]
	v_mul_f64 v[44:45], v[40:41], v[44:45]
	s_waitcnt vmcnt(0)
	v_fma_f64 v[40:41], v[40:41], v[46:47], -v[48:49]
	v_fma_f64 v[42:43], v[42:43], v[46:47], v[44:45]
	v_add_f64 v[1:2], v[1:2], v[40:41]
	v_add_f64 v[3:4], v[3:4], v[42:43]
	s_andn2_b32 exec_lo, exec_lo, s8
	s_cbranch_execnz .LBB13_132
; %bb.133:
	s_or_b32 exec_lo, exec_lo, s8
.LBB13_134:
	s_or_b32 exec_lo, exec_lo, s6
	v_mov_b32_e32 v36, 0
	ds_read_b128 v[40:43], v36 offset:64
	s_waitcnt lgkmcnt(0)
	v_mul_f64 v[36:37], v[3:4], v[42:43]
	v_mul_f64 v[42:43], v[1:2], v[42:43]
	v_fma_f64 v[1:2], v[1:2], v[40:41], -v[36:37]
	v_fma_f64 v[3:4], v[3:4], v[40:41], v[42:43]
	buffer_store_dword v2, off, s[0:3], 0 offset:68
	buffer_store_dword v1, off, s[0:3], 0 offset:64
	;; [unrolled: 1-line block ×4, first 2 shown]
.LBB13_135:
	s_or_b32 exec_lo, exec_lo, s4
	v_mov_b32_e32 v4, s16
	s_mov_b32 s4, exec_lo
	s_clause 0x3
	buffer_load_dword v1, v4, s[0:3], 0 offen
	buffer_load_dword v2, v4, s[0:3], 0 offen offset:4
	buffer_load_dword v3, v4, s[0:3], 0 offen offset:8
	;; [unrolled: 1-line block ×3, first 2 shown]
	s_waitcnt vmcnt(0)
	ds_write_b128 v34, v[1:4]
	s_waitcnt lgkmcnt(0)
	s_waitcnt_vscnt null, 0x0
	s_barrier
	buffer_gl0_inv
	v_cmpx_gt_u32_e32 5, v0
	s_cbranch_execz .LBB13_143
; %bb.136:
	ds_read_b128 v[1:4], v34
	v_cmp_ne_u32_e32 vcc_lo, 1, v35
	s_cbranch_vccnz .LBB13_138
; %bb.137:
	s_clause 0x3
	buffer_load_dword v36, v33, s[0:3], 0 offen offset:8
	buffer_load_dword v37, v33, s[0:3], 0 offen offset:12
	buffer_load_dword v40, v33, s[0:3], 0 offen
	buffer_load_dword v41, v33, s[0:3], 0 offen offset:4
	s_waitcnt vmcnt(2) lgkmcnt(0)
	v_mul_f64 v[42:43], v[3:4], v[36:37]
	v_mul_f64 v[36:37], v[1:2], v[36:37]
	s_waitcnt vmcnt(0)
	v_fma_f64 v[1:2], v[1:2], v[40:41], -v[42:43]
	v_fma_f64 v[3:4], v[3:4], v[40:41], v[36:37]
.LBB13_138:
	s_mov_b32 s6, exec_lo
	v_cmpx_ne_u32_e32 4, v0
	s_cbranch_execz .LBB13_142
; %bb.139:
	v_add_nc_u32_e32 v36, 0xf0, v39
	v_add3_u32 v37, 0, v39, 16
	v_mov_b32_e32 v38, v0
	s_mov_b32 s8, 0
	.p2align	6
.LBB13_140:                             ; =>This Inner Loop Header: Depth=1
	s_clause 0x3
	buffer_load_dword v44, v37, s[0:3], 0 offen offset:8
	buffer_load_dword v45, v37, s[0:3], 0 offen offset:12
	buffer_load_dword v46, v37, s[0:3], 0 offen
	buffer_load_dword v47, v37, s[0:3], 0 offen offset:4
	ds_read_b128 v[40:43], v36
	v_add_nc_u32_e32 v38, 1, v38
	v_add_nc_u32_e32 v36, 16, v36
	;; [unrolled: 1-line block ×3, first 2 shown]
	v_cmp_lt_u32_e32 vcc_lo, 3, v38
	s_or_b32 s8, vcc_lo, s8
	s_waitcnt vmcnt(2) lgkmcnt(0)
	v_mul_f64 v[48:49], v[42:43], v[44:45]
	v_mul_f64 v[44:45], v[40:41], v[44:45]
	s_waitcnt vmcnt(0)
	v_fma_f64 v[40:41], v[40:41], v[46:47], -v[48:49]
	v_fma_f64 v[42:43], v[42:43], v[46:47], v[44:45]
	v_add_f64 v[1:2], v[1:2], v[40:41]
	v_add_f64 v[3:4], v[3:4], v[42:43]
	s_andn2_b32 exec_lo, exec_lo, s8
	s_cbranch_execnz .LBB13_140
; %bb.141:
	s_or_b32 exec_lo, exec_lo, s8
.LBB13_142:
	s_or_b32 exec_lo, exec_lo, s6
	v_mov_b32_e32 v36, 0
	ds_read_b128 v[40:43], v36 offset:80
	s_waitcnt lgkmcnt(0)
	v_mul_f64 v[36:37], v[3:4], v[42:43]
	v_mul_f64 v[42:43], v[1:2], v[42:43]
	v_fma_f64 v[1:2], v[1:2], v[40:41], -v[36:37]
	v_fma_f64 v[3:4], v[3:4], v[40:41], v[42:43]
	buffer_store_dword v2, off, s[0:3], 0 offset:84
	buffer_store_dword v1, off, s[0:3], 0 offset:80
	;; [unrolled: 1-line block ×4, first 2 shown]
.LBB13_143:
	s_or_b32 exec_lo, exec_lo, s4
	v_mov_b32_e32 v4, s15
	s_mov_b32 s4, exec_lo
	s_clause 0x3
	buffer_load_dword v1, v4, s[0:3], 0 offen
	buffer_load_dword v2, v4, s[0:3], 0 offen offset:4
	buffer_load_dword v3, v4, s[0:3], 0 offen offset:8
	;; [unrolled: 1-line block ×3, first 2 shown]
	s_waitcnt vmcnt(0)
	ds_write_b128 v34, v[1:4]
	s_waitcnt lgkmcnt(0)
	s_waitcnt_vscnt null, 0x0
	s_barrier
	buffer_gl0_inv
	v_cmpx_gt_u32_e32 6, v0
	s_cbranch_execz .LBB13_151
; %bb.144:
	ds_read_b128 v[1:4], v34
	v_cmp_ne_u32_e32 vcc_lo, 1, v35
	s_cbranch_vccnz .LBB13_146
; %bb.145:
	s_clause 0x3
	buffer_load_dword v36, v33, s[0:3], 0 offen offset:8
	buffer_load_dword v37, v33, s[0:3], 0 offen offset:12
	buffer_load_dword v40, v33, s[0:3], 0 offen
	buffer_load_dword v41, v33, s[0:3], 0 offen offset:4
	s_waitcnt vmcnt(2) lgkmcnt(0)
	v_mul_f64 v[42:43], v[3:4], v[36:37]
	v_mul_f64 v[36:37], v[1:2], v[36:37]
	s_waitcnt vmcnt(0)
	v_fma_f64 v[1:2], v[1:2], v[40:41], -v[42:43]
	v_fma_f64 v[3:4], v[3:4], v[40:41], v[36:37]
.LBB13_146:
	s_mov_b32 s6, exec_lo
	v_cmpx_ne_u32_e32 5, v0
	s_cbranch_execz .LBB13_150
; %bb.147:
	v_add_nc_u32_e32 v36, 0xf0, v39
	v_add3_u32 v37, 0, v39, 16
	v_mov_b32_e32 v38, v0
	s_mov_b32 s8, 0
	.p2align	6
.LBB13_148:                             ; =>This Inner Loop Header: Depth=1
	s_clause 0x3
	buffer_load_dword v44, v37, s[0:3], 0 offen offset:8
	buffer_load_dword v45, v37, s[0:3], 0 offen offset:12
	buffer_load_dword v46, v37, s[0:3], 0 offen
	buffer_load_dword v47, v37, s[0:3], 0 offen offset:4
	ds_read_b128 v[40:43], v36
	v_add_nc_u32_e32 v38, 1, v38
	v_add_nc_u32_e32 v36, 16, v36
	;; [unrolled: 1-line block ×3, first 2 shown]
	v_cmp_lt_u32_e32 vcc_lo, 4, v38
	s_or_b32 s8, vcc_lo, s8
	s_waitcnt vmcnt(2) lgkmcnt(0)
	v_mul_f64 v[48:49], v[42:43], v[44:45]
	v_mul_f64 v[44:45], v[40:41], v[44:45]
	s_waitcnt vmcnt(0)
	v_fma_f64 v[40:41], v[40:41], v[46:47], -v[48:49]
	v_fma_f64 v[42:43], v[42:43], v[46:47], v[44:45]
	v_add_f64 v[1:2], v[1:2], v[40:41]
	v_add_f64 v[3:4], v[3:4], v[42:43]
	s_andn2_b32 exec_lo, exec_lo, s8
	s_cbranch_execnz .LBB13_148
; %bb.149:
	s_or_b32 exec_lo, exec_lo, s8
.LBB13_150:
	s_or_b32 exec_lo, exec_lo, s6
	v_mov_b32_e32 v36, 0
	ds_read_b128 v[40:43], v36 offset:96
	s_waitcnt lgkmcnt(0)
	v_mul_f64 v[36:37], v[3:4], v[42:43]
	v_mul_f64 v[42:43], v[1:2], v[42:43]
	v_fma_f64 v[1:2], v[1:2], v[40:41], -v[36:37]
	v_fma_f64 v[3:4], v[3:4], v[40:41], v[42:43]
	buffer_store_dword v2, off, s[0:3], 0 offset:100
	buffer_store_dword v1, off, s[0:3], 0 offset:96
	;; [unrolled: 1-line block ×4, first 2 shown]
.LBB13_151:
	s_or_b32 exec_lo, exec_lo, s4
	v_mov_b32_e32 v4, s14
	s_mov_b32 s4, exec_lo
	s_clause 0x3
	buffer_load_dword v1, v4, s[0:3], 0 offen
	buffer_load_dword v2, v4, s[0:3], 0 offen offset:4
	buffer_load_dword v3, v4, s[0:3], 0 offen offset:8
	;; [unrolled: 1-line block ×3, first 2 shown]
	s_waitcnt vmcnt(0)
	ds_write_b128 v34, v[1:4]
	s_waitcnt lgkmcnt(0)
	s_waitcnt_vscnt null, 0x0
	s_barrier
	buffer_gl0_inv
	v_cmpx_gt_u32_e32 7, v0
	s_cbranch_execz .LBB13_159
; %bb.152:
	ds_read_b128 v[1:4], v34
	v_cmp_ne_u32_e32 vcc_lo, 1, v35
	s_cbranch_vccnz .LBB13_154
; %bb.153:
	s_clause 0x3
	buffer_load_dword v36, v33, s[0:3], 0 offen offset:8
	buffer_load_dword v37, v33, s[0:3], 0 offen offset:12
	buffer_load_dword v40, v33, s[0:3], 0 offen
	buffer_load_dword v41, v33, s[0:3], 0 offen offset:4
	s_waitcnt vmcnt(2) lgkmcnt(0)
	v_mul_f64 v[42:43], v[3:4], v[36:37]
	v_mul_f64 v[36:37], v[1:2], v[36:37]
	s_waitcnt vmcnt(0)
	v_fma_f64 v[1:2], v[1:2], v[40:41], -v[42:43]
	v_fma_f64 v[3:4], v[3:4], v[40:41], v[36:37]
.LBB13_154:
	s_mov_b32 s6, exec_lo
	v_cmpx_ne_u32_e32 6, v0
	s_cbranch_execz .LBB13_158
; %bb.155:
	v_add_nc_u32_e32 v36, 0xf0, v39
	v_add3_u32 v37, 0, v39, 16
	v_mov_b32_e32 v38, v0
	s_mov_b32 s8, 0
	.p2align	6
.LBB13_156:                             ; =>This Inner Loop Header: Depth=1
	s_clause 0x3
	buffer_load_dword v44, v37, s[0:3], 0 offen offset:8
	buffer_load_dword v45, v37, s[0:3], 0 offen offset:12
	buffer_load_dword v46, v37, s[0:3], 0 offen
	buffer_load_dword v47, v37, s[0:3], 0 offen offset:4
	ds_read_b128 v[40:43], v36
	v_add_nc_u32_e32 v38, 1, v38
	v_add_nc_u32_e32 v36, 16, v36
	;; [unrolled: 1-line block ×3, first 2 shown]
	v_cmp_lt_u32_e32 vcc_lo, 5, v38
	s_or_b32 s8, vcc_lo, s8
	s_waitcnt vmcnt(2) lgkmcnt(0)
	v_mul_f64 v[48:49], v[42:43], v[44:45]
	v_mul_f64 v[44:45], v[40:41], v[44:45]
	s_waitcnt vmcnt(0)
	v_fma_f64 v[40:41], v[40:41], v[46:47], -v[48:49]
	v_fma_f64 v[42:43], v[42:43], v[46:47], v[44:45]
	v_add_f64 v[1:2], v[1:2], v[40:41]
	v_add_f64 v[3:4], v[3:4], v[42:43]
	s_andn2_b32 exec_lo, exec_lo, s8
	s_cbranch_execnz .LBB13_156
; %bb.157:
	s_or_b32 exec_lo, exec_lo, s8
.LBB13_158:
	s_or_b32 exec_lo, exec_lo, s6
	v_mov_b32_e32 v36, 0
	ds_read_b128 v[40:43], v36 offset:112
	s_waitcnt lgkmcnt(0)
	v_mul_f64 v[36:37], v[3:4], v[42:43]
	v_mul_f64 v[42:43], v[1:2], v[42:43]
	v_fma_f64 v[1:2], v[1:2], v[40:41], -v[36:37]
	v_fma_f64 v[3:4], v[3:4], v[40:41], v[42:43]
	buffer_store_dword v2, off, s[0:3], 0 offset:116
	buffer_store_dword v1, off, s[0:3], 0 offset:112
	buffer_store_dword v4, off, s[0:3], 0 offset:124
	buffer_store_dword v3, off, s[0:3], 0 offset:120
.LBB13_159:
	s_or_b32 exec_lo, exec_lo, s4
	v_mov_b32_e32 v4, s13
	s_mov_b32 s4, exec_lo
	s_clause 0x3
	buffer_load_dword v1, v4, s[0:3], 0 offen
	buffer_load_dword v2, v4, s[0:3], 0 offen offset:4
	buffer_load_dword v3, v4, s[0:3], 0 offen offset:8
	;; [unrolled: 1-line block ×3, first 2 shown]
	s_waitcnt vmcnt(0)
	ds_write_b128 v34, v[1:4]
	s_waitcnt lgkmcnt(0)
	s_waitcnt_vscnt null, 0x0
	s_barrier
	buffer_gl0_inv
	v_cmpx_gt_u32_e32 8, v0
	s_cbranch_execz .LBB13_167
; %bb.160:
	ds_read_b128 v[1:4], v34
	v_cmp_ne_u32_e32 vcc_lo, 1, v35
	s_cbranch_vccnz .LBB13_162
; %bb.161:
	s_clause 0x3
	buffer_load_dword v36, v33, s[0:3], 0 offen offset:8
	buffer_load_dword v37, v33, s[0:3], 0 offen offset:12
	buffer_load_dword v40, v33, s[0:3], 0 offen
	buffer_load_dword v41, v33, s[0:3], 0 offen offset:4
	s_waitcnt vmcnt(2) lgkmcnt(0)
	v_mul_f64 v[42:43], v[3:4], v[36:37]
	v_mul_f64 v[36:37], v[1:2], v[36:37]
	s_waitcnt vmcnt(0)
	v_fma_f64 v[1:2], v[1:2], v[40:41], -v[42:43]
	v_fma_f64 v[3:4], v[3:4], v[40:41], v[36:37]
.LBB13_162:
	s_mov_b32 s6, exec_lo
	v_cmpx_ne_u32_e32 7, v0
	s_cbranch_execz .LBB13_166
; %bb.163:
	v_add_nc_u32_e32 v36, 0xf0, v39
	v_add3_u32 v37, 0, v39, 16
	v_mov_b32_e32 v38, v0
	s_mov_b32 s8, 0
	.p2align	6
.LBB13_164:                             ; =>This Inner Loop Header: Depth=1
	s_clause 0x3
	buffer_load_dword v44, v37, s[0:3], 0 offen offset:8
	buffer_load_dword v45, v37, s[0:3], 0 offen offset:12
	buffer_load_dword v46, v37, s[0:3], 0 offen
	buffer_load_dword v47, v37, s[0:3], 0 offen offset:4
	ds_read_b128 v[40:43], v36
	v_add_nc_u32_e32 v38, 1, v38
	v_add_nc_u32_e32 v36, 16, v36
	;; [unrolled: 1-line block ×3, first 2 shown]
	v_cmp_lt_u32_e32 vcc_lo, 6, v38
	s_or_b32 s8, vcc_lo, s8
	s_waitcnt vmcnt(2) lgkmcnt(0)
	v_mul_f64 v[48:49], v[42:43], v[44:45]
	v_mul_f64 v[44:45], v[40:41], v[44:45]
	s_waitcnt vmcnt(0)
	v_fma_f64 v[40:41], v[40:41], v[46:47], -v[48:49]
	v_fma_f64 v[42:43], v[42:43], v[46:47], v[44:45]
	v_add_f64 v[1:2], v[1:2], v[40:41]
	v_add_f64 v[3:4], v[3:4], v[42:43]
	s_andn2_b32 exec_lo, exec_lo, s8
	s_cbranch_execnz .LBB13_164
; %bb.165:
	s_or_b32 exec_lo, exec_lo, s8
.LBB13_166:
	s_or_b32 exec_lo, exec_lo, s6
	v_mov_b32_e32 v36, 0
	ds_read_b128 v[40:43], v36 offset:128
	s_waitcnt lgkmcnt(0)
	v_mul_f64 v[36:37], v[3:4], v[42:43]
	v_mul_f64 v[42:43], v[1:2], v[42:43]
	v_fma_f64 v[1:2], v[1:2], v[40:41], -v[36:37]
	v_fma_f64 v[3:4], v[3:4], v[40:41], v[42:43]
	buffer_store_dword v2, off, s[0:3], 0 offset:132
	buffer_store_dword v1, off, s[0:3], 0 offset:128
	;; [unrolled: 1-line block ×4, first 2 shown]
.LBB13_167:
	s_or_b32 exec_lo, exec_lo, s4
	v_mov_b32_e32 v4, s12
	s_mov_b32 s4, exec_lo
	s_clause 0x3
	buffer_load_dword v1, v4, s[0:3], 0 offen
	buffer_load_dword v2, v4, s[0:3], 0 offen offset:4
	buffer_load_dword v3, v4, s[0:3], 0 offen offset:8
	;; [unrolled: 1-line block ×3, first 2 shown]
	s_waitcnt vmcnt(0)
	ds_write_b128 v34, v[1:4]
	s_waitcnt lgkmcnt(0)
	s_waitcnt_vscnt null, 0x0
	s_barrier
	buffer_gl0_inv
	v_cmpx_gt_u32_e32 9, v0
	s_cbranch_execz .LBB13_175
; %bb.168:
	ds_read_b128 v[1:4], v34
	v_cmp_ne_u32_e32 vcc_lo, 1, v35
	s_cbranch_vccnz .LBB13_170
; %bb.169:
	s_clause 0x3
	buffer_load_dword v36, v33, s[0:3], 0 offen offset:8
	buffer_load_dword v37, v33, s[0:3], 0 offen offset:12
	buffer_load_dword v40, v33, s[0:3], 0 offen
	buffer_load_dword v41, v33, s[0:3], 0 offen offset:4
	s_waitcnt vmcnt(2) lgkmcnt(0)
	v_mul_f64 v[42:43], v[3:4], v[36:37]
	v_mul_f64 v[36:37], v[1:2], v[36:37]
	s_waitcnt vmcnt(0)
	v_fma_f64 v[1:2], v[1:2], v[40:41], -v[42:43]
	v_fma_f64 v[3:4], v[3:4], v[40:41], v[36:37]
.LBB13_170:
	s_mov_b32 s6, exec_lo
	v_cmpx_ne_u32_e32 8, v0
	s_cbranch_execz .LBB13_174
; %bb.171:
	v_add_nc_u32_e32 v36, 0xf0, v39
	v_add3_u32 v37, 0, v39, 16
	v_mov_b32_e32 v38, v0
	s_mov_b32 s8, 0
	.p2align	6
.LBB13_172:                             ; =>This Inner Loop Header: Depth=1
	s_clause 0x3
	buffer_load_dword v44, v37, s[0:3], 0 offen offset:8
	buffer_load_dword v45, v37, s[0:3], 0 offen offset:12
	buffer_load_dword v46, v37, s[0:3], 0 offen
	buffer_load_dword v47, v37, s[0:3], 0 offen offset:4
	ds_read_b128 v[40:43], v36
	v_add_nc_u32_e32 v38, 1, v38
	v_add_nc_u32_e32 v36, 16, v36
	v_add_nc_u32_e32 v37, 16, v37
	v_cmp_lt_u32_e32 vcc_lo, 7, v38
	s_or_b32 s8, vcc_lo, s8
	s_waitcnt vmcnt(2) lgkmcnt(0)
	v_mul_f64 v[48:49], v[42:43], v[44:45]
	v_mul_f64 v[44:45], v[40:41], v[44:45]
	s_waitcnt vmcnt(0)
	v_fma_f64 v[40:41], v[40:41], v[46:47], -v[48:49]
	v_fma_f64 v[42:43], v[42:43], v[46:47], v[44:45]
	v_add_f64 v[1:2], v[1:2], v[40:41]
	v_add_f64 v[3:4], v[3:4], v[42:43]
	s_andn2_b32 exec_lo, exec_lo, s8
	s_cbranch_execnz .LBB13_172
; %bb.173:
	s_or_b32 exec_lo, exec_lo, s8
.LBB13_174:
	s_or_b32 exec_lo, exec_lo, s6
	v_mov_b32_e32 v36, 0
	ds_read_b128 v[40:43], v36 offset:144
	s_waitcnt lgkmcnt(0)
	v_mul_f64 v[36:37], v[3:4], v[42:43]
	v_mul_f64 v[42:43], v[1:2], v[42:43]
	v_fma_f64 v[1:2], v[1:2], v[40:41], -v[36:37]
	v_fma_f64 v[3:4], v[3:4], v[40:41], v[42:43]
	buffer_store_dword v2, off, s[0:3], 0 offset:148
	buffer_store_dword v1, off, s[0:3], 0 offset:144
	;; [unrolled: 1-line block ×4, first 2 shown]
.LBB13_175:
	s_or_b32 exec_lo, exec_lo, s4
	v_mov_b32_e32 v4, s11
	s_mov_b32 s4, exec_lo
	s_clause 0x3
	buffer_load_dword v1, v4, s[0:3], 0 offen
	buffer_load_dword v2, v4, s[0:3], 0 offen offset:4
	buffer_load_dword v3, v4, s[0:3], 0 offen offset:8
	;; [unrolled: 1-line block ×3, first 2 shown]
	s_waitcnt vmcnt(0)
	ds_write_b128 v34, v[1:4]
	s_waitcnt lgkmcnt(0)
	s_waitcnt_vscnt null, 0x0
	s_barrier
	buffer_gl0_inv
	v_cmpx_gt_u32_e32 10, v0
	s_cbranch_execz .LBB13_183
; %bb.176:
	ds_read_b128 v[1:4], v34
	v_cmp_ne_u32_e32 vcc_lo, 1, v35
	s_cbranch_vccnz .LBB13_178
; %bb.177:
	s_clause 0x3
	buffer_load_dword v36, v33, s[0:3], 0 offen offset:8
	buffer_load_dword v37, v33, s[0:3], 0 offen offset:12
	buffer_load_dword v40, v33, s[0:3], 0 offen
	buffer_load_dword v41, v33, s[0:3], 0 offen offset:4
	s_waitcnt vmcnt(2) lgkmcnt(0)
	v_mul_f64 v[42:43], v[3:4], v[36:37]
	v_mul_f64 v[36:37], v[1:2], v[36:37]
	s_waitcnt vmcnt(0)
	v_fma_f64 v[1:2], v[1:2], v[40:41], -v[42:43]
	v_fma_f64 v[3:4], v[3:4], v[40:41], v[36:37]
.LBB13_178:
	s_mov_b32 s6, exec_lo
	v_cmpx_ne_u32_e32 9, v0
	s_cbranch_execz .LBB13_182
; %bb.179:
	v_add_nc_u32_e32 v36, 0xf0, v39
	v_add3_u32 v37, 0, v39, 16
	v_mov_b32_e32 v38, v0
	s_mov_b32 s8, 0
	.p2align	6
.LBB13_180:                             ; =>This Inner Loop Header: Depth=1
	s_clause 0x3
	buffer_load_dword v44, v37, s[0:3], 0 offen offset:8
	buffer_load_dword v45, v37, s[0:3], 0 offen offset:12
	buffer_load_dword v46, v37, s[0:3], 0 offen
	buffer_load_dword v47, v37, s[0:3], 0 offen offset:4
	ds_read_b128 v[40:43], v36
	v_add_nc_u32_e32 v38, 1, v38
	v_add_nc_u32_e32 v36, 16, v36
	;; [unrolled: 1-line block ×3, first 2 shown]
	v_cmp_lt_u32_e32 vcc_lo, 8, v38
	s_or_b32 s8, vcc_lo, s8
	s_waitcnt vmcnt(2) lgkmcnt(0)
	v_mul_f64 v[48:49], v[42:43], v[44:45]
	v_mul_f64 v[44:45], v[40:41], v[44:45]
	s_waitcnt vmcnt(0)
	v_fma_f64 v[40:41], v[40:41], v[46:47], -v[48:49]
	v_fma_f64 v[42:43], v[42:43], v[46:47], v[44:45]
	v_add_f64 v[1:2], v[1:2], v[40:41]
	v_add_f64 v[3:4], v[3:4], v[42:43]
	s_andn2_b32 exec_lo, exec_lo, s8
	s_cbranch_execnz .LBB13_180
; %bb.181:
	s_or_b32 exec_lo, exec_lo, s8
.LBB13_182:
	s_or_b32 exec_lo, exec_lo, s6
	v_mov_b32_e32 v36, 0
	ds_read_b128 v[40:43], v36 offset:160
	s_waitcnt lgkmcnt(0)
	v_mul_f64 v[36:37], v[3:4], v[42:43]
	v_mul_f64 v[42:43], v[1:2], v[42:43]
	v_fma_f64 v[1:2], v[1:2], v[40:41], -v[36:37]
	v_fma_f64 v[3:4], v[3:4], v[40:41], v[42:43]
	buffer_store_dword v2, off, s[0:3], 0 offset:164
	buffer_store_dword v1, off, s[0:3], 0 offset:160
	buffer_store_dword v4, off, s[0:3], 0 offset:172
	buffer_store_dword v3, off, s[0:3], 0 offset:168
.LBB13_183:
	s_or_b32 exec_lo, exec_lo, s4
	v_mov_b32_e32 v4, s10
	s_mov_b32 s4, exec_lo
	s_clause 0x3
	buffer_load_dword v1, v4, s[0:3], 0 offen
	buffer_load_dword v2, v4, s[0:3], 0 offen offset:4
	buffer_load_dword v3, v4, s[0:3], 0 offen offset:8
	;; [unrolled: 1-line block ×3, first 2 shown]
	s_waitcnt vmcnt(0)
	ds_write_b128 v34, v[1:4]
	s_waitcnt lgkmcnt(0)
	s_waitcnt_vscnt null, 0x0
	s_barrier
	buffer_gl0_inv
	v_cmpx_gt_u32_e32 11, v0
	s_cbranch_execz .LBB13_191
; %bb.184:
	ds_read_b128 v[1:4], v34
	v_cmp_ne_u32_e32 vcc_lo, 1, v35
	s_cbranch_vccnz .LBB13_186
; %bb.185:
	s_clause 0x3
	buffer_load_dword v36, v33, s[0:3], 0 offen offset:8
	buffer_load_dword v37, v33, s[0:3], 0 offen offset:12
	buffer_load_dword v40, v33, s[0:3], 0 offen
	buffer_load_dword v41, v33, s[0:3], 0 offen offset:4
	s_waitcnt vmcnt(2) lgkmcnt(0)
	v_mul_f64 v[42:43], v[3:4], v[36:37]
	v_mul_f64 v[36:37], v[1:2], v[36:37]
	s_waitcnt vmcnt(0)
	v_fma_f64 v[1:2], v[1:2], v[40:41], -v[42:43]
	v_fma_f64 v[3:4], v[3:4], v[40:41], v[36:37]
.LBB13_186:
	s_mov_b32 s6, exec_lo
	v_cmpx_ne_u32_e32 10, v0
	s_cbranch_execz .LBB13_190
; %bb.187:
	v_add_nc_u32_e32 v36, 0xf0, v39
	v_add3_u32 v37, 0, v39, 16
	v_mov_b32_e32 v38, v0
	s_mov_b32 s8, 0
	.p2align	6
.LBB13_188:                             ; =>This Inner Loop Header: Depth=1
	s_clause 0x3
	buffer_load_dword v44, v37, s[0:3], 0 offen offset:8
	buffer_load_dword v45, v37, s[0:3], 0 offen offset:12
	buffer_load_dword v46, v37, s[0:3], 0 offen
	buffer_load_dword v47, v37, s[0:3], 0 offen offset:4
	ds_read_b128 v[40:43], v36
	v_add_nc_u32_e32 v38, 1, v38
	v_add_nc_u32_e32 v36, 16, v36
	;; [unrolled: 1-line block ×3, first 2 shown]
	v_cmp_lt_u32_e32 vcc_lo, 9, v38
	s_or_b32 s8, vcc_lo, s8
	s_waitcnt vmcnt(2) lgkmcnt(0)
	v_mul_f64 v[48:49], v[42:43], v[44:45]
	v_mul_f64 v[44:45], v[40:41], v[44:45]
	s_waitcnt vmcnt(0)
	v_fma_f64 v[40:41], v[40:41], v[46:47], -v[48:49]
	v_fma_f64 v[42:43], v[42:43], v[46:47], v[44:45]
	v_add_f64 v[1:2], v[1:2], v[40:41]
	v_add_f64 v[3:4], v[3:4], v[42:43]
	s_andn2_b32 exec_lo, exec_lo, s8
	s_cbranch_execnz .LBB13_188
; %bb.189:
	s_or_b32 exec_lo, exec_lo, s8
.LBB13_190:
	s_or_b32 exec_lo, exec_lo, s6
	v_mov_b32_e32 v36, 0
	ds_read_b128 v[40:43], v36 offset:176
	s_waitcnt lgkmcnt(0)
	v_mul_f64 v[36:37], v[3:4], v[42:43]
	v_mul_f64 v[42:43], v[1:2], v[42:43]
	v_fma_f64 v[1:2], v[1:2], v[40:41], -v[36:37]
	v_fma_f64 v[3:4], v[3:4], v[40:41], v[42:43]
	buffer_store_dword v2, off, s[0:3], 0 offset:180
	buffer_store_dword v1, off, s[0:3], 0 offset:176
	;; [unrolled: 1-line block ×4, first 2 shown]
.LBB13_191:
	s_or_b32 exec_lo, exec_lo, s4
	v_mov_b32_e32 v4, s9
	v_cmp_gt_u32_e64 s4, 12, v0
	s_clause 0x3
	buffer_load_dword v1, v4, s[0:3], 0 offen
	buffer_load_dword v2, v4, s[0:3], 0 offen offset:4
	buffer_load_dword v3, v4, s[0:3], 0 offen offset:8
	;; [unrolled: 1-line block ×3, first 2 shown]
	s_waitcnt vmcnt(0)
	ds_write_b128 v34, v[1:4]
	s_waitcnt lgkmcnt(0)
	s_waitcnt_vscnt null, 0x0
	s_barrier
	buffer_gl0_inv
	s_and_saveexec_b32 s6, s4
	s_cbranch_execz .LBB13_199
; %bb.192:
	ds_read_b128 v[1:4], v34
	v_cmp_ne_u32_e32 vcc_lo, 1, v35
	s_cbranch_vccnz .LBB13_194
; %bb.193:
	s_clause 0x3
	buffer_load_dword v36, v33, s[0:3], 0 offen offset:8
	buffer_load_dword v37, v33, s[0:3], 0 offen offset:12
	buffer_load_dword v40, v33, s[0:3], 0 offen
	buffer_load_dword v41, v33, s[0:3], 0 offen offset:4
	s_waitcnt vmcnt(2) lgkmcnt(0)
	v_mul_f64 v[42:43], v[3:4], v[36:37]
	v_mul_f64 v[36:37], v[1:2], v[36:37]
	s_waitcnt vmcnt(0)
	v_fma_f64 v[1:2], v[1:2], v[40:41], -v[42:43]
	v_fma_f64 v[3:4], v[3:4], v[40:41], v[36:37]
.LBB13_194:
	s_mov_b32 s8, exec_lo
	v_cmpx_ne_u32_e32 11, v0
	s_cbranch_execz .LBB13_198
; %bb.195:
	v_add_nc_u32_e32 v36, 0xf0, v39
	v_add3_u32 v37, 0, v39, 16
	v_mov_b32_e32 v38, v0
	s_mov_b32 s21, 0
	.p2align	6
.LBB13_196:                             ; =>This Inner Loop Header: Depth=1
	s_clause 0x3
	buffer_load_dword v44, v37, s[0:3], 0 offen offset:8
	buffer_load_dword v45, v37, s[0:3], 0 offen offset:12
	buffer_load_dword v46, v37, s[0:3], 0 offen
	buffer_load_dword v47, v37, s[0:3], 0 offen offset:4
	ds_read_b128 v[40:43], v36
	v_add_nc_u32_e32 v38, 1, v38
	v_add_nc_u32_e32 v36, 16, v36
	;; [unrolled: 1-line block ×3, first 2 shown]
	v_cmp_lt_u32_e32 vcc_lo, 10, v38
	s_or_b32 s21, vcc_lo, s21
	s_waitcnt vmcnt(2) lgkmcnt(0)
	v_mul_f64 v[48:49], v[42:43], v[44:45]
	v_mul_f64 v[44:45], v[40:41], v[44:45]
	s_waitcnt vmcnt(0)
	v_fma_f64 v[40:41], v[40:41], v[46:47], -v[48:49]
	v_fma_f64 v[42:43], v[42:43], v[46:47], v[44:45]
	v_add_f64 v[1:2], v[1:2], v[40:41]
	v_add_f64 v[3:4], v[3:4], v[42:43]
	s_andn2_b32 exec_lo, exec_lo, s21
	s_cbranch_execnz .LBB13_196
; %bb.197:
	s_or_b32 exec_lo, exec_lo, s21
.LBB13_198:
	s_or_b32 exec_lo, exec_lo, s8
	v_mov_b32_e32 v36, 0
	ds_read_b128 v[40:43], v36 offset:192
	s_waitcnt lgkmcnt(0)
	v_mul_f64 v[36:37], v[3:4], v[42:43]
	v_mul_f64 v[42:43], v[1:2], v[42:43]
	v_fma_f64 v[1:2], v[1:2], v[40:41], -v[36:37]
	v_fma_f64 v[3:4], v[3:4], v[40:41], v[42:43]
	buffer_store_dword v2, off, s[0:3], 0 offset:196
	buffer_store_dword v1, off, s[0:3], 0 offset:192
	;; [unrolled: 1-line block ×4, first 2 shown]
.LBB13_199:
	s_or_b32 exec_lo, exec_lo, s6
	v_mov_b32_e32 v4, s7
	s_mov_b32 s6, exec_lo
                                        ; implicit-def: $sgpr22
	s_clause 0x3
	buffer_load_dword v1, v4, s[0:3], 0 offen
	buffer_load_dword v2, v4, s[0:3], 0 offen offset:4
	buffer_load_dword v3, v4, s[0:3], 0 offen offset:8
	;; [unrolled: 1-line block ×3, first 2 shown]
	s_waitcnt vmcnt(0)
	ds_write_b128 v34, v[1:4]
	s_waitcnt lgkmcnt(0)
	s_waitcnt_vscnt null, 0x0
	s_barrier
	buffer_gl0_inv
                                        ; implicit-def: $vgpr1_vgpr2
	v_cmpx_ne_u32_e32 13, v0
	s_cbranch_execz .LBB13_207
; %bb.200:
	ds_read_b128 v[1:4], v34
	v_cmp_ne_u32_e32 vcc_lo, 1, v35
	s_cbranch_vccnz .LBB13_202
; %bb.201:
	s_clause 0x3
	buffer_load_dword v34, v33, s[0:3], 0 offen offset:8
	buffer_load_dword v35, v33, s[0:3], 0 offen offset:12
	buffer_load_dword v36, v33, s[0:3], 0 offen
	buffer_load_dword v37, v33, s[0:3], 0 offen offset:4
	s_waitcnt vmcnt(2) lgkmcnt(0)
	v_mul_f64 v[40:41], v[3:4], v[34:35]
	v_mul_f64 v[33:34], v[1:2], v[34:35]
	s_waitcnt vmcnt(0)
	v_fma_f64 v[1:2], v[1:2], v[36:37], -v[40:41]
	v_fma_f64 v[3:4], v[3:4], v[36:37], v[33:34]
.LBB13_202:
	s_and_saveexec_b32 s8, s4
	s_cbranch_execz .LBB13_206
; %bb.203:
	v_add_nc_u32_e32 v33, 0xf0, v39
	v_add3_u32 v34, 0, v39, 16
	s_mov_b32 s4, 0
	.p2align	6
.LBB13_204:                             ; =>This Inner Loop Header: Depth=1
	s_clause 0x3
	buffer_load_dword v39, v34, s[0:3], 0 offen offset:8
	buffer_load_dword v40, v34, s[0:3], 0 offen offset:12
	buffer_load_dword v41, v34, s[0:3], 0 offen
	buffer_load_dword v42, v34, s[0:3], 0 offen offset:4
	ds_read_b128 v[35:38], v33
	v_add_nc_u32_e32 v0, 1, v0
	v_add_nc_u32_e32 v33, 16, v33
	;; [unrolled: 1-line block ×3, first 2 shown]
	v_cmp_lt_u32_e32 vcc_lo, 11, v0
	s_or_b32 s4, vcc_lo, s4
	s_waitcnt vmcnt(2) lgkmcnt(0)
	v_mul_f64 v[43:44], v[37:38], v[39:40]
	v_mul_f64 v[39:40], v[35:36], v[39:40]
	s_waitcnt vmcnt(0)
	v_fma_f64 v[35:36], v[35:36], v[41:42], -v[43:44]
	v_fma_f64 v[37:38], v[37:38], v[41:42], v[39:40]
	v_add_f64 v[1:2], v[1:2], v[35:36]
	v_add_f64 v[3:4], v[3:4], v[37:38]
	s_andn2_b32 exec_lo, exec_lo, s4
	s_cbranch_execnz .LBB13_204
; %bb.205:
	s_or_b32 exec_lo, exec_lo, s4
.LBB13_206:
	s_or_b32 exec_lo, exec_lo, s8
	v_mov_b32_e32 v0, 0
	s_movk_i32 s22, 0xd8
	s_or_b32 s5, s5, exec_lo
	ds_read_b128 v[33:36], v0 offset:208
	s_waitcnt lgkmcnt(0)
	v_mul_f64 v[37:38], v[3:4], v[35:36]
	v_mul_f64 v[35:36], v[1:2], v[35:36]
	v_fma_f64 v[37:38], v[1:2], v[33:34], -v[37:38]
	v_fma_f64 v[1:2], v[3:4], v[33:34], v[35:36]
	buffer_store_dword v38, off, s[0:3], 0 offset:212
	buffer_store_dword v37, off, s[0:3], 0 offset:208
.LBB13_207:
	s_or_b32 exec_lo, exec_lo, s6
.LBB13_208:
	s_and_saveexec_b32 s4, s5
	s_cbranch_execz .LBB13_210
; %bb.209:
	v_mov_b32_e32 v0, s22
	buffer_store_dword v2, v0, s[0:3], 0 offen offset:4
	buffer_store_dword v1, v0, s[0:3], 0 offen
.LBB13_210:
	s_or_b32 exec_lo, exec_lo, s4
	v_mov_b32_e32 v4, s20
	s_clause 0x3
	buffer_load_dword v0, off, s[0:3], 0
	buffer_load_dword v1, off, s[0:3], 0 offset:4
	buffer_load_dword v2, off, s[0:3], 0 offset:8
	;; [unrolled: 1-line block ×3, first 2 shown]
	v_mov_b32_e32 v53, s15
	v_mov_b32_e32 v57, s13
	;; [unrolled: 1-line block ×3, first 2 shown]
	s_clause 0x3
	buffer_load_dword v33, v4, s[0:3], 0 offen
	buffer_load_dword v34, v4, s[0:3], 0 offen offset:4
	buffer_load_dword v35, v4, s[0:3], 0 offen offset:8
	;; [unrolled: 1-line block ×3, first 2 shown]
	v_mov_b32_e32 v4, s19
	v_mov_b32_e32 v52, s16
	;; [unrolled: 1-line block ×4, first 2 shown]
	s_clause 0x3
	buffer_load_dword v37, v4, s[0:3], 0 offen
	buffer_load_dword v38, v4, s[0:3], 0 offen offset:4
	buffer_load_dword v39, v4, s[0:3], 0 offen offset:8
	;; [unrolled: 1-line block ×3, first 2 shown]
	v_mov_b32_e32 v4, s18
	v_mov_b32_e32 v58, s12
	;; [unrolled: 1-line block ×3, first 2 shown]
	s_clause 0x3
	buffer_load_dword v41, v4, s[0:3], 0 offen
	buffer_load_dword v42, v4, s[0:3], 0 offen offset:4
	buffer_load_dword v43, v4, s[0:3], 0 offen offset:8
	;; [unrolled: 1-line block ×3, first 2 shown]
	v_mov_b32_e32 v4, s17
	v_mov_b32_e32 v62, s7
	s_clause 0x7
	buffer_load_dword v45, v4, s[0:3], 0 offen
	buffer_load_dword v46, v4, s[0:3], 0 offen offset:4
	buffer_load_dword v47, v4, s[0:3], 0 offen offset:8
	buffer_load_dword v48, v4, s[0:3], 0 offen offset:12
	buffer_load_dword v49, v52, s[0:3], 0 offen
	buffer_load_dword v50, v52, s[0:3], 0 offen offset:4
	buffer_load_dword v51, v52, s[0:3], 0 offen offset:8
	buffer_load_dword v52, v52, s[0:3], 0 offen offset:12
	s_waitcnt vmcnt(20)
	global_store_dwordx4 v[5:6], v[0:3], off
	s_clause 0x7
	buffer_load_dword v0, v53, s[0:3], 0 offen
	buffer_load_dword v1, v53, s[0:3], 0 offen offset:4
	buffer_load_dword v2, v53, s[0:3], 0 offen offset:8
	buffer_load_dword v3, v53, s[0:3], 0 offen offset:12
	buffer_load_dword v53, v56, s[0:3], 0 offen
	buffer_load_dword v54, v56, s[0:3], 0 offen offset:4
	buffer_load_dword v55, v56, s[0:3], 0 offen offset:8
	buffer_load_dword v56, v56, s[0:3], 0 offen offset:12
	s_waitcnt vmcnt(24)
	global_store_dwordx4 v[7:8], v[33:36], off
	;; [unrolled: 11-line block ×5, first 2 shown]
	s_waitcnt vmcnt(32)
	global_store_dwordx4 v[17:18], v[49:52], off
	s_waitcnt vmcnt(28)
	global_store_dwordx4 v[19:20], v[0:3], off
	;; [unrolled: 2-line block ×9, first 2 shown]
.LBB13_211:
	s_endpgm
	.section	.rodata,"a",@progbits
	.p2align	6, 0x0
	.amdhsa_kernel _ZN9rocsolver6v33100L18trti2_kernel_smallILi14E19rocblas_complex_numIdEPS3_EEv13rocblas_fill_17rocblas_diagonal_T1_iil
		.amdhsa_group_segment_fixed_size 448
		.amdhsa_private_segment_fixed_size 240
		.amdhsa_kernarg_size 32
		.amdhsa_user_sgpr_count 6
		.amdhsa_user_sgpr_private_segment_buffer 1
		.amdhsa_user_sgpr_dispatch_ptr 0
		.amdhsa_user_sgpr_queue_ptr 0
		.amdhsa_user_sgpr_kernarg_segment_ptr 1
		.amdhsa_user_sgpr_dispatch_id 0
		.amdhsa_user_sgpr_flat_scratch_init 0
		.amdhsa_user_sgpr_private_segment_size 0
		.amdhsa_wavefront_size32 1
		.amdhsa_uses_dynamic_stack 0
		.amdhsa_system_sgpr_private_segment_wavefront_offset 1
		.amdhsa_system_sgpr_workgroup_id_x 1
		.amdhsa_system_sgpr_workgroup_id_y 0
		.amdhsa_system_sgpr_workgroup_id_z 0
		.amdhsa_system_sgpr_workgroup_info 0
		.amdhsa_system_vgpr_workitem_id 0
		.amdhsa_next_free_vgpr 66
		.amdhsa_next_free_sgpr 25
		.amdhsa_reserve_vcc 1
		.amdhsa_reserve_flat_scratch 0
		.amdhsa_float_round_mode_32 0
		.amdhsa_float_round_mode_16_64 0
		.amdhsa_float_denorm_mode_32 3
		.amdhsa_float_denorm_mode_16_64 3
		.amdhsa_dx10_clamp 1
		.amdhsa_ieee_mode 1
		.amdhsa_fp16_overflow 0
		.amdhsa_workgroup_processor_mode 1
		.amdhsa_memory_ordered 1
		.amdhsa_forward_progress 1
		.amdhsa_shared_vgpr_count 0
		.amdhsa_exception_fp_ieee_invalid_op 0
		.amdhsa_exception_fp_denorm_src 0
		.amdhsa_exception_fp_ieee_div_zero 0
		.amdhsa_exception_fp_ieee_overflow 0
		.amdhsa_exception_fp_ieee_underflow 0
		.amdhsa_exception_fp_ieee_inexact 0
		.amdhsa_exception_int_div_zero 0
	.end_amdhsa_kernel
	.section	.text._ZN9rocsolver6v33100L18trti2_kernel_smallILi14E19rocblas_complex_numIdEPS3_EEv13rocblas_fill_17rocblas_diagonal_T1_iil,"axG",@progbits,_ZN9rocsolver6v33100L18trti2_kernel_smallILi14E19rocblas_complex_numIdEPS3_EEv13rocblas_fill_17rocblas_diagonal_T1_iil,comdat
.Lfunc_end13:
	.size	_ZN9rocsolver6v33100L18trti2_kernel_smallILi14E19rocblas_complex_numIdEPS3_EEv13rocblas_fill_17rocblas_diagonal_T1_iil, .Lfunc_end13-_ZN9rocsolver6v33100L18trti2_kernel_smallILi14E19rocblas_complex_numIdEPS3_EEv13rocblas_fill_17rocblas_diagonal_T1_iil
                                        ; -- End function
	.set _ZN9rocsolver6v33100L18trti2_kernel_smallILi14E19rocblas_complex_numIdEPS3_EEv13rocblas_fill_17rocblas_diagonal_T1_iil.num_vgpr, 66
	.set _ZN9rocsolver6v33100L18trti2_kernel_smallILi14E19rocblas_complex_numIdEPS3_EEv13rocblas_fill_17rocblas_diagonal_T1_iil.num_agpr, 0
	.set _ZN9rocsolver6v33100L18trti2_kernel_smallILi14E19rocblas_complex_numIdEPS3_EEv13rocblas_fill_17rocblas_diagonal_T1_iil.numbered_sgpr, 25
	.set _ZN9rocsolver6v33100L18trti2_kernel_smallILi14E19rocblas_complex_numIdEPS3_EEv13rocblas_fill_17rocblas_diagonal_T1_iil.num_named_barrier, 0
	.set _ZN9rocsolver6v33100L18trti2_kernel_smallILi14E19rocblas_complex_numIdEPS3_EEv13rocblas_fill_17rocblas_diagonal_T1_iil.private_seg_size, 240
	.set _ZN9rocsolver6v33100L18trti2_kernel_smallILi14E19rocblas_complex_numIdEPS3_EEv13rocblas_fill_17rocblas_diagonal_T1_iil.uses_vcc, 1
	.set _ZN9rocsolver6v33100L18trti2_kernel_smallILi14E19rocblas_complex_numIdEPS3_EEv13rocblas_fill_17rocblas_diagonal_T1_iil.uses_flat_scratch, 0
	.set _ZN9rocsolver6v33100L18trti2_kernel_smallILi14E19rocblas_complex_numIdEPS3_EEv13rocblas_fill_17rocblas_diagonal_T1_iil.has_dyn_sized_stack, 0
	.set _ZN9rocsolver6v33100L18trti2_kernel_smallILi14E19rocblas_complex_numIdEPS3_EEv13rocblas_fill_17rocblas_diagonal_T1_iil.has_recursion, 0
	.set _ZN9rocsolver6v33100L18trti2_kernel_smallILi14E19rocblas_complex_numIdEPS3_EEv13rocblas_fill_17rocblas_diagonal_T1_iil.has_indirect_call, 0
	.section	.AMDGPU.csdata,"",@progbits
; Kernel info:
; codeLenInByte = 13752
; TotalNumSgprs: 27
; NumVgprs: 66
; ScratchSize: 240
; MemoryBound: 0
; FloatMode: 240
; IeeeMode: 1
; LDSByteSize: 448 bytes/workgroup (compile time only)
; SGPRBlocks: 0
; VGPRBlocks: 8
; NumSGPRsForWavesPerEU: 27
; NumVGPRsForWavesPerEU: 66
; Occupancy: 12
; WaveLimiterHint : 0
; COMPUTE_PGM_RSRC2:SCRATCH_EN: 1
; COMPUTE_PGM_RSRC2:USER_SGPR: 6
; COMPUTE_PGM_RSRC2:TRAP_HANDLER: 0
; COMPUTE_PGM_RSRC2:TGID_X_EN: 1
; COMPUTE_PGM_RSRC2:TGID_Y_EN: 0
; COMPUTE_PGM_RSRC2:TGID_Z_EN: 0
; COMPUTE_PGM_RSRC2:TIDIG_COMP_CNT: 0
	.section	.text._ZN9rocsolver6v33100L18trti2_kernel_smallILi15E19rocblas_complex_numIdEPS3_EEv13rocblas_fill_17rocblas_diagonal_T1_iil,"axG",@progbits,_ZN9rocsolver6v33100L18trti2_kernel_smallILi15E19rocblas_complex_numIdEPS3_EEv13rocblas_fill_17rocblas_diagonal_T1_iil,comdat
	.globl	_ZN9rocsolver6v33100L18trti2_kernel_smallILi15E19rocblas_complex_numIdEPS3_EEv13rocblas_fill_17rocblas_diagonal_T1_iil ; -- Begin function _ZN9rocsolver6v33100L18trti2_kernel_smallILi15E19rocblas_complex_numIdEPS3_EEv13rocblas_fill_17rocblas_diagonal_T1_iil
	.p2align	8
	.type	_ZN9rocsolver6v33100L18trti2_kernel_smallILi15E19rocblas_complex_numIdEPS3_EEv13rocblas_fill_17rocblas_diagonal_T1_iil,@function
_ZN9rocsolver6v33100L18trti2_kernel_smallILi15E19rocblas_complex_numIdEPS3_EEv13rocblas_fill_17rocblas_diagonal_T1_iil: ; @_ZN9rocsolver6v33100L18trti2_kernel_smallILi15E19rocblas_complex_numIdEPS3_EEv13rocblas_fill_17rocblas_diagonal_T1_iil
; %bb.0:
	s_add_u32 s0, s0, s7
	s_addc_u32 s1, s1, 0
	s_mov_b32 s7, exec_lo
	v_cmpx_gt_u32_e32 15, v0
	s_cbranch_execz .LBB14_227
; %bb.1:
	s_load_dwordx8 s[8:15], s[4:5], 0x0
	s_ashr_i32 s4, s6, 31
	v_lshlrev_b32_e32 v41, 4, v0
	s_movk_i32 s22, 0xb0
	s_movk_i32 s23, 0xc0
	;; [unrolled: 1-line block ×4, first 2 shown]
	s_waitcnt lgkmcnt(0)
	s_mul_hi_u32 s5, s14, s6
	s_mul_i32 s4, s14, s4
	s_mul_i32 s7, s15, s6
	s_add_i32 s5, s5, s4
	s_mul_i32 s4, s14, s6
	s_add_i32 s5, s5, s7
	s_ashr_i32 s7, s12, 31
	s_lshl_b64 s[4:5], s[4:5], 4
	s_mov_b32 s6, s12
	s_add_u32 s10, s10, s4
	s_addc_u32 s11, s11, s5
	s_lshl_b64 s[4:5], s[6:7], 4
	v_add3_u32 v5, s13, s13, v0
	s_add_u32 s4, s10, s4
	s_addc_u32 s5, s11, s5
	s_mov_b32 s6, s13
	global_load_dwordx4 v[1:4], v41, s[4:5]
	v_add_nc_u32_e32 v7, s13, v5
	v_ashrrev_i32_e32 v6, 31, v5
	s_ashr_i32 s7, s13, 31
	s_movk_i32 s11, 0xa0
	s_lshl_b64 s[6:7], s[6:7], 4
	v_add_nc_u32_e32 v11, s13, v7
	v_ashrrev_i32_e32 v8, 31, v7
	v_lshlrev_b64 v[9:10], 4, v[5:6]
	v_add_co_u32 v5, s10, s4, v41
	v_ashrrev_i32_e32 v12, 31, v11
	v_lshlrev_b64 v[13:14], 4, v[7:8]
	v_add_co_ci_u32_e64 v6, null, s5, 0, s10
	v_add_co_u32 v7, vcc_lo, s4, v9
	v_lshlrev_b64 v[17:18], 4, v[11:12]
	v_add_nc_u32_e32 v15, s13, v11
	v_add_co_ci_u32_e64 v8, null, s5, v10, vcc_lo
	v_add_co_u32 v9, vcc_lo, v5, s6
	v_add_co_ci_u32_e64 v10, null, s7, v6, vcc_lo
	v_add_co_u32 v11, vcc_lo, s4, v13
	v_add_co_ci_u32_e64 v12, null, s5, v14, vcc_lo
	v_add_co_u32 v13, vcc_lo, s4, v17
	v_add_nc_u32_e32 v19, s13, v15
	v_add_co_ci_u32_e64 v14, null, s5, v18, vcc_lo
	v_ashrrev_i32_e32 v16, 31, v15
	s_clause 0x1
	global_load_dwordx4 v[35:38], v[9:10], off
	global_load_dwordx4 v[42:45], v[7:8], off
	v_add_nc_u32_e32 v21, s13, v19
	s_clause 0x1
	global_load_dwordx4 v[46:49], v[11:12], off
	global_load_dwordx4 v[50:53], v[13:14], off
	v_ashrrev_i32_e32 v20, 31, v19
	v_lshlrev_b64 v[15:16], 4, v[15:16]
	s_cmpk_lg_i32 s9, 0x84
	v_ashrrev_i32_e32 v22, 31, v21
	s_movk_i32 s6, 0x70
	v_lshlrev_b64 v[17:18], 4, v[19:20]
	v_add_nc_u32_e32 v19, s13, v21
	v_add_co_u32 v15, vcc_lo, s4, v15
	v_add_co_ci_u32_e64 v16, null, s5, v16, vcc_lo
	v_lshlrev_b64 v[21:22], 4, v[21:22]
	v_ashrrev_i32_e32 v20, 31, v19
	v_add_co_u32 v17, vcc_lo, s4, v17
	v_add_co_ci_u32_e64 v18, null, s5, v18, vcc_lo
	global_load_dwordx4 v[54:57], v[15:16], off
	v_add_nc_u32_e32 v23, s13, v19
	v_lshlrev_b64 v[25:26], 4, v[19:20]
	v_add_co_u32 v19, vcc_lo, s4, v21
	v_add_co_ci_u32_e64 v20, null, s5, v22, vcc_lo
	global_load_dwordx4 v[58:61], v[17:18], off
	v_add_nc_u32_e32 v27, s13, v23
	v_ashrrev_i32_e32 v24, 31, v23
	v_add_co_u32 v21, vcc_lo, s4, v25
	v_add_co_ci_u32_e64 v22, null, s5, v26, vcc_lo
	v_ashrrev_i32_e32 v28, 31, v27
	v_lshlrev_b64 v[23:24], 4, v[23:24]
	v_add_nc_u32_e32 v29, s13, v27
	s_movk_i32 s7, 0x80
	s_movk_i32 s10, 0x90
	v_lshlrev_b64 v[25:26], 4, v[27:28]
	s_cselect_b32 s21, -1, 0
	v_add_nc_u32_e32 v27, s13, v29
	v_add_co_u32 v23, vcc_lo, s4, v23
	v_ashrrev_i32_e32 v30, 31, v29
	v_add_co_ci_u32_e64 v24, null, s5, v24, vcc_lo
	v_add_co_u32 v25, vcc_lo, s4, v25
	v_add_nc_u32_e32 v31, s13, v27
	v_add_co_ci_u32_e64 v26, null, s5, v26, vcc_lo
	v_ashrrev_i32_e32 v28, 31, v27
	v_lshlrev_b64 v[29:30], 4, v[29:30]
	v_add_nc_u32_e32 v39, s13, v31
	v_ashrrev_i32_e32 v32, 31, v31
	s_cmpk_eq_i32 s9, 0x84
	v_lshlrev_b64 v[33:34], 4, v[27:28]
	s_waitcnt vmcnt(6)
	buffer_store_dword v4, off, s[0:3], 0 offset:12
	buffer_store_dword v3, off, s[0:3], 0 offset:8
	;; [unrolled: 1-line block ×3, first 2 shown]
	buffer_store_dword v1, off, s[0:3], 0
	global_load_dwordx4 v[1:4], v[19:20], off
	v_add_co_u32 v27, vcc_lo, s4, v29
	v_ashrrev_i32_e32 v40, 31, v39
	v_add_co_ci_u32_e64 v28, null, s5, v30, vcc_lo
	v_lshlrev_b64 v[31:32], 4, v[31:32]
	s_waitcnt vmcnt(6)
	buffer_store_dword v38, off, s[0:3], 0 offset:28
	buffer_store_dword v37, off, s[0:3], 0 offset:24
	;; [unrolled: 1-line block ×4, first 2 shown]
	global_load_dwordx4 v[35:38], v[21:22], off
	s_waitcnt vmcnt(6)
	buffer_store_dword v45, off, s[0:3], 0 offset:44
	buffer_store_dword v44, off, s[0:3], 0 offset:40
	;; [unrolled: 1-line block ×4, first 2 shown]
	s_waitcnt vmcnt(5)
	buffer_store_dword v49, off, s[0:3], 0 offset:60
	buffer_store_dword v48, off, s[0:3], 0 offset:56
	;; [unrolled: 1-line block ×4, first 2 shown]
	s_clause 0x1
	global_load_dwordx4 v[42:45], v[23:24], off
	global_load_dwordx4 v[46:49], v[25:26], off
	v_add_co_u32 v29, vcc_lo, s4, v33
	v_add_co_ci_u32_e64 v30, null, s5, v34, vcc_lo
	v_lshlrev_b64 v[39:40], 4, v[39:40]
	s_waitcnt vmcnt(6)
	buffer_store_dword v53, off, s[0:3], 0 offset:76
	buffer_store_dword v52, off, s[0:3], 0 offset:72
	;; [unrolled: 1-line block ×4, first 2 shown]
	global_load_dwordx4 v[50:53], v[27:28], off
	v_add_co_u32 v33, vcc_lo, s4, v31
	v_add_co_ci_u32_e64 v34, null, s5, v32, vcc_lo
	s_waitcnt vmcnt(6)
	buffer_store_dword v57, off, s[0:3], 0 offset:92
	buffer_store_dword v56, off, s[0:3], 0 offset:88
	;; [unrolled: 1-line block ×4, first 2 shown]
	global_load_dwordx4 v[54:57], v[29:30], off
	v_add_co_u32 v31, vcc_lo, s4, v39
	v_add_co_ci_u32_e64 v32, null, s5, v40, vcc_lo
	s_waitcnt vmcnt(6)
	buffer_store_dword v61, off, s[0:3], 0 offset:108
	buffer_store_dword v60, off, s[0:3], 0 offset:104
	;; [unrolled: 1-line block ×4, first 2 shown]
	global_load_dwordx4 v[58:61], v[33:34], off
	s_movk_i32 s4, 0x50
	s_movk_i32 s5, 0x60
	s_waitcnt vmcnt(6)
	buffer_store_dword v4, off, s[0:3], 0 offset:124
	buffer_store_dword v3, off, s[0:3], 0 offset:120
	;; [unrolled: 1-line block ×4, first 2 shown]
	global_load_dwordx4 v[1:4], v[31:32], off
	s_waitcnt vmcnt(6)
	buffer_store_dword v38, off, s[0:3], 0 offset:140
	buffer_store_dword v37, off, s[0:3], 0 offset:136
	buffer_store_dword v36, off, s[0:3], 0 offset:132
	buffer_store_dword v35, off, s[0:3], 0 offset:128
	s_waitcnt vmcnt(5)
	buffer_store_dword v42, off, s[0:3], 0 offset:144
	buffer_store_dword v43, off, s[0:3], 0 offset:148
	buffer_store_dword v44, off, s[0:3], 0 offset:152
	buffer_store_dword v45, off, s[0:3], 0 offset:156
	s_waitcnt vmcnt(4)
	buffer_store_dword v46, off, s[0:3], 0 offset:160
	buffer_store_dword v47, off, s[0:3], 0 offset:164
	buffer_store_dword v48, off, s[0:3], 0 offset:168
	buffer_store_dword v49, off, s[0:3], 0 offset:172
	s_waitcnt vmcnt(3)
	buffer_store_dword v50, off, s[0:3], 0 offset:176
	buffer_store_dword v51, off, s[0:3], 0 offset:180
	buffer_store_dword v52, off, s[0:3], 0 offset:184
	buffer_store_dword v53, off, s[0:3], 0 offset:188
	s_waitcnt vmcnt(2)
	buffer_store_dword v57, off, s[0:3], 0 offset:204
	buffer_store_dword v56, off, s[0:3], 0 offset:200
	buffer_store_dword v55, off, s[0:3], 0 offset:196
	buffer_store_dword v54, off, s[0:3], 0 offset:192
	s_waitcnt vmcnt(1)
	buffer_store_dword v61, off, s[0:3], 0 offset:220
	buffer_store_dword v60, off, s[0:3], 0 offset:216
	buffer_store_dword v59, off, s[0:3], 0 offset:212
	buffer_store_dword v58, off, s[0:3], 0 offset:208
	s_waitcnt vmcnt(0)
	buffer_store_dword v4, off, s[0:3], 0 offset:236
	buffer_store_dword v3, off, s[0:3], 0 offset:232
	buffer_store_dword v2, off, s[0:3], 0 offset:228
	buffer_store_dword v1, off, s[0:3], 0 offset:224
	s_cbranch_scc1 .LBB14_7
; %bb.2:
	v_lshl_add_u32 v42, v0, 4, 0
                                        ; implicit-def: $vgpr37_vgpr38
                                        ; implicit-def: $vgpr3_vgpr4
	s_clause 0x3
	buffer_load_dword v35, v42, s[0:3], 0 offen
	buffer_load_dword v36, v42, s[0:3], 0 offen offset:4
	buffer_load_dword v39, v42, s[0:3], 0 offen offset:8
	;; [unrolled: 1-line block ×3, first 2 shown]
	s_waitcnt vmcnt(0)
	v_cmp_ngt_f64_e64 s9, |v[35:36]|, |v[39:40]|
	s_and_saveexec_b32 s12, s9
	s_xor_b32 s9, exec_lo, s12
	s_cbranch_execz .LBB14_4
; %bb.3:
	v_div_scale_f64 v[1:2], null, v[39:40], v[39:40], v[35:36]
	v_div_scale_f64 v[43:44], vcc_lo, v[35:36], v[39:40], v[35:36]
	v_rcp_f64_e32 v[3:4], v[1:2]
	v_fma_f64 v[37:38], -v[1:2], v[3:4], 1.0
	v_fma_f64 v[3:4], v[3:4], v[37:38], v[3:4]
	v_fma_f64 v[37:38], -v[1:2], v[3:4], 1.0
	v_fma_f64 v[3:4], v[3:4], v[37:38], v[3:4]
	v_mul_f64 v[37:38], v[43:44], v[3:4]
	v_fma_f64 v[1:2], -v[1:2], v[37:38], v[43:44]
	v_div_fmas_f64 v[1:2], v[1:2], v[3:4], v[37:38]
	v_div_fixup_f64 v[1:2], v[1:2], v[39:40], v[35:36]
	v_fma_f64 v[3:4], v[35:36], v[1:2], v[39:40]
	v_div_scale_f64 v[35:36], null, v[3:4], v[3:4], 1.0
	v_div_scale_f64 v[43:44], vcc_lo, 1.0, v[3:4], 1.0
	v_rcp_f64_e32 v[37:38], v[35:36]
	v_fma_f64 v[39:40], -v[35:36], v[37:38], 1.0
	v_fma_f64 v[37:38], v[37:38], v[39:40], v[37:38]
	v_fma_f64 v[39:40], -v[35:36], v[37:38], 1.0
	v_fma_f64 v[37:38], v[37:38], v[39:40], v[37:38]
	v_mul_f64 v[39:40], v[43:44], v[37:38]
	v_fma_f64 v[35:36], -v[35:36], v[39:40], v[43:44]
	v_div_fmas_f64 v[35:36], v[35:36], v[37:38], v[39:40]
                                        ; implicit-def: $vgpr39_vgpr40
	v_div_fixup_f64 v[3:4], v[35:36], v[3:4], 1.0
                                        ; implicit-def: $vgpr35_vgpr36
	v_mul_f64 v[37:38], v[1:2], v[3:4]
	v_xor_b32_e32 v4, 0x80000000, v4
	v_xor_b32_e32 v2, 0x80000000, v38
	v_mov_b32_e32 v1, v37
.LBB14_4:
	s_andn2_saveexec_b32 s9, s9
	s_cbranch_execz .LBB14_6
; %bb.5:
	v_div_scale_f64 v[1:2], null, v[35:36], v[35:36], v[39:40]
	v_div_scale_f64 v[43:44], vcc_lo, v[39:40], v[35:36], v[39:40]
	v_rcp_f64_e32 v[3:4], v[1:2]
	v_fma_f64 v[37:38], -v[1:2], v[3:4], 1.0
	v_fma_f64 v[3:4], v[3:4], v[37:38], v[3:4]
	v_fma_f64 v[37:38], -v[1:2], v[3:4], 1.0
	v_fma_f64 v[3:4], v[3:4], v[37:38], v[3:4]
	v_mul_f64 v[37:38], v[43:44], v[3:4]
	v_fma_f64 v[1:2], -v[1:2], v[37:38], v[43:44]
	v_div_fmas_f64 v[1:2], v[1:2], v[3:4], v[37:38]
	v_div_fixup_f64 v[1:2], v[1:2], v[35:36], v[39:40]
	v_fma_f64 v[3:4], v[39:40], v[1:2], v[35:36]
	v_div_scale_f64 v[35:36], null, v[3:4], v[3:4], 1.0
	v_rcp_f64_e32 v[37:38], v[35:36]
	v_fma_f64 v[39:40], -v[35:36], v[37:38], 1.0
	v_fma_f64 v[37:38], v[37:38], v[39:40], v[37:38]
	v_fma_f64 v[39:40], -v[35:36], v[37:38], 1.0
	v_fma_f64 v[37:38], v[37:38], v[39:40], v[37:38]
	v_div_scale_f64 v[39:40], vcc_lo, 1.0, v[3:4], 1.0
	v_mul_f64 v[43:44], v[39:40], v[37:38]
	v_fma_f64 v[35:36], -v[35:36], v[43:44], v[39:40]
	v_div_fmas_f64 v[35:36], v[35:36], v[37:38], v[43:44]
	v_div_fixup_f64 v[37:38], v[35:36], v[3:4], 1.0
	v_mul_f64 v[3:4], v[1:2], -v[37:38]
	v_xor_b32_e32 v2, 0x80000000, v38
	v_mov_b32_e32 v1, v37
.LBB14_6:
	s_or_b32 exec_lo, exec_lo, s9
	buffer_store_dword v4, v42, s[0:3], 0 offen offset:12
	v_xor_b32_e32 v4, 0x80000000, v4
	buffer_store_dword v38, v42, s[0:3], 0 offen offset:4
	buffer_store_dword v37, v42, s[0:3], 0 offen
	buffer_store_dword v3, v42, s[0:3], 0 offen offset:8
	s_branch .LBB14_8
.LBB14_7:
	v_mov_b32_e32 v1, 0
	v_mov_b32_e32 v3, 0
	;; [unrolled: 1-line block ×4, first 2 shown]
.LBB14_8:
	v_add_nc_u32_e32 v36, 0xf0, v41
	v_mov_b32_e32 v35, v41
	s_mov_b32 s20, 16
	s_mov_b32 s19, 32
	;; [unrolled: 1-line block ×13, first 2 shown]
	s_cmpk_eq_i32 s8, 0x79
	ds_write_b128 v41, v[1:4]
	s_cbranch_scc1 .LBB14_116
; %bb.9:
	v_mov_b32_e32 v4, s7
	v_cmp_eq_u32_e64 s4, 14, v0
	s_clause 0x3
	buffer_load_dword v1, v4, s[0:3], 0 offen
	buffer_load_dword v2, v4, s[0:3], 0 offen offset:4
	buffer_load_dword v3, v4, s[0:3], 0 offen offset:8
	;; [unrolled: 1-line block ×3, first 2 shown]
	s_waitcnt vmcnt(0)
	ds_write_b128 v36, v[1:4]
	s_waitcnt lgkmcnt(0)
	s_waitcnt_vscnt null, 0x0
	s_barrier
	buffer_gl0_inv
	s_and_saveexec_b32 s5, s4
	s_cbranch_execz .LBB14_13
; %bb.10:
	ds_read_b128 v[1:4], v36
	s_andn2_b32 vcc_lo, exec_lo, s21
	s_cbranch_vccnz .LBB14_12
; %bb.11:
	s_clause 0x3
	buffer_load_dword v37, v35, s[0:3], 0 offen offset:8
	buffer_load_dword v38, v35, s[0:3], 0 offen offset:12
	buffer_load_dword v39, v35, s[0:3], 0 offen
	buffer_load_dword v40, v35, s[0:3], 0 offen offset:4
	s_waitcnt vmcnt(2) lgkmcnt(0)
	v_mul_f64 v[42:43], v[3:4], v[37:38]
	v_mul_f64 v[37:38], v[1:2], v[37:38]
	s_waitcnt vmcnt(0)
	v_fma_f64 v[1:2], v[1:2], v[39:40], -v[42:43]
	v_fma_f64 v[3:4], v[3:4], v[39:40], v[37:38]
.LBB14_12:
	v_mov_b32_e32 v37, 0
	ds_read_b128 v[37:40], v37 offset:208
	s_waitcnt lgkmcnt(0)
	v_mul_f64 v[42:43], v[3:4], v[39:40]
	v_mul_f64 v[39:40], v[1:2], v[39:40]
	v_fma_f64 v[1:2], v[1:2], v[37:38], -v[42:43]
	v_fma_f64 v[3:4], v[3:4], v[37:38], v[39:40]
	buffer_store_dword v2, off, s[0:3], 0 offset:212
	buffer_store_dword v1, off, s[0:3], 0 offset:208
	;; [unrolled: 1-line block ×4, first 2 shown]
.LBB14_13:
	s_or_b32 exec_lo, exec_lo, s5
	v_mov_b32_e32 v4, s9
	v_cmp_lt_u32_e64 s5, 12, v0
	s_clause 0x3
	buffer_load_dword v1, v4, s[0:3], 0 offen
	buffer_load_dword v2, v4, s[0:3], 0 offen offset:4
	buffer_load_dword v3, v4, s[0:3], 0 offen offset:8
	;; [unrolled: 1-line block ×3, first 2 shown]
	s_waitcnt vmcnt(0)
	ds_write_b128 v36, v[1:4]
	s_waitcnt lgkmcnt(0)
	s_waitcnt_vscnt null, 0x0
	s_barrier
	buffer_gl0_inv
	s_and_saveexec_b32 s8, s5
	s_cbranch_execz .LBB14_19
; %bb.14:
	ds_read_b128 v[1:4], v36
	s_andn2_b32 vcc_lo, exec_lo, s21
	s_cbranch_vccnz .LBB14_16
; %bb.15:
	s_clause 0x3
	buffer_load_dword v37, v35, s[0:3], 0 offen offset:8
	buffer_load_dword v38, v35, s[0:3], 0 offen offset:12
	buffer_load_dword v39, v35, s[0:3], 0 offen
	buffer_load_dword v40, v35, s[0:3], 0 offen offset:4
	s_waitcnt vmcnt(2) lgkmcnt(0)
	v_mul_f64 v[42:43], v[3:4], v[37:38]
	v_mul_f64 v[37:38], v[1:2], v[37:38]
	s_waitcnt vmcnt(0)
	v_fma_f64 v[1:2], v[1:2], v[39:40], -v[42:43]
	v_fma_f64 v[3:4], v[3:4], v[39:40], v[37:38]
.LBB14_16:
	s_and_saveexec_b32 s22, s4
	s_cbranch_execz .LBB14_18
; %bb.17:
	s_clause 0x3
	buffer_load_dword v42, off, s[0:3], 0 offset:216
	buffer_load_dword v43, off, s[0:3], 0 offset:220
	;; [unrolled: 1-line block ×4, first 2 shown]
	v_mov_b32_e32 v37, 0
	ds_read_b128 v[37:40], v37 offset:448
	s_waitcnt vmcnt(2) lgkmcnt(0)
	v_mul_f64 v[46:47], v[37:38], v[42:43]
	v_mul_f64 v[42:43], v[39:40], v[42:43]
	s_waitcnt vmcnt(0)
	v_fma_f64 v[39:40], v[39:40], v[44:45], v[46:47]
	v_fma_f64 v[37:38], v[37:38], v[44:45], -v[42:43]
	v_add_f64 v[3:4], v[3:4], v[39:40]
	v_add_f64 v[1:2], v[1:2], v[37:38]
.LBB14_18:
	s_or_b32 exec_lo, exec_lo, s22
	v_mov_b32_e32 v37, 0
	ds_read_b128 v[37:40], v37 offset:192
	s_waitcnt lgkmcnt(0)
	v_mul_f64 v[42:43], v[3:4], v[39:40]
	v_mul_f64 v[39:40], v[1:2], v[39:40]
	v_fma_f64 v[1:2], v[1:2], v[37:38], -v[42:43]
	v_fma_f64 v[3:4], v[3:4], v[37:38], v[39:40]
	buffer_store_dword v2, off, s[0:3], 0 offset:196
	buffer_store_dword v1, off, s[0:3], 0 offset:192
	;; [unrolled: 1-line block ×4, first 2 shown]
.LBB14_19:
	s_or_b32 exec_lo, exec_lo, s8
	v_mov_b32_e32 v4, s10
	v_cmp_lt_u32_e64 s4, 11, v0
	s_clause 0x3
	buffer_load_dword v1, v4, s[0:3], 0 offen
	buffer_load_dword v2, v4, s[0:3], 0 offen offset:4
	buffer_load_dword v3, v4, s[0:3], 0 offen offset:8
	;; [unrolled: 1-line block ×3, first 2 shown]
	s_waitcnt vmcnt(0)
	ds_write_b128 v36, v[1:4]
	s_waitcnt lgkmcnt(0)
	s_waitcnt_vscnt null, 0x0
	s_barrier
	buffer_gl0_inv
	s_and_saveexec_b32 s8, s4
	s_cbranch_execz .LBB14_27
; %bb.20:
	ds_read_b128 v[1:4], v36
	s_andn2_b32 vcc_lo, exec_lo, s21
	s_cbranch_vccnz .LBB14_22
; %bb.21:
	s_clause 0x3
	buffer_load_dword v37, v35, s[0:3], 0 offen offset:8
	buffer_load_dword v38, v35, s[0:3], 0 offen offset:12
	buffer_load_dword v39, v35, s[0:3], 0 offen
	buffer_load_dword v40, v35, s[0:3], 0 offen offset:4
	s_waitcnt vmcnt(2) lgkmcnt(0)
	v_mul_f64 v[42:43], v[3:4], v[37:38]
	v_mul_f64 v[37:38], v[1:2], v[37:38]
	s_waitcnt vmcnt(0)
	v_fma_f64 v[1:2], v[1:2], v[39:40], -v[42:43]
	v_fma_f64 v[3:4], v[3:4], v[39:40], v[37:38]
.LBB14_22:
	s_and_saveexec_b32 s22, s5
	s_cbranch_execz .LBB14_26
; %bb.23:
	v_add_nc_u32_e32 v37, -12, v0
	s_movk_i32 s23, 0x1b0
	s_mov_b32 s5, 0
	s_mov_b32 s24, s9
	.p2align	6
.LBB14_24:                              ; =>This Inner Loop Header: Depth=1
	v_mov_b32_e32 v40, s24
	v_add_nc_u32_e32 v37, -1, v37
	s_add_i32 s24, s24, 16
	s_clause 0x3
	buffer_load_dword v38, v40, s[0:3], 0 offen offset:8
	buffer_load_dword v39, v40, s[0:3], 0 offen offset:12
	buffer_load_dword v46, v40, s[0:3], 0 offen
	buffer_load_dword v47, v40, s[0:3], 0 offen offset:4
	v_mov_b32_e32 v40, s23
	v_cmp_eq_u32_e32 vcc_lo, 0, v37
	s_add_i32 s23, s23, 16
	ds_read_b128 v[42:45], v40
	s_or_b32 s5, vcc_lo, s5
	s_waitcnt vmcnt(2) lgkmcnt(0)
	v_mul_f64 v[48:49], v[44:45], v[38:39]
	v_mul_f64 v[38:39], v[42:43], v[38:39]
	s_waitcnt vmcnt(0)
	v_fma_f64 v[42:43], v[42:43], v[46:47], -v[48:49]
	v_fma_f64 v[38:39], v[44:45], v[46:47], v[38:39]
	v_add_f64 v[1:2], v[1:2], v[42:43]
	v_add_f64 v[3:4], v[3:4], v[38:39]
	s_andn2_b32 exec_lo, exec_lo, s5
	s_cbranch_execnz .LBB14_24
; %bb.25:
	s_or_b32 exec_lo, exec_lo, s5
.LBB14_26:
	s_or_b32 exec_lo, exec_lo, s22
	v_mov_b32_e32 v37, 0
	ds_read_b128 v[37:40], v37 offset:176
	s_waitcnt lgkmcnt(0)
	v_mul_f64 v[42:43], v[3:4], v[39:40]
	v_mul_f64 v[39:40], v[1:2], v[39:40]
	v_fma_f64 v[1:2], v[1:2], v[37:38], -v[42:43]
	v_fma_f64 v[3:4], v[3:4], v[37:38], v[39:40]
	buffer_store_dword v2, off, s[0:3], 0 offset:180
	buffer_store_dword v1, off, s[0:3], 0 offset:176
	;; [unrolled: 1-line block ×4, first 2 shown]
.LBB14_27:
	s_or_b32 exec_lo, exec_lo, s8
	v_mov_b32_e32 v4, s11
	v_cmp_lt_u32_e64 s5, 10, v0
	s_clause 0x3
	buffer_load_dword v1, v4, s[0:3], 0 offen
	buffer_load_dword v2, v4, s[0:3], 0 offen offset:4
	buffer_load_dword v3, v4, s[0:3], 0 offen offset:8
	;; [unrolled: 1-line block ×3, first 2 shown]
	s_waitcnt vmcnt(0)
	ds_write_b128 v36, v[1:4]
	s_waitcnt lgkmcnt(0)
	s_waitcnt_vscnt null, 0x0
	s_barrier
	buffer_gl0_inv
	s_and_saveexec_b32 s8, s5
	s_cbranch_execz .LBB14_35
; %bb.28:
	ds_read_b128 v[1:4], v36
	s_andn2_b32 vcc_lo, exec_lo, s21
	s_cbranch_vccnz .LBB14_30
; %bb.29:
	s_clause 0x3
	buffer_load_dword v37, v35, s[0:3], 0 offen offset:8
	buffer_load_dword v38, v35, s[0:3], 0 offen offset:12
	buffer_load_dword v39, v35, s[0:3], 0 offen
	buffer_load_dword v40, v35, s[0:3], 0 offen offset:4
	s_waitcnt vmcnt(2) lgkmcnt(0)
	v_mul_f64 v[42:43], v[3:4], v[37:38]
	v_mul_f64 v[37:38], v[1:2], v[37:38]
	s_waitcnt vmcnt(0)
	v_fma_f64 v[1:2], v[1:2], v[39:40], -v[42:43]
	v_fma_f64 v[3:4], v[3:4], v[39:40], v[37:38]
.LBB14_30:
	s_and_saveexec_b32 s22, s4
	s_cbranch_execz .LBB14_34
; %bb.31:
	v_add_nc_u32_e32 v37, -11, v0
	s_movk_i32 s23, 0x1a0
	s_mov_b32 s4, 0
	s_mov_b32 s24, s10
	.p2align	6
.LBB14_32:                              ; =>This Inner Loop Header: Depth=1
	v_mov_b32_e32 v40, s24
	v_add_nc_u32_e32 v37, -1, v37
	s_add_i32 s24, s24, 16
	s_clause 0x3
	buffer_load_dword v38, v40, s[0:3], 0 offen offset:8
	buffer_load_dword v39, v40, s[0:3], 0 offen offset:12
	buffer_load_dword v46, v40, s[0:3], 0 offen
	buffer_load_dword v47, v40, s[0:3], 0 offen offset:4
	v_mov_b32_e32 v40, s23
	v_cmp_eq_u32_e32 vcc_lo, 0, v37
	s_add_i32 s23, s23, 16
	ds_read_b128 v[42:45], v40
	s_or_b32 s4, vcc_lo, s4
	s_waitcnt vmcnt(2) lgkmcnt(0)
	v_mul_f64 v[48:49], v[44:45], v[38:39]
	v_mul_f64 v[38:39], v[42:43], v[38:39]
	s_waitcnt vmcnt(0)
	v_fma_f64 v[42:43], v[42:43], v[46:47], -v[48:49]
	v_fma_f64 v[38:39], v[44:45], v[46:47], v[38:39]
	v_add_f64 v[1:2], v[1:2], v[42:43]
	v_add_f64 v[3:4], v[3:4], v[38:39]
	s_andn2_b32 exec_lo, exec_lo, s4
	s_cbranch_execnz .LBB14_32
; %bb.33:
	s_or_b32 exec_lo, exec_lo, s4
.LBB14_34:
	s_or_b32 exec_lo, exec_lo, s22
	v_mov_b32_e32 v37, 0
	ds_read_b128 v[37:40], v37 offset:160
	s_waitcnt lgkmcnt(0)
	v_mul_f64 v[42:43], v[3:4], v[39:40]
	v_mul_f64 v[39:40], v[1:2], v[39:40]
	v_fma_f64 v[1:2], v[1:2], v[37:38], -v[42:43]
	v_fma_f64 v[3:4], v[3:4], v[37:38], v[39:40]
	buffer_store_dword v2, off, s[0:3], 0 offset:164
	buffer_store_dword v1, off, s[0:3], 0 offset:160
	;; [unrolled: 1-line block ×4, first 2 shown]
.LBB14_35:
	s_or_b32 exec_lo, exec_lo, s8
	v_mov_b32_e32 v4, s12
	v_cmp_lt_u32_e64 s4, 9, v0
	s_clause 0x3
	buffer_load_dword v1, v4, s[0:3], 0 offen
	buffer_load_dword v2, v4, s[0:3], 0 offen offset:4
	buffer_load_dword v3, v4, s[0:3], 0 offen offset:8
	;; [unrolled: 1-line block ×3, first 2 shown]
	s_waitcnt vmcnt(0)
	ds_write_b128 v36, v[1:4]
	s_waitcnt lgkmcnt(0)
	s_waitcnt_vscnt null, 0x0
	s_barrier
	buffer_gl0_inv
	s_and_saveexec_b32 s8, s4
	s_cbranch_execz .LBB14_43
; %bb.36:
	ds_read_b128 v[1:4], v36
	s_andn2_b32 vcc_lo, exec_lo, s21
	s_cbranch_vccnz .LBB14_38
; %bb.37:
	s_clause 0x3
	buffer_load_dword v37, v35, s[0:3], 0 offen offset:8
	buffer_load_dword v38, v35, s[0:3], 0 offen offset:12
	buffer_load_dword v39, v35, s[0:3], 0 offen
	buffer_load_dword v40, v35, s[0:3], 0 offen offset:4
	s_waitcnt vmcnt(2) lgkmcnt(0)
	v_mul_f64 v[42:43], v[3:4], v[37:38]
	v_mul_f64 v[37:38], v[1:2], v[37:38]
	s_waitcnt vmcnt(0)
	v_fma_f64 v[1:2], v[1:2], v[39:40], -v[42:43]
	v_fma_f64 v[3:4], v[3:4], v[39:40], v[37:38]
.LBB14_38:
	s_and_saveexec_b32 s22, s5
	s_cbranch_execz .LBB14_42
; %bb.39:
	v_add_nc_u32_e32 v37, -10, v0
	s_movk_i32 s23, 0x190
	s_mov_b32 s5, 0
	s_mov_b32 s24, s11
	.p2align	6
.LBB14_40:                              ; =>This Inner Loop Header: Depth=1
	v_mov_b32_e32 v40, s24
	v_add_nc_u32_e32 v37, -1, v37
	s_add_i32 s24, s24, 16
	s_clause 0x3
	buffer_load_dword v38, v40, s[0:3], 0 offen offset:8
	buffer_load_dword v39, v40, s[0:3], 0 offen offset:12
	buffer_load_dword v46, v40, s[0:3], 0 offen
	buffer_load_dword v47, v40, s[0:3], 0 offen offset:4
	v_mov_b32_e32 v40, s23
	v_cmp_eq_u32_e32 vcc_lo, 0, v37
	s_add_i32 s23, s23, 16
	ds_read_b128 v[42:45], v40
	s_or_b32 s5, vcc_lo, s5
	s_waitcnt vmcnt(2) lgkmcnt(0)
	v_mul_f64 v[48:49], v[44:45], v[38:39]
	v_mul_f64 v[38:39], v[42:43], v[38:39]
	s_waitcnt vmcnt(0)
	v_fma_f64 v[42:43], v[42:43], v[46:47], -v[48:49]
	v_fma_f64 v[38:39], v[44:45], v[46:47], v[38:39]
	v_add_f64 v[1:2], v[1:2], v[42:43]
	v_add_f64 v[3:4], v[3:4], v[38:39]
	s_andn2_b32 exec_lo, exec_lo, s5
	s_cbranch_execnz .LBB14_40
; %bb.41:
	s_or_b32 exec_lo, exec_lo, s5
.LBB14_42:
	s_or_b32 exec_lo, exec_lo, s22
	v_mov_b32_e32 v37, 0
	ds_read_b128 v[37:40], v37 offset:144
	s_waitcnt lgkmcnt(0)
	v_mul_f64 v[42:43], v[3:4], v[39:40]
	v_mul_f64 v[39:40], v[1:2], v[39:40]
	v_fma_f64 v[1:2], v[1:2], v[37:38], -v[42:43]
	v_fma_f64 v[3:4], v[3:4], v[37:38], v[39:40]
	buffer_store_dword v2, off, s[0:3], 0 offset:148
	buffer_store_dword v1, off, s[0:3], 0 offset:144
	;; [unrolled: 1-line block ×4, first 2 shown]
.LBB14_43:
	s_or_b32 exec_lo, exec_lo, s8
	v_mov_b32_e32 v4, s13
	v_cmp_lt_u32_e64 s5, 8, v0
	s_clause 0x3
	buffer_load_dword v1, v4, s[0:3], 0 offen
	buffer_load_dword v2, v4, s[0:3], 0 offen offset:4
	buffer_load_dword v3, v4, s[0:3], 0 offen offset:8
	;; [unrolled: 1-line block ×3, first 2 shown]
	s_waitcnt vmcnt(0)
	ds_write_b128 v36, v[1:4]
	s_waitcnt lgkmcnt(0)
	s_waitcnt_vscnt null, 0x0
	s_barrier
	buffer_gl0_inv
	s_and_saveexec_b32 s8, s5
	s_cbranch_execz .LBB14_51
; %bb.44:
	ds_read_b128 v[1:4], v36
	s_andn2_b32 vcc_lo, exec_lo, s21
	s_cbranch_vccnz .LBB14_46
; %bb.45:
	s_clause 0x3
	buffer_load_dword v37, v35, s[0:3], 0 offen offset:8
	buffer_load_dword v38, v35, s[0:3], 0 offen offset:12
	buffer_load_dword v39, v35, s[0:3], 0 offen
	buffer_load_dword v40, v35, s[0:3], 0 offen offset:4
	s_waitcnt vmcnt(2) lgkmcnt(0)
	v_mul_f64 v[42:43], v[3:4], v[37:38]
	v_mul_f64 v[37:38], v[1:2], v[37:38]
	s_waitcnt vmcnt(0)
	v_fma_f64 v[1:2], v[1:2], v[39:40], -v[42:43]
	v_fma_f64 v[3:4], v[3:4], v[39:40], v[37:38]
.LBB14_46:
	s_and_saveexec_b32 s22, s4
	s_cbranch_execz .LBB14_50
; %bb.47:
	v_add_nc_u32_e32 v37, -9, v0
	s_movk_i32 s23, 0x180
	s_mov_b32 s4, 0
	s_mov_b32 s24, s12
	.p2align	6
.LBB14_48:                              ; =>This Inner Loop Header: Depth=1
	v_mov_b32_e32 v40, s24
	v_add_nc_u32_e32 v37, -1, v37
	s_add_i32 s24, s24, 16
	s_clause 0x3
	buffer_load_dword v38, v40, s[0:3], 0 offen offset:8
	buffer_load_dword v39, v40, s[0:3], 0 offen offset:12
	buffer_load_dword v46, v40, s[0:3], 0 offen
	buffer_load_dword v47, v40, s[0:3], 0 offen offset:4
	v_mov_b32_e32 v40, s23
	v_cmp_eq_u32_e32 vcc_lo, 0, v37
	s_add_i32 s23, s23, 16
	ds_read_b128 v[42:45], v40
	s_or_b32 s4, vcc_lo, s4
	s_waitcnt vmcnt(2) lgkmcnt(0)
	v_mul_f64 v[48:49], v[44:45], v[38:39]
	v_mul_f64 v[38:39], v[42:43], v[38:39]
	s_waitcnt vmcnt(0)
	v_fma_f64 v[42:43], v[42:43], v[46:47], -v[48:49]
	v_fma_f64 v[38:39], v[44:45], v[46:47], v[38:39]
	v_add_f64 v[1:2], v[1:2], v[42:43]
	v_add_f64 v[3:4], v[3:4], v[38:39]
	s_andn2_b32 exec_lo, exec_lo, s4
	s_cbranch_execnz .LBB14_48
; %bb.49:
	s_or_b32 exec_lo, exec_lo, s4
.LBB14_50:
	s_or_b32 exec_lo, exec_lo, s22
	v_mov_b32_e32 v37, 0
	ds_read_b128 v[37:40], v37 offset:128
	s_waitcnt lgkmcnt(0)
	v_mul_f64 v[42:43], v[3:4], v[39:40]
	v_mul_f64 v[39:40], v[1:2], v[39:40]
	v_fma_f64 v[1:2], v[1:2], v[37:38], -v[42:43]
	v_fma_f64 v[3:4], v[3:4], v[37:38], v[39:40]
	buffer_store_dword v2, off, s[0:3], 0 offset:132
	buffer_store_dword v1, off, s[0:3], 0 offset:128
	;; [unrolled: 1-line block ×4, first 2 shown]
.LBB14_51:
	s_or_b32 exec_lo, exec_lo, s8
	v_mov_b32_e32 v4, s14
	v_cmp_lt_u32_e64 s4, 7, v0
	s_clause 0x3
	buffer_load_dword v1, v4, s[0:3], 0 offen
	buffer_load_dword v2, v4, s[0:3], 0 offen offset:4
	buffer_load_dword v3, v4, s[0:3], 0 offen offset:8
	;; [unrolled: 1-line block ×3, first 2 shown]
	s_waitcnt vmcnt(0)
	ds_write_b128 v36, v[1:4]
	s_waitcnt lgkmcnt(0)
	s_waitcnt_vscnt null, 0x0
	s_barrier
	buffer_gl0_inv
	s_and_saveexec_b32 s8, s4
	s_cbranch_execz .LBB14_59
; %bb.52:
	ds_read_b128 v[1:4], v36
	s_andn2_b32 vcc_lo, exec_lo, s21
	s_cbranch_vccnz .LBB14_54
; %bb.53:
	s_clause 0x3
	buffer_load_dword v37, v35, s[0:3], 0 offen offset:8
	buffer_load_dword v38, v35, s[0:3], 0 offen offset:12
	buffer_load_dword v39, v35, s[0:3], 0 offen
	buffer_load_dword v40, v35, s[0:3], 0 offen offset:4
	s_waitcnt vmcnt(2) lgkmcnt(0)
	v_mul_f64 v[42:43], v[3:4], v[37:38]
	v_mul_f64 v[37:38], v[1:2], v[37:38]
	s_waitcnt vmcnt(0)
	v_fma_f64 v[1:2], v[1:2], v[39:40], -v[42:43]
	v_fma_f64 v[3:4], v[3:4], v[39:40], v[37:38]
.LBB14_54:
	s_and_saveexec_b32 s22, s5
	s_cbranch_execz .LBB14_58
; %bb.55:
	v_add_nc_u32_e32 v37, -8, v0
	s_movk_i32 s23, 0x170
	s_mov_b32 s5, 0
	s_mov_b32 s24, s13
	.p2align	6
.LBB14_56:                              ; =>This Inner Loop Header: Depth=1
	v_mov_b32_e32 v40, s24
	v_add_nc_u32_e32 v37, -1, v37
	s_add_i32 s24, s24, 16
	s_clause 0x3
	buffer_load_dword v38, v40, s[0:3], 0 offen offset:8
	buffer_load_dword v39, v40, s[0:3], 0 offen offset:12
	buffer_load_dword v46, v40, s[0:3], 0 offen
	buffer_load_dword v47, v40, s[0:3], 0 offen offset:4
	v_mov_b32_e32 v40, s23
	v_cmp_eq_u32_e32 vcc_lo, 0, v37
	s_add_i32 s23, s23, 16
	ds_read_b128 v[42:45], v40
	s_or_b32 s5, vcc_lo, s5
	s_waitcnt vmcnt(2) lgkmcnt(0)
	v_mul_f64 v[48:49], v[44:45], v[38:39]
	v_mul_f64 v[38:39], v[42:43], v[38:39]
	s_waitcnt vmcnt(0)
	v_fma_f64 v[42:43], v[42:43], v[46:47], -v[48:49]
	v_fma_f64 v[38:39], v[44:45], v[46:47], v[38:39]
	v_add_f64 v[1:2], v[1:2], v[42:43]
	v_add_f64 v[3:4], v[3:4], v[38:39]
	s_andn2_b32 exec_lo, exec_lo, s5
	s_cbranch_execnz .LBB14_56
; %bb.57:
	s_or_b32 exec_lo, exec_lo, s5
.LBB14_58:
	s_or_b32 exec_lo, exec_lo, s22
	v_mov_b32_e32 v37, 0
	ds_read_b128 v[37:40], v37 offset:112
	s_waitcnt lgkmcnt(0)
	v_mul_f64 v[42:43], v[3:4], v[39:40]
	v_mul_f64 v[39:40], v[1:2], v[39:40]
	v_fma_f64 v[1:2], v[1:2], v[37:38], -v[42:43]
	v_fma_f64 v[3:4], v[3:4], v[37:38], v[39:40]
	buffer_store_dword v2, off, s[0:3], 0 offset:116
	buffer_store_dword v1, off, s[0:3], 0 offset:112
	buffer_store_dword v4, off, s[0:3], 0 offset:124
	buffer_store_dword v3, off, s[0:3], 0 offset:120
.LBB14_59:
	s_or_b32 exec_lo, exec_lo, s8
	v_mov_b32_e32 v4, s15
	v_cmp_lt_u32_e64 s5, 6, v0
	s_clause 0x3
	buffer_load_dword v1, v4, s[0:3], 0 offen
	buffer_load_dword v2, v4, s[0:3], 0 offen offset:4
	buffer_load_dword v3, v4, s[0:3], 0 offen offset:8
	;; [unrolled: 1-line block ×3, first 2 shown]
	s_waitcnt vmcnt(0)
	ds_write_b128 v36, v[1:4]
	s_waitcnt lgkmcnt(0)
	s_waitcnt_vscnt null, 0x0
	s_barrier
	buffer_gl0_inv
	s_and_saveexec_b32 s8, s5
	s_cbranch_execz .LBB14_67
; %bb.60:
	ds_read_b128 v[1:4], v36
	s_andn2_b32 vcc_lo, exec_lo, s21
	s_cbranch_vccnz .LBB14_62
; %bb.61:
	s_clause 0x3
	buffer_load_dword v37, v35, s[0:3], 0 offen offset:8
	buffer_load_dword v38, v35, s[0:3], 0 offen offset:12
	buffer_load_dword v39, v35, s[0:3], 0 offen
	buffer_load_dword v40, v35, s[0:3], 0 offen offset:4
	s_waitcnt vmcnt(2) lgkmcnt(0)
	v_mul_f64 v[42:43], v[3:4], v[37:38]
	v_mul_f64 v[37:38], v[1:2], v[37:38]
	s_waitcnt vmcnt(0)
	v_fma_f64 v[1:2], v[1:2], v[39:40], -v[42:43]
	v_fma_f64 v[3:4], v[3:4], v[39:40], v[37:38]
.LBB14_62:
	s_and_saveexec_b32 s22, s4
	s_cbranch_execz .LBB14_66
; %bb.63:
	v_add_nc_u32_e32 v37, -7, v0
	s_movk_i32 s23, 0x160
	s_mov_b32 s4, 0
	s_mov_b32 s24, s14
	.p2align	6
.LBB14_64:                              ; =>This Inner Loop Header: Depth=1
	v_mov_b32_e32 v40, s24
	v_add_nc_u32_e32 v37, -1, v37
	s_add_i32 s24, s24, 16
	s_clause 0x3
	buffer_load_dword v38, v40, s[0:3], 0 offen offset:8
	buffer_load_dword v39, v40, s[0:3], 0 offen offset:12
	buffer_load_dword v46, v40, s[0:3], 0 offen
	buffer_load_dword v47, v40, s[0:3], 0 offen offset:4
	v_mov_b32_e32 v40, s23
	v_cmp_eq_u32_e32 vcc_lo, 0, v37
	s_add_i32 s23, s23, 16
	ds_read_b128 v[42:45], v40
	s_or_b32 s4, vcc_lo, s4
	s_waitcnt vmcnt(2) lgkmcnt(0)
	v_mul_f64 v[48:49], v[44:45], v[38:39]
	v_mul_f64 v[38:39], v[42:43], v[38:39]
	s_waitcnt vmcnt(0)
	v_fma_f64 v[42:43], v[42:43], v[46:47], -v[48:49]
	v_fma_f64 v[38:39], v[44:45], v[46:47], v[38:39]
	v_add_f64 v[1:2], v[1:2], v[42:43]
	v_add_f64 v[3:4], v[3:4], v[38:39]
	s_andn2_b32 exec_lo, exec_lo, s4
	s_cbranch_execnz .LBB14_64
; %bb.65:
	s_or_b32 exec_lo, exec_lo, s4
.LBB14_66:
	s_or_b32 exec_lo, exec_lo, s22
	v_mov_b32_e32 v37, 0
	ds_read_b128 v[37:40], v37 offset:96
	s_waitcnt lgkmcnt(0)
	v_mul_f64 v[42:43], v[3:4], v[39:40]
	v_mul_f64 v[39:40], v[1:2], v[39:40]
	v_fma_f64 v[1:2], v[1:2], v[37:38], -v[42:43]
	v_fma_f64 v[3:4], v[3:4], v[37:38], v[39:40]
	buffer_store_dword v2, off, s[0:3], 0 offset:100
	buffer_store_dword v1, off, s[0:3], 0 offset:96
	;; [unrolled: 1-line block ×4, first 2 shown]
.LBB14_67:
	s_or_b32 exec_lo, exec_lo, s8
	v_mov_b32_e32 v4, s16
	v_cmp_lt_u32_e64 s4, 5, v0
	s_clause 0x3
	buffer_load_dword v1, v4, s[0:3], 0 offen
	buffer_load_dword v2, v4, s[0:3], 0 offen offset:4
	buffer_load_dword v3, v4, s[0:3], 0 offen offset:8
	;; [unrolled: 1-line block ×3, first 2 shown]
	s_waitcnt vmcnt(0)
	ds_write_b128 v36, v[1:4]
	s_waitcnt lgkmcnt(0)
	s_waitcnt_vscnt null, 0x0
	s_barrier
	buffer_gl0_inv
	s_and_saveexec_b32 s8, s4
	s_cbranch_execz .LBB14_75
; %bb.68:
	ds_read_b128 v[1:4], v36
	s_andn2_b32 vcc_lo, exec_lo, s21
	s_cbranch_vccnz .LBB14_70
; %bb.69:
	s_clause 0x3
	buffer_load_dword v37, v35, s[0:3], 0 offen offset:8
	buffer_load_dword v38, v35, s[0:3], 0 offen offset:12
	buffer_load_dword v39, v35, s[0:3], 0 offen
	buffer_load_dword v40, v35, s[0:3], 0 offen offset:4
	s_waitcnt vmcnt(2) lgkmcnt(0)
	v_mul_f64 v[42:43], v[3:4], v[37:38]
	v_mul_f64 v[37:38], v[1:2], v[37:38]
	s_waitcnt vmcnt(0)
	v_fma_f64 v[1:2], v[1:2], v[39:40], -v[42:43]
	v_fma_f64 v[3:4], v[3:4], v[39:40], v[37:38]
.LBB14_70:
	s_and_saveexec_b32 s22, s5
	s_cbranch_execz .LBB14_74
; %bb.71:
	v_add_nc_u32_e32 v37, -6, v0
	s_movk_i32 s23, 0x150
	s_mov_b32 s5, 0
	s_mov_b32 s24, s15
	.p2align	6
.LBB14_72:                              ; =>This Inner Loop Header: Depth=1
	v_mov_b32_e32 v40, s24
	v_add_nc_u32_e32 v37, -1, v37
	s_add_i32 s24, s24, 16
	s_clause 0x3
	buffer_load_dword v38, v40, s[0:3], 0 offen offset:8
	buffer_load_dword v39, v40, s[0:3], 0 offen offset:12
	buffer_load_dword v46, v40, s[0:3], 0 offen
	buffer_load_dword v47, v40, s[0:3], 0 offen offset:4
	v_mov_b32_e32 v40, s23
	v_cmp_eq_u32_e32 vcc_lo, 0, v37
	s_add_i32 s23, s23, 16
	ds_read_b128 v[42:45], v40
	s_or_b32 s5, vcc_lo, s5
	s_waitcnt vmcnt(2) lgkmcnt(0)
	v_mul_f64 v[48:49], v[44:45], v[38:39]
	v_mul_f64 v[38:39], v[42:43], v[38:39]
	s_waitcnt vmcnt(0)
	v_fma_f64 v[42:43], v[42:43], v[46:47], -v[48:49]
	v_fma_f64 v[38:39], v[44:45], v[46:47], v[38:39]
	v_add_f64 v[1:2], v[1:2], v[42:43]
	v_add_f64 v[3:4], v[3:4], v[38:39]
	s_andn2_b32 exec_lo, exec_lo, s5
	s_cbranch_execnz .LBB14_72
; %bb.73:
	s_or_b32 exec_lo, exec_lo, s5
.LBB14_74:
	s_or_b32 exec_lo, exec_lo, s22
	v_mov_b32_e32 v37, 0
	ds_read_b128 v[37:40], v37 offset:80
	s_waitcnt lgkmcnt(0)
	v_mul_f64 v[42:43], v[3:4], v[39:40]
	v_mul_f64 v[39:40], v[1:2], v[39:40]
	v_fma_f64 v[1:2], v[1:2], v[37:38], -v[42:43]
	v_fma_f64 v[3:4], v[3:4], v[37:38], v[39:40]
	buffer_store_dword v2, off, s[0:3], 0 offset:84
	buffer_store_dword v1, off, s[0:3], 0 offset:80
	;; [unrolled: 1-line block ×4, first 2 shown]
.LBB14_75:
	s_or_b32 exec_lo, exec_lo, s8
	v_mov_b32_e32 v4, s17
	v_cmp_lt_u32_e64 s5, 4, v0
	s_clause 0x3
	buffer_load_dword v1, v4, s[0:3], 0 offen
	buffer_load_dword v2, v4, s[0:3], 0 offen offset:4
	buffer_load_dword v3, v4, s[0:3], 0 offen offset:8
	;; [unrolled: 1-line block ×3, first 2 shown]
	s_waitcnt vmcnt(0)
	ds_write_b128 v36, v[1:4]
	s_waitcnt lgkmcnt(0)
	s_waitcnt_vscnt null, 0x0
	s_barrier
	buffer_gl0_inv
	s_and_saveexec_b32 s8, s5
	s_cbranch_execz .LBB14_83
; %bb.76:
	ds_read_b128 v[1:4], v36
	s_andn2_b32 vcc_lo, exec_lo, s21
	s_cbranch_vccnz .LBB14_78
; %bb.77:
	s_clause 0x3
	buffer_load_dword v37, v35, s[0:3], 0 offen offset:8
	buffer_load_dword v38, v35, s[0:3], 0 offen offset:12
	buffer_load_dword v39, v35, s[0:3], 0 offen
	buffer_load_dword v40, v35, s[0:3], 0 offen offset:4
	s_waitcnt vmcnt(2) lgkmcnt(0)
	v_mul_f64 v[42:43], v[3:4], v[37:38]
	v_mul_f64 v[37:38], v[1:2], v[37:38]
	s_waitcnt vmcnt(0)
	v_fma_f64 v[1:2], v[1:2], v[39:40], -v[42:43]
	v_fma_f64 v[3:4], v[3:4], v[39:40], v[37:38]
.LBB14_78:
	s_and_saveexec_b32 s22, s4
	s_cbranch_execz .LBB14_82
; %bb.79:
	v_add_nc_u32_e32 v37, -5, v0
	s_movk_i32 s23, 0x140
	s_mov_b32 s4, 0
	s_mov_b32 s24, s16
	.p2align	6
.LBB14_80:                              ; =>This Inner Loop Header: Depth=1
	v_mov_b32_e32 v40, s24
	v_add_nc_u32_e32 v37, -1, v37
	s_add_i32 s24, s24, 16
	s_clause 0x3
	buffer_load_dword v38, v40, s[0:3], 0 offen offset:8
	buffer_load_dword v39, v40, s[0:3], 0 offen offset:12
	buffer_load_dword v46, v40, s[0:3], 0 offen
	buffer_load_dword v47, v40, s[0:3], 0 offen offset:4
	v_mov_b32_e32 v40, s23
	v_cmp_eq_u32_e32 vcc_lo, 0, v37
	s_add_i32 s23, s23, 16
	ds_read_b128 v[42:45], v40
	s_or_b32 s4, vcc_lo, s4
	s_waitcnt vmcnt(2) lgkmcnt(0)
	v_mul_f64 v[48:49], v[44:45], v[38:39]
	v_mul_f64 v[38:39], v[42:43], v[38:39]
	s_waitcnt vmcnt(0)
	v_fma_f64 v[42:43], v[42:43], v[46:47], -v[48:49]
	v_fma_f64 v[38:39], v[44:45], v[46:47], v[38:39]
	v_add_f64 v[1:2], v[1:2], v[42:43]
	v_add_f64 v[3:4], v[3:4], v[38:39]
	s_andn2_b32 exec_lo, exec_lo, s4
	s_cbranch_execnz .LBB14_80
; %bb.81:
	s_or_b32 exec_lo, exec_lo, s4
.LBB14_82:
	s_or_b32 exec_lo, exec_lo, s22
	v_mov_b32_e32 v37, 0
	ds_read_b128 v[37:40], v37 offset:64
	s_waitcnt lgkmcnt(0)
	v_mul_f64 v[42:43], v[3:4], v[39:40]
	v_mul_f64 v[39:40], v[1:2], v[39:40]
	v_fma_f64 v[1:2], v[1:2], v[37:38], -v[42:43]
	v_fma_f64 v[3:4], v[3:4], v[37:38], v[39:40]
	buffer_store_dword v2, off, s[0:3], 0 offset:68
	buffer_store_dword v1, off, s[0:3], 0 offset:64
	;; [unrolled: 1-line block ×4, first 2 shown]
.LBB14_83:
	s_or_b32 exec_lo, exec_lo, s8
	v_mov_b32_e32 v4, s18
	v_cmp_lt_u32_e64 s4, 3, v0
	s_clause 0x3
	buffer_load_dword v1, v4, s[0:3], 0 offen
	buffer_load_dword v2, v4, s[0:3], 0 offen offset:4
	buffer_load_dword v3, v4, s[0:3], 0 offen offset:8
	;; [unrolled: 1-line block ×3, first 2 shown]
	s_waitcnt vmcnt(0)
	ds_write_b128 v36, v[1:4]
	s_waitcnt lgkmcnt(0)
	s_waitcnt_vscnt null, 0x0
	s_barrier
	buffer_gl0_inv
	s_and_saveexec_b32 s8, s4
	s_cbranch_execz .LBB14_91
; %bb.84:
	ds_read_b128 v[1:4], v36
	s_andn2_b32 vcc_lo, exec_lo, s21
	s_cbranch_vccnz .LBB14_86
; %bb.85:
	s_clause 0x3
	buffer_load_dword v37, v35, s[0:3], 0 offen offset:8
	buffer_load_dword v38, v35, s[0:3], 0 offen offset:12
	buffer_load_dword v39, v35, s[0:3], 0 offen
	buffer_load_dword v40, v35, s[0:3], 0 offen offset:4
	s_waitcnt vmcnt(2) lgkmcnt(0)
	v_mul_f64 v[42:43], v[3:4], v[37:38]
	v_mul_f64 v[37:38], v[1:2], v[37:38]
	s_waitcnt vmcnt(0)
	v_fma_f64 v[1:2], v[1:2], v[39:40], -v[42:43]
	v_fma_f64 v[3:4], v[3:4], v[39:40], v[37:38]
.LBB14_86:
	s_and_saveexec_b32 s22, s5
	s_cbranch_execz .LBB14_90
; %bb.87:
	v_add_nc_u32_e32 v37, -4, v0
	s_movk_i32 s23, 0x130
	s_mov_b32 s5, 0
	s_mov_b32 s24, s17
	.p2align	6
.LBB14_88:                              ; =>This Inner Loop Header: Depth=1
	v_mov_b32_e32 v40, s24
	v_add_nc_u32_e32 v37, -1, v37
	s_add_i32 s24, s24, 16
	s_clause 0x3
	buffer_load_dword v38, v40, s[0:3], 0 offen offset:8
	buffer_load_dword v39, v40, s[0:3], 0 offen offset:12
	buffer_load_dword v46, v40, s[0:3], 0 offen
	buffer_load_dword v47, v40, s[0:3], 0 offen offset:4
	v_mov_b32_e32 v40, s23
	v_cmp_eq_u32_e32 vcc_lo, 0, v37
	s_add_i32 s23, s23, 16
	ds_read_b128 v[42:45], v40
	s_or_b32 s5, vcc_lo, s5
	s_waitcnt vmcnt(2) lgkmcnt(0)
	v_mul_f64 v[48:49], v[44:45], v[38:39]
	v_mul_f64 v[38:39], v[42:43], v[38:39]
	s_waitcnt vmcnt(0)
	v_fma_f64 v[42:43], v[42:43], v[46:47], -v[48:49]
	v_fma_f64 v[38:39], v[44:45], v[46:47], v[38:39]
	v_add_f64 v[1:2], v[1:2], v[42:43]
	v_add_f64 v[3:4], v[3:4], v[38:39]
	s_andn2_b32 exec_lo, exec_lo, s5
	s_cbranch_execnz .LBB14_88
; %bb.89:
	s_or_b32 exec_lo, exec_lo, s5
.LBB14_90:
	s_or_b32 exec_lo, exec_lo, s22
	v_mov_b32_e32 v37, 0
	ds_read_b128 v[37:40], v37 offset:48
	s_waitcnt lgkmcnt(0)
	v_mul_f64 v[42:43], v[3:4], v[39:40]
	v_mul_f64 v[39:40], v[1:2], v[39:40]
	v_fma_f64 v[1:2], v[1:2], v[37:38], -v[42:43]
	v_fma_f64 v[3:4], v[3:4], v[37:38], v[39:40]
	buffer_store_dword v2, off, s[0:3], 0 offset:52
	buffer_store_dword v1, off, s[0:3], 0 offset:48
	;; [unrolled: 1-line block ×4, first 2 shown]
.LBB14_91:
	s_or_b32 exec_lo, exec_lo, s8
	v_mov_b32_e32 v4, s19
	v_cmp_lt_u32_e64 s5, 2, v0
	s_clause 0x3
	buffer_load_dword v1, v4, s[0:3], 0 offen
	buffer_load_dword v2, v4, s[0:3], 0 offen offset:4
	buffer_load_dword v3, v4, s[0:3], 0 offen offset:8
	;; [unrolled: 1-line block ×3, first 2 shown]
	s_waitcnt vmcnt(0)
	ds_write_b128 v36, v[1:4]
	s_waitcnt lgkmcnt(0)
	s_waitcnt_vscnt null, 0x0
	s_barrier
	buffer_gl0_inv
	s_and_saveexec_b32 s8, s5
	s_cbranch_execz .LBB14_99
; %bb.92:
	ds_read_b128 v[1:4], v36
	s_andn2_b32 vcc_lo, exec_lo, s21
	s_cbranch_vccnz .LBB14_94
; %bb.93:
	s_clause 0x3
	buffer_load_dword v37, v35, s[0:3], 0 offen offset:8
	buffer_load_dword v38, v35, s[0:3], 0 offen offset:12
	buffer_load_dword v39, v35, s[0:3], 0 offen
	buffer_load_dword v40, v35, s[0:3], 0 offen offset:4
	s_waitcnt vmcnt(2) lgkmcnt(0)
	v_mul_f64 v[42:43], v[3:4], v[37:38]
	v_mul_f64 v[37:38], v[1:2], v[37:38]
	s_waitcnt vmcnt(0)
	v_fma_f64 v[1:2], v[1:2], v[39:40], -v[42:43]
	v_fma_f64 v[3:4], v[3:4], v[39:40], v[37:38]
.LBB14_94:
	s_and_saveexec_b32 s22, s4
	s_cbranch_execz .LBB14_98
; %bb.95:
	v_add_nc_u32_e32 v37, -3, v0
	s_movk_i32 s23, 0x120
	s_mov_b32 s4, 0
	s_mov_b32 s24, s18
	.p2align	6
.LBB14_96:                              ; =>This Inner Loop Header: Depth=1
	v_mov_b32_e32 v40, s24
	v_add_nc_u32_e32 v37, -1, v37
	s_add_i32 s24, s24, 16
	s_clause 0x3
	buffer_load_dword v38, v40, s[0:3], 0 offen offset:8
	buffer_load_dword v39, v40, s[0:3], 0 offen offset:12
	buffer_load_dword v46, v40, s[0:3], 0 offen
	buffer_load_dword v47, v40, s[0:3], 0 offen offset:4
	v_mov_b32_e32 v40, s23
	v_cmp_eq_u32_e32 vcc_lo, 0, v37
	s_add_i32 s23, s23, 16
	ds_read_b128 v[42:45], v40
	s_or_b32 s4, vcc_lo, s4
	s_waitcnt vmcnt(2) lgkmcnt(0)
	v_mul_f64 v[48:49], v[44:45], v[38:39]
	v_mul_f64 v[38:39], v[42:43], v[38:39]
	s_waitcnt vmcnt(0)
	v_fma_f64 v[42:43], v[42:43], v[46:47], -v[48:49]
	v_fma_f64 v[38:39], v[44:45], v[46:47], v[38:39]
	v_add_f64 v[1:2], v[1:2], v[42:43]
	v_add_f64 v[3:4], v[3:4], v[38:39]
	s_andn2_b32 exec_lo, exec_lo, s4
	s_cbranch_execnz .LBB14_96
; %bb.97:
	s_or_b32 exec_lo, exec_lo, s4
.LBB14_98:
	s_or_b32 exec_lo, exec_lo, s22
	v_mov_b32_e32 v37, 0
	ds_read_b128 v[37:40], v37 offset:32
	s_waitcnt lgkmcnt(0)
	v_mul_f64 v[42:43], v[3:4], v[39:40]
	v_mul_f64 v[39:40], v[1:2], v[39:40]
	v_fma_f64 v[1:2], v[1:2], v[37:38], -v[42:43]
	v_fma_f64 v[3:4], v[3:4], v[37:38], v[39:40]
	buffer_store_dword v2, off, s[0:3], 0 offset:36
	buffer_store_dword v1, off, s[0:3], 0 offset:32
	;; [unrolled: 1-line block ×4, first 2 shown]
.LBB14_99:
	s_or_b32 exec_lo, exec_lo, s8
	v_mov_b32_e32 v4, s20
	v_cmp_lt_u32_e64 s4, 1, v0
	s_clause 0x3
	buffer_load_dword v1, v4, s[0:3], 0 offen
	buffer_load_dword v2, v4, s[0:3], 0 offen offset:4
	buffer_load_dword v3, v4, s[0:3], 0 offen offset:8
	;; [unrolled: 1-line block ×3, first 2 shown]
	s_waitcnt vmcnt(0)
	ds_write_b128 v36, v[1:4]
	s_waitcnt lgkmcnt(0)
	s_waitcnt_vscnt null, 0x0
	s_barrier
	buffer_gl0_inv
	s_and_saveexec_b32 s8, s4
	s_cbranch_execz .LBB14_107
; %bb.100:
	ds_read_b128 v[1:4], v36
	s_andn2_b32 vcc_lo, exec_lo, s21
	s_cbranch_vccnz .LBB14_102
; %bb.101:
	s_clause 0x3
	buffer_load_dword v37, v35, s[0:3], 0 offen offset:8
	buffer_load_dword v38, v35, s[0:3], 0 offen offset:12
	buffer_load_dword v39, v35, s[0:3], 0 offen
	buffer_load_dword v40, v35, s[0:3], 0 offen offset:4
	s_waitcnt vmcnt(2) lgkmcnt(0)
	v_mul_f64 v[42:43], v[3:4], v[37:38]
	v_mul_f64 v[37:38], v[1:2], v[37:38]
	s_waitcnt vmcnt(0)
	v_fma_f64 v[1:2], v[1:2], v[39:40], -v[42:43]
	v_fma_f64 v[3:4], v[3:4], v[39:40], v[37:38]
.LBB14_102:
	s_and_saveexec_b32 s22, s5
	s_cbranch_execz .LBB14_106
; %bb.103:
	v_add_nc_u32_e32 v37, -2, v0
	s_movk_i32 s23, 0x110
	s_mov_b32 s5, 0
	s_mov_b32 s24, s19
	.p2align	6
.LBB14_104:                             ; =>This Inner Loop Header: Depth=1
	v_mov_b32_e32 v40, s24
	v_add_nc_u32_e32 v37, -1, v37
	s_add_i32 s24, s24, 16
	s_clause 0x3
	buffer_load_dword v38, v40, s[0:3], 0 offen offset:8
	buffer_load_dword v39, v40, s[0:3], 0 offen offset:12
	buffer_load_dword v46, v40, s[0:3], 0 offen
	buffer_load_dword v47, v40, s[0:3], 0 offen offset:4
	v_mov_b32_e32 v40, s23
	v_cmp_eq_u32_e32 vcc_lo, 0, v37
	s_add_i32 s23, s23, 16
	ds_read_b128 v[42:45], v40
	s_or_b32 s5, vcc_lo, s5
	s_waitcnt vmcnt(2) lgkmcnt(0)
	v_mul_f64 v[48:49], v[44:45], v[38:39]
	v_mul_f64 v[38:39], v[42:43], v[38:39]
	s_waitcnt vmcnt(0)
	v_fma_f64 v[42:43], v[42:43], v[46:47], -v[48:49]
	v_fma_f64 v[38:39], v[44:45], v[46:47], v[38:39]
	v_add_f64 v[1:2], v[1:2], v[42:43]
	v_add_f64 v[3:4], v[3:4], v[38:39]
	s_andn2_b32 exec_lo, exec_lo, s5
	s_cbranch_execnz .LBB14_104
; %bb.105:
	s_or_b32 exec_lo, exec_lo, s5
.LBB14_106:
	s_or_b32 exec_lo, exec_lo, s22
	v_mov_b32_e32 v37, 0
	ds_read_b128 v[37:40], v37 offset:16
	s_waitcnt lgkmcnt(0)
	v_mul_f64 v[42:43], v[3:4], v[39:40]
	v_mul_f64 v[39:40], v[1:2], v[39:40]
	v_fma_f64 v[1:2], v[1:2], v[37:38], -v[42:43]
	v_fma_f64 v[3:4], v[3:4], v[37:38], v[39:40]
	buffer_store_dword v2, off, s[0:3], 0 offset:20
	buffer_store_dword v1, off, s[0:3], 0 offset:16
	;; [unrolled: 1-line block ×4, first 2 shown]
.LBB14_107:
	s_or_b32 exec_lo, exec_lo, s8
	s_clause 0x3
	buffer_load_dword v1, off, s[0:3], 0
	buffer_load_dword v2, off, s[0:3], 0 offset:4
	buffer_load_dword v3, off, s[0:3], 0 offset:8
	;; [unrolled: 1-line block ×3, first 2 shown]
	s_mov_b32 s8, 0
	s_mov_b32 s5, 0
	s_mov_b32 s22, exec_lo
                                        ; implicit-def: $sgpr23
	s_waitcnt vmcnt(0)
	ds_write_b128 v36, v[1:4]
	s_waitcnt lgkmcnt(0)
	s_waitcnt_vscnt null, 0x0
	s_barrier
	buffer_gl0_inv
                                        ; implicit-def: $vgpr1_vgpr2
	v_cmpx_ne_u32_e32 0, v0
	s_cbranch_execz .LBB14_115
; %bb.108:
	ds_read_b128 v[1:4], v36
	s_andn2_b32 vcc_lo, exec_lo, s21
	s_cbranch_vccnz .LBB14_110
; %bb.109:
	s_clause 0x3
	buffer_load_dword v37, v35, s[0:3], 0 offen offset:8
	buffer_load_dword v38, v35, s[0:3], 0 offen offset:12
	buffer_load_dword v39, v35, s[0:3], 0 offen
	buffer_load_dword v40, v35, s[0:3], 0 offen offset:4
	s_waitcnt vmcnt(2) lgkmcnt(0)
	v_mul_f64 v[42:43], v[3:4], v[37:38]
	v_mul_f64 v[37:38], v[1:2], v[37:38]
	s_waitcnt vmcnt(0)
	v_fma_f64 v[1:2], v[1:2], v[39:40], -v[42:43]
	v_fma_f64 v[3:4], v[3:4], v[39:40], v[37:38]
.LBB14_110:
	s_and_saveexec_b32 s5, s4
	s_cbranch_execz .LBB14_114
; %bb.111:
	v_add_nc_u32_e32 v37, -1, v0
	s_movk_i32 s23, 0x100
	s_mov_b32 s4, 0
	s_mov_b32 s24, s20
	.p2align	6
.LBB14_112:                             ; =>This Inner Loop Header: Depth=1
	v_mov_b32_e32 v40, s24
	v_add_nc_u32_e32 v37, -1, v37
	s_add_i32 s24, s24, 16
	s_clause 0x3
	buffer_load_dword v38, v40, s[0:3], 0 offen offset:8
	buffer_load_dword v39, v40, s[0:3], 0 offen offset:12
	buffer_load_dword v46, v40, s[0:3], 0 offen
	buffer_load_dword v47, v40, s[0:3], 0 offen offset:4
	v_mov_b32_e32 v40, s23
	v_cmp_eq_u32_e32 vcc_lo, 0, v37
	s_add_i32 s23, s23, 16
	ds_read_b128 v[42:45], v40
	s_or_b32 s4, vcc_lo, s4
	s_waitcnt vmcnt(2) lgkmcnt(0)
	v_mul_f64 v[48:49], v[44:45], v[38:39]
	v_mul_f64 v[38:39], v[42:43], v[38:39]
	s_waitcnt vmcnt(0)
	v_fma_f64 v[42:43], v[42:43], v[46:47], -v[48:49]
	v_fma_f64 v[38:39], v[44:45], v[46:47], v[38:39]
	v_add_f64 v[1:2], v[1:2], v[42:43]
	v_add_f64 v[3:4], v[3:4], v[38:39]
	s_andn2_b32 exec_lo, exec_lo, s4
	s_cbranch_execnz .LBB14_112
; %bb.113:
	s_or_b32 exec_lo, exec_lo, s4
.LBB14_114:
	s_or_b32 exec_lo, exec_lo, s5
	v_mov_b32_e32 v37, 0
	s_mov_b32 s5, exec_lo
	s_or_b32 s23, 0, 8
	ds_read_b128 v[37:40], v37
	s_waitcnt lgkmcnt(0)
	v_mul_f64 v[42:43], v[3:4], v[39:40]
	v_mul_f64 v[39:40], v[1:2], v[39:40]
	v_fma_f64 v[42:43], v[1:2], v[37:38], -v[42:43]
	v_fma_f64 v[1:2], v[3:4], v[37:38], v[39:40]
	buffer_store_dword v43, off, s[0:3], 0 offset:4
	buffer_store_dword v42, off, s[0:3], 0
.LBB14_115:
	s_or_b32 exec_lo, exec_lo, s22
	s_and_b32 vcc_lo, exec_lo, s8
	s_cbranch_vccnz .LBB14_117
	s_branch .LBB14_224
.LBB14_116:
	s_mov_b32 s5, 0
                                        ; implicit-def: $vgpr1_vgpr2
                                        ; implicit-def: $sgpr23
	s_cbranch_execz .LBB14_224
.LBB14_117:
	v_mov_b32_e32 v4, s20
	v_cmp_eq_u32_e64 s4, 0, v0
	v_cndmask_b32_e64 v37, 0, 1, s21
	s_clause 0x3
	buffer_load_dword v1, v4, s[0:3], 0 offen
	buffer_load_dword v2, v4, s[0:3], 0 offen offset:4
	buffer_load_dword v3, v4, s[0:3], 0 offen offset:8
	;; [unrolled: 1-line block ×3, first 2 shown]
	s_waitcnt vmcnt(0)
	ds_write_b128 v36, v[1:4]
	s_waitcnt lgkmcnt(0)
	s_waitcnt_vscnt null, 0x0
	s_barrier
	buffer_gl0_inv
	s_and_saveexec_b32 s8, s4
	s_cbranch_execz .LBB14_121
; %bb.118:
	ds_read_b128 v[1:4], v36
	s_andn2_b32 vcc_lo, exec_lo, s21
	s_cbranch_vccnz .LBB14_120
; %bb.119:
	s_clause 0x3
	buffer_load_dword v38, v35, s[0:3], 0 offen offset:8
	buffer_load_dword v39, v35, s[0:3], 0 offen offset:12
	buffer_load_dword v42, v35, s[0:3], 0 offen
	buffer_load_dword v43, v35, s[0:3], 0 offen offset:4
	s_waitcnt vmcnt(2) lgkmcnt(0)
	v_mul_f64 v[44:45], v[3:4], v[38:39]
	v_mul_f64 v[38:39], v[1:2], v[38:39]
	s_waitcnt vmcnt(0)
	v_fma_f64 v[1:2], v[1:2], v[42:43], -v[44:45]
	v_fma_f64 v[3:4], v[3:4], v[42:43], v[38:39]
.LBB14_120:
	v_mov_b32_e32 v38, 0
	ds_read_b128 v[42:45], v38 offset:16
	s_waitcnt lgkmcnt(0)
	v_mul_f64 v[38:39], v[3:4], v[44:45]
	v_mul_f64 v[44:45], v[1:2], v[44:45]
	v_fma_f64 v[1:2], v[1:2], v[42:43], -v[38:39]
	v_fma_f64 v[3:4], v[3:4], v[42:43], v[44:45]
	buffer_store_dword v2, off, s[0:3], 0 offset:20
	buffer_store_dword v1, off, s[0:3], 0 offset:16
	;; [unrolled: 1-line block ×4, first 2 shown]
.LBB14_121:
	s_or_b32 exec_lo, exec_lo, s8
	v_mov_b32_e32 v4, s19
	s_mov_b32 s8, exec_lo
	s_clause 0x3
	buffer_load_dword v1, v4, s[0:3], 0 offen
	buffer_load_dword v2, v4, s[0:3], 0 offen offset:4
	buffer_load_dword v3, v4, s[0:3], 0 offen offset:8
	;; [unrolled: 1-line block ×3, first 2 shown]
	s_waitcnt vmcnt(0)
	ds_write_b128 v36, v[1:4]
	s_waitcnt lgkmcnt(0)
	s_waitcnt_vscnt null, 0x0
	s_barrier
	buffer_gl0_inv
	v_cmpx_gt_u32_e32 2, v0
	s_cbranch_execz .LBB14_127
; %bb.122:
	ds_read_b128 v[1:4], v36
	v_cmp_ne_u32_e32 vcc_lo, 1, v37
	s_cbranch_vccnz .LBB14_124
; %bb.123:
	s_clause 0x3
	buffer_load_dword v38, v35, s[0:3], 0 offen offset:8
	buffer_load_dword v39, v35, s[0:3], 0 offen offset:12
	buffer_load_dword v42, v35, s[0:3], 0 offen
	buffer_load_dword v43, v35, s[0:3], 0 offen offset:4
	s_waitcnt vmcnt(2) lgkmcnt(0)
	v_mul_f64 v[44:45], v[3:4], v[38:39]
	v_mul_f64 v[38:39], v[1:2], v[38:39]
	s_waitcnt vmcnt(0)
	v_fma_f64 v[1:2], v[1:2], v[42:43], -v[44:45]
	v_fma_f64 v[3:4], v[3:4], v[42:43], v[38:39]
.LBB14_124:
	s_and_saveexec_b32 s21, s4
	s_cbranch_execz .LBB14_126
; %bb.125:
	s_clause 0x3
	buffer_load_dword v38, off, s[0:3], 0 offset:24
	buffer_load_dword v39, off, s[0:3], 0 offset:28
	;; [unrolled: 1-line block ×4, first 2 shown]
	v_mov_b32_e32 v40, 0
	ds_read_b128 v[42:45], v40 offset:256
	s_waitcnt vmcnt(2) lgkmcnt(0)
	v_mul_f64 v[48:49], v[44:45], v[38:39]
	v_mul_f64 v[38:39], v[42:43], v[38:39]
	s_waitcnt vmcnt(0)
	v_fma_f64 v[42:43], v[42:43], v[46:47], -v[48:49]
	v_fma_f64 v[38:39], v[44:45], v[46:47], v[38:39]
	v_add_f64 v[1:2], v[1:2], v[42:43]
	v_add_f64 v[3:4], v[3:4], v[38:39]
.LBB14_126:
	s_or_b32 exec_lo, exec_lo, s21
	v_mov_b32_e32 v38, 0
	ds_read_b128 v[42:45], v38 offset:32
	s_waitcnt lgkmcnt(0)
	v_mul_f64 v[38:39], v[3:4], v[44:45]
	v_mul_f64 v[44:45], v[1:2], v[44:45]
	v_fma_f64 v[1:2], v[1:2], v[42:43], -v[38:39]
	v_fma_f64 v[3:4], v[3:4], v[42:43], v[44:45]
	buffer_store_dword v2, off, s[0:3], 0 offset:36
	buffer_store_dword v1, off, s[0:3], 0 offset:32
	;; [unrolled: 1-line block ×4, first 2 shown]
.LBB14_127:
	s_or_b32 exec_lo, exec_lo, s8
	v_mov_b32_e32 v4, s18
	s_mov_b32 s8, exec_lo
	s_clause 0x3
	buffer_load_dword v1, v4, s[0:3], 0 offen
	buffer_load_dword v2, v4, s[0:3], 0 offen offset:4
	buffer_load_dword v3, v4, s[0:3], 0 offen offset:8
	;; [unrolled: 1-line block ×3, first 2 shown]
	s_waitcnt vmcnt(0)
	ds_write_b128 v36, v[1:4]
	s_waitcnt lgkmcnt(0)
	s_waitcnt_vscnt null, 0x0
	s_barrier
	buffer_gl0_inv
	v_cmpx_gt_u32_e32 3, v0
	s_cbranch_execz .LBB14_135
; %bb.128:
	ds_read_b128 v[1:4], v36
	v_cmp_ne_u32_e32 vcc_lo, 1, v37
	s_cbranch_vccnz .LBB14_130
; %bb.129:
	s_clause 0x3
	buffer_load_dword v38, v35, s[0:3], 0 offen offset:8
	buffer_load_dword v39, v35, s[0:3], 0 offen offset:12
	buffer_load_dword v42, v35, s[0:3], 0 offen
	buffer_load_dword v43, v35, s[0:3], 0 offen offset:4
	s_waitcnt vmcnt(2) lgkmcnt(0)
	v_mul_f64 v[44:45], v[3:4], v[38:39]
	v_mul_f64 v[38:39], v[1:2], v[38:39]
	s_waitcnt vmcnt(0)
	v_fma_f64 v[1:2], v[1:2], v[42:43], -v[44:45]
	v_fma_f64 v[3:4], v[3:4], v[42:43], v[38:39]
.LBB14_130:
	s_mov_b32 s21, exec_lo
	v_cmpx_ne_u32_e32 2, v0
	s_cbranch_execz .LBB14_134
; %bb.131:
	s_clause 0x3
	buffer_load_dword v38, v35, s[0:3], 0 offen offset:24
	buffer_load_dword v39, v35, s[0:3], 0 offen offset:28
	;; [unrolled: 1-line block ×4, first 2 shown]
	ds_read_b128 v[42:45], v36 offset:16
	s_waitcnt vmcnt(2) lgkmcnt(0)
	v_mul_f64 v[48:49], v[44:45], v[38:39]
	v_mul_f64 v[38:39], v[42:43], v[38:39]
	s_waitcnt vmcnt(0)
	v_fma_f64 v[42:43], v[42:43], v[46:47], -v[48:49]
	v_fma_f64 v[38:39], v[44:45], v[46:47], v[38:39]
	v_add_f64 v[1:2], v[1:2], v[42:43]
	v_add_f64 v[3:4], v[3:4], v[38:39]
	s_and_saveexec_b32 s22, s4
	s_cbranch_execz .LBB14_133
; %bb.132:
	s_clause 0x3
	buffer_load_dword v38, off, s[0:3], 0 offset:40
	buffer_load_dword v39, off, s[0:3], 0 offset:44
	buffer_load_dword v46, off, s[0:3], 0 offset:32
	buffer_load_dword v47, off, s[0:3], 0 offset:36
	v_mov_b32_e32 v40, 0
	ds_read_b128 v[42:45], v40 offset:272
	s_waitcnt vmcnt(2) lgkmcnt(0)
	v_mul_f64 v[48:49], v[42:43], v[38:39]
	v_mul_f64 v[38:39], v[44:45], v[38:39]
	s_waitcnt vmcnt(0)
	v_fma_f64 v[44:45], v[44:45], v[46:47], v[48:49]
	v_fma_f64 v[38:39], v[42:43], v[46:47], -v[38:39]
	v_add_f64 v[3:4], v[3:4], v[44:45]
	v_add_f64 v[1:2], v[1:2], v[38:39]
.LBB14_133:
	s_or_b32 exec_lo, exec_lo, s22
.LBB14_134:
	s_or_b32 exec_lo, exec_lo, s21
	v_mov_b32_e32 v38, 0
	ds_read_b128 v[42:45], v38 offset:48
	s_waitcnt lgkmcnt(0)
	v_mul_f64 v[38:39], v[3:4], v[44:45]
	v_mul_f64 v[44:45], v[1:2], v[44:45]
	v_fma_f64 v[1:2], v[1:2], v[42:43], -v[38:39]
	v_fma_f64 v[3:4], v[3:4], v[42:43], v[44:45]
	buffer_store_dword v2, off, s[0:3], 0 offset:52
	buffer_store_dword v1, off, s[0:3], 0 offset:48
	;; [unrolled: 1-line block ×4, first 2 shown]
.LBB14_135:
	s_or_b32 exec_lo, exec_lo, s8
	v_mov_b32_e32 v4, s17
	s_mov_b32 s4, exec_lo
	s_clause 0x3
	buffer_load_dword v1, v4, s[0:3], 0 offen
	buffer_load_dword v2, v4, s[0:3], 0 offen offset:4
	buffer_load_dword v3, v4, s[0:3], 0 offen offset:8
	;; [unrolled: 1-line block ×3, first 2 shown]
	s_waitcnt vmcnt(0)
	ds_write_b128 v36, v[1:4]
	s_waitcnt lgkmcnt(0)
	s_waitcnt_vscnt null, 0x0
	s_barrier
	buffer_gl0_inv
	v_cmpx_gt_u32_e32 4, v0
	s_cbranch_execz .LBB14_143
; %bb.136:
	ds_read_b128 v[1:4], v36
	v_cmp_ne_u32_e32 vcc_lo, 1, v37
	s_cbranch_vccnz .LBB14_138
; %bb.137:
	s_clause 0x3
	buffer_load_dword v38, v35, s[0:3], 0 offen offset:8
	buffer_load_dword v39, v35, s[0:3], 0 offen offset:12
	buffer_load_dword v42, v35, s[0:3], 0 offen
	buffer_load_dword v43, v35, s[0:3], 0 offen offset:4
	s_waitcnt vmcnt(2) lgkmcnt(0)
	v_mul_f64 v[44:45], v[3:4], v[38:39]
	v_mul_f64 v[38:39], v[1:2], v[38:39]
	s_waitcnt vmcnt(0)
	v_fma_f64 v[1:2], v[1:2], v[42:43], -v[44:45]
	v_fma_f64 v[3:4], v[3:4], v[42:43], v[38:39]
.LBB14_138:
	s_mov_b32 s8, exec_lo
	v_cmpx_ne_u32_e32 3, v0
	s_cbranch_execz .LBB14_142
; %bb.139:
	v_add_nc_u32_e32 v38, 0x100, v41
	v_add3_u32 v39, 0, v41, 16
	v_mov_b32_e32 v40, v0
	s_mov_b32 s21, 0
	.p2align	6
.LBB14_140:                             ; =>This Inner Loop Header: Depth=1
	s_clause 0x3
	buffer_load_dword v46, v39, s[0:3], 0 offen offset:8
	buffer_load_dword v47, v39, s[0:3], 0 offen offset:12
	buffer_load_dword v48, v39, s[0:3], 0 offen
	buffer_load_dword v49, v39, s[0:3], 0 offen offset:4
	ds_read_b128 v[42:45], v38
	v_add_nc_u32_e32 v40, 1, v40
	v_add_nc_u32_e32 v38, 16, v38
	;; [unrolled: 1-line block ×3, first 2 shown]
	v_cmp_lt_u32_e32 vcc_lo, 2, v40
	s_or_b32 s21, vcc_lo, s21
	s_waitcnt vmcnt(2) lgkmcnt(0)
	v_mul_f64 v[50:51], v[44:45], v[46:47]
	v_mul_f64 v[46:47], v[42:43], v[46:47]
	s_waitcnt vmcnt(0)
	v_fma_f64 v[42:43], v[42:43], v[48:49], -v[50:51]
	v_fma_f64 v[44:45], v[44:45], v[48:49], v[46:47]
	v_add_f64 v[1:2], v[1:2], v[42:43]
	v_add_f64 v[3:4], v[3:4], v[44:45]
	s_andn2_b32 exec_lo, exec_lo, s21
	s_cbranch_execnz .LBB14_140
; %bb.141:
	s_or_b32 exec_lo, exec_lo, s21
.LBB14_142:
	s_or_b32 exec_lo, exec_lo, s8
	v_mov_b32_e32 v38, 0
	ds_read_b128 v[42:45], v38 offset:64
	s_waitcnt lgkmcnt(0)
	v_mul_f64 v[38:39], v[3:4], v[44:45]
	v_mul_f64 v[44:45], v[1:2], v[44:45]
	v_fma_f64 v[1:2], v[1:2], v[42:43], -v[38:39]
	v_fma_f64 v[3:4], v[3:4], v[42:43], v[44:45]
	buffer_store_dword v2, off, s[0:3], 0 offset:68
	buffer_store_dword v1, off, s[0:3], 0 offset:64
	;; [unrolled: 1-line block ×4, first 2 shown]
.LBB14_143:
	s_or_b32 exec_lo, exec_lo, s4
	v_mov_b32_e32 v4, s16
	s_mov_b32 s4, exec_lo
	s_clause 0x3
	buffer_load_dword v1, v4, s[0:3], 0 offen
	buffer_load_dword v2, v4, s[0:3], 0 offen offset:4
	buffer_load_dword v3, v4, s[0:3], 0 offen offset:8
	;; [unrolled: 1-line block ×3, first 2 shown]
	s_waitcnt vmcnt(0)
	ds_write_b128 v36, v[1:4]
	s_waitcnt lgkmcnt(0)
	s_waitcnt_vscnt null, 0x0
	s_barrier
	buffer_gl0_inv
	v_cmpx_gt_u32_e32 5, v0
	s_cbranch_execz .LBB14_151
; %bb.144:
	ds_read_b128 v[1:4], v36
	v_cmp_ne_u32_e32 vcc_lo, 1, v37
	s_cbranch_vccnz .LBB14_146
; %bb.145:
	s_clause 0x3
	buffer_load_dword v38, v35, s[0:3], 0 offen offset:8
	buffer_load_dword v39, v35, s[0:3], 0 offen offset:12
	buffer_load_dword v42, v35, s[0:3], 0 offen
	buffer_load_dword v43, v35, s[0:3], 0 offen offset:4
	s_waitcnt vmcnt(2) lgkmcnt(0)
	v_mul_f64 v[44:45], v[3:4], v[38:39]
	v_mul_f64 v[38:39], v[1:2], v[38:39]
	s_waitcnt vmcnt(0)
	v_fma_f64 v[1:2], v[1:2], v[42:43], -v[44:45]
	v_fma_f64 v[3:4], v[3:4], v[42:43], v[38:39]
.LBB14_146:
	s_mov_b32 s8, exec_lo
	v_cmpx_ne_u32_e32 4, v0
	s_cbranch_execz .LBB14_150
; %bb.147:
	v_add_nc_u32_e32 v38, 0x100, v41
	v_add3_u32 v39, 0, v41, 16
	v_mov_b32_e32 v40, v0
	s_mov_b32 s21, 0
	.p2align	6
.LBB14_148:                             ; =>This Inner Loop Header: Depth=1
	s_clause 0x3
	buffer_load_dword v46, v39, s[0:3], 0 offen offset:8
	buffer_load_dword v47, v39, s[0:3], 0 offen offset:12
	buffer_load_dword v48, v39, s[0:3], 0 offen
	buffer_load_dword v49, v39, s[0:3], 0 offen offset:4
	ds_read_b128 v[42:45], v38
	v_add_nc_u32_e32 v40, 1, v40
	v_add_nc_u32_e32 v38, 16, v38
	;; [unrolled: 1-line block ×3, first 2 shown]
	v_cmp_lt_u32_e32 vcc_lo, 3, v40
	s_or_b32 s21, vcc_lo, s21
	s_waitcnt vmcnt(2) lgkmcnt(0)
	v_mul_f64 v[50:51], v[44:45], v[46:47]
	v_mul_f64 v[46:47], v[42:43], v[46:47]
	s_waitcnt vmcnt(0)
	v_fma_f64 v[42:43], v[42:43], v[48:49], -v[50:51]
	v_fma_f64 v[44:45], v[44:45], v[48:49], v[46:47]
	v_add_f64 v[1:2], v[1:2], v[42:43]
	v_add_f64 v[3:4], v[3:4], v[44:45]
	s_andn2_b32 exec_lo, exec_lo, s21
	s_cbranch_execnz .LBB14_148
; %bb.149:
	s_or_b32 exec_lo, exec_lo, s21
.LBB14_150:
	s_or_b32 exec_lo, exec_lo, s8
	v_mov_b32_e32 v38, 0
	ds_read_b128 v[42:45], v38 offset:80
	s_waitcnt lgkmcnt(0)
	v_mul_f64 v[38:39], v[3:4], v[44:45]
	v_mul_f64 v[44:45], v[1:2], v[44:45]
	v_fma_f64 v[1:2], v[1:2], v[42:43], -v[38:39]
	v_fma_f64 v[3:4], v[3:4], v[42:43], v[44:45]
	buffer_store_dword v2, off, s[0:3], 0 offset:84
	buffer_store_dword v1, off, s[0:3], 0 offset:80
	;; [unrolled: 1-line block ×4, first 2 shown]
.LBB14_151:
	s_or_b32 exec_lo, exec_lo, s4
	v_mov_b32_e32 v4, s15
	s_mov_b32 s4, exec_lo
	s_clause 0x3
	buffer_load_dword v1, v4, s[0:3], 0 offen
	buffer_load_dword v2, v4, s[0:3], 0 offen offset:4
	buffer_load_dword v3, v4, s[0:3], 0 offen offset:8
	;; [unrolled: 1-line block ×3, first 2 shown]
	s_waitcnt vmcnt(0)
	ds_write_b128 v36, v[1:4]
	s_waitcnt lgkmcnt(0)
	s_waitcnt_vscnt null, 0x0
	s_barrier
	buffer_gl0_inv
	v_cmpx_gt_u32_e32 6, v0
	s_cbranch_execz .LBB14_159
; %bb.152:
	ds_read_b128 v[1:4], v36
	v_cmp_ne_u32_e32 vcc_lo, 1, v37
	s_cbranch_vccnz .LBB14_154
; %bb.153:
	s_clause 0x3
	buffer_load_dword v38, v35, s[0:3], 0 offen offset:8
	buffer_load_dword v39, v35, s[0:3], 0 offen offset:12
	buffer_load_dword v42, v35, s[0:3], 0 offen
	buffer_load_dword v43, v35, s[0:3], 0 offen offset:4
	s_waitcnt vmcnt(2) lgkmcnt(0)
	v_mul_f64 v[44:45], v[3:4], v[38:39]
	v_mul_f64 v[38:39], v[1:2], v[38:39]
	s_waitcnt vmcnt(0)
	v_fma_f64 v[1:2], v[1:2], v[42:43], -v[44:45]
	v_fma_f64 v[3:4], v[3:4], v[42:43], v[38:39]
.LBB14_154:
	s_mov_b32 s8, exec_lo
	v_cmpx_ne_u32_e32 5, v0
	s_cbranch_execz .LBB14_158
; %bb.155:
	v_add_nc_u32_e32 v38, 0x100, v41
	v_add3_u32 v39, 0, v41, 16
	v_mov_b32_e32 v40, v0
	s_mov_b32 s21, 0
	.p2align	6
.LBB14_156:                             ; =>This Inner Loop Header: Depth=1
	s_clause 0x3
	buffer_load_dword v46, v39, s[0:3], 0 offen offset:8
	buffer_load_dword v47, v39, s[0:3], 0 offen offset:12
	buffer_load_dword v48, v39, s[0:3], 0 offen
	buffer_load_dword v49, v39, s[0:3], 0 offen offset:4
	ds_read_b128 v[42:45], v38
	v_add_nc_u32_e32 v40, 1, v40
	v_add_nc_u32_e32 v38, 16, v38
	;; [unrolled: 1-line block ×3, first 2 shown]
	v_cmp_lt_u32_e32 vcc_lo, 4, v40
	s_or_b32 s21, vcc_lo, s21
	s_waitcnt vmcnt(2) lgkmcnt(0)
	v_mul_f64 v[50:51], v[44:45], v[46:47]
	v_mul_f64 v[46:47], v[42:43], v[46:47]
	s_waitcnt vmcnt(0)
	v_fma_f64 v[42:43], v[42:43], v[48:49], -v[50:51]
	v_fma_f64 v[44:45], v[44:45], v[48:49], v[46:47]
	v_add_f64 v[1:2], v[1:2], v[42:43]
	v_add_f64 v[3:4], v[3:4], v[44:45]
	s_andn2_b32 exec_lo, exec_lo, s21
	s_cbranch_execnz .LBB14_156
; %bb.157:
	s_or_b32 exec_lo, exec_lo, s21
.LBB14_158:
	s_or_b32 exec_lo, exec_lo, s8
	v_mov_b32_e32 v38, 0
	ds_read_b128 v[42:45], v38 offset:96
	s_waitcnt lgkmcnt(0)
	v_mul_f64 v[38:39], v[3:4], v[44:45]
	v_mul_f64 v[44:45], v[1:2], v[44:45]
	v_fma_f64 v[1:2], v[1:2], v[42:43], -v[38:39]
	v_fma_f64 v[3:4], v[3:4], v[42:43], v[44:45]
	buffer_store_dword v2, off, s[0:3], 0 offset:100
	buffer_store_dword v1, off, s[0:3], 0 offset:96
	;; [unrolled: 1-line block ×4, first 2 shown]
.LBB14_159:
	s_or_b32 exec_lo, exec_lo, s4
	v_mov_b32_e32 v4, s14
	s_mov_b32 s4, exec_lo
	s_clause 0x3
	buffer_load_dword v1, v4, s[0:3], 0 offen
	buffer_load_dword v2, v4, s[0:3], 0 offen offset:4
	buffer_load_dword v3, v4, s[0:3], 0 offen offset:8
	buffer_load_dword v4, v4, s[0:3], 0 offen offset:12
	s_waitcnt vmcnt(0)
	ds_write_b128 v36, v[1:4]
	s_waitcnt lgkmcnt(0)
	s_waitcnt_vscnt null, 0x0
	s_barrier
	buffer_gl0_inv
	v_cmpx_gt_u32_e32 7, v0
	s_cbranch_execz .LBB14_167
; %bb.160:
	ds_read_b128 v[1:4], v36
	v_cmp_ne_u32_e32 vcc_lo, 1, v37
	s_cbranch_vccnz .LBB14_162
; %bb.161:
	s_clause 0x3
	buffer_load_dword v38, v35, s[0:3], 0 offen offset:8
	buffer_load_dword v39, v35, s[0:3], 0 offen offset:12
	buffer_load_dword v42, v35, s[0:3], 0 offen
	buffer_load_dword v43, v35, s[0:3], 0 offen offset:4
	s_waitcnt vmcnt(2) lgkmcnt(0)
	v_mul_f64 v[44:45], v[3:4], v[38:39]
	v_mul_f64 v[38:39], v[1:2], v[38:39]
	s_waitcnt vmcnt(0)
	v_fma_f64 v[1:2], v[1:2], v[42:43], -v[44:45]
	v_fma_f64 v[3:4], v[3:4], v[42:43], v[38:39]
.LBB14_162:
	s_mov_b32 s8, exec_lo
	v_cmpx_ne_u32_e32 6, v0
	s_cbranch_execz .LBB14_166
; %bb.163:
	v_add_nc_u32_e32 v38, 0x100, v41
	v_add3_u32 v39, 0, v41, 16
	v_mov_b32_e32 v40, v0
	s_mov_b32 s21, 0
	.p2align	6
.LBB14_164:                             ; =>This Inner Loop Header: Depth=1
	s_clause 0x3
	buffer_load_dword v46, v39, s[0:3], 0 offen offset:8
	buffer_load_dword v47, v39, s[0:3], 0 offen offset:12
	buffer_load_dword v48, v39, s[0:3], 0 offen
	buffer_load_dword v49, v39, s[0:3], 0 offen offset:4
	ds_read_b128 v[42:45], v38
	v_add_nc_u32_e32 v40, 1, v40
	v_add_nc_u32_e32 v38, 16, v38
	v_add_nc_u32_e32 v39, 16, v39
	v_cmp_lt_u32_e32 vcc_lo, 5, v40
	s_or_b32 s21, vcc_lo, s21
	s_waitcnt vmcnt(2) lgkmcnt(0)
	v_mul_f64 v[50:51], v[44:45], v[46:47]
	v_mul_f64 v[46:47], v[42:43], v[46:47]
	s_waitcnt vmcnt(0)
	v_fma_f64 v[42:43], v[42:43], v[48:49], -v[50:51]
	v_fma_f64 v[44:45], v[44:45], v[48:49], v[46:47]
	v_add_f64 v[1:2], v[1:2], v[42:43]
	v_add_f64 v[3:4], v[3:4], v[44:45]
	s_andn2_b32 exec_lo, exec_lo, s21
	s_cbranch_execnz .LBB14_164
; %bb.165:
	s_or_b32 exec_lo, exec_lo, s21
.LBB14_166:
	s_or_b32 exec_lo, exec_lo, s8
	v_mov_b32_e32 v38, 0
	ds_read_b128 v[42:45], v38 offset:112
	s_waitcnt lgkmcnt(0)
	v_mul_f64 v[38:39], v[3:4], v[44:45]
	v_mul_f64 v[44:45], v[1:2], v[44:45]
	v_fma_f64 v[1:2], v[1:2], v[42:43], -v[38:39]
	v_fma_f64 v[3:4], v[3:4], v[42:43], v[44:45]
	buffer_store_dword v2, off, s[0:3], 0 offset:116
	buffer_store_dword v1, off, s[0:3], 0 offset:112
	;; [unrolled: 1-line block ×4, first 2 shown]
.LBB14_167:
	s_or_b32 exec_lo, exec_lo, s4
	v_mov_b32_e32 v4, s13
	s_mov_b32 s4, exec_lo
	s_clause 0x3
	buffer_load_dword v1, v4, s[0:3], 0 offen
	buffer_load_dword v2, v4, s[0:3], 0 offen offset:4
	buffer_load_dword v3, v4, s[0:3], 0 offen offset:8
	;; [unrolled: 1-line block ×3, first 2 shown]
	s_waitcnt vmcnt(0)
	ds_write_b128 v36, v[1:4]
	s_waitcnt lgkmcnt(0)
	s_waitcnt_vscnt null, 0x0
	s_barrier
	buffer_gl0_inv
	v_cmpx_gt_u32_e32 8, v0
	s_cbranch_execz .LBB14_175
; %bb.168:
	ds_read_b128 v[1:4], v36
	v_cmp_ne_u32_e32 vcc_lo, 1, v37
	s_cbranch_vccnz .LBB14_170
; %bb.169:
	s_clause 0x3
	buffer_load_dword v38, v35, s[0:3], 0 offen offset:8
	buffer_load_dword v39, v35, s[0:3], 0 offen offset:12
	buffer_load_dword v42, v35, s[0:3], 0 offen
	buffer_load_dword v43, v35, s[0:3], 0 offen offset:4
	s_waitcnt vmcnt(2) lgkmcnt(0)
	v_mul_f64 v[44:45], v[3:4], v[38:39]
	v_mul_f64 v[38:39], v[1:2], v[38:39]
	s_waitcnt vmcnt(0)
	v_fma_f64 v[1:2], v[1:2], v[42:43], -v[44:45]
	v_fma_f64 v[3:4], v[3:4], v[42:43], v[38:39]
.LBB14_170:
	s_mov_b32 s8, exec_lo
	v_cmpx_ne_u32_e32 7, v0
	s_cbranch_execz .LBB14_174
; %bb.171:
	v_add_nc_u32_e32 v38, 0x100, v41
	v_add3_u32 v39, 0, v41, 16
	v_mov_b32_e32 v40, v0
	s_mov_b32 s21, 0
	.p2align	6
.LBB14_172:                             ; =>This Inner Loop Header: Depth=1
	s_clause 0x3
	buffer_load_dword v46, v39, s[0:3], 0 offen offset:8
	buffer_load_dword v47, v39, s[0:3], 0 offen offset:12
	buffer_load_dword v48, v39, s[0:3], 0 offen
	buffer_load_dword v49, v39, s[0:3], 0 offen offset:4
	ds_read_b128 v[42:45], v38
	v_add_nc_u32_e32 v40, 1, v40
	v_add_nc_u32_e32 v38, 16, v38
	;; [unrolled: 1-line block ×3, first 2 shown]
	v_cmp_lt_u32_e32 vcc_lo, 6, v40
	s_or_b32 s21, vcc_lo, s21
	s_waitcnt vmcnt(2) lgkmcnt(0)
	v_mul_f64 v[50:51], v[44:45], v[46:47]
	v_mul_f64 v[46:47], v[42:43], v[46:47]
	s_waitcnt vmcnt(0)
	v_fma_f64 v[42:43], v[42:43], v[48:49], -v[50:51]
	v_fma_f64 v[44:45], v[44:45], v[48:49], v[46:47]
	v_add_f64 v[1:2], v[1:2], v[42:43]
	v_add_f64 v[3:4], v[3:4], v[44:45]
	s_andn2_b32 exec_lo, exec_lo, s21
	s_cbranch_execnz .LBB14_172
; %bb.173:
	s_or_b32 exec_lo, exec_lo, s21
.LBB14_174:
	s_or_b32 exec_lo, exec_lo, s8
	v_mov_b32_e32 v38, 0
	ds_read_b128 v[42:45], v38 offset:128
	s_waitcnt lgkmcnt(0)
	v_mul_f64 v[38:39], v[3:4], v[44:45]
	v_mul_f64 v[44:45], v[1:2], v[44:45]
	v_fma_f64 v[1:2], v[1:2], v[42:43], -v[38:39]
	v_fma_f64 v[3:4], v[3:4], v[42:43], v[44:45]
	buffer_store_dword v2, off, s[0:3], 0 offset:132
	buffer_store_dword v1, off, s[0:3], 0 offset:128
	;; [unrolled: 1-line block ×4, first 2 shown]
.LBB14_175:
	s_or_b32 exec_lo, exec_lo, s4
	v_mov_b32_e32 v4, s12
	s_mov_b32 s4, exec_lo
	s_clause 0x3
	buffer_load_dword v1, v4, s[0:3], 0 offen
	buffer_load_dword v2, v4, s[0:3], 0 offen offset:4
	buffer_load_dword v3, v4, s[0:3], 0 offen offset:8
	;; [unrolled: 1-line block ×3, first 2 shown]
	s_waitcnt vmcnt(0)
	ds_write_b128 v36, v[1:4]
	s_waitcnt lgkmcnt(0)
	s_waitcnt_vscnt null, 0x0
	s_barrier
	buffer_gl0_inv
	v_cmpx_gt_u32_e32 9, v0
	s_cbranch_execz .LBB14_183
; %bb.176:
	ds_read_b128 v[1:4], v36
	v_cmp_ne_u32_e32 vcc_lo, 1, v37
	s_cbranch_vccnz .LBB14_178
; %bb.177:
	s_clause 0x3
	buffer_load_dword v38, v35, s[0:3], 0 offen offset:8
	buffer_load_dword v39, v35, s[0:3], 0 offen offset:12
	buffer_load_dword v42, v35, s[0:3], 0 offen
	buffer_load_dword v43, v35, s[0:3], 0 offen offset:4
	s_waitcnt vmcnt(2) lgkmcnt(0)
	v_mul_f64 v[44:45], v[3:4], v[38:39]
	v_mul_f64 v[38:39], v[1:2], v[38:39]
	s_waitcnt vmcnt(0)
	v_fma_f64 v[1:2], v[1:2], v[42:43], -v[44:45]
	v_fma_f64 v[3:4], v[3:4], v[42:43], v[38:39]
.LBB14_178:
	s_mov_b32 s8, exec_lo
	v_cmpx_ne_u32_e32 8, v0
	s_cbranch_execz .LBB14_182
; %bb.179:
	v_add_nc_u32_e32 v38, 0x100, v41
	v_add3_u32 v39, 0, v41, 16
	v_mov_b32_e32 v40, v0
	s_mov_b32 s21, 0
	.p2align	6
.LBB14_180:                             ; =>This Inner Loop Header: Depth=1
	s_clause 0x3
	buffer_load_dword v46, v39, s[0:3], 0 offen offset:8
	buffer_load_dword v47, v39, s[0:3], 0 offen offset:12
	buffer_load_dword v48, v39, s[0:3], 0 offen
	buffer_load_dword v49, v39, s[0:3], 0 offen offset:4
	ds_read_b128 v[42:45], v38
	v_add_nc_u32_e32 v40, 1, v40
	v_add_nc_u32_e32 v38, 16, v38
	;; [unrolled: 1-line block ×3, first 2 shown]
	v_cmp_lt_u32_e32 vcc_lo, 7, v40
	s_or_b32 s21, vcc_lo, s21
	s_waitcnt vmcnt(2) lgkmcnt(0)
	v_mul_f64 v[50:51], v[44:45], v[46:47]
	v_mul_f64 v[46:47], v[42:43], v[46:47]
	s_waitcnt vmcnt(0)
	v_fma_f64 v[42:43], v[42:43], v[48:49], -v[50:51]
	v_fma_f64 v[44:45], v[44:45], v[48:49], v[46:47]
	v_add_f64 v[1:2], v[1:2], v[42:43]
	v_add_f64 v[3:4], v[3:4], v[44:45]
	s_andn2_b32 exec_lo, exec_lo, s21
	s_cbranch_execnz .LBB14_180
; %bb.181:
	s_or_b32 exec_lo, exec_lo, s21
.LBB14_182:
	s_or_b32 exec_lo, exec_lo, s8
	v_mov_b32_e32 v38, 0
	ds_read_b128 v[42:45], v38 offset:144
	s_waitcnt lgkmcnt(0)
	v_mul_f64 v[38:39], v[3:4], v[44:45]
	v_mul_f64 v[44:45], v[1:2], v[44:45]
	v_fma_f64 v[1:2], v[1:2], v[42:43], -v[38:39]
	v_fma_f64 v[3:4], v[3:4], v[42:43], v[44:45]
	buffer_store_dword v2, off, s[0:3], 0 offset:148
	buffer_store_dword v1, off, s[0:3], 0 offset:144
	;; [unrolled: 1-line block ×4, first 2 shown]
.LBB14_183:
	s_or_b32 exec_lo, exec_lo, s4
	v_mov_b32_e32 v4, s11
	s_mov_b32 s4, exec_lo
	s_clause 0x3
	buffer_load_dword v1, v4, s[0:3], 0 offen
	buffer_load_dword v2, v4, s[0:3], 0 offen offset:4
	buffer_load_dword v3, v4, s[0:3], 0 offen offset:8
	;; [unrolled: 1-line block ×3, first 2 shown]
	s_waitcnt vmcnt(0)
	ds_write_b128 v36, v[1:4]
	s_waitcnt lgkmcnt(0)
	s_waitcnt_vscnt null, 0x0
	s_barrier
	buffer_gl0_inv
	v_cmpx_gt_u32_e32 10, v0
	s_cbranch_execz .LBB14_191
; %bb.184:
	ds_read_b128 v[1:4], v36
	v_cmp_ne_u32_e32 vcc_lo, 1, v37
	s_cbranch_vccnz .LBB14_186
; %bb.185:
	s_clause 0x3
	buffer_load_dword v38, v35, s[0:3], 0 offen offset:8
	buffer_load_dword v39, v35, s[0:3], 0 offen offset:12
	buffer_load_dword v42, v35, s[0:3], 0 offen
	buffer_load_dword v43, v35, s[0:3], 0 offen offset:4
	s_waitcnt vmcnt(2) lgkmcnt(0)
	v_mul_f64 v[44:45], v[3:4], v[38:39]
	v_mul_f64 v[38:39], v[1:2], v[38:39]
	s_waitcnt vmcnt(0)
	v_fma_f64 v[1:2], v[1:2], v[42:43], -v[44:45]
	v_fma_f64 v[3:4], v[3:4], v[42:43], v[38:39]
.LBB14_186:
	s_mov_b32 s8, exec_lo
	v_cmpx_ne_u32_e32 9, v0
	s_cbranch_execz .LBB14_190
; %bb.187:
	v_add_nc_u32_e32 v38, 0x100, v41
	v_add3_u32 v39, 0, v41, 16
	v_mov_b32_e32 v40, v0
	s_mov_b32 s21, 0
	.p2align	6
.LBB14_188:                             ; =>This Inner Loop Header: Depth=1
	s_clause 0x3
	buffer_load_dword v46, v39, s[0:3], 0 offen offset:8
	buffer_load_dword v47, v39, s[0:3], 0 offen offset:12
	buffer_load_dword v48, v39, s[0:3], 0 offen
	buffer_load_dword v49, v39, s[0:3], 0 offen offset:4
	ds_read_b128 v[42:45], v38
	v_add_nc_u32_e32 v40, 1, v40
	v_add_nc_u32_e32 v38, 16, v38
	;; [unrolled: 1-line block ×3, first 2 shown]
	v_cmp_lt_u32_e32 vcc_lo, 8, v40
	s_or_b32 s21, vcc_lo, s21
	s_waitcnt vmcnt(2) lgkmcnt(0)
	v_mul_f64 v[50:51], v[44:45], v[46:47]
	v_mul_f64 v[46:47], v[42:43], v[46:47]
	s_waitcnt vmcnt(0)
	v_fma_f64 v[42:43], v[42:43], v[48:49], -v[50:51]
	v_fma_f64 v[44:45], v[44:45], v[48:49], v[46:47]
	v_add_f64 v[1:2], v[1:2], v[42:43]
	v_add_f64 v[3:4], v[3:4], v[44:45]
	s_andn2_b32 exec_lo, exec_lo, s21
	s_cbranch_execnz .LBB14_188
; %bb.189:
	s_or_b32 exec_lo, exec_lo, s21
.LBB14_190:
	s_or_b32 exec_lo, exec_lo, s8
	v_mov_b32_e32 v38, 0
	ds_read_b128 v[42:45], v38 offset:160
	s_waitcnt lgkmcnt(0)
	v_mul_f64 v[38:39], v[3:4], v[44:45]
	v_mul_f64 v[44:45], v[1:2], v[44:45]
	v_fma_f64 v[1:2], v[1:2], v[42:43], -v[38:39]
	v_fma_f64 v[3:4], v[3:4], v[42:43], v[44:45]
	buffer_store_dword v2, off, s[0:3], 0 offset:164
	buffer_store_dword v1, off, s[0:3], 0 offset:160
	;; [unrolled: 1-line block ×4, first 2 shown]
.LBB14_191:
	s_or_b32 exec_lo, exec_lo, s4
	v_mov_b32_e32 v4, s10
	s_mov_b32 s4, exec_lo
	s_clause 0x3
	buffer_load_dword v1, v4, s[0:3], 0 offen
	buffer_load_dword v2, v4, s[0:3], 0 offen offset:4
	buffer_load_dword v3, v4, s[0:3], 0 offen offset:8
	;; [unrolled: 1-line block ×3, first 2 shown]
	s_waitcnt vmcnt(0)
	ds_write_b128 v36, v[1:4]
	s_waitcnt lgkmcnt(0)
	s_waitcnt_vscnt null, 0x0
	s_barrier
	buffer_gl0_inv
	v_cmpx_gt_u32_e32 11, v0
	s_cbranch_execz .LBB14_199
; %bb.192:
	ds_read_b128 v[1:4], v36
	v_cmp_ne_u32_e32 vcc_lo, 1, v37
	s_cbranch_vccnz .LBB14_194
; %bb.193:
	s_clause 0x3
	buffer_load_dword v38, v35, s[0:3], 0 offen offset:8
	buffer_load_dword v39, v35, s[0:3], 0 offen offset:12
	buffer_load_dword v42, v35, s[0:3], 0 offen
	buffer_load_dword v43, v35, s[0:3], 0 offen offset:4
	s_waitcnt vmcnt(2) lgkmcnt(0)
	v_mul_f64 v[44:45], v[3:4], v[38:39]
	v_mul_f64 v[38:39], v[1:2], v[38:39]
	s_waitcnt vmcnt(0)
	v_fma_f64 v[1:2], v[1:2], v[42:43], -v[44:45]
	v_fma_f64 v[3:4], v[3:4], v[42:43], v[38:39]
.LBB14_194:
	s_mov_b32 s8, exec_lo
	v_cmpx_ne_u32_e32 10, v0
	s_cbranch_execz .LBB14_198
; %bb.195:
	v_add_nc_u32_e32 v38, 0x100, v41
	v_add3_u32 v39, 0, v41, 16
	v_mov_b32_e32 v40, v0
	s_mov_b32 s21, 0
	.p2align	6
.LBB14_196:                             ; =>This Inner Loop Header: Depth=1
	s_clause 0x3
	buffer_load_dword v46, v39, s[0:3], 0 offen offset:8
	buffer_load_dword v47, v39, s[0:3], 0 offen offset:12
	buffer_load_dword v48, v39, s[0:3], 0 offen
	buffer_load_dword v49, v39, s[0:3], 0 offen offset:4
	ds_read_b128 v[42:45], v38
	v_add_nc_u32_e32 v40, 1, v40
	v_add_nc_u32_e32 v38, 16, v38
	;; [unrolled: 1-line block ×3, first 2 shown]
	v_cmp_lt_u32_e32 vcc_lo, 9, v40
	s_or_b32 s21, vcc_lo, s21
	s_waitcnt vmcnt(2) lgkmcnt(0)
	v_mul_f64 v[50:51], v[44:45], v[46:47]
	v_mul_f64 v[46:47], v[42:43], v[46:47]
	s_waitcnt vmcnt(0)
	v_fma_f64 v[42:43], v[42:43], v[48:49], -v[50:51]
	v_fma_f64 v[44:45], v[44:45], v[48:49], v[46:47]
	v_add_f64 v[1:2], v[1:2], v[42:43]
	v_add_f64 v[3:4], v[3:4], v[44:45]
	s_andn2_b32 exec_lo, exec_lo, s21
	s_cbranch_execnz .LBB14_196
; %bb.197:
	s_or_b32 exec_lo, exec_lo, s21
.LBB14_198:
	s_or_b32 exec_lo, exec_lo, s8
	v_mov_b32_e32 v38, 0
	ds_read_b128 v[42:45], v38 offset:176
	s_waitcnt lgkmcnt(0)
	v_mul_f64 v[38:39], v[3:4], v[44:45]
	v_mul_f64 v[44:45], v[1:2], v[44:45]
	v_fma_f64 v[1:2], v[1:2], v[42:43], -v[38:39]
	v_fma_f64 v[3:4], v[3:4], v[42:43], v[44:45]
	buffer_store_dword v2, off, s[0:3], 0 offset:180
	buffer_store_dword v1, off, s[0:3], 0 offset:176
	;; [unrolled: 1-line block ×4, first 2 shown]
.LBB14_199:
	s_or_b32 exec_lo, exec_lo, s4
	v_mov_b32_e32 v4, s9
	s_mov_b32 s4, exec_lo
	s_clause 0x3
	buffer_load_dword v1, v4, s[0:3], 0 offen
	buffer_load_dword v2, v4, s[0:3], 0 offen offset:4
	buffer_load_dword v3, v4, s[0:3], 0 offen offset:8
	;; [unrolled: 1-line block ×3, first 2 shown]
	s_waitcnt vmcnt(0)
	ds_write_b128 v36, v[1:4]
	s_waitcnt lgkmcnt(0)
	s_waitcnt_vscnt null, 0x0
	s_barrier
	buffer_gl0_inv
	v_cmpx_gt_u32_e32 12, v0
	s_cbranch_execz .LBB14_207
; %bb.200:
	ds_read_b128 v[1:4], v36
	v_cmp_ne_u32_e32 vcc_lo, 1, v37
	s_cbranch_vccnz .LBB14_202
; %bb.201:
	s_clause 0x3
	buffer_load_dword v38, v35, s[0:3], 0 offen offset:8
	buffer_load_dword v39, v35, s[0:3], 0 offen offset:12
	buffer_load_dword v42, v35, s[0:3], 0 offen
	buffer_load_dword v43, v35, s[0:3], 0 offen offset:4
	s_waitcnt vmcnt(2) lgkmcnt(0)
	v_mul_f64 v[44:45], v[3:4], v[38:39]
	v_mul_f64 v[38:39], v[1:2], v[38:39]
	s_waitcnt vmcnt(0)
	v_fma_f64 v[1:2], v[1:2], v[42:43], -v[44:45]
	v_fma_f64 v[3:4], v[3:4], v[42:43], v[38:39]
.LBB14_202:
	s_mov_b32 s8, exec_lo
	v_cmpx_ne_u32_e32 11, v0
	s_cbranch_execz .LBB14_206
; %bb.203:
	v_add_nc_u32_e32 v38, 0x100, v41
	v_add3_u32 v39, 0, v41, 16
	v_mov_b32_e32 v40, v0
	s_mov_b32 s21, 0
	.p2align	6
.LBB14_204:                             ; =>This Inner Loop Header: Depth=1
	s_clause 0x3
	buffer_load_dword v46, v39, s[0:3], 0 offen offset:8
	buffer_load_dword v47, v39, s[0:3], 0 offen offset:12
	buffer_load_dword v48, v39, s[0:3], 0 offen
	buffer_load_dword v49, v39, s[0:3], 0 offen offset:4
	ds_read_b128 v[42:45], v38
	v_add_nc_u32_e32 v40, 1, v40
	v_add_nc_u32_e32 v38, 16, v38
	;; [unrolled: 1-line block ×3, first 2 shown]
	v_cmp_lt_u32_e32 vcc_lo, 10, v40
	s_or_b32 s21, vcc_lo, s21
	s_waitcnt vmcnt(2) lgkmcnt(0)
	v_mul_f64 v[50:51], v[44:45], v[46:47]
	v_mul_f64 v[46:47], v[42:43], v[46:47]
	s_waitcnt vmcnt(0)
	v_fma_f64 v[42:43], v[42:43], v[48:49], -v[50:51]
	v_fma_f64 v[44:45], v[44:45], v[48:49], v[46:47]
	v_add_f64 v[1:2], v[1:2], v[42:43]
	v_add_f64 v[3:4], v[3:4], v[44:45]
	s_andn2_b32 exec_lo, exec_lo, s21
	s_cbranch_execnz .LBB14_204
; %bb.205:
	s_or_b32 exec_lo, exec_lo, s21
.LBB14_206:
	s_or_b32 exec_lo, exec_lo, s8
	v_mov_b32_e32 v38, 0
	ds_read_b128 v[42:45], v38 offset:192
	s_waitcnt lgkmcnt(0)
	v_mul_f64 v[38:39], v[3:4], v[44:45]
	v_mul_f64 v[44:45], v[1:2], v[44:45]
	v_fma_f64 v[1:2], v[1:2], v[42:43], -v[38:39]
	v_fma_f64 v[3:4], v[3:4], v[42:43], v[44:45]
	buffer_store_dword v2, off, s[0:3], 0 offset:196
	buffer_store_dword v1, off, s[0:3], 0 offset:192
	;; [unrolled: 1-line block ×4, first 2 shown]
.LBB14_207:
	s_or_b32 exec_lo, exec_lo, s4
	v_mov_b32_e32 v4, s7
	v_cmp_gt_u32_e64 s4, 13, v0
	s_clause 0x3
	buffer_load_dword v1, v4, s[0:3], 0 offen
	buffer_load_dword v2, v4, s[0:3], 0 offen offset:4
	buffer_load_dword v3, v4, s[0:3], 0 offen offset:8
	;; [unrolled: 1-line block ×3, first 2 shown]
	s_waitcnt vmcnt(0)
	ds_write_b128 v36, v[1:4]
	s_waitcnt lgkmcnt(0)
	s_waitcnt_vscnt null, 0x0
	s_barrier
	buffer_gl0_inv
	s_and_saveexec_b32 s8, s4
	s_cbranch_execz .LBB14_215
; %bb.208:
	ds_read_b128 v[1:4], v36
	v_cmp_ne_u32_e32 vcc_lo, 1, v37
	s_cbranch_vccnz .LBB14_210
; %bb.209:
	s_clause 0x3
	buffer_load_dword v38, v35, s[0:3], 0 offen offset:8
	buffer_load_dword v39, v35, s[0:3], 0 offen offset:12
	buffer_load_dword v42, v35, s[0:3], 0 offen
	buffer_load_dword v43, v35, s[0:3], 0 offen offset:4
	s_waitcnt vmcnt(2) lgkmcnt(0)
	v_mul_f64 v[44:45], v[3:4], v[38:39]
	v_mul_f64 v[38:39], v[1:2], v[38:39]
	s_waitcnt vmcnt(0)
	v_fma_f64 v[1:2], v[1:2], v[42:43], -v[44:45]
	v_fma_f64 v[3:4], v[3:4], v[42:43], v[38:39]
.LBB14_210:
	s_mov_b32 s21, exec_lo
	v_cmpx_ne_u32_e32 12, v0
	s_cbranch_execz .LBB14_214
; %bb.211:
	v_add_nc_u32_e32 v38, 0x100, v41
	v_add3_u32 v39, 0, v41, 16
	v_mov_b32_e32 v40, v0
	s_mov_b32 s22, 0
	.p2align	6
.LBB14_212:                             ; =>This Inner Loop Header: Depth=1
	s_clause 0x3
	buffer_load_dword v46, v39, s[0:3], 0 offen offset:8
	buffer_load_dword v47, v39, s[0:3], 0 offen offset:12
	buffer_load_dword v48, v39, s[0:3], 0 offen
	buffer_load_dword v49, v39, s[0:3], 0 offen offset:4
	ds_read_b128 v[42:45], v38
	v_add_nc_u32_e32 v40, 1, v40
	v_add_nc_u32_e32 v38, 16, v38
	;; [unrolled: 1-line block ×3, first 2 shown]
	v_cmp_lt_u32_e32 vcc_lo, 11, v40
	s_or_b32 s22, vcc_lo, s22
	s_waitcnt vmcnt(2) lgkmcnt(0)
	v_mul_f64 v[50:51], v[44:45], v[46:47]
	v_mul_f64 v[46:47], v[42:43], v[46:47]
	s_waitcnt vmcnt(0)
	v_fma_f64 v[42:43], v[42:43], v[48:49], -v[50:51]
	v_fma_f64 v[44:45], v[44:45], v[48:49], v[46:47]
	v_add_f64 v[1:2], v[1:2], v[42:43]
	v_add_f64 v[3:4], v[3:4], v[44:45]
	s_andn2_b32 exec_lo, exec_lo, s22
	s_cbranch_execnz .LBB14_212
; %bb.213:
	s_or_b32 exec_lo, exec_lo, s22
.LBB14_214:
	s_or_b32 exec_lo, exec_lo, s21
	v_mov_b32_e32 v38, 0
	ds_read_b128 v[42:45], v38 offset:208
	s_waitcnt lgkmcnt(0)
	v_mul_f64 v[38:39], v[3:4], v[44:45]
	v_mul_f64 v[44:45], v[1:2], v[44:45]
	v_fma_f64 v[1:2], v[1:2], v[42:43], -v[38:39]
	v_fma_f64 v[3:4], v[3:4], v[42:43], v[44:45]
	buffer_store_dword v2, off, s[0:3], 0 offset:212
	buffer_store_dword v1, off, s[0:3], 0 offset:208
	buffer_store_dword v4, off, s[0:3], 0 offset:220
	buffer_store_dword v3, off, s[0:3], 0 offset:216
.LBB14_215:
	s_or_b32 exec_lo, exec_lo, s8
	v_mov_b32_e32 v4, s6
	s_mov_b32 s8, exec_lo
                                        ; implicit-def: $sgpr23
	s_clause 0x3
	buffer_load_dword v1, v4, s[0:3], 0 offen
	buffer_load_dword v2, v4, s[0:3], 0 offen offset:4
	buffer_load_dword v3, v4, s[0:3], 0 offen offset:8
	;; [unrolled: 1-line block ×3, first 2 shown]
	s_waitcnt vmcnt(0)
	ds_write_b128 v36, v[1:4]
	s_waitcnt lgkmcnt(0)
	s_waitcnt_vscnt null, 0x0
	s_barrier
	buffer_gl0_inv
                                        ; implicit-def: $vgpr1_vgpr2
	v_cmpx_ne_u32_e32 14, v0
	s_cbranch_execz .LBB14_223
; %bb.216:
	ds_read_b128 v[1:4], v36
	v_cmp_ne_u32_e32 vcc_lo, 1, v37
	s_cbranch_vccnz .LBB14_218
; %bb.217:
	s_clause 0x3
	buffer_load_dword v36, v35, s[0:3], 0 offen offset:8
	buffer_load_dword v37, v35, s[0:3], 0 offen offset:12
	buffer_load_dword v38, v35, s[0:3], 0 offen
	buffer_load_dword v39, v35, s[0:3], 0 offen offset:4
	s_waitcnt vmcnt(2) lgkmcnt(0)
	v_mul_f64 v[42:43], v[3:4], v[36:37]
	v_mul_f64 v[35:36], v[1:2], v[36:37]
	s_waitcnt vmcnt(0)
	v_fma_f64 v[1:2], v[1:2], v[38:39], -v[42:43]
	v_fma_f64 v[3:4], v[3:4], v[38:39], v[35:36]
.LBB14_218:
	s_and_saveexec_b32 s21, s4
	s_cbranch_execz .LBB14_222
; %bb.219:
	v_add_nc_u32_e32 v35, 0x100, v41
	v_add3_u32 v36, 0, v41, 16
	s_mov_b32 s4, 0
	.p2align	6
.LBB14_220:                             ; =>This Inner Loop Header: Depth=1
	s_clause 0x3
	buffer_load_dword v41, v36, s[0:3], 0 offen offset:8
	buffer_load_dword v42, v36, s[0:3], 0 offen offset:12
	buffer_load_dword v43, v36, s[0:3], 0 offen
	buffer_load_dword v44, v36, s[0:3], 0 offen offset:4
	ds_read_b128 v[37:40], v35
	v_add_nc_u32_e32 v0, 1, v0
	v_add_nc_u32_e32 v35, 16, v35
	;; [unrolled: 1-line block ×3, first 2 shown]
	v_cmp_lt_u32_e32 vcc_lo, 12, v0
	s_or_b32 s4, vcc_lo, s4
	s_waitcnt vmcnt(2) lgkmcnt(0)
	v_mul_f64 v[45:46], v[39:40], v[41:42]
	v_mul_f64 v[41:42], v[37:38], v[41:42]
	s_waitcnt vmcnt(0)
	v_fma_f64 v[37:38], v[37:38], v[43:44], -v[45:46]
	v_fma_f64 v[39:40], v[39:40], v[43:44], v[41:42]
	v_add_f64 v[1:2], v[1:2], v[37:38]
	v_add_f64 v[3:4], v[3:4], v[39:40]
	s_andn2_b32 exec_lo, exec_lo, s4
	s_cbranch_execnz .LBB14_220
; %bb.221:
	s_or_b32 exec_lo, exec_lo, s4
.LBB14_222:
	s_or_b32 exec_lo, exec_lo, s21
	v_mov_b32_e32 v0, 0
	s_movk_i32 s23, 0xe8
	s_or_b32 s5, s5, exec_lo
	ds_read_b128 v[35:38], v0 offset:224
	s_waitcnt lgkmcnt(0)
	v_mul_f64 v[39:40], v[3:4], v[37:38]
	v_mul_f64 v[37:38], v[1:2], v[37:38]
	v_fma_f64 v[39:40], v[1:2], v[35:36], -v[39:40]
	v_fma_f64 v[1:2], v[3:4], v[35:36], v[37:38]
	buffer_store_dword v40, off, s[0:3], 0 offset:228
	buffer_store_dword v39, off, s[0:3], 0 offset:224
.LBB14_223:
	s_or_b32 exec_lo, exec_lo, s8
.LBB14_224:
	s_and_saveexec_b32 s4, s5
	s_cbranch_execz .LBB14_226
; %bb.225:
	v_mov_b32_e32 v0, s23
	buffer_store_dword v2, v0, s[0:3], 0 offen offset:4
	buffer_store_dword v1, v0, s[0:3], 0 offen
.LBB14_226:
	s_or_b32 exec_lo, exec_lo, s4
	v_mov_b32_e32 v4, s20
	s_clause 0x7
	buffer_load_dword v0, off, s[0:3], 0
	buffer_load_dword v1, off, s[0:3], 0 offset:4
	buffer_load_dword v2, off, s[0:3], 0 offset:8
	;; [unrolled: 1-line block ×3, first 2 shown]
	buffer_load_dword v35, v4, s[0:3], 0 offen
	buffer_load_dword v36, v4, s[0:3], 0 offen offset:4
	buffer_load_dword v37, v4, s[0:3], 0 offen offset:8
	;; [unrolled: 1-line block ×3, first 2 shown]
	v_mov_b32_e32 v4, s19
	v_mov_b32_e32 v51, s15
	;; [unrolled: 1-line block ×4, first 2 shown]
	s_clause 0x3
	buffer_load_dword v39, v4, s[0:3], 0 offen
	buffer_load_dword v40, v4, s[0:3], 0 offen offset:4
	buffer_load_dword v41, v4, s[0:3], 0 offen offset:8
	;; [unrolled: 1-line block ×3, first 2 shown]
	v_mov_b32_e32 v4, s18
	v_mov_b32_e32 v59, s9
	;; [unrolled: 1-line block ×3, first 2 shown]
	s_clause 0x3
	buffer_load_dword v43, v4, s[0:3], 0 offen
	buffer_load_dword v44, v4, s[0:3], 0 offen offset:4
	buffer_load_dword v45, v4, s[0:3], 0 offen offset:8
	;; [unrolled: 1-line block ×3, first 2 shown]
	v_mov_b32_e32 v4, s17
	v_mov_b32_e32 v56, s12
	s_clause 0x3
	buffer_load_dword v47, v4, s[0:3], 0 offen
	buffer_load_dword v48, v4, s[0:3], 0 offen offset:4
	buffer_load_dword v49, v4, s[0:3], 0 offen offset:8
	;; [unrolled: 1-line block ×3, first 2 shown]
	v_mov_b32_e32 v4, s16
	v_mov_b32_e32 v58, s10
	;; [unrolled: 1-line block ×4, first 2 shown]
	s_waitcnt vmcnt(16)
	global_store_dwordx4 v[5:6], v[0:3], off
	s_clause 0x3
	buffer_load_dword v0, v4, s[0:3], 0 offen
	buffer_load_dword v1, v4, s[0:3], 0 offen offset:4
	buffer_load_dword v2, v4, s[0:3], 0 offen offset:8
	buffer_load_dword v3, v4, s[0:3], 0 offen offset:12
	s_waitcnt vmcnt(16)
	global_store_dwordx4 v[9:10], v[35:38], off
	s_clause 0x7
	buffer_load_dword v35, v51, s[0:3], 0 offen
	buffer_load_dword v36, v51, s[0:3], 0 offen offset:4
	buffer_load_dword v37, v51, s[0:3], 0 offen offset:8
	buffer_load_dword v38, v51, s[0:3], 0 offen offset:12
	buffer_load_dword v51, v54, s[0:3], 0 offen
	buffer_load_dword v52, v54, s[0:3], 0 offen offset:4
	buffer_load_dword v53, v54, s[0:3], 0 offen offset:8
	buffer_load_dword v54, v54, s[0:3], 0 offen offset:12
	s_waitcnt vmcnt(20)
	global_store_dwordx4 v[7:8], v[39:42], off
	s_clause 0x7
	buffer_load_dword v4, v55, s[0:3], 0 offen
	buffer_load_dword v5, v55, s[0:3], 0 offen offset:4
	buffer_load_dword v6, v55, s[0:3], 0 offen offset:8
	buffer_load_dword v7, v55, s[0:3], 0 offen offset:12
	;; [unrolled: 11-line block ×4, first 2 shown]
	buffer_load_dword v55, v60, s[0:3], 0 offen
	buffer_load_dword v56, v60, s[0:3], 0 offen offset:4
	buffer_load_dword v57, v60, s[0:3], 0 offen offset:8
	;; [unrolled: 1-line block ×3, first 2 shown]
	buffer_load_dword v59, v62, s[0:3], 0 offen
	buffer_load_dword v60, v62, s[0:3], 0 offen offset:4
	buffer_load_dword v61, v62, s[0:3], 0 offen offset:8
	;; [unrolled: 1-line block ×3, first 2 shown]
	s_waitcnt vmcnt(36)
	global_store_dwordx4 v[15:16], v[0:3], off
	s_waitcnt vmcnt(32)
	global_store_dwordx4 v[17:18], v[35:38], off
	;; [unrolled: 2-line block ×10, first 2 shown]
.LBB14_227:
	s_endpgm
	.section	.rodata,"a",@progbits
	.p2align	6, 0x0
	.amdhsa_kernel _ZN9rocsolver6v33100L18trti2_kernel_smallILi15E19rocblas_complex_numIdEPS3_EEv13rocblas_fill_17rocblas_diagonal_T1_iil
		.amdhsa_group_segment_fixed_size 480
		.amdhsa_private_segment_fixed_size 256
		.amdhsa_kernarg_size 32
		.amdhsa_user_sgpr_count 6
		.amdhsa_user_sgpr_private_segment_buffer 1
		.amdhsa_user_sgpr_dispatch_ptr 0
		.amdhsa_user_sgpr_queue_ptr 0
		.amdhsa_user_sgpr_kernarg_segment_ptr 1
		.amdhsa_user_sgpr_dispatch_id 0
		.amdhsa_user_sgpr_flat_scratch_init 0
		.amdhsa_user_sgpr_private_segment_size 0
		.amdhsa_wavefront_size32 1
		.amdhsa_uses_dynamic_stack 0
		.amdhsa_system_sgpr_private_segment_wavefront_offset 1
		.amdhsa_system_sgpr_workgroup_id_x 1
		.amdhsa_system_sgpr_workgroup_id_y 0
		.amdhsa_system_sgpr_workgroup_id_z 0
		.amdhsa_system_sgpr_workgroup_info 0
		.amdhsa_system_vgpr_workitem_id 0
		.amdhsa_next_free_vgpr 63
		.amdhsa_next_free_sgpr 26
		.amdhsa_reserve_vcc 1
		.amdhsa_reserve_flat_scratch 0
		.amdhsa_float_round_mode_32 0
		.amdhsa_float_round_mode_16_64 0
		.amdhsa_float_denorm_mode_32 3
		.amdhsa_float_denorm_mode_16_64 3
		.amdhsa_dx10_clamp 1
		.amdhsa_ieee_mode 1
		.amdhsa_fp16_overflow 0
		.amdhsa_workgroup_processor_mode 1
		.amdhsa_memory_ordered 1
		.amdhsa_forward_progress 1
		.amdhsa_shared_vgpr_count 0
		.amdhsa_exception_fp_ieee_invalid_op 0
		.amdhsa_exception_fp_denorm_src 0
		.amdhsa_exception_fp_ieee_div_zero 0
		.amdhsa_exception_fp_ieee_overflow 0
		.amdhsa_exception_fp_ieee_underflow 0
		.amdhsa_exception_fp_ieee_inexact 0
		.amdhsa_exception_int_div_zero 0
	.end_amdhsa_kernel
	.section	.text._ZN9rocsolver6v33100L18trti2_kernel_smallILi15E19rocblas_complex_numIdEPS3_EEv13rocblas_fill_17rocblas_diagonal_T1_iil,"axG",@progbits,_ZN9rocsolver6v33100L18trti2_kernel_smallILi15E19rocblas_complex_numIdEPS3_EEv13rocblas_fill_17rocblas_diagonal_T1_iil,comdat
.Lfunc_end14:
	.size	_ZN9rocsolver6v33100L18trti2_kernel_smallILi15E19rocblas_complex_numIdEPS3_EEv13rocblas_fill_17rocblas_diagonal_T1_iil, .Lfunc_end14-_ZN9rocsolver6v33100L18trti2_kernel_smallILi15E19rocblas_complex_numIdEPS3_EEv13rocblas_fill_17rocblas_diagonal_T1_iil
                                        ; -- End function
	.set _ZN9rocsolver6v33100L18trti2_kernel_smallILi15E19rocblas_complex_numIdEPS3_EEv13rocblas_fill_17rocblas_diagonal_T1_iil.num_vgpr, 63
	.set _ZN9rocsolver6v33100L18trti2_kernel_smallILi15E19rocblas_complex_numIdEPS3_EEv13rocblas_fill_17rocblas_diagonal_T1_iil.num_agpr, 0
	.set _ZN9rocsolver6v33100L18trti2_kernel_smallILi15E19rocblas_complex_numIdEPS3_EEv13rocblas_fill_17rocblas_diagonal_T1_iil.numbered_sgpr, 26
	.set _ZN9rocsolver6v33100L18trti2_kernel_smallILi15E19rocblas_complex_numIdEPS3_EEv13rocblas_fill_17rocblas_diagonal_T1_iil.num_named_barrier, 0
	.set _ZN9rocsolver6v33100L18trti2_kernel_smallILi15E19rocblas_complex_numIdEPS3_EEv13rocblas_fill_17rocblas_diagonal_T1_iil.private_seg_size, 256
	.set _ZN9rocsolver6v33100L18trti2_kernel_smallILi15E19rocblas_complex_numIdEPS3_EEv13rocblas_fill_17rocblas_diagonal_T1_iil.uses_vcc, 1
	.set _ZN9rocsolver6v33100L18trti2_kernel_smallILi15E19rocblas_complex_numIdEPS3_EEv13rocblas_fill_17rocblas_diagonal_T1_iil.uses_flat_scratch, 0
	.set _ZN9rocsolver6v33100L18trti2_kernel_smallILi15E19rocblas_complex_numIdEPS3_EEv13rocblas_fill_17rocblas_diagonal_T1_iil.has_dyn_sized_stack, 0
	.set _ZN9rocsolver6v33100L18trti2_kernel_smallILi15E19rocblas_complex_numIdEPS3_EEv13rocblas_fill_17rocblas_diagonal_T1_iil.has_recursion, 0
	.set _ZN9rocsolver6v33100L18trti2_kernel_smallILi15E19rocblas_complex_numIdEPS3_EEv13rocblas_fill_17rocblas_diagonal_T1_iil.has_indirect_call, 0
	.section	.AMDGPU.csdata,"",@progbits
; Kernel info:
; codeLenInByte = 14824
; TotalNumSgprs: 28
; NumVgprs: 63
; ScratchSize: 256
; MemoryBound: 0
; FloatMode: 240
; IeeeMode: 1
; LDSByteSize: 480 bytes/workgroup (compile time only)
; SGPRBlocks: 0
; VGPRBlocks: 7
; NumSGPRsForWavesPerEU: 28
; NumVGPRsForWavesPerEU: 63
; Occupancy: 16
; WaveLimiterHint : 0
; COMPUTE_PGM_RSRC2:SCRATCH_EN: 1
; COMPUTE_PGM_RSRC2:USER_SGPR: 6
; COMPUTE_PGM_RSRC2:TRAP_HANDLER: 0
; COMPUTE_PGM_RSRC2:TGID_X_EN: 1
; COMPUTE_PGM_RSRC2:TGID_Y_EN: 0
; COMPUTE_PGM_RSRC2:TGID_Z_EN: 0
; COMPUTE_PGM_RSRC2:TIDIG_COMP_CNT: 0
	.section	.text._ZN9rocsolver6v33100L18trti2_kernel_smallILi16E19rocblas_complex_numIdEPS3_EEv13rocblas_fill_17rocblas_diagonal_T1_iil,"axG",@progbits,_ZN9rocsolver6v33100L18trti2_kernel_smallILi16E19rocblas_complex_numIdEPS3_EEv13rocblas_fill_17rocblas_diagonal_T1_iil,comdat
	.globl	_ZN9rocsolver6v33100L18trti2_kernel_smallILi16E19rocblas_complex_numIdEPS3_EEv13rocblas_fill_17rocblas_diagonal_T1_iil ; -- Begin function _ZN9rocsolver6v33100L18trti2_kernel_smallILi16E19rocblas_complex_numIdEPS3_EEv13rocblas_fill_17rocblas_diagonal_T1_iil
	.p2align	8
	.type	_ZN9rocsolver6v33100L18trti2_kernel_smallILi16E19rocblas_complex_numIdEPS3_EEv13rocblas_fill_17rocblas_diagonal_T1_iil,@function
_ZN9rocsolver6v33100L18trti2_kernel_smallILi16E19rocblas_complex_numIdEPS3_EEv13rocblas_fill_17rocblas_diagonal_T1_iil: ; @_ZN9rocsolver6v33100L18trti2_kernel_smallILi16E19rocblas_complex_numIdEPS3_EEv13rocblas_fill_17rocblas_diagonal_T1_iil
; %bb.0:
	s_add_u32 s0, s0, s7
	s_addc_u32 s1, s1, 0
	s_mov_b32 s7, exec_lo
	v_cmpx_gt_u32_e32 16, v0
	s_cbranch_execz .LBB15_243
; %bb.1:
	s_load_dwordx8 s[8:15], s[4:5], 0x0
	s_ashr_i32 s7, s6, 31
	v_lshlrev_b32_e32 v43, 4, v0
	s_movk_i32 s24, 0xc0
	s_movk_i32 s25, 0xd0
	;; [unrolled: 1-line block ×4, first 2 shown]
	s_waitcnt lgkmcnt(0)
	s_ashr_i32 s5, s12, 31
	s_mov_b32 s4, s12
	s_mul_hi_u32 s12, s14, s6
	s_mul_i32 s7, s14, s7
	s_mul_i32 s15, s15, s6
	s_add_i32 s7, s12, s7
	s_mul_i32 s6, s14, s6
	s_add_i32 s7, s7, s15
	v_add3_u32 v5, s13, s13, v0
	s_lshl_b64 s[6:7], s[6:7], 4
	s_mov_b32 s14, s13
	s_add_u32 s6, s10, s6
	s_addc_u32 s7, s11, s7
	s_lshl_b64 s[4:5], s[4:5], 4
	v_add_nc_u32_e32 v9, s13, v5
	s_add_u32 s4, s6, s4
	v_ashrrev_i32_e32 v6, 31, v5
	s_addc_u32 s5, s7, s5
	v_add_co_u32 v13, s6, s4, v43
	s_ashr_i32 s15, s13, 31
	v_add_co_ci_u32_e64 v14, null, s5, 0, s6
	s_lshl_b64 s[6:7], s[14:15], 4
	v_ashrrev_i32_e32 v10, 31, v9
	v_add_co_u32 v7, vcc_lo, v13, s6
	v_lshlrev_b64 v[5:6], 4, v[5:6]
	v_add_co_ci_u32_e64 v8, null, s7, v14, vcc_lo
	v_add_nc_u32_e32 v15, s13, v9
	v_lshlrev_b64 v[9:10], 4, v[9:10]
	global_load_dwordx4 v[1:4], v43, s[4:5]
	v_add_co_u32 v5, vcc_lo, s4, v5
	global_load_dwordx4 v[21:24], v[7:8], off
	v_ashrrev_i32_e32 v16, 31, v15
	v_add_co_ci_u32_e64 v6, null, s5, v6, vcc_lo
	v_add_co_u32 v11, vcc_lo, s4, v9
	v_add_co_ci_u32_e64 v12, null, s5, v10, vcc_lo
	v_lshlrev_b64 v[9:10], 4, v[15:16]
	global_load_dwordx4 v[25:28], v[5:6], off
	v_add_nc_u32_e32 v15, s13, v15
	global_load_dwordx4 v[29:32], v[11:12], off
	s_cmpk_lg_i32 s9, 0x84
	s_movk_i32 s6, 0x70
	v_add_co_u32 v9, vcc_lo, s4, v9
	v_add_co_ci_u32_e64 v10, null, s5, v10, vcc_lo
	v_add_nc_u32_e32 v17, s13, v15
	v_ashrrev_i32_e32 v16, 31, v15
	s_movk_i32 s7, 0x80
	global_load_dwordx4 v[33:36], v[9:10], off
	s_movk_i32 s10, 0x90
	v_add_nc_u32_e32 v19, s13, v17
	v_ashrrev_i32_e32 v18, 31, v17
	v_lshlrev_b64 v[39:40], 4, v[15:16]
	s_movk_i32 s11, 0xa0
	s_movk_i32 s12, 0xb0
	v_add_nc_u32_e32 v41, s13, v19
	v_ashrrev_i32_e32 v20, 31, v19
	v_lshlrev_b64 v[44:45], 4, v[17:18]
	s_cselect_b32 s23, -1, 0
	s_cmpk_eq_i32 s9, 0x84
	v_add_nc_u32_e32 v52, s13, v41
	v_lshlrev_b64 v[48:49], 4, v[19:20]
	v_ashrrev_i32_e32 v42, 31, v41
	v_add_nc_u32_e32 v60, s13, v52
	v_ashrrev_i32_e32 v53, 31, v52
	v_lshlrev_b64 v[41:42], 4, v[41:42]
	v_add_nc_u32_e32 v62, s13, v60
	v_ashrrev_i32_e32 v61, 31, v60
	v_add_nc_u32_e32 v64, s13, v62
	v_ashrrev_i32_e32 v63, 31, v62
	;; [unrolled: 2-line block ×5, first 2 shown]
	v_ashrrev_i32_e32 v38, 31, v37
	v_lshlrev_b64 v[37:38], 4, v[37:38]
	v_add_co_u32 v15, vcc_lo, s4, v37
	v_add_co_ci_u32_e64 v16, null, s5, v38, vcc_lo
	v_add_co_u32 v17, vcc_lo, s4, v39
	v_add_co_ci_u32_e64 v18, null, s5, v40, vcc_lo
	;; [unrolled: 2-line block ×3, first 2 shown]
	global_load_dwordx4 v[37:40], v[15:16], off
	s_waitcnt vmcnt(5)
	buffer_store_dword v4, off, s[0:3], 0 offset:12
	buffer_store_dword v3, off, s[0:3], 0 offset:8
	;; [unrolled: 1-line block ×3, first 2 shown]
	buffer_store_dword v1, off, s[0:3], 0
	global_load_dwordx4 v[1:4], v[17:18], off
	s_waitcnt vmcnt(5)
	buffer_store_dword v24, off, s[0:3], 0 offset:28
	buffer_store_dword v23, off, s[0:3], 0 offset:24
	;; [unrolled: 1-line block ×4, first 2 shown]
	v_add_co_u32 v21, vcc_lo, s4, v48
	v_add_co_ci_u32_e64 v22, null, s5, v49, vcc_lo
	global_load_dwordx4 v[44:47], v[19:20], off
	s_waitcnt vmcnt(5)
	buffer_store_dword v28, off, s[0:3], 0 offset:44
	buffer_store_dword v27, off, s[0:3], 0 offset:40
	;; [unrolled: 1-line block ×4, first 2 shown]
	v_lshlrev_b64 v[25:26], 4, v[52:53]
	global_load_dwordx4 v[48:51], v[21:22], off
	v_add_co_u32 v23, vcc_lo, s4, v41
	v_add_co_ci_u32_e64 v24, null, s5, v42, vcc_lo
	v_add_co_u32 v25, vcc_lo, s4, v25
	s_waitcnt vmcnt(5)
	buffer_store_dword v32, off, s[0:3], 0 offset:60
	buffer_store_dword v31, off, s[0:3], 0 offset:56
	;; [unrolled: 1-line block ×4, first 2 shown]
	v_add_co_ci_u32_e64 v26, null, s5, v26, vcc_lo
	global_load_dwordx4 v[52:55], v[23:24], off
	s_waitcnt vmcnt(5)
	buffer_store_dword v36, off, s[0:3], 0 offset:76
	buffer_store_dword v35, off, s[0:3], 0 offset:72
	;; [unrolled: 1-line block ×4, first 2 shown]
	v_lshlrev_b64 v[27:28], 4, v[60:61]
	global_load_dwordx4 v[56:59], v[25:26], off
	v_lshlrev_b64 v[29:30], 4, v[62:63]
	v_lshlrev_b64 v[31:32], 4, v[64:65]
	;; [unrolled: 1-line block ×4, first 2 shown]
	v_add_co_u32 v27, vcc_lo, s4, v27
	v_add_co_ci_u32_e64 v28, null, s5, v28, vcc_lo
	v_add_co_u32 v29, vcc_lo, s4, v29
	v_add_co_ci_u32_e64 v30, null, s5, v30, vcc_lo
	;; [unrolled: 2-line block ×5, first 2 shown]
	s_movk_i32 s4, 0x50
	s_movk_i32 s5, 0x60
	s_waitcnt vmcnt(4)
	buffer_store_dword v4, off, s[0:3], 0 offset:92
	buffer_store_dword v3, off, s[0:3], 0 offset:88
	;; [unrolled: 1-line block ×4, first 2 shown]
	global_load_dwordx4 v[1:4], v[27:28], off
	s_waitcnt vmcnt(4)
	buffer_store_dword v47, off, s[0:3], 0 offset:108
	buffer_store_dword v46, off, s[0:3], 0 offset:104
	;; [unrolled: 1-line block ×4, first 2 shown]
	s_waitcnt vmcnt(3)
	buffer_store_dword v51, off, s[0:3], 0 offset:124
	buffer_store_dword v50, off, s[0:3], 0 offset:120
	;; [unrolled: 1-line block ×4, first 2 shown]
	s_clause 0x1
	global_load_dwordx4 v[44:47], v[29:30], off
	global_load_dwordx4 v[48:51], v[31:32], off
	s_waitcnt vmcnt(4)
	buffer_store_dword v55, off, s[0:3], 0 offset:140
	buffer_store_dword v54, off, s[0:3], 0 offset:136
	buffer_store_dword v53, off, s[0:3], 0 offset:132
	buffer_store_dword v52, off, s[0:3], 0 offset:128
	global_load_dwordx4 v[52:55], v[33:34], off
	s_waitcnt vmcnt(4)
	buffer_store_dword v56, off, s[0:3], 0 offset:144
	buffer_store_dword v57, off, s[0:3], 0 offset:148
	buffer_store_dword v58, off, s[0:3], 0 offset:152
	buffer_store_dword v59, off, s[0:3], 0 offset:156
	;; [unrolled: 6-line block ×3, first 2 shown]
	s_waitcnt vmcnt(3)
	buffer_store_dword v44, off, s[0:3], 0 offset:176
	buffer_store_dword v45, off, s[0:3], 0 offset:180
	buffer_store_dword v46, off, s[0:3], 0 offset:184
	buffer_store_dword v47, off, s[0:3], 0 offset:188
	s_waitcnt vmcnt(2)
	buffer_store_dword v51, off, s[0:3], 0 offset:204
	buffer_store_dword v50, off, s[0:3], 0 offset:200
	buffer_store_dword v49, off, s[0:3], 0 offset:196
	buffer_store_dword v48, off, s[0:3], 0 offset:192
	;; [unrolled: 5-line block ×4, first 2 shown]
	buffer_store_dword v40, off, s[0:3], 0 offset:252
	buffer_store_dword v39, off, s[0:3], 0 offset:248
	;; [unrolled: 1-line block ×4, first 2 shown]
	s_cbranch_scc1 .LBB15_7
; %bb.2:
	v_lshl_add_u32 v44, v0, 4, 0
                                        ; implicit-def: $vgpr39_vgpr40
                                        ; implicit-def: $vgpr3_vgpr4
	s_clause 0x3
	buffer_load_dword v37, v44, s[0:3], 0 offen
	buffer_load_dword v38, v44, s[0:3], 0 offen offset:4
	buffer_load_dword v41, v44, s[0:3], 0 offen offset:8
	;; [unrolled: 1-line block ×3, first 2 shown]
	s_waitcnt vmcnt(0)
	v_cmp_ngt_f64_e64 s9, |v[37:38]|, |v[41:42]|
	s_and_saveexec_b32 s13, s9
	s_xor_b32 s9, exec_lo, s13
	s_cbranch_execz .LBB15_4
; %bb.3:
	v_div_scale_f64 v[1:2], null, v[41:42], v[41:42], v[37:38]
	v_div_scale_f64 v[45:46], vcc_lo, v[37:38], v[41:42], v[37:38]
	v_rcp_f64_e32 v[3:4], v[1:2]
	v_fma_f64 v[39:40], -v[1:2], v[3:4], 1.0
	v_fma_f64 v[3:4], v[3:4], v[39:40], v[3:4]
	v_fma_f64 v[39:40], -v[1:2], v[3:4], 1.0
	v_fma_f64 v[3:4], v[3:4], v[39:40], v[3:4]
	v_mul_f64 v[39:40], v[45:46], v[3:4]
	v_fma_f64 v[1:2], -v[1:2], v[39:40], v[45:46]
	v_div_fmas_f64 v[1:2], v[1:2], v[3:4], v[39:40]
	v_div_fixup_f64 v[1:2], v[1:2], v[41:42], v[37:38]
	v_fma_f64 v[3:4], v[37:38], v[1:2], v[41:42]
	v_div_scale_f64 v[37:38], null, v[3:4], v[3:4], 1.0
	v_div_scale_f64 v[45:46], vcc_lo, 1.0, v[3:4], 1.0
	v_rcp_f64_e32 v[39:40], v[37:38]
	v_fma_f64 v[41:42], -v[37:38], v[39:40], 1.0
	v_fma_f64 v[39:40], v[39:40], v[41:42], v[39:40]
	v_fma_f64 v[41:42], -v[37:38], v[39:40], 1.0
	v_fma_f64 v[39:40], v[39:40], v[41:42], v[39:40]
	v_mul_f64 v[41:42], v[45:46], v[39:40]
	v_fma_f64 v[37:38], -v[37:38], v[41:42], v[45:46]
	v_div_fmas_f64 v[37:38], v[37:38], v[39:40], v[41:42]
                                        ; implicit-def: $vgpr41_vgpr42
	v_div_fixup_f64 v[3:4], v[37:38], v[3:4], 1.0
                                        ; implicit-def: $vgpr37_vgpr38
	v_mul_f64 v[39:40], v[1:2], v[3:4]
	v_xor_b32_e32 v4, 0x80000000, v4
	v_xor_b32_e32 v2, 0x80000000, v40
	v_mov_b32_e32 v1, v39
.LBB15_4:
	s_andn2_saveexec_b32 s9, s9
	s_cbranch_execz .LBB15_6
; %bb.5:
	v_div_scale_f64 v[1:2], null, v[37:38], v[37:38], v[41:42]
	v_div_scale_f64 v[45:46], vcc_lo, v[41:42], v[37:38], v[41:42]
	v_rcp_f64_e32 v[3:4], v[1:2]
	v_fma_f64 v[39:40], -v[1:2], v[3:4], 1.0
	v_fma_f64 v[3:4], v[3:4], v[39:40], v[3:4]
	v_fma_f64 v[39:40], -v[1:2], v[3:4], 1.0
	v_fma_f64 v[3:4], v[3:4], v[39:40], v[3:4]
	v_mul_f64 v[39:40], v[45:46], v[3:4]
	v_fma_f64 v[1:2], -v[1:2], v[39:40], v[45:46]
	v_div_fmas_f64 v[1:2], v[1:2], v[3:4], v[39:40]
	v_div_fixup_f64 v[1:2], v[1:2], v[37:38], v[41:42]
	v_fma_f64 v[3:4], v[41:42], v[1:2], v[37:38]
	v_div_scale_f64 v[37:38], null, v[3:4], v[3:4], 1.0
	v_rcp_f64_e32 v[39:40], v[37:38]
	v_fma_f64 v[41:42], -v[37:38], v[39:40], 1.0
	v_fma_f64 v[39:40], v[39:40], v[41:42], v[39:40]
	v_fma_f64 v[41:42], -v[37:38], v[39:40], 1.0
	v_fma_f64 v[39:40], v[39:40], v[41:42], v[39:40]
	v_div_scale_f64 v[41:42], vcc_lo, 1.0, v[3:4], 1.0
	v_mul_f64 v[45:46], v[41:42], v[39:40]
	v_fma_f64 v[37:38], -v[37:38], v[45:46], v[41:42]
	v_div_fmas_f64 v[37:38], v[37:38], v[39:40], v[45:46]
	v_div_fixup_f64 v[39:40], v[37:38], v[3:4], 1.0
	v_mul_f64 v[3:4], v[1:2], -v[39:40]
	v_xor_b32_e32 v2, 0x80000000, v40
	v_mov_b32_e32 v1, v39
.LBB15_6:
	s_or_b32 exec_lo, exec_lo, s9
	buffer_store_dword v4, v44, s[0:3], 0 offen offset:12
	v_xor_b32_e32 v4, 0x80000000, v4
	buffer_store_dword v40, v44, s[0:3], 0 offen offset:4
	buffer_store_dword v39, v44, s[0:3], 0 offen
	buffer_store_dword v3, v44, s[0:3], 0 offen offset:8
	s_branch .LBB15_8
.LBB15_7:
	v_mov_b32_e32 v1, 0
	v_mov_b32_e32 v3, 0
	;; [unrolled: 1-line block ×4, first 2 shown]
.LBB15_8:
	v_add_nc_u32_e32 v38, 0x100, v43
	v_mov_b32_e32 v37, v43
	s_mov_b32 s22, 16
	s_mov_b32 s21, 32
	;; [unrolled: 1-line block ×14, first 2 shown]
	s_cmpk_eq_i32 s8, 0x79
	ds_write_b128 v43, v[1:4]
	s_cbranch_scc1 .LBB15_124
; %bb.9:
	v_mov_b32_e32 v4, s9
	v_cmp_eq_u32_e64 s4, 15, v0
	s_clause 0x3
	buffer_load_dword v1, v4, s[0:3], 0 offen
	buffer_load_dword v2, v4, s[0:3], 0 offen offset:4
	buffer_load_dword v3, v4, s[0:3], 0 offen offset:8
	;; [unrolled: 1-line block ×3, first 2 shown]
	s_waitcnt vmcnt(0)
	ds_write_b128 v38, v[1:4]
	s_waitcnt lgkmcnt(0)
	s_waitcnt_vscnt null, 0x0
	s_barrier
	buffer_gl0_inv
	s_and_saveexec_b32 s5, s4
	s_cbranch_execz .LBB15_13
; %bb.10:
	ds_read_b128 v[1:4], v38
	s_andn2_b32 vcc_lo, exec_lo, s23
	s_cbranch_vccnz .LBB15_12
; %bb.11:
	s_clause 0x3
	buffer_load_dword v39, v37, s[0:3], 0 offen offset:8
	buffer_load_dword v40, v37, s[0:3], 0 offen offset:12
	buffer_load_dword v41, v37, s[0:3], 0 offen
	buffer_load_dword v42, v37, s[0:3], 0 offen offset:4
	s_waitcnt vmcnt(2) lgkmcnt(0)
	v_mul_f64 v[44:45], v[3:4], v[39:40]
	v_mul_f64 v[39:40], v[1:2], v[39:40]
	s_waitcnt vmcnt(0)
	v_fma_f64 v[1:2], v[1:2], v[41:42], -v[44:45]
	v_fma_f64 v[3:4], v[3:4], v[41:42], v[39:40]
.LBB15_12:
	v_mov_b32_e32 v39, 0
	ds_read_b128 v[39:42], v39 offset:224
	s_waitcnt lgkmcnt(0)
	v_mul_f64 v[44:45], v[3:4], v[41:42]
	v_mul_f64 v[41:42], v[1:2], v[41:42]
	v_fma_f64 v[1:2], v[1:2], v[39:40], -v[44:45]
	v_fma_f64 v[3:4], v[3:4], v[39:40], v[41:42]
	buffer_store_dword v2, off, s[0:3], 0 offset:228
	buffer_store_dword v1, off, s[0:3], 0 offset:224
	;; [unrolled: 1-line block ×4, first 2 shown]
.LBB15_13:
	s_or_b32 exec_lo, exec_lo, s5
	v_mov_b32_e32 v4, s10
	v_cmp_lt_u32_e64 s5, 13, v0
	s_clause 0x3
	buffer_load_dword v1, v4, s[0:3], 0 offen
	buffer_load_dword v2, v4, s[0:3], 0 offen offset:4
	buffer_load_dword v3, v4, s[0:3], 0 offen offset:8
	;; [unrolled: 1-line block ×3, first 2 shown]
	s_waitcnt vmcnt(0)
	ds_write_b128 v38, v[1:4]
	s_waitcnt lgkmcnt(0)
	s_waitcnt_vscnt null, 0x0
	s_barrier
	buffer_gl0_inv
	s_and_saveexec_b32 s6, s5
	s_cbranch_execz .LBB15_19
; %bb.14:
	ds_read_b128 v[1:4], v38
	s_andn2_b32 vcc_lo, exec_lo, s23
	s_cbranch_vccnz .LBB15_16
; %bb.15:
	s_clause 0x3
	buffer_load_dword v39, v37, s[0:3], 0 offen offset:8
	buffer_load_dword v40, v37, s[0:3], 0 offen offset:12
	buffer_load_dword v41, v37, s[0:3], 0 offen
	buffer_load_dword v42, v37, s[0:3], 0 offen offset:4
	s_waitcnt vmcnt(2) lgkmcnt(0)
	v_mul_f64 v[44:45], v[3:4], v[39:40]
	v_mul_f64 v[39:40], v[1:2], v[39:40]
	s_waitcnt vmcnt(0)
	v_fma_f64 v[1:2], v[1:2], v[41:42], -v[44:45]
	v_fma_f64 v[3:4], v[3:4], v[41:42], v[39:40]
.LBB15_16:
	s_and_saveexec_b32 s8, s4
	s_cbranch_execz .LBB15_18
; %bb.17:
	s_clause 0x3
	buffer_load_dword v44, off, s[0:3], 0 offset:232
	buffer_load_dword v45, off, s[0:3], 0 offset:236
	;; [unrolled: 1-line block ×4, first 2 shown]
	v_mov_b32_e32 v39, 0
	ds_read_b128 v[39:42], v39 offset:480
	s_waitcnt vmcnt(2) lgkmcnt(0)
	v_mul_f64 v[48:49], v[39:40], v[44:45]
	v_mul_f64 v[44:45], v[41:42], v[44:45]
	s_waitcnt vmcnt(0)
	v_fma_f64 v[41:42], v[41:42], v[46:47], v[48:49]
	v_fma_f64 v[39:40], v[39:40], v[46:47], -v[44:45]
	v_add_f64 v[3:4], v[3:4], v[41:42]
	v_add_f64 v[1:2], v[1:2], v[39:40]
.LBB15_18:
	s_or_b32 exec_lo, exec_lo, s8
	v_mov_b32_e32 v39, 0
	ds_read_b128 v[39:42], v39 offset:208
	s_waitcnt lgkmcnt(0)
	v_mul_f64 v[44:45], v[3:4], v[41:42]
	v_mul_f64 v[41:42], v[1:2], v[41:42]
	v_fma_f64 v[1:2], v[1:2], v[39:40], -v[44:45]
	v_fma_f64 v[3:4], v[3:4], v[39:40], v[41:42]
	buffer_store_dword v2, off, s[0:3], 0 offset:212
	buffer_store_dword v1, off, s[0:3], 0 offset:208
	;; [unrolled: 1-line block ×4, first 2 shown]
.LBB15_19:
	s_or_b32 exec_lo, exec_lo, s6
	v_mov_b32_e32 v4, s11
	v_cmp_lt_u32_e64 s4, 12, v0
	s_clause 0x3
	buffer_load_dword v1, v4, s[0:3], 0 offen
	buffer_load_dword v2, v4, s[0:3], 0 offen offset:4
	buffer_load_dword v3, v4, s[0:3], 0 offen offset:8
	;; [unrolled: 1-line block ×3, first 2 shown]
	s_waitcnt vmcnt(0)
	ds_write_b128 v38, v[1:4]
	s_waitcnt lgkmcnt(0)
	s_waitcnt_vscnt null, 0x0
	s_barrier
	buffer_gl0_inv
	s_and_saveexec_b32 s6, s4
	s_cbranch_execz .LBB15_27
; %bb.20:
	ds_read_b128 v[1:4], v38
	s_andn2_b32 vcc_lo, exec_lo, s23
	s_cbranch_vccnz .LBB15_22
; %bb.21:
	s_clause 0x3
	buffer_load_dword v39, v37, s[0:3], 0 offen offset:8
	buffer_load_dword v40, v37, s[0:3], 0 offen offset:12
	buffer_load_dword v41, v37, s[0:3], 0 offen
	buffer_load_dword v42, v37, s[0:3], 0 offen offset:4
	s_waitcnt vmcnt(2) lgkmcnt(0)
	v_mul_f64 v[44:45], v[3:4], v[39:40]
	v_mul_f64 v[39:40], v[1:2], v[39:40]
	s_waitcnt vmcnt(0)
	v_fma_f64 v[1:2], v[1:2], v[41:42], -v[44:45]
	v_fma_f64 v[3:4], v[3:4], v[41:42], v[39:40]
.LBB15_22:
	s_and_saveexec_b32 s8, s5
	s_cbranch_execz .LBB15_26
; %bb.23:
	v_add_nc_u32_e32 v39, -13, v0
	s_movk_i32 s24, 0x1d0
	s_mov_b32 s5, 0
	s_mov_b32 s25, s10
	.p2align	6
.LBB15_24:                              ; =>This Inner Loop Header: Depth=1
	v_mov_b32_e32 v42, s25
	v_add_nc_u32_e32 v39, -1, v39
	s_add_i32 s25, s25, 16
	s_clause 0x3
	buffer_load_dword v40, v42, s[0:3], 0 offen offset:8
	buffer_load_dword v41, v42, s[0:3], 0 offen offset:12
	buffer_load_dword v48, v42, s[0:3], 0 offen
	buffer_load_dword v49, v42, s[0:3], 0 offen offset:4
	v_mov_b32_e32 v42, s24
	v_cmp_eq_u32_e32 vcc_lo, 0, v39
	s_add_i32 s24, s24, 16
	ds_read_b128 v[44:47], v42
	s_or_b32 s5, vcc_lo, s5
	s_waitcnt vmcnt(2) lgkmcnt(0)
	v_mul_f64 v[50:51], v[46:47], v[40:41]
	v_mul_f64 v[40:41], v[44:45], v[40:41]
	s_waitcnt vmcnt(0)
	v_fma_f64 v[44:45], v[44:45], v[48:49], -v[50:51]
	v_fma_f64 v[40:41], v[46:47], v[48:49], v[40:41]
	v_add_f64 v[1:2], v[1:2], v[44:45]
	v_add_f64 v[3:4], v[3:4], v[40:41]
	s_andn2_b32 exec_lo, exec_lo, s5
	s_cbranch_execnz .LBB15_24
; %bb.25:
	s_or_b32 exec_lo, exec_lo, s5
.LBB15_26:
	s_or_b32 exec_lo, exec_lo, s8
	v_mov_b32_e32 v39, 0
	ds_read_b128 v[39:42], v39 offset:192
	s_waitcnt lgkmcnt(0)
	v_mul_f64 v[44:45], v[3:4], v[41:42]
	v_mul_f64 v[41:42], v[1:2], v[41:42]
	v_fma_f64 v[1:2], v[1:2], v[39:40], -v[44:45]
	v_fma_f64 v[3:4], v[3:4], v[39:40], v[41:42]
	buffer_store_dword v2, off, s[0:3], 0 offset:196
	buffer_store_dword v1, off, s[0:3], 0 offset:192
	;; [unrolled: 1-line block ×4, first 2 shown]
.LBB15_27:
	s_or_b32 exec_lo, exec_lo, s6
	v_mov_b32_e32 v4, s12
	v_cmp_lt_u32_e64 s5, 11, v0
	s_clause 0x3
	buffer_load_dword v1, v4, s[0:3], 0 offen
	buffer_load_dword v2, v4, s[0:3], 0 offen offset:4
	buffer_load_dword v3, v4, s[0:3], 0 offen offset:8
	buffer_load_dword v4, v4, s[0:3], 0 offen offset:12
	s_waitcnt vmcnt(0)
	ds_write_b128 v38, v[1:4]
	s_waitcnt lgkmcnt(0)
	s_waitcnt_vscnt null, 0x0
	s_barrier
	buffer_gl0_inv
	s_and_saveexec_b32 s6, s5
	s_cbranch_execz .LBB15_35
; %bb.28:
	ds_read_b128 v[1:4], v38
	s_andn2_b32 vcc_lo, exec_lo, s23
	s_cbranch_vccnz .LBB15_30
; %bb.29:
	s_clause 0x3
	buffer_load_dword v39, v37, s[0:3], 0 offen offset:8
	buffer_load_dword v40, v37, s[0:3], 0 offen offset:12
	buffer_load_dword v41, v37, s[0:3], 0 offen
	buffer_load_dword v42, v37, s[0:3], 0 offen offset:4
	s_waitcnt vmcnt(2) lgkmcnt(0)
	v_mul_f64 v[44:45], v[3:4], v[39:40]
	v_mul_f64 v[39:40], v[1:2], v[39:40]
	s_waitcnt vmcnt(0)
	v_fma_f64 v[1:2], v[1:2], v[41:42], -v[44:45]
	v_fma_f64 v[3:4], v[3:4], v[41:42], v[39:40]
.LBB15_30:
	s_and_saveexec_b32 s8, s4
	s_cbranch_execz .LBB15_34
; %bb.31:
	v_add_nc_u32_e32 v39, -12, v0
	s_movk_i32 s24, 0x1c0
	s_mov_b32 s4, 0
	s_mov_b32 s25, s11
	.p2align	6
.LBB15_32:                              ; =>This Inner Loop Header: Depth=1
	v_mov_b32_e32 v42, s25
	v_add_nc_u32_e32 v39, -1, v39
	s_add_i32 s25, s25, 16
	s_clause 0x3
	buffer_load_dword v40, v42, s[0:3], 0 offen offset:8
	buffer_load_dword v41, v42, s[0:3], 0 offen offset:12
	buffer_load_dword v48, v42, s[0:3], 0 offen
	buffer_load_dword v49, v42, s[0:3], 0 offen offset:4
	v_mov_b32_e32 v42, s24
	v_cmp_eq_u32_e32 vcc_lo, 0, v39
	s_add_i32 s24, s24, 16
	ds_read_b128 v[44:47], v42
	s_or_b32 s4, vcc_lo, s4
	s_waitcnt vmcnt(2) lgkmcnt(0)
	v_mul_f64 v[50:51], v[46:47], v[40:41]
	v_mul_f64 v[40:41], v[44:45], v[40:41]
	s_waitcnt vmcnt(0)
	v_fma_f64 v[44:45], v[44:45], v[48:49], -v[50:51]
	v_fma_f64 v[40:41], v[46:47], v[48:49], v[40:41]
	v_add_f64 v[1:2], v[1:2], v[44:45]
	v_add_f64 v[3:4], v[3:4], v[40:41]
	s_andn2_b32 exec_lo, exec_lo, s4
	s_cbranch_execnz .LBB15_32
; %bb.33:
	s_or_b32 exec_lo, exec_lo, s4
.LBB15_34:
	s_or_b32 exec_lo, exec_lo, s8
	v_mov_b32_e32 v39, 0
	ds_read_b128 v[39:42], v39 offset:176
	s_waitcnt lgkmcnt(0)
	v_mul_f64 v[44:45], v[3:4], v[41:42]
	v_mul_f64 v[41:42], v[1:2], v[41:42]
	v_fma_f64 v[1:2], v[1:2], v[39:40], -v[44:45]
	v_fma_f64 v[3:4], v[3:4], v[39:40], v[41:42]
	buffer_store_dword v2, off, s[0:3], 0 offset:180
	buffer_store_dword v1, off, s[0:3], 0 offset:176
	;; [unrolled: 1-line block ×4, first 2 shown]
.LBB15_35:
	s_or_b32 exec_lo, exec_lo, s6
	v_mov_b32_e32 v4, s13
	v_cmp_lt_u32_e64 s4, 10, v0
	s_clause 0x3
	buffer_load_dword v1, v4, s[0:3], 0 offen
	buffer_load_dword v2, v4, s[0:3], 0 offen offset:4
	buffer_load_dword v3, v4, s[0:3], 0 offen offset:8
	;; [unrolled: 1-line block ×3, first 2 shown]
	s_waitcnt vmcnt(0)
	ds_write_b128 v38, v[1:4]
	s_waitcnt lgkmcnt(0)
	s_waitcnt_vscnt null, 0x0
	s_barrier
	buffer_gl0_inv
	s_and_saveexec_b32 s6, s4
	s_cbranch_execz .LBB15_43
; %bb.36:
	ds_read_b128 v[1:4], v38
	s_andn2_b32 vcc_lo, exec_lo, s23
	s_cbranch_vccnz .LBB15_38
; %bb.37:
	s_clause 0x3
	buffer_load_dword v39, v37, s[0:3], 0 offen offset:8
	buffer_load_dword v40, v37, s[0:3], 0 offen offset:12
	buffer_load_dword v41, v37, s[0:3], 0 offen
	buffer_load_dword v42, v37, s[0:3], 0 offen offset:4
	s_waitcnt vmcnt(2) lgkmcnt(0)
	v_mul_f64 v[44:45], v[3:4], v[39:40]
	v_mul_f64 v[39:40], v[1:2], v[39:40]
	s_waitcnt vmcnt(0)
	v_fma_f64 v[1:2], v[1:2], v[41:42], -v[44:45]
	v_fma_f64 v[3:4], v[3:4], v[41:42], v[39:40]
.LBB15_38:
	s_and_saveexec_b32 s8, s5
	s_cbranch_execz .LBB15_42
; %bb.39:
	v_add_nc_u32_e32 v39, -11, v0
	s_movk_i32 s24, 0x1b0
	s_mov_b32 s5, 0
	s_mov_b32 s25, s12
	.p2align	6
.LBB15_40:                              ; =>This Inner Loop Header: Depth=1
	v_mov_b32_e32 v42, s25
	v_add_nc_u32_e32 v39, -1, v39
	s_add_i32 s25, s25, 16
	s_clause 0x3
	buffer_load_dword v40, v42, s[0:3], 0 offen offset:8
	buffer_load_dword v41, v42, s[0:3], 0 offen offset:12
	buffer_load_dword v48, v42, s[0:3], 0 offen
	buffer_load_dword v49, v42, s[0:3], 0 offen offset:4
	v_mov_b32_e32 v42, s24
	v_cmp_eq_u32_e32 vcc_lo, 0, v39
	s_add_i32 s24, s24, 16
	ds_read_b128 v[44:47], v42
	s_or_b32 s5, vcc_lo, s5
	s_waitcnt vmcnt(2) lgkmcnt(0)
	v_mul_f64 v[50:51], v[46:47], v[40:41]
	v_mul_f64 v[40:41], v[44:45], v[40:41]
	s_waitcnt vmcnt(0)
	v_fma_f64 v[44:45], v[44:45], v[48:49], -v[50:51]
	v_fma_f64 v[40:41], v[46:47], v[48:49], v[40:41]
	v_add_f64 v[1:2], v[1:2], v[44:45]
	v_add_f64 v[3:4], v[3:4], v[40:41]
	s_andn2_b32 exec_lo, exec_lo, s5
	s_cbranch_execnz .LBB15_40
; %bb.41:
	s_or_b32 exec_lo, exec_lo, s5
.LBB15_42:
	s_or_b32 exec_lo, exec_lo, s8
	v_mov_b32_e32 v39, 0
	ds_read_b128 v[39:42], v39 offset:160
	s_waitcnt lgkmcnt(0)
	v_mul_f64 v[44:45], v[3:4], v[41:42]
	v_mul_f64 v[41:42], v[1:2], v[41:42]
	v_fma_f64 v[1:2], v[1:2], v[39:40], -v[44:45]
	v_fma_f64 v[3:4], v[3:4], v[39:40], v[41:42]
	buffer_store_dword v2, off, s[0:3], 0 offset:164
	buffer_store_dword v1, off, s[0:3], 0 offset:160
	buffer_store_dword v4, off, s[0:3], 0 offset:172
	buffer_store_dword v3, off, s[0:3], 0 offset:168
.LBB15_43:
	s_or_b32 exec_lo, exec_lo, s6
	v_mov_b32_e32 v4, s14
	v_cmp_lt_u32_e64 s5, 9, v0
	s_clause 0x3
	buffer_load_dword v1, v4, s[0:3], 0 offen
	buffer_load_dword v2, v4, s[0:3], 0 offen offset:4
	buffer_load_dword v3, v4, s[0:3], 0 offen offset:8
	;; [unrolled: 1-line block ×3, first 2 shown]
	s_waitcnt vmcnt(0)
	ds_write_b128 v38, v[1:4]
	s_waitcnt lgkmcnt(0)
	s_waitcnt_vscnt null, 0x0
	s_barrier
	buffer_gl0_inv
	s_and_saveexec_b32 s6, s5
	s_cbranch_execz .LBB15_51
; %bb.44:
	ds_read_b128 v[1:4], v38
	s_andn2_b32 vcc_lo, exec_lo, s23
	s_cbranch_vccnz .LBB15_46
; %bb.45:
	s_clause 0x3
	buffer_load_dword v39, v37, s[0:3], 0 offen offset:8
	buffer_load_dword v40, v37, s[0:3], 0 offen offset:12
	buffer_load_dword v41, v37, s[0:3], 0 offen
	buffer_load_dword v42, v37, s[0:3], 0 offen offset:4
	s_waitcnt vmcnt(2) lgkmcnt(0)
	v_mul_f64 v[44:45], v[3:4], v[39:40]
	v_mul_f64 v[39:40], v[1:2], v[39:40]
	s_waitcnt vmcnt(0)
	v_fma_f64 v[1:2], v[1:2], v[41:42], -v[44:45]
	v_fma_f64 v[3:4], v[3:4], v[41:42], v[39:40]
.LBB15_46:
	s_and_saveexec_b32 s8, s4
	s_cbranch_execz .LBB15_50
; %bb.47:
	v_add_nc_u32_e32 v39, -10, v0
	s_movk_i32 s24, 0x1a0
	s_mov_b32 s4, 0
	s_mov_b32 s25, s13
	.p2align	6
.LBB15_48:                              ; =>This Inner Loop Header: Depth=1
	v_mov_b32_e32 v42, s25
	v_add_nc_u32_e32 v39, -1, v39
	s_add_i32 s25, s25, 16
	s_clause 0x3
	buffer_load_dword v40, v42, s[0:3], 0 offen offset:8
	buffer_load_dword v41, v42, s[0:3], 0 offen offset:12
	buffer_load_dword v48, v42, s[0:3], 0 offen
	buffer_load_dword v49, v42, s[0:3], 0 offen offset:4
	v_mov_b32_e32 v42, s24
	v_cmp_eq_u32_e32 vcc_lo, 0, v39
	s_add_i32 s24, s24, 16
	ds_read_b128 v[44:47], v42
	s_or_b32 s4, vcc_lo, s4
	s_waitcnt vmcnt(2) lgkmcnt(0)
	v_mul_f64 v[50:51], v[46:47], v[40:41]
	v_mul_f64 v[40:41], v[44:45], v[40:41]
	s_waitcnt vmcnt(0)
	v_fma_f64 v[44:45], v[44:45], v[48:49], -v[50:51]
	v_fma_f64 v[40:41], v[46:47], v[48:49], v[40:41]
	v_add_f64 v[1:2], v[1:2], v[44:45]
	v_add_f64 v[3:4], v[3:4], v[40:41]
	s_andn2_b32 exec_lo, exec_lo, s4
	s_cbranch_execnz .LBB15_48
; %bb.49:
	s_or_b32 exec_lo, exec_lo, s4
.LBB15_50:
	s_or_b32 exec_lo, exec_lo, s8
	v_mov_b32_e32 v39, 0
	ds_read_b128 v[39:42], v39 offset:144
	s_waitcnt lgkmcnt(0)
	v_mul_f64 v[44:45], v[3:4], v[41:42]
	v_mul_f64 v[41:42], v[1:2], v[41:42]
	v_fma_f64 v[1:2], v[1:2], v[39:40], -v[44:45]
	v_fma_f64 v[3:4], v[3:4], v[39:40], v[41:42]
	buffer_store_dword v2, off, s[0:3], 0 offset:148
	buffer_store_dword v1, off, s[0:3], 0 offset:144
	;; [unrolled: 1-line block ×4, first 2 shown]
.LBB15_51:
	s_or_b32 exec_lo, exec_lo, s6
	v_mov_b32_e32 v4, s15
	v_cmp_lt_u32_e64 s4, 8, v0
	s_clause 0x3
	buffer_load_dword v1, v4, s[0:3], 0 offen
	buffer_load_dword v2, v4, s[0:3], 0 offen offset:4
	buffer_load_dword v3, v4, s[0:3], 0 offen offset:8
	;; [unrolled: 1-line block ×3, first 2 shown]
	s_waitcnt vmcnt(0)
	ds_write_b128 v38, v[1:4]
	s_waitcnt lgkmcnt(0)
	s_waitcnt_vscnt null, 0x0
	s_barrier
	buffer_gl0_inv
	s_and_saveexec_b32 s6, s4
	s_cbranch_execz .LBB15_59
; %bb.52:
	ds_read_b128 v[1:4], v38
	s_andn2_b32 vcc_lo, exec_lo, s23
	s_cbranch_vccnz .LBB15_54
; %bb.53:
	s_clause 0x3
	buffer_load_dword v39, v37, s[0:3], 0 offen offset:8
	buffer_load_dword v40, v37, s[0:3], 0 offen offset:12
	buffer_load_dword v41, v37, s[0:3], 0 offen
	buffer_load_dword v42, v37, s[0:3], 0 offen offset:4
	s_waitcnt vmcnt(2) lgkmcnt(0)
	v_mul_f64 v[44:45], v[3:4], v[39:40]
	v_mul_f64 v[39:40], v[1:2], v[39:40]
	s_waitcnt vmcnt(0)
	v_fma_f64 v[1:2], v[1:2], v[41:42], -v[44:45]
	v_fma_f64 v[3:4], v[3:4], v[41:42], v[39:40]
.LBB15_54:
	s_and_saveexec_b32 s8, s5
	s_cbranch_execz .LBB15_58
; %bb.55:
	v_add_nc_u32_e32 v39, -9, v0
	s_movk_i32 s24, 0x190
	s_mov_b32 s5, 0
	s_mov_b32 s25, s14
	.p2align	6
.LBB15_56:                              ; =>This Inner Loop Header: Depth=1
	v_mov_b32_e32 v42, s25
	v_add_nc_u32_e32 v39, -1, v39
	s_add_i32 s25, s25, 16
	s_clause 0x3
	buffer_load_dword v40, v42, s[0:3], 0 offen offset:8
	buffer_load_dword v41, v42, s[0:3], 0 offen offset:12
	buffer_load_dword v48, v42, s[0:3], 0 offen
	buffer_load_dword v49, v42, s[0:3], 0 offen offset:4
	v_mov_b32_e32 v42, s24
	v_cmp_eq_u32_e32 vcc_lo, 0, v39
	s_add_i32 s24, s24, 16
	ds_read_b128 v[44:47], v42
	s_or_b32 s5, vcc_lo, s5
	s_waitcnt vmcnt(2) lgkmcnt(0)
	v_mul_f64 v[50:51], v[46:47], v[40:41]
	v_mul_f64 v[40:41], v[44:45], v[40:41]
	s_waitcnt vmcnt(0)
	v_fma_f64 v[44:45], v[44:45], v[48:49], -v[50:51]
	v_fma_f64 v[40:41], v[46:47], v[48:49], v[40:41]
	v_add_f64 v[1:2], v[1:2], v[44:45]
	v_add_f64 v[3:4], v[3:4], v[40:41]
	s_andn2_b32 exec_lo, exec_lo, s5
	s_cbranch_execnz .LBB15_56
; %bb.57:
	s_or_b32 exec_lo, exec_lo, s5
.LBB15_58:
	s_or_b32 exec_lo, exec_lo, s8
	v_mov_b32_e32 v39, 0
	ds_read_b128 v[39:42], v39 offset:128
	s_waitcnt lgkmcnt(0)
	v_mul_f64 v[44:45], v[3:4], v[41:42]
	v_mul_f64 v[41:42], v[1:2], v[41:42]
	v_fma_f64 v[1:2], v[1:2], v[39:40], -v[44:45]
	v_fma_f64 v[3:4], v[3:4], v[39:40], v[41:42]
	buffer_store_dword v2, off, s[0:3], 0 offset:132
	buffer_store_dword v1, off, s[0:3], 0 offset:128
	;; [unrolled: 1-line block ×4, first 2 shown]
.LBB15_59:
	s_or_b32 exec_lo, exec_lo, s6
	v_mov_b32_e32 v4, s16
	v_cmp_lt_u32_e64 s5, 7, v0
	s_clause 0x3
	buffer_load_dword v1, v4, s[0:3], 0 offen
	buffer_load_dword v2, v4, s[0:3], 0 offen offset:4
	buffer_load_dword v3, v4, s[0:3], 0 offen offset:8
	;; [unrolled: 1-line block ×3, first 2 shown]
	s_waitcnt vmcnt(0)
	ds_write_b128 v38, v[1:4]
	s_waitcnt lgkmcnt(0)
	s_waitcnt_vscnt null, 0x0
	s_barrier
	buffer_gl0_inv
	s_and_saveexec_b32 s6, s5
	s_cbranch_execz .LBB15_67
; %bb.60:
	ds_read_b128 v[1:4], v38
	s_andn2_b32 vcc_lo, exec_lo, s23
	s_cbranch_vccnz .LBB15_62
; %bb.61:
	s_clause 0x3
	buffer_load_dword v39, v37, s[0:3], 0 offen offset:8
	buffer_load_dword v40, v37, s[0:3], 0 offen offset:12
	buffer_load_dword v41, v37, s[0:3], 0 offen
	buffer_load_dword v42, v37, s[0:3], 0 offen offset:4
	s_waitcnt vmcnt(2) lgkmcnt(0)
	v_mul_f64 v[44:45], v[3:4], v[39:40]
	v_mul_f64 v[39:40], v[1:2], v[39:40]
	s_waitcnt vmcnt(0)
	v_fma_f64 v[1:2], v[1:2], v[41:42], -v[44:45]
	v_fma_f64 v[3:4], v[3:4], v[41:42], v[39:40]
.LBB15_62:
	s_and_saveexec_b32 s8, s4
	s_cbranch_execz .LBB15_66
; %bb.63:
	v_add_nc_u32_e32 v39, -8, v0
	s_movk_i32 s24, 0x180
	s_mov_b32 s4, 0
	s_mov_b32 s25, s15
	.p2align	6
.LBB15_64:                              ; =>This Inner Loop Header: Depth=1
	v_mov_b32_e32 v42, s25
	v_add_nc_u32_e32 v39, -1, v39
	s_add_i32 s25, s25, 16
	s_clause 0x3
	buffer_load_dword v40, v42, s[0:3], 0 offen offset:8
	buffer_load_dword v41, v42, s[0:3], 0 offen offset:12
	buffer_load_dword v48, v42, s[0:3], 0 offen
	buffer_load_dword v49, v42, s[0:3], 0 offen offset:4
	v_mov_b32_e32 v42, s24
	v_cmp_eq_u32_e32 vcc_lo, 0, v39
	s_add_i32 s24, s24, 16
	ds_read_b128 v[44:47], v42
	s_or_b32 s4, vcc_lo, s4
	s_waitcnt vmcnt(2) lgkmcnt(0)
	v_mul_f64 v[50:51], v[46:47], v[40:41]
	v_mul_f64 v[40:41], v[44:45], v[40:41]
	s_waitcnt vmcnt(0)
	v_fma_f64 v[44:45], v[44:45], v[48:49], -v[50:51]
	v_fma_f64 v[40:41], v[46:47], v[48:49], v[40:41]
	v_add_f64 v[1:2], v[1:2], v[44:45]
	v_add_f64 v[3:4], v[3:4], v[40:41]
	s_andn2_b32 exec_lo, exec_lo, s4
	s_cbranch_execnz .LBB15_64
; %bb.65:
	s_or_b32 exec_lo, exec_lo, s4
.LBB15_66:
	s_or_b32 exec_lo, exec_lo, s8
	v_mov_b32_e32 v39, 0
	ds_read_b128 v[39:42], v39 offset:112
	s_waitcnt lgkmcnt(0)
	v_mul_f64 v[44:45], v[3:4], v[41:42]
	v_mul_f64 v[41:42], v[1:2], v[41:42]
	v_fma_f64 v[1:2], v[1:2], v[39:40], -v[44:45]
	v_fma_f64 v[3:4], v[3:4], v[39:40], v[41:42]
	buffer_store_dword v2, off, s[0:3], 0 offset:116
	buffer_store_dword v1, off, s[0:3], 0 offset:112
	buffer_store_dword v4, off, s[0:3], 0 offset:124
	buffer_store_dword v3, off, s[0:3], 0 offset:120
.LBB15_67:
	s_or_b32 exec_lo, exec_lo, s6
	v_mov_b32_e32 v4, s17
	v_cmp_lt_u32_e64 s4, 6, v0
	s_clause 0x3
	buffer_load_dword v1, v4, s[0:3], 0 offen
	buffer_load_dword v2, v4, s[0:3], 0 offen offset:4
	buffer_load_dword v3, v4, s[0:3], 0 offen offset:8
	;; [unrolled: 1-line block ×3, first 2 shown]
	s_waitcnt vmcnt(0)
	ds_write_b128 v38, v[1:4]
	s_waitcnt lgkmcnt(0)
	s_waitcnt_vscnt null, 0x0
	s_barrier
	buffer_gl0_inv
	s_and_saveexec_b32 s6, s4
	s_cbranch_execz .LBB15_75
; %bb.68:
	ds_read_b128 v[1:4], v38
	s_andn2_b32 vcc_lo, exec_lo, s23
	s_cbranch_vccnz .LBB15_70
; %bb.69:
	s_clause 0x3
	buffer_load_dword v39, v37, s[0:3], 0 offen offset:8
	buffer_load_dword v40, v37, s[0:3], 0 offen offset:12
	buffer_load_dword v41, v37, s[0:3], 0 offen
	buffer_load_dword v42, v37, s[0:3], 0 offen offset:4
	s_waitcnt vmcnt(2) lgkmcnt(0)
	v_mul_f64 v[44:45], v[3:4], v[39:40]
	v_mul_f64 v[39:40], v[1:2], v[39:40]
	s_waitcnt vmcnt(0)
	v_fma_f64 v[1:2], v[1:2], v[41:42], -v[44:45]
	v_fma_f64 v[3:4], v[3:4], v[41:42], v[39:40]
.LBB15_70:
	s_and_saveexec_b32 s8, s5
	s_cbranch_execz .LBB15_74
; %bb.71:
	v_add_nc_u32_e32 v39, -7, v0
	s_movk_i32 s24, 0x170
	s_mov_b32 s5, 0
	s_mov_b32 s25, s16
	.p2align	6
.LBB15_72:                              ; =>This Inner Loop Header: Depth=1
	v_mov_b32_e32 v42, s25
	v_add_nc_u32_e32 v39, -1, v39
	s_add_i32 s25, s25, 16
	s_clause 0x3
	buffer_load_dword v40, v42, s[0:3], 0 offen offset:8
	buffer_load_dword v41, v42, s[0:3], 0 offen offset:12
	buffer_load_dword v48, v42, s[0:3], 0 offen
	buffer_load_dword v49, v42, s[0:3], 0 offen offset:4
	v_mov_b32_e32 v42, s24
	v_cmp_eq_u32_e32 vcc_lo, 0, v39
	s_add_i32 s24, s24, 16
	ds_read_b128 v[44:47], v42
	s_or_b32 s5, vcc_lo, s5
	s_waitcnt vmcnt(2) lgkmcnt(0)
	v_mul_f64 v[50:51], v[46:47], v[40:41]
	v_mul_f64 v[40:41], v[44:45], v[40:41]
	s_waitcnt vmcnt(0)
	v_fma_f64 v[44:45], v[44:45], v[48:49], -v[50:51]
	v_fma_f64 v[40:41], v[46:47], v[48:49], v[40:41]
	v_add_f64 v[1:2], v[1:2], v[44:45]
	v_add_f64 v[3:4], v[3:4], v[40:41]
	s_andn2_b32 exec_lo, exec_lo, s5
	s_cbranch_execnz .LBB15_72
; %bb.73:
	s_or_b32 exec_lo, exec_lo, s5
.LBB15_74:
	s_or_b32 exec_lo, exec_lo, s8
	v_mov_b32_e32 v39, 0
	ds_read_b128 v[39:42], v39 offset:96
	s_waitcnt lgkmcnt(0)
	v_mul_f64 v[44:45], v[3:4], v[41:42]
	v_mul_f64 v[41:42], v[1:2], v[41:42]
	v_fma_f64 v[1:2], v[1:2], v[39:40], -v[44:45]
	v_fma_f64 v[3:4], v[3:4], v[39:40], v[41:42]
	buffer_store_dword v2, off, s[0:3], 0 offset:100
	buffer_store_dword v1, off, s[0:3], 0 offset:96
	;; [unrolled: 1-line block ×4, first 2 shown]
.LBB15_75:
	s_or_b32 exec_lo, exec_lo, s6
	v_mov_b32_e32 v4, s18
	v_cmp_lt_u32_e64 s5, 5, v0
	s_clause 0x3
	buffer_load_dword v1, v4, s[0:3], 0 offen
	buffer_load_dword v2, v4, s[0:3], 0 offen offset:4
	buffer_load_dword v3, v4, s[0:3], 0 offen offset:8
	;; [unrolled: 1-line block ×3, first 2 shown]
	s_waitcnt vmcnt(0)
	ds_write_b128 v38, v[1:4]
	s_waitcnt lgkmcnt(0)
	s_waitcnt_vscnt null, 0x0
	s_barrier
	buffer_gl0_inv
	s_and_saveexec_b32 s6, s5
	s_cbranch_execz .LBB15_83
; %bb.76:
	ds_read_b128 v[1:4], v38
	s_andn2_b32 vcc_lo, exec_lo, s23
	s_cbranch_vccnz .LBB15_78
; %bb.77:
	s_clause 0x3
	buffer_load_dword v39, v37, s[0:3], 0 offen offset:8
	buffer_load_dword v40, v37, s[0:3], 0 offen offset:12
	buffer_load_dword v41, v37, s[0:3], 0 offen
	buffer_load_dword v42, v37, s[0:3], 0 offen offset:4
	s_waitcnt vmcnt(2) lgkmcnt(0)
	v_mul_f64 v[44:45], v[3:4], v[39:40]
	v_mul_f64 v[39:40], v[1:2], v[39:40]
	s_waitcnt vmcnt(0)
	v_fma_f64 v[1:2], v[1:2], v[41:42], -v[44:45]
	v_fma_f64 v[3:4], v[3:4], v[41:42], v[39:40]
.LBB15_78:
	s_and_saveexec_b32 s8, s4
	s_cbranch_execz .LBB15_82
; %bb.79:
	v_add_nc_u32_e32 v39, -6, v0
	s_movk_i32 s24, 0x160
	s_mov_b32 s4, 0
	s_mov_b32 s25, s17
	.p2align	6
.LBB15_80:                              ; =>This Inner Loop Header: Depth=1
	v_mov_b32_e32 v42, s25
	v_add_nc_u32_e32 v39, -1, v39
	s_add_i32 s25, s25, 16
	s_clause 0x3
	buffer_load_dword v40, v42, s[0:3], 0 offen offset:8
	buffer_load_dword v41, v42, s[0:3], 0 offen offset:12
	buffer_load_dword v48, v42, s[0:3], 0 offen
	buffer_load_dword v49, v42, s[0:3], 0 offen offset:4
	v_mov_b32_e32 v42, s24
	v_cmp_eq_u32_e32 vcc_lo, 0, v39
	s_add_i32 s24, s24, 16
	ds_read_b128 v[44:47], v42
	s_or_b32 s4, vcc_lo, s4
	s_waitcnt vmcnt(2) lgkmcnt(0)
	v_mul_f64 v[50:51], v[46:47], v[40:41]
	v_mul_f64 v[40:41], v[44:45], v[40:41]
	s_waitcnt vmcnt(0)
	v_fma_f64 v[44:45], v[44:45], v[48:49], -v[50:51]
	v_fma_f64 v[40:41], v[46:47], v[48:49], v[40:41]
	v_add_f64 v[1:2], v[1:2], v[44:45]
	v_add_f64 v[3:4], v[3:4], v[40:41]
	s_andn2_b32 exec_lo, exec_lo, s4
	s_cbranch_execnz .LBB15_80
; %bb.81:
	s_or_b32 exec_lo, exec_lo, s4
.LBB15_82:
	s_or_b32 exec_lo, exec_lo, s8
	v_mov_b32_e32 v39, 0
	ds_read_b128 v[39:42], v39 offset:80
	s_waitcnt lgkmcnt(0)
	v_mul_f64 v[44:45], v[3:4], v[41:42]
	v_mul_f64 v[41:42], v[1:2], v[41:42]
	v_fma_f64 v[1:2], v[1:2], v[39:40], -v[44:45]
	v_fma_f64 v[3:4], v[3:4], v[39:40], v[41:42]
	buffer_store_dword v2, off, s[0:3], 0 offset:84
	buffer_store_dword v1, off, s[0:3], 0 offset:80
	buffer_store_dword v4, off, s[0:3], 0 offset:92
	buffer_store_dword v3, off, s[0:3], 0 offset:88
.LBB15_83:
	s_or_b32 exec_lo, exec_lo, s6
	v_mov_b32_e32 v4, s19
	v_cmp_lt_u32_e64 s4, 4, v0
	s_clause 0x3
	buffer_load_dword v1, v4, s[0:3], 0 offen
	buffer_load_dword v2, v4, s[0:3], 0 offen offset:4
	buffer_load_dword v3, v4, s[0:3], 0 offen offset:8
	;; [unrolled: 1-line block ×3, first 2 shown]
	s_waitcnt vmcnt(0)
	ds_write_b128 v38, v[1:4]
	s_waitcnt lgkmcnt(0)
	s_waitcnt_vscnt null, 0x0
	s_barrier
	buffer_gl0_inv
	s_and_saveexec_b32 s6, s4
	s_cbranch_execz .LBB15_91
; %bb.84:
	ds_read_b128 v[1:4], v38
	s_andn2_b32 vcc_lo, exec_lo, s23
	s_cbranch_vccnz .LBB15_86
; %bb.85:
	s_clause 0x3
	buffer_load_dword v39, v37, s[0:3], 0 offen offset:8
	buffer_load_dword v40, v37, s[0:3], 0 offen offset:12
	buffer_load_dword v41, v37, s[0:3], 0 offen
	buffer_load_dword v42, v37, s[0:3], 0 offen offset:4
	s_waitcnt vmcnt(2) lgkmcnt(0)
	v_mul_f64 v[44:45], v[3:4], v[39:40]
	v_mul_f64 v[39:40], v[1:2], v[39:40]
	s_waitcnt vmcnt(0)
	v_fma_f64 v[1:2], v[1:2], v[41:42], -v[44:45]
	v_fma_f64 v[3:4], v[3:4], v[41:42], v[39:40]
.LBB15_86:
	s_and_saveexec_b32 s8, s5
	s_cbranch_execz .LBB15_90
; %bb.87:
	v_add_nc_u32_e32 v39, -5, v0
	s_movk_i32 s24, 0x150
	s_mov_b32 s5, 0
	s_mov_b32 s25, s18
	.p2align	6
.LBB15_88:                              ; =>This Inner Loop Header: Depth=1
	v_mov_b32_e32 v42, s25
	v_add_nc_u32_e32 v39, -1, v39
	s_add_i32 s25, s25, 16
	s_clause 0x3
	buffer_load_dword v40, v42, s[0:3], 0 offen offset:8
	buffer_load_dword v41, v42, s[0:3], 0 offen offset:12
	buffer_load_dword v48, v42, s[0:3], 0 offen
	buffer_load_dword v49, v42, s[0:3], 0 offen offset:4
	v_mov_b32_e32 v42, s24
	v_cmp_eq_u32_e32 vcc_lo, 0, v39
	s_add_i32 s24, s24, 16
	ds_read_b128 v[44:47], v42
	s_or_b32 s5, vcc_lo, s5
	s_waitcnt vmcnt(2) lgkmcnt(0)
	v_mul_f64 v[50:51], v[46:47], v[40:41]
	v_mul_f64 v[40:41], v[44:45], v[40:41]
	s_waitcnt vmcnt(0)
	v_fma_f64 v[44:45], v[44:45], v[48:49], -v[50:51]
	v_fma_f64 v[40:41], v[46:47], v[48:49], v[40:41]
	v_add_f64 v[1:2], v[1:2], v[44:45]
	v_add_f64 v[3:4], v[3:4], v[40:41]
	s_andn2_b32 exec_lo, exec_lo, s5
	s_cbranch_execnz .LBB15_88
; %bb.89:
	s_or_b32 exec_lo, exec_lo, s5
.LBB15_90:
	s_or_b32 exec_lo, exec_lo, s8
	v_mov_b32_e32 v39, 0
	ds_read_b128 v[39:42], v39 offset:64
	s_waitcnt lgkmcnt(0)
	v_mul_f64 v[44:45], v[3:4], v[41:42]
	v_mul_f64 v[41:42], v[1:2], v[41:42]
	v_fma_f64 v[1:2], v[1:2], v[39:40], -v[44:45]
	v_fma_f64 v[3:4], v[3:4], v[39:40], v[41:42]
	buffer_store_dword v2, off, s[0:3], 0 offset:68
	buffer_store_dword v1, off, s[0:3], 0 offset:64
	;; [unrolled: 1-line block ×4, first 2 shown]
.LBB15_91:
	s_or_b32 exec_lo, exec_lo, s6
	v_mov_b32_e32 v4, s20
	v_cmp_lt_u32_e64 s5, 3, v0
	s_clause 0x3
	buffer_load_dword v1, v4, s[0:3], 0 offen
	buffer_load_dword v2, v4, s[0:3], 0 offen offset:4
	buffer_load_dword v3, v4, s[0:3], 0 offen offset:8
	;; [unrolled: 1-line block ×3, first 2 shown]
	s_waitcnt vmcnt(0)
	ds_write_b128 v38, v[1:4]
	s_waitcnt lgkmcnt(0)
	s_waitcnt_vscnt null, 0x0
	s_barrier
	buffer_gl0_inv
	s_and_saveexec_b32 s6, s5
	s_cbranch_execz .LBB15_99
; %bb.92:
	ds_read_b128 v[1:4], v38
	s_andn2_b32 vcc_lo, exec_lo, s23
	s_cbranch_vccnz .LBB15_94
; %bb.93:
	s_clause 0x3
	buffer_load_dword v39, v37, s[0:3], 0 offen offset:8
	buffer_load_dword v40, v37, s[0:3], 0 offen offset:12
	buffer_load_dword v41, v37, s[0:3], 0 offen
	buffer_load_dword v42, v37, s[0:3], 0 offen offset:4
	s_waitcnt vmcnt(2) lgkmcnt(0)
	v_mul_f64 v[44:45], v[3:4], v[39:40]
	v_mul_f64 v[39:40], v[1:2], v[39:40]
	s_waitcnt vmcnt(0)
	v_fma_f64 v[1:2], v[1:2], v[41:42], -v[44:45]
	v_fma_f64 v[3:4], v[3:4], v[41:42], v[39:40]
.LBB15_94:
	s_and_saveexec_b32 s8, s4
	s_cbranch_execz .LBB15_98
; %bb.95:
	v_add_nc_u32_e32 v39, -4, v0
	s_movk_i32 s24, 0x140
	s_mov_b32 s4, 0
	s_mov_b32 s25, s19
	.p2align	6
.LBB15_96:                              ; =>This Inner Loop Header: Depth=1
	v_mov_b32_e32 v42, s25
	v_add_nc_u32_e32 v39, -1, v39
	s_add_i32 s25, s25, 16
	s_clause 0x3
	buffer_load_dword v40, v42, s[0:3], 0 offen offset:8
	buffer_load_dword v41, v42, s[0:3], 0 offen offset:12
	buffer_load_dword v48, v42, s[0:3], 0 offen
	buffer_load_dword v49, v42, s[0:3], 0 offen offset:4
	v_mov_b32_e32 v42, s24
	v_cmp_eq_u32_e32 vcc_lo, 0, v39
	s_add_i32 s24, s24, 16
	ds_read_b128 v[44:47], v42
	s_or_b32 s4, vcc_lo, s4
	s_waitcnt vmcnt(2) lgkmcnt(0)
	v_mul_f64 v[50:51], v[46:47], v[40:41]
	v_mul_f64 v[40:41], v[44:45], v[40:41]
	s_waitcnt vmcnt(0)
	v_fma_f64 v[44:45], v[44:45], v[48:49], -v[50:51]
	v_fma_f64 v[40:41], v[46:47], v[48:49], v[40:41]
	v_add_f64 v[1:2], v[1:2], v[44:45]
	v_add_f64 v[3:4], v[3:4], v[40:41]
	s_andn2_b32 exec_lo, exec_lo, s4
	s_cbranch_execnz .LBB15_96
; %bb.97:
	s_or_b32 exec_lo, exec_lo, s4
.LBB15_98:
	s_or_b32 exec_lo, exec_lo, s8
	v_mov_b32_e32 v39, 0
	ds_read_b128 v[39:42], v39 offset:48
	s_waitcnt lgkmcnt(0)
	v_mul_f64 v[44:45], v[3:4], v[41:42]
	v_mul_f64 v[41:42], v[1:2], v[41:42]
	v_fma_f64 v[1:2], v[1:2], v[39:40], -v[44:45]
	v_fma_f64 v[3:4], v[3:4], v[39:40], v[41:42]
	buffer_store_dword v2, off, s[0:3], 0 offset:52
	buffer_store_dword v1, off, s[0:3], 0 offset:48
	;; [unrolled: 1-line block ×4, first 2 shown]
.LBB15_99:
	s_or_b32 exec_lo, exec_lo, s6
	v_mov_b32_e32 v4, s21
	v_cmp_lt_u32_e64 s6, 2, v0
	s_clause 0x3
	buffer_load_dword v1, v4, s[0:3], 0 offen
	buffer_load_dword v2, v4, s[0:3], 0 offen offset:4
	buffer_load_dword v3, v4, s[0:3], 0 offen offset:8
	;; [unrolled: 1-line block ×3, first 2 shown]
	s_waitcnt vmcnt(0)
	ds_write_b128 v38, v[1:4]
	s_waitcnt lgkmcnt(0)
	s_waitcnt_vscnt null, 0x0
	s_barrier
	buffer_gl0_inv
	s_and_saveexec_b32 s4, s6
	s_cbranch_execz .LBB15_107
; %bb.100:
	ds_read_b128 v[1:4], v38
	s_andn2_b32 vcc_lo, exec_lo, s23
	s_cbranch_vccnz .LBB15_102
; %bb.101:
	s_clause 0x3
	buffer_load_dword v39, v37, s[0:3], 0 offen offset:8
	buffer_load_dword v40, v37, s[0:3], 0 offen offset:12
	buffer_load_dword v41, v37, s[0:3], 0 offen
	buffer_load_dword v42, v37, s[0:3], 0 offen offset:4
	s_waitcnt vmcnt(2) lgkmcnt(0)
	v_mul_f64 v[44:45], v[3:4], v[39:40]
	v_mul_f64 v[39:40], v[1:2], v[39:40]
	s_waitcnt vmcnt(0)
	v_fma_f64 v[1:2], v[1:2], v[41:42], -v[44:45]
	v_fma_f64 v[3:4], v[3:4], v[41:42], v[39:40]
.LBB15_102:
	s_and_saveexec_b32 s8, s5
	s_cbranch_execz .LBB15_106
; %bb.103:
	v_add_nc_u32_e32 v39, -3, v0
	s_movk_i32 s24, 0x130
	s_mov_b32 s5, 0
	s_mov_b32 s25, s20
	.p2align	6
.LBB15_104:                             ; =>This Inner Loop Header: Depth=1
	v_mov_b32_e32 v42, s25
	v_add_nc_u32_e32 v39, -1, v39
	s_add_i32 s25, s25, 16
	s_clause 0x3
	buffer_load_dword v40, v42, s[0:3], 0 offen offset:8
	buffer_load_dword v41, v42, s[0:3], 0 offen offset:12
	buffer_load_dword v48, v42, s[0:3], 0 offen
	buffer_load_dword v49, v42, s[0:3], 0 offen offset:4
	v_mov_b32_e32 v42, s24
	v_cmp_eq_u32_e32 vcc_lo, 0, v39
	s_add_i32 s24, s24, 16
	ds_read_b128 v[44:47], v42
	s_or_b32 s5, vcc_lo, s5
	s_waitcnt vmcnt(2) lgkmcnt(0)
	v_mul_f64 v[50:51], v[46:47], v[40:41]
	v_mul_f64 v[40:41], v[44:45], v[40:41]
	s_waitcnt vmcnt(0)
	v_fma_f64 v[44:45], v[44:45], v[48:49], -v[50:51]
	v_fma_f64 v[40:41], v[46:47], v[48:49], v[40:41]
	v_add_f64 v[1:2], v[1:2], v[44:45]
	v_add_f64 v[3:4], v[3:4], v[40:41]
	s_andn2_b32 exec_lo, exec_lo, s5
	s_cbranch_execnz .LBB15_104
; %bb.105:
	s_or_b32 exec_lo, exec_lo, s5
.LBB15_106:
	s_or_b32 exec_lo, exec_lo, s8
	v_mov_b32_e32 v39, 0
	ds_read_b128 v[39:42], v39 offset:32
	s_waitcnt lgkmcnt(0)
	v_mul_f64 v[44:45], v[3:4], v[41:42]
	v_mul_f64 v[41:42], v[1:2], v[41:42]
	v_fma_f64 v[1:2], v[1:2], v[39:40], -v[44:45]
	v_fma_f64 v[3:4], v[3:4], v[39:40], v[41:42]
	buffer_store_dword v2, off, s[0:3], 0 offset:36
	buffer_store_dword v1, off, s[0:3], 0 offset:32
	;; [unrolled: 1-line block ×4, first 2 shown]
.LBB15_107:
	s_or_b32 exec_lo, exec_lo, s4
	v_mov_b32_e32 v4, s22
	v_cmp_lt_u32_e64 s4, 1, v0
	s_clause 0x3
	buffer_load_dword v1, v4, s[0:3], 0 offen
	buffer_load_dword v2, v4, s[0:3], 0 offen offset:4
	buffer_load_dword v3, v4, s[0:3], 0 offen offset:8
	;; [unrolled: 1-line block ×3, first 2 shown]
	s_waitcnt vmcnt(0)
	ds_write_b128 v38, v[1:4]
	s_waitcnt lgkmcnt(0)
	s_waitcnt_vscnt null, 0x0
	s_barrier
	buffer_gl0_inv
	s_and_saveexec_b32 s5, s4
	s_cbranch_execz .LBB15_115
; %bb.108:
	ds_read_b128 v[1:4], v38
	s_andn2_b32 vcc_lo, exec_lo, s23
	s_cbranch_vccnz .LBB15_110
; %bb.109:
	s_clause 0x3
	buffer_load_dword v39, v37, s[0:3], 0 offen offset:8
	buffer_load_dword v40, v37, s[0:3], 0 offen offset:12
	buffer_load_dword v41, v37, s[0:3], 0 offen
	buffer_load_dword v42, v37, s[0:3], 0 offen offset:4
	s_waitcnt vmcnt(2) lgkmcnt(0)
	v_mul_f64 v[44:45], v[3:4], v[39:40]
	v_mul_f64 v[39:40], v[1:2], v[39:40]
	s_waitcnt vmcnt(0)
	v_fma_f64 v[1:2], v[1:2], v[41:42], -v[44:45]
	v_fma_f64 v[3:4], v[3:4], v[41:42], v[39:40]
.LBB15_110:
	s_and_saveexec_b32 s8, s6
	s_cbranch_execz .LBB15_114
; %bb.111:
	v_add_nc_u32_e32 v39, -2, v0
	s_movk_i32 s24, 0x120
	s_mov_b32 s6, 0
	s_mov_b32 s25, s21
	.p2align	6
.LBB15_112:                             ; =>This Inner Loop Header: Depth=1
	v_mov_b32_e32 v42, s25
	v_add_nc_u32_e32 v39, -1, v39
	s_add_i32 s25, s25, 16
	s_clause 0x3
	buffer_load_dword v40, v42, s[0:3], 0 offen offset:8
	buffer_load_dword v41, v42, s[0:3], 0 offen offset:12
	buffer_load_dword v48, v42, s[0:3], 0 offen
	buffer_load_dword v49, v42, s[0:3], 0 offen offset:4
	v_mov_b32_e32 v42, s24
	v_cmp_eq_u32_e32 vcc_lo, 0, v39
	s_add_i32 s24, s24, 16
	ds_read_b128 v[44:47], v42
	s_or_b32 s6, vcc_lo, s6
	s_waitcnt vmcnt(2) lgkmcnt(0)
	v_mul_f64 v[50:51], v[46:47], v[40:41]
	v_mul_f64 v[40:41], v[44:45], v[40:41]
	s_waitcnt vmcnt(0)
	v_fma_f64 v[44:45], v[44:45], v[48:49], -v[50:51]
	v_fma_f64 v[40:41], v[46:47], v[48:49], v[40:41]
	v_add_f64 v[1:2], v[1:2], v[44:45]
	v_add_f64 v[3:4], v[3:4], v[40:41]
	s_andn2_b32 exec_lo, exec_lo, s6
	s_cbranch_execnz .LBB15_112
; %bb.113:
	s_or_b32 exec_lo, exec_lo, s6
.LBB15_114:
	s_or_b32 exec_lo, exec_lo, s8
	v_mov_b32_e32 v39, 0
	ds_read_b128 v[39:42], v39 offset:16
	s_waitcnt lgkmcnt(0)
	v_mul_f64 v[44:45], v[3:4], v[41:42]
	v_mul_f64 v[41:42], v[1:2], v[41:42]
	v_fma_f64 v[1:2], v[1:2], v[39:40], -v[44:45]
	v_fma_f64 v[3:4], v[3:4], v[39:40], v[41:42]
	buffer_store_dword v2, off, s[0:3], 0 offset:20
	buffer_store_dword v1, off, s[0:3], 0 offset:16
	;; [unrolled: 1-line block ×4, first 2 shown]
.LBB15_115:
	s_or_b32 exec_lo, exec_lo, s5
	s_clause 0x3
	buffer_load_dword v1, off, s[0:3], 0
	buffer_load_dword v2, off, s[0:3], 0 offset:4
	buffer_load_dword v3, off, s[0:3], 0 offset:8
	;; [unrolled: 1-line block ×3, first 2 shown]
	s_mov_b32 s6, 0
	s_mov_b32 s5, 0
	s_mov_b32 s8, exec_lo
                                        ; implicit-def: $sgpr24
	s_waitcnt vmcnt(0)
	ds_write_b128 v38, v[1:4]
	s_waitcnt lgkmcnt(0)
	s_waitcnt_vscnt null, 0x0
	s_barrier
	buffer_gl0_inv
                                        ; implicit-def: $vgpr1_vgpr2
	v_cmpx_ne_u32_e32 0, v0
	s_cbranch_execz .LBB15_123
; %bb.116:
	ds_read_b128 v[1:4], v38
	s_andn2_b32 vcc_lo, exec_lo, s23
	s_cbranch_vccnz .LBB15_118
; %bb.117:
	s_clause 0x3
	buffer_load_dword v39, v37, s[0:3], 0 offen offset:8
	buffer_load_dword v40, v37, s[0:3], 0 offen offset:12
	buffer_load_dword v41, v37, s[0:3], 0 offen
	buffer_load_dword v42, v37, s[0:3], 0 offen offset:4
	s_waitcnt vmcnt(2) lgkmcnt(0)
	v_mul_f64 v[44:45], v[3:4], v[39:40]
	v_mul_f64 v[39:40], v[1:2], v[39:40]
	s_waitcnt vmcnt(0)
	v_fma_f64 v[1:2], v[1:2], v[41:42], -v[44:45]
	v_fma_f64 v[3:4], v[3:4], v[41:42], v[39:40]
.LBB15_118:
	s_and_saveexec_b32 s5, s4
	s_cbranch_execz .LBB15_122
; %bb.119:
	v_add_nc_u32_e32 v39, -1, v0
	s_movk_i32 s24, 0x110
	s_mov_b32 s4, 0
	s_mov_b32 s25, s22
	.p2align	6
.LBB15_120:                             ; =>This Inner Loop Header: Depth=1
	v_mov_b32_e32 v42, s25
	v_add_nc_u32_e32 v39, -1, v39
	s_add_i32 s25, s25, 16
	s_clause 0x3
	buffer_load_dword v40, v42, s[0:3], 0 offen offset:8
	buffer_load_dword v41, v42, s[0:3], 0 offen offset:12
	buffer_load_dword v48, v42, s[0:3], 0 offen
	buffer_load_dword v49, v42, s[0:3], 0 offen offset:4
	v_mov_b32_e32 v42, s24
	v_cmp_eq_u32_e32 vcc_lo, 0, v39
	s_add_i32 s24, s24, 16
	ds_read_b128 v[44:47], v42
	s_or_b32 s4, vcc_lo, s4
	s_waitcnt vmcnt(2) lgkmcnt(0)
	v_mul_f64 v[50:51], v[46:47], v[40:41]
	v_mul_f64 v[40:41], v[44:45], v[40:41]
	s_waitcnt vmcnt(0)
	v_fma_f64 v[44:45], v[44:45], v[48:49], -v[50:51]
	v_fma_f64 v[40:41], v[46:47], v[48:49], v[40:41]
	v_add_f64 v[1:2], v[1:2], v[44:45]
	v_add_f64 v[3:4], v[3:4], v[40:41]
	s_andn2_b32 exec_lo, exec_lo, s4
	s_cbranch_execnz .LBB15_120
; %bb.121:
	s_or_b32 exec_lo, exec_lo, s4
.LBB15_122:
	s_or_b32 exec_lo, exec_lo, s5
	v_mov_b32_e32 v39, 0
	s_mov_b32 s5, exec_lo
	s_or_b32 s24, 0, 8
	ds_read_b128 v[39:42], v39
	s_waitcnt lgkmcnt(0)
	v_mul_f64 v[44:45], v[3:4], v[41:42]
	v_mul_f64 v[41:42], v[1:2], v[41:42]
	v_fma_f64 v[44:45], v[1:2], v[39:40], -v[44:45]
	v_fma_f64 v[1:2], v[3:4], v[39:40], v[41:42]
	buffer_store_dword v45, off, s[0:3], 0 offset:4
	buffer_store_dword v44, off, s[0:3], 0
.LBB15_123:
	s_or_b32 exec_lo, exec_lo, s8
	s_and_b32 vcc_lo, exec_lo, s6
	s_cbranch_vccnz .LBB15_125
	s_branch .LBB15_240
.LBB15_124:
	s_mov_b32 s5, 0
                                        ; implicit-def: $vgpr1_vgpr2
                                        ; implicit-def: $sgpr24
	s_cbranch_execz .LBB15_240
.LBB15_125:
	v_mov_b32_e32 v4, s22
	v_cmp_eq_u32_e64 s4, 0, v0
	v_cndmask_b32_e64 v39, 0, 1, s23
	s_clause 0x3
	buffer_load_dword v1, v4, s[0:3], 0 offen
	buffer_load_dword v2, v4, s[0:3], 0 offen offset:4
	buffer_load_dword v3, v4, s[0:3], 0 offen offset:8
	buffer_load_dword v4, v4, s[0:3], 0 offen offset:12
	s_waitcnt vmcnt(0)
	ds_write_b128 v38, v[1:4]
	s_waitcnt lgkmcnt(0)
	s_waitcnt_vscnt null, 0x0
	s_barrier
	buffer_gl0_inv
	s_and_saveexec_b32 s6, s4
	s_cbranch_execz .LBB15_129
; %bb.126:
	ds_read_b128 v[1:4], v38
	s_andn2_b32 vcc_lo, exec_lo, s23
	s_cbranch_vccnz .LBB15_128
; %bb.127:
	s_clause 0x3
	buffer_load_dword v40, v37, s[0:3], 0 offen offset:8
	buffer_load_dword v41, v37, s[0:3], 0 offen offset:12
	buffer_load_dword v44, v37, s[0:3], 0 offen
	buffer_load_dword v45, v37, s[0:3], 0 offen offset:4
	s_waitcnt vmcnt(2) lgkmcnt(0)
	v_mul_f64 v[46:47], v[3:4], v[40:41]
	v_mul_f64 v[40:41], v[1:2], v[40:41]
	s_waitcnt vmcnt(0)
	v_fma_f64 v[1:2], v[1:2], v[44:45], -v[46:47]
	v_fma_f64 v[3:4], v[3:4], v[44:45], v[40:41]
.LBB15_128:
	v_mov_b32_e32 v40, 0
	ds_read_b128 v[44:47], v40 offset:16
	s_waitcnt lgkmcnt(0)
	v_mul_f64 v[40:41], v[3:4], v[46:47]
	v_mul_f64 v[46:47], v[1:2], v[46:47]
	v_fma_f64 v[1:2], v[1:2], v[44:45], -v[40:41]
	v_fma_f64 v[3:4], v[3:4], v[44:45], v[46:47]
	buffer_store_dword v2, off, s[0:3], 0 offset:20
	buffer_store_dword v1, off, s[0:3], 0 offset:16
	;; [unrolled: 1-line block ×4, first 2 shown]
.LBB15_129:
	s_or_b32 exec_lo, exec_lo, s6
	v_mov_b32_e32 v4, s21
	s_mov_b32 s6, exec_lo
	s_clause 0x3
	buffer_load_dword v1, v4, s[0:3], 0 offen
	buffer_load_dword v2, v4, s[0:3], 0 offen offset:4
	buffer_load_dword v3, v4, s[0:3], 0 offen offset:8
	;; [unrolled: 1-line block ×3, first 2 shown]
	s_waitcnt vmcnt(0)
	ds_write_b128 v38, v[1:4]
	s_waitcnt lgkmcnt(0)
	s_waitcnt_vscnt null, 0x0
	s_barrier
	buffer_gl0_inv
	v_cmpx_gt_u32_e32 2, v0
	s_cbranch_execz .LBB15_135
; %bb.130:
	ds_read_b128 v[1:4], v38
	v_cmp_ne_u32_e32 vcc_lo, 1, v39
	s_cbranch_vccnz .LBB15_132
; %bb.131:
	s_clause 0x3
	buffer_load_dword v40, v37, s[0:3], 0 offen offset:8
	buffer_load_dword v41, v37, s[0:3], 0 offen offset:12
	buffer_load_dword v44, v37, s[0:3], 0 offen
	buffer_load_dword v45, v37, s[0:3], 0 offen offset:4
	s_waitcnt vmcnt(2) lgkmcnt(0)
	v_mul_f64 v[46:47], v[3:4], v[40:41]
	v_mul_f64 v[40:41], v[1:2], v[40:41]
	s_waitcnt vmcnt(0)
	v_fma_f64 v[1:2], v[1:2], v[44:45], -v[46:47]
	v_fma_f64 v[3:4], v[3:4], v[44:45], v[40:41]
.LBB15_132:
	s_and_saveexec_b32 s8, s4
	s_cbranch_execz .LBB15_134
; %bb.133:
	s_clause 0x3
	buffer_load_dword v40, off, s[0:3], 0 offset:24
	buffer_load_dword v41, off, s[0:3], 0 offset:28
	;; [unrolled: 1-line block ×4, first 2 shown]
	v_mov_b32_e32 v42, 0
	ds_read_b128 v[44:47], v42 offset:272
	s_waitcnt vmcnt(2) lgkmcnt(0)
	v_mul_f64 v[50:51], v[46:47], v[40:41]
	v_mul_f64 v[40:41], v[44:45], v[40:41]
	s_waitcnt vmcnt(0)
	v_fma_f64 v[44:45], v[44:45], v[48:49], -v[50:51]
	v_fma_f64 v[40:41], v[46:47], v[48:49], v[40:41]
	v_add_f64 v[1:2], v[1:2], v[44:45]
	v_add_f64 v[3:4], v[3:4], v[40:41]
.LBB15_134:
	s_or_b32 exec_lo, exec_lo, s8
	v_mov_b32_e32 v40, 0
	ds_read_b128 v[44:47], v40 offset:32
	s_waitcnt lgkmcnt(0)
	v_mul_f64 v[40:41], v[3:4], v[46:47]
	v_mul_f64 v[46:47], v[1:2], v[46:47]
	v_fma_f64 v[1:2], v[1:2], v[44:45], -v[40:41]
	v_fma_f64 v[3:4], v[3:4], v[44:45], v[46:47]
	buffer_store_dword v2, off, s[0:3], 0 offset:36
	buffer_store_dword v1, off, s[0:3], 0 offset:32
	;; [unrolled: 1-line block ×4, first 2 shown]
.LBB15_135:
	s_or_b32 exec_lo, exec_lo, s6
	v_mov_b32_e32 v4, s20
	s_mov_b32 s6, exec_lo
	s_clause 0x3
	buffer_load_dword v1, v4, s[0:3], 0 offen
	buffer_load_dword v2, v4, s[0:3], 0 offen offset:4
	buffer_load_dword v3, v4, s[0:3], 0 offen offset:8
	buffer_load_dword v4, v4, s[0:3], 0 offen offset:12
	s_waitcnt vmcnt(0)
	ds_write_b128 v38, v[1:4]
	s_waitcnt lgkmcnt(0)
	s_waitcnt_vscnt null, 0x0
	s_barrier
	buffer_gl0_inv
	v_cmpx_gt_u32_e32 3, v0
	s_cbranch_execz .LBB15_143
; %bb.136:
	ds_read_b128 v[1:4], v38
	v_cmp_ne_u32_e32 vcc_lo, 1, v39
	s_cbranch_vccnz .LBB15_138
; %bb.137:
	s_clause 0x3
	buffer_load_dword v40, v37, s[0:3], 0 offen offset:8
	buffer_load_dword v41, v37, s[0:3], 0 offen offset:12
	buffer_load_dword v44, v37, s[0:3], 0 offen
	buffer_load_dword v45, v37, s[0:3], 0 offen offset:4
	s_waitcnt vmcnt(2) lgkmcnt(0)
	v_mul_f64 v[46:47], v[3:4], v[40:41]
	v_mul_f64 v[40:41], v[1:2], v[40:41]
	s_waitcnt vmcnt(0)
	v_fma_f64 v[1:2], v[1:2], v[44:45], -v[46:47]
	v_fma_f64 v[3:4], v[3:4], v[44:45], v[40:41]
.LBB15_138:
	s_mov_b32 s8, exec_lo
	v_cmpx_ne_u32_e32 2, v0
	s_cbranch_execz .LBB15_142
; %bb.139:
	s_clause 0x3
	buffer_load_dword v40, v37, s[0:3], 0 offen offset:24
	buffer_load_dword v41, v37, s[0:3], 0 offen offset:28
	;; [unrolled: 1-line block ×4, first 2 shown]
	ds_read_b128 v[44:47], v38 offset:16
	s_waitcnt vmcnt(2) lgkmcnt(0)
	v_mul_f64 v[50:51], v[46:47], v[40:41]
	v_mul_f64 v[40:41], v[44:45], v[40:41]
	s_waitcnt vmcnt(0)
	v_fma_f64 v[44:45], v[44:45], v[48:49], -v[50:51]
	v_fma_f64 v[40:41], v[46:47], v[48:49], v[40:41]
	v_add_f64 v[1:2], v[1:2], v[44:45]
	v_add_f64 v[3:4], v[3:4], v[40:41]
	s_and_saveexec_b32 s23, s4
	s_cbranch_execz .LBB15_141
; %bb.140:
	s_clause 0x3
	buffer_load_dword v40, off, s[0:3], 0 offset:40
	buffer_load_dword v41, off, s[0:3], 0 offset:44
	;; [unrolled: 1-line block ×4, first 2 shown]
	v_mov_b32_e32 v42, 0
	ds_read_b128 v[44:47], v42 offset:288
	s_waitcnt vmcnt(2) lgkmcnt(0)
	v_mul_f64 v[50:51], v[44:45], v[40:41]
	v_mul_f64 v[40:41], v[46:47], v[40:41]
	s_waitcnt vmcnt(0)
	v_fma_f64 v[46:47], v[46:47], v[48:49], v[50:51]
	v_fma_f64 v[40:41], v[44:45], v[48:49], -v[40:41]
	v_add_f64 v[3:4], v[3:4], v[46:47]
	v_add_f64 v[1:2], v[1:2], v[40:41]
.LBB15_141:
	s_or_b32 exec_lo, exec_lo, s23
.LBB15_142:
	s_or_b32 exec_lo, exec_lo, s8
	v_mov_b32_e32 v40, 0
	ds_read_b128 v[44:47], v40 offset:48
	s_waitcnt lgkmcnt(0)
	v_mul_f64 v[40:41], v[3:4], v[46:47]
	v_mul_f64 v[46:47], v[1:2], v[46:47]
	v_fma_f64 v[1:2], v[1:2], v[44:45], -v[40:41]
	v_fma_f64 v[3:4], v[3:4], v[44:45], v[46:47]
	buffer_store_dword v2, off, s[0:3], 0 offset:52
	buffer_store_dword v1, off, s[0:3], 0 offset:48
	;; [unrolled: 1-line block ×4, first 2 shown]
.LBB15_143:
	s_or_b32 exec_lo, exec_lo, s6
	v_mov_b32_e32 v4, s19
	s_mov_b32 s4, exec_lo
	s_clause 0x3
	buffer_load_dword v1, v4, s[0:3], 0 offen
	buffer_load_dword v2, v4, s[0:3], 0 offen offset:4
	buffer_load_dword v3, v4, s[0:3], 0 offen offset:8
	;; [unrolled: 1-line block ×3, first 2 shown]
	s_waitcnt vmcnt(0)
	ds_write_b128 v38, v[1:4]
	s_waitcnt lgkmcnt(0)
	s_waitcnt_vscnt null, 0x0
	s_barrier
	buffer_gl0_inv
	v_cmpx_gt_u32_e32 4, v0
	s_cbranch_execz .LBB15_151
; %bb.144:
	ds_read_b128 v[1:4], v38
	v_cmp_ne_u32_e32 vcc_lo, 1, v39
	s_cbranch_vccnz .LBB15_146
; %bb.145:
	s_clause 0x3
	buffer_load_dword v40, v37, s[0:3], 0 offen offset:8
	buffer_load_dword v41, v37, s[0:3], 0 offen offset:12
	buffer_load_dword v44, v37, s[0:3], 0 offen
	buffer_load_dword v45, v37, s[0:3], 0 offen offset:4
	s_waitcnt vmcnt(2) lgkmcnt(0)
	v_mul_f64 v[46:47], v[3:4], v[40:41]
	v_mul_f64 v[40:41], v[1:2], v[40:41]
	s_waitcnt vmcnt(0)
	v_fma_f64 v[1:2], v[1:2], v[44:45], -v[46:47]
	v_fma_f64 v[3:4], v[3:4], v[44:45], v[40:41]
.LBB15_146:
	s_mov_b32 s6, exec_lo
	v_cmpx_ne_u32_e32 3, v0
	s_cbranch_execz .LBB15_150
; %bb.147:
	v_add_nc_u32_e32 v40, 0x110, v43
	v_add3_u32 v41, 0, v43, 16
	v_mov_b32_e32 v42, v0
	s_mov_b32 s8, 0
	.p2align	6
.LBB15_148:                             ; =>This Inner Loop Header: Depth=1
	s_clause 0x3
	buffer_load_dword v48, v41, s[0:3], 0 offen offset:8
	buffer_load_dword v49, v41, s[0:3], 0 offen offset:12
	buffer_load_dword v50, v41, s[0:3], 0 offen
	buffer_load_dword v51, v41, s[0:3], 0 offen offset:4
	ds_read_b128 v[44:47], v40
	v_add_nc_u32_e32 v42, 1, v42
	v_add_nc_u32_e32 v40, 16, v40
	;; [unrolled: 1-line block ×3, first 2 shown]
	v_cmp_lt_u32_e32 vcc_lo, 2, v42
	s_or_b32 s8, vcc_lo, s8
	s_waitcnt vmcnt(2) lgkmcnt(0)
	v_mul_f64 v[52:53], v[46:47], v[48:49]
	v_mul_f64 v[48:49], v[44:45], v[48:49]
	s_waitcnt vmcnt(0)
	v_fma_f64 v[44:45], v[44:45], v[50:51], -v[52:53]
	v_fma_f64 v[46:47], v[46:47], v[50:51], v[48:49]
	v_add_f64 v[1:2], v[1:2], v[44:45]
	v_add_f64 v[3:4], v[3:4], v[46:47]
	s_andn2_b32 exec_lo, exec_lo, s8
	s_cbranch_execnz .LBB15_148
; %bb.149:
	s_or_b32 exec_lo, exec_lo, s8
.LBB15_150:
	s_or_b32 exec_lo, exec_lo, s6
	v_mov_b32_e32 v40, 0
	ds_read_b128 v[44:47], v40 offset:64
	s_waitcnt lgkmcnt(0)
	v_mul_f64 v[40:41], v[3:4], v[46:47]
	v_mul_f64 v[46:47], v[1:2], v[46:47]
	v_fma_f64 v[1:2], v[1:2], v[44:45], -v[40:41]
	v_fma_f64 v[3:4], v[3:4], v[44:45], v[46:47]
	buffer_store_dword v2, off, s[0:3], 0 offset:68
	buffer_store_dword v1, off, s[0:3], 0 offset:64
	;; [unrolled: 1-line block ×4, first 2 shown]
.LBB15_151:
	s_or_b32 exec_lo, exec_lo, s4
	v_mov_b32_e32 v4, s18
	s_mov_b32 s4, exec_lo
	s_clause 0x3
	buffer_load_dword v1, v4, s[0:3], 0 offen
	buffer_load_dword v2, v4, s[0:3], 0 offen offset:4
	buffer_load_dword v3, v4, s[0:3], 0 offen offset:8
	;; [unrolled: 1-line block ×3, first 2 shown]
	s_waitcnt vmcnt(0)
	ds_write_b128 v38, v[1:4]
	s_waitcnt lgkmcnt(0)
	s_waitcnt_vscnt null, 0x0
	s_barrier
	buffer_gl0_inv
	v_cmpx_gt_u32_e32 5, v0
	s_cbranch_execz .LBB15_159
; %bb.152:
	ds_read_b128 v[1:4], v38
	v_cmp_ne_u32_e32 vcc_lo, 1, v39
	s_cbranch_vccnz .LBB15_154
; %bb.153:
	s_clause 0x3
	buffer_load_dword v40, v37, s[0:3], 0 offen offset:8
	buffer_load_dword v41, v37, s[0:3], 0 offen offset:12
	buffer_load_dword v44, v37, s[0:3], 0 offen
	buffer_load_dword v45, v37, s[0:3], 0 offen offset:4
	s_waitcnt vmcnt(2) lgkmcnt(0)
	v_mul_f64 v[46:47], v[3:4], v[40:41]
	v_mul_f64 v[40:41], v[1:2], v[40:41]
	s_waitcnt vmcnt(0)
	v_fma_f64 v[1:2], v[1:2], v[44:45], -v[46:47]
	v_fma_f64 v[3:4], v[3:4], v[44:45], v[40:41]
.LBB15_154:
	s_mov_b32 s6, exec_lo
	v_cmpx_ne_u32_e32 4, v0
	s_cbranch_execz .LBB15_158
; %bb.155:
	v_add_nc_u32_e32 v40, 0x110, v43
	v_add3_u32 v41, 0, v43, 16
	v_mov_b32_e32 v42, v0
	s_mov_b32 s8, 0
	.p2align	6
.LBB15_156:                             ; =>This Inner Loop Header: Depth=1
	s_clause 0x3
	buffer_load_dword v48, v41, s[0:3], 0 offen offset:8
	buffer_load_dword v49, v41, s[0:3], 0 offen offset:12
	buffer_load_dword v50, v41, s[0:3], 0 offen
	buffer_load_dword v51, v41, s[0:3], 0 offen offset:4
	ds_read_b128 v[44:47], v40
	v_add_nc_u32_e32 v42, 1, v42
	v_add_nc_u32_e32 v40, 16, v40
	;; [unrolled: 1-line block ×3, first 2 shown]
	v_cmp_lt_u32_e32 vcc_lo, 3, v42
	s_or_b32 s8, vcc_lo, s8
	s_waitcnt vmcnt(2) lgkmcnt(0)
	v_mul_f64 v[52:53], v[46:47], v[48:49]
	v_mul_f64 v[48:49], v[44:45], v[48:49]
	s_waitcnt vmcnt(0)
	v_fma_f64 v[44:45], v[44:45], v[50:51], -v[52:53]
	v_fma_f64 v[46:47], v[46:47], v[50:51], v[48:49]
	v_add_f64 v[1:2], v[1:2], v[44:45]
	v_add_f64 v[3:4], v[3:4], v[46:47]
	s_andn2_b32 exec_lo, exec_lo, s8
	s_cbranch_execnz .LBB15_156
; %bb.157:
	s_or_b32 exec_lo, exec_lo, s8
.LBB15_158:
	s_or_b32 exec_lo, exec_lo, s6
	v_mov_b32_e32 v40, 0
	ds_read_b128 v[44:47], v40 offset:80
	s_waitcnt lgkmcnt(0)
	v_mul_f64 v[40:41], v[3:4], v[46:47]
	v_mul_f64 v[46:47], v[1:2], v[46:47]
	v_fma_f64 v[1:2], v[1:2], v[44:45], -v[40:41]
	v_fma_f64 v[3:4], v[3:4], v[44:45], v[46:47]
	buffer_store_dword v2, off, s[0:3], 0 offset:84
	buffer_store_dword v1, off, s[0:3], 0 offset:80
	;; [unrolled: 1-line block ×4, first 2 shown]
.LBB15_159:
	s_or_b32 exec_lo, exec_lo, s4
	v_mov_b32_e32 v4, s17
	s_mov_b32 s4, exec_lo
	s_clause 0x3
	buffer_load_dword v1, v4, s[0:3], 0 offen
	buffer_load_dword v2, v4, s[0:3], 0 offen offset:4
	buffer_load_dword v3, v4, s[0:3], 0 offen offset:8
	;; [unrolled: 1-line block ×3, first 2 shown]
	s_waitcnt vmcnt(0)
	ds_write_b128 v38, v[1:4]
	s_waitcnt lgkmcnt(0)
	s_waitcnt_vscnt null, 0x0
	s_barrier
	buffer_gl0_inv
	v_cmpx_gt_u32_e32 6, v0
	s_cbranch_execz .LBB15_167
; %bb.160:
	ds_read_b128 v[1:4], v38
	v_cmp_ne_u32_e32 vcc_lo, 1, v39
	s_cbranch_vccnz .LBB15_162
; %bb.161:
	s_clause 0x3
	buffer_load_dword v40, v37, s[0:3], 0 offen offset:8
	buffer_load_dword v41, v37, s[0:3], 0 offen offset:12
	buffer_load_dword v44, v37, s[0:3], 0 offen
	buffer_load_dword v45, v37, s[0:3], 0 offen offset:4
	s_waitcnt vmcnt(2) lgkmcnt(0)
	v_mul_f64 v[46:47], v[3:4], v[40:41]
	v_mul_f64 v[40:41], v[1:2], v[40:41]
	s_waitcnt vmcnt(0)
	v_fma_f64 v[1:2], v[1:2], v[44:45], -v[46:47]
	v_fma_f64 v[3:4], v[3:4], v[44:45], v[40:41]
.LBB15_162:
	s_mov_b32 s6, exec_lo
	v_cmpx_ne_u32_e32 5, v0
	s_cbranch_execz .LBB15_166
; %bb.163:
	v_add_nc_u32_e32 v40, 0x110, v43
	v_add3_u32 v41, 0, v43, 16
	v_mov_b32_e32 v42, v0
	s_mov_b32 s8, 0
	.p2align	6
.LBB15_164:                             ; =>This Inner Loop Header: Depth=1
	s_clause 0x3
	buffer_load_dword v48, v41, s[0:3], 0 offen offset:8
	buffer_load_dword v49, v41, s[0:3], 0 offen offset:12
	buffer_load_dword v50, v41, s[0:3], 0 offen
	buffer_load_dword v51, v41, s[0:3], 0 offen offset:4
	ds_read_b128 v[44:47], v40
	v_add_nc_u32_e32 v42, 1, v42
	v_add_nc_u32_e32 v40, 16, v40
	;; [unrolled: 1-line block ×3, first 2 shown]
	v_cmp_lt_u32_e32 vcc_lo, 4, v42
	s_or_b32 s8, vcc_lo, s8
	s_waitcnt vmcnt(2) lgkmcnt(0)
	v_mul_f64 v[52:53], v[46:47], v[48:49]
	v_mul_f64 v[48:49], v[44:45], v[48:49]
	s_waitcnt vmcnt(0)
	v_fma_f64 v[44:45], v[44:45], v[50:51], -v[52:53]
	v_fma_f64 v[46:47], v[46:47], v[50:51], v[48:49]
	v_add_f64 v[1:2], v[1:2], v[44:45]
	v_add_f64 v[3:4], v[3:4], v[46:47]
	s_andn2_b32 exec_lo, exec_lo, s8
	s_cbranch_execnz .LBB15_164
; %bb.165:
	s_or_b32 exec_lo, exec_lo, s8
.LBB15_166:
	s_or_b32 exec_lo, exec_lo, s6
	v_mov_b32_e32 v40, 0
	ds_read_b128 v[44:47], v40 offset:96
	s_waitcnt lgkmcnt(0)
	v_mul_f64 v[40:41], v[3:4], v[46:47]
	v_mul_f64 v[46:47], v[1:2], v[46:47]
	v_fma_f64 v[1:2], v[1:2], v[44:45], -v[40:41]
	v_fma_f64 v[3:4], v[3:4], v[44:45], v[46:47]
	buffer_store_dword v2, off, s[0:3], 0 offset:100
	buffer_store_dword v1, off, s[0:3], 0 offset:96
	buffer_store_dword v4, off, s[0:3], 0 offset:108
	buffer_store_dword v3, off, s[0:3], 0 offset:104
.LBB15_167:
	s_or_b32 exec_lo, exec_lo, s4
	v_mov_b32_e32 v4, s16
	s_mov_b32 s4, exec_lo
	s_clause 0x3
	buffer_load_dword v1, v4, s[0:3], 0 offen
	buffer_load_dword v2, v4, s[0:3], 0 offen offset:4
	buffer_load_dword v3, v4, s[0:3], 0 offen offset:8
	;; [unrolled: 1-line block ×3, first 2 shown]
	s_waitcnt vmcnt(0)
	ds_write_b128 v38, v[1:4]
	s_waitcnt lgkmcnt(0)
	s_waitcnt_vscnt null, 0x0
	s_barrier
	buffer_gl0_inv
	v_cmpx_gt_u32_e32 7, v0
	s_cbranch_execz .LBB15_175
; %bb.168:
	ds_read_b128 v[1:4], v38
	v_cmp_ne_u32_e32 vcc_lo, 1, v39
	s_cbranch_vccnz .LBB15_170
; %bb.169:
	s_clause 0x3
	buffer_load_dword v40, v37, s[0:3], 0 offen offset:8
	buffer_load_dword v41, v37, s[0:3], 0 offen offset:12
	buffer_load_dword v44, v37, s[0:3], 0 offen
	buffer_load_dword v45, v37, s[0:3], 0 offen offset:4
	s_waitcnt vmcnt(2) lgkmcnt(0)
	v_mul_f64 v[46:47], v[3:4], v[40:41]
	v_mul_f64 v[40:41], v[1:2], v[40:41]
	s_waitcnt vmcnt(0)
	v_fma_f64 v[1:2], v[1:2], v[44:45], -v[46:47]
	v_fma_f64 v[3:4], v[3:4], v[44:45], v[40:41]
.LBB15_170:
	s_mov_b32 s6, exec_lo
	v_cmpx_ne_u32_e32 6, v0
	s_cbranch_execz .LBB15_174
; %bb.171:
	v_add_nc_u32_e32 v40, 0x110, v43
	v_add3_u32 v41, 0, v43, 16
	v_mov_b32_e32 v42, v0
	s_mov_b32 s8, 0
	.p2align	6
.LBB15_172:                             ; =>This Inner Loop Header: Depth=1
	s_clause 0x3
	buffer_load_dword v48, v41, s[0:3], 0 offen offset:8
	buffer_load_dword v49, v41, s[0:3], 0 offen offset:12
	buffer_load_dword v50, v41, s[0:3], 0 offen
	buffer_load_dword v51, v41, s[0:3], 0 offen offset:4
	ds_read_b128 v[44:47], v40
	v_add_nc_u32_e32 v42, 1, v42
	v_add_nc_u32_e32 v40, 16, v40
	;; [unrolled: 1-line block ×3, first 2 shown]
	v_cmp_lt_u32_e32 vcc_lo, 5, v42
	s_or_b32 s8, vcc_lo, s8
	s_waitcnt vmcnt(2) lgkmcnt(0)
	v_mul_f64 v[52:53], v[46:47], v[48:49]
	v_mul_f64 v[48:49], v[44:45], v[48:49]
	s_waitcnt vmcnt(0)
	v_fma_f64 v[44:45], v[44:45], v[50:51], -v[52:53]
	v_fma_f64 v[46:47], v[46:47], v[50:51], v[48:49]
	v_add_f64 v[1:2], v[1:2], v[44:45]
	v_add_f64 v[3:4], v[3:4], v[46:47]
	s_andn2_b32 exec_lo, exec_lo, s8
	s_cbranch_execnz .LBB15_172
; %bb.173:
	s_or_b32 exec_lo, exec_lo, s8
.LBB15_174:
	s_or_b32 exec_lo, exec_lo, s6
	v_mov_b32_e32 v40, 0
	ds_read_b128 v[44:47], v40 offset:112
	s_waitcnt lgkmcnt(0)
	v_mul_f64 v[40:41], v[3:4], v[46:47]
	v_mul_f64 v[46:47], v[1:2], v[46:47]
	v_fma_f64 v[1:2], v[1:2], v[44:45], -v[40:41]
	v_fma_f64 v[3:4], v[3:4], v[44:45], v[46:47]
	buffer_store_dword v2, off, s[0:3], 0 offset:116
	buffer_store_dword v1, off, s[0:3], 0 offset:112
	;; [unrolled: 1-line block ×4, first 2 shown]
.LBB15_175:
	s_or_b32 exec_lo, exec_lo, s4
	v_mov_b32_e32 v4, s15
	s_mov_b32 s4, exec_lo
	s_clause 0x3
	buffer_load_dword v1, v4, s[0:3], 0 offen
	buffer_load_dword v2, v4, s[0:3], 0 offen offset:4
	buffer_load_dword v3, v4, s[0:3], 0 offen offset:8
	buffer_load_dword v4, v4, s[0:3], 0 offen offset:12
	s_waitcnt vmcnt(0)
	ds_write_b128 v38, v[1:4]
	s_waitcnt lgkmcnt(0)
	s_waitcnt_vscnt null, 0x0
	s_barrier
	buffer_gl0_inv
	v_cmpx_gt_u32_e32 8, v0
	s_cbranch_execz .LBB15_183
; %bb.176:
	ds_read_b128 v[1:4], v38
	v_cmp_ne_u32_e32 vcc_lo, 1, v39
	s_cbranch_vccnz .LBB15_178
; %bb.177:
	s_clause 0x3
	buffer_load_dword v40, v37, s[0:3], 0 offen offset:8
	buffer_load_dword v41, v37, s[0:3], 0 offen offset:12
	buffer_load_dword v44, v37, s[0:3], 0 offen
	buffer_load_dword v45, v37, s[0:3], 0 offen offset:4
	s_waitcnt vmcnt(2) lgkmcnt(0)
	v_mul_f64 v[46:47], v[3:4], v[40:41]
	v_mul_f64 v[40:41], v[1:2], v[40:41]
	s_waitcnt vmcnt(0)
	v_fma_f64 v[1:2], v[1:2], v[44:45], -v[46:47]
	v_fma_f64 v[3:4], v[3:4], v[44:45], v[40:41]
.LBB15_178:
	s_mov_b32 s6, exec_lo
	v_cmpx_ne_u32_e32 7, v0
	s_cbranch_execz .LBB15_182
; %bb.179:
	v_add_nc_u32_e32 v40, 0x110, v43
	v_add3_u32 v41, 0, v43, 16
	v_mov_b32_e32 v42, v0
	s_mov_b32 s8, 0
	.p2align	6
.LBB15_180:                             ; =>This Inner Loop Header: Depth=1
	s_clause 0x3
	buffer_load_dword v48, v41, s[0:3], 0 offen offset:8
	buffer_load_dword v49, v41, s[0:3], 0 offen offset:12
	buffer_load_dword v50, v41, s[0:3], 0 offen
	buffer_load_dword v51, v41, s[0:3], 0 offen offset:4
	ds_read_b128 v[44:47], v40
	v_add_nc_u32_e32 v42, 1, v42
	v_add_nc_u32_e32 v40, 16, v40
	v_add_nc_u32_e32 v41, 16, v41
	v_cmp_lt_u32_e32 vcc_lo, 6, v42
	s_or_b32 s8, vcc_lo, s8
	s_waitcnt vmcnt(2) lgkmcnt(0)
	v_mul_f64 v[52:53], v[46:47], v[48:49]
	v_mul_f64 v[48:49], v[44:45], v[48:49]
	s_waitcnt vmcnt(0)
	v_fma_f64 v[44:45], v[44:45], v[50:51], -v[52:53]
	v_fma_f64 v[46:47], v[46:47], v[50:51], v[48:49]
	v_add_f64 v[1:2], v[1:2], v[44:45]
	v_add_f64 v[3:4], v[3:4], v[46:47]
	s_andn2_b32 exec_lo, exec_lo, s8
	s_cbranch_execnz .LBB15_180
; %bb.181:
	s_or_b32 exec_lo, exec_lo, s8
.LBB15_182:
	s_or_b32 exec_lo, exec_lo, s6
	v_mov_b32_e32 v40, 0
	ds_read_b128 v[44:47], v40 offset:128
	s_waitcnt lgkmcnt(0)
	v_mul_f64 v[40:41], v[3:4], v[46:47]
	v_mul_f64 v[46:47], v[1:2], v[46:47]
	v_fma_f64 v[1:2], v[1:2], v[44:45], -v[40:41]
	v_fma_f64 v[3:4], v[3:4], v[44:45], v[46:47]
	buffer_store_dword v2, off, s[0:3], 0 offset:132
	buffer_store_dword v1, off, s[0:3], 0 offset:128
	buffer_store_dword v4, off, s[0:3], 0 offset:140
	buffer_store_dword v3, off, s[0:3], 0 offset:136
.LBB15_183:
	s_or_b32 exec_lo, exec_lo, s4
	v_mov_b32_e32 v4, s14
	s_mov_b32 s4, exec_lo
	s_clause 0x3
	buffer_load_dword v1, v4, s[0:3], 0 offen
	buffer_load_dword v2, v4, s[0:3], 0 offen offset:4
	buffer_load_dword v3, v4, s[0:3], 0 offen offset:8
	;; [unrolled: 1-line block ×3, first 2 shown]
	s_waitcnt vmcnt(0)
	ds_write_b128 v38, v[1:4]
	s_waitcnt lgkmcnt(0)
	s_waitcnt_vscnt null, 0x0
	s_barrier
	buffer_gl0_inv
	v_cmpx_gt_u32_e32 9, v0
	s_cbranch_execz .LBB15_191
; %bb.184:
	ds_read_b128 v[1:4], v38
	v_cmp_ne_u32_e32 vcc_lo, 1, v39
	s_cbranch_vccnz .LBB15_186
; %bb.185:
	s_clause 0x3
	buffer_load_dword v40, v37, s[0:3], 0 offen offset:8
	buffer_load_dword v41, v37, s[0:3], 0 offen offset:12
	buffer_load_dword v44, v37, s[0:3], 0 offen
	buffer_load_dword v45, v37, s[0:3], 0 offen offset:4
	s_waitcnt vmcnt(2) lgkmcnt(0)
	v_mul_f64 v[46:47], v[3:4], v[40:41]
	v_mul_f64 v[40:41], v[1:2], v[40:41]
	s_waitcnt vmcnt(0)
	v_fma_f64 v[1:2], v[1:2], v[44:45], -v[46:47]
	v_fma_f64 v[3:4], v[3:4], v[44:45], v[40:41]
.LBB15_186:
	s_mov_b32 s6, exec_lo
	v_cmpx_ne_u32_e32 8, v0
	s_cbranch_execz .LBB15_190
; %bb.187:
	v_add_nc_u32_e32 v40, 0x110, v43
	v_add3_u32 v41, 0, v43, 16
	v_mov_b32_e32 v42, v0
	s_mov_b32 s8, 0
	.p2align	6
.LBB15_188:                             ; =>This Inner Loop Header: Depth=1
	s_clause 0x3
	buffer_load_dword v48, v41, s[0:3], 0 offen offset:8
	buffer_load_dword v49, v41, s[0:3], 0 offen offset:12
	buffer_load_dword v50, v41, s[0:3], 0 offen
	buffer_load_dword v51, v41, s[0:3], 0 offen offset:4
	ds_read_b128 v[44:47], v40
	v_add_nc_u32_e32 v42, 1, v42
	v_add_nc_u32_e32 v40, 16, v40
	;; [unrolled: 1-line block ×3, first 2 shown]
	v_cmp_lt_u32_e32 vcc_lo, 7, v42
	s_or_b32 s8, vcc_lo, s8
	s_waitcnt vmcnt(2) lgkmcnt(0)
	v_mul_f64 v[52:53], v[46:47], v[48:49]
	v_mul_f64 v[48:49], v[44:45], v[48:49]
	s_waitcnt vmcnt(0)
	v_fma_f64 v[44:45], v[44:45], v[50:51], -v[52:53]
	v_fma_f64 v[46:47], v[46:47], v[50:51], v[48:49]
	v_add_f64 v[1:2], v[1:2], v[44:45]
	v_add_f64 v[3:4], v[3:4], v[46:47]
	s_andn2_b32 exec_lo, exec_lo, s8
	s_cbranch_execnz .LBB15_188
; %bb.189:
	s_or_b32 exec_lo, exec_lo, s8
.LBB15_190:
	s_or_b32 exec_lo, exec_lo, s6
	v_mov_b32_e32 v40, 0
	ds_read_b128 v[44:47], v40 offset:144
	s_waitcnt lgkmcnt(0)
	v_mul_f64 v[40:41], v[3:4], v[46:47]
	v_mul_f64 v[46:47], v[1:2], v[46:47]
	v_fma_f64 v[1:2], v[1:2], v[44:45], -v[40:41]
	v_fma_f64 v[3:4], v[3:4], v[44:45], v[46:47]
	buffer_store_dword v2, off, s[0:3], 0 offset:148
	buffer_store_dword v1, off, s[0:3], 0 offset:144
	;; [unrolled: 1-line block ×4, first 2 shown]
.LBB15_191:
	s_or_b32 exec_lo, exec_lo, s4
	v_mov_b32_e32 v4, s13
	s_mov_b32 s4, exec_lo
	s_clause 0x3
	buffer_load_dword v1, v4, s[0:3], 0 offen
	buffer_load_dword v2, v4, s[0:3], 0 offen offset:4
	buffer_load_dword v3, v4, s[0:3], 0 offen offset:8
	;; [unrolled: 1-line block ×3, first 2 shown]
	s_waitcnt vmcnt(0)
	ds_write_b128 v38, v[1:4]
	s_waitcnt lgkmcnt(0)
	s_waitcnt_vscnt null, 0x0
	s_barrier
	buffer_gl0_inv
	v_cmpx_gt_u32_e32 10, v0
	s_cbranch_execz .LBB15_199
; %bb.192:
	ds_read_b128 v[1:4], v38
	v_cmp_ne_u32_e32 vcc_lo, 1, v39
	s_cbranch_vccnz .LBB15_194
; %bb.193:
	s_clause 0x3
	buffer_load_dword v40, v37, s[0:3], 0 offen offset:8
	buffer_load_dword v41, v37, s[0:3], 0 offen offset:12
	buffer_load_dword v44, v37, s[0:3], 0 offen
	buffer_load_dword v45, v37, s[0:3], 0 offen offset:4
	s_waitcnt vmcnt(2) lgkmcnt(0)
	v_mul_f64 v[46:47], v[3:4], v[40:41]
	v_mul_f64 v[40:41], v[1:2], v[40:41]
	s_waitcnt vmcnt(0)
	v_fma_f64 v[1:2], v[1:2], v[44:45], -v[46:47]
	v_fma_f64 v[3:4], v[3:4], v[44:45], v[40:41]
.LBB15_194:
	s_mov_b32 s6, exec_lo
	v_cmpx_ne_u32_e32 9, v0
	s_cbranch_execz .LBB15_198
; %bb.195:
	v_add_nc_u32_e32 v40, 0x110, v43
	v_add3_u32 v41, 0, v43, 16
	v_mov_b32_e32 v42, v0
	s_mov_b32 s8, 0
	.p2align	6
.LBB15_196:                             ; =>This Inner Loop Header: Depth=1
	s_clause 0x3
	buffer_load_dword v48, v41, s[0:3], 0 offen offset:8
	buffer_load_dword v49, v41, s[0:3], 0 offen offset:12
	buffer_load_dword v50, v41, s[0:3], 0 offen
	buffer_load_dword v51, v41, s[0:3], 0 offen offset:4
	ds_read_b128 v[44:47], v40
	v_add_nc_u32_e32 v42, 1, v42
	v_add_nc_u32_e32 v40, 16, v40
	;; [unrolled: 1-line block ×3, first 2 shown]
	v_cmp_lt_u32_e32 vcc_lo, 8, v42
	s_or_b32 s8, vcc_lo, s8
	s_waitcnt vmcnt(2) lgkmcnt(0)
	v_mul_f64 v[52:53], v[46:47], v[48:49]
	v_mul_f64 v[48:49], v[44:45], v[48:49]
	s_waitcnt vmcnt(0)
	v_fma_f64 v[44:45], v[44:45], v[50:51], -v[52:53]
	v_fma_f64 v[46:47], v[46:47], v[50:51], v[48:49]
	v_add_f64 v[1:2], v[1:2], v[44:45]
	v_add_f64 v[3:4], v[3:4], v[46:47]
	s_andn2_b32 exec_lo, exec_lo, s8
	s_cbranch_execnz .LBB15_196
; %bb.197:
	s_or_b32 exec_lo, exec_lo, s8
.LBB15_198:
	s_or_b32 exec_lo, exec_lo, s6
	v_mov_b32_e32 v40, 0
	ds_read_b128 v[44:47], v40 offset:160
	s_waitcnt lgkmcnt(0)
	v_mul_f64 v[40:41], v[3:4], v[46:47]
	v_mul_f64 v[46:47], v[1:2], v[46:47]
	v_fma_f64 v[1:2], v[1:2], v[44:45], -v[40:41]
	v_fma_f64 v[3:4], v[3:4], v[44:45], v[46:47]
	buffer_store_dword v2, off, s[0:3], 0 offset:164
	buffer_store_dword v1, off, s[0:3], 0 offset:160
	;; [unrolled: 1-line block ×4, first 2 shown]
.LBB15_199:
	s_or_b32 exec_lo, exec_lo, s4
	v_mov_b32_e32 v4, s12
	s_mov_b32 s4, exec_lo
	s_clause 0x3
	buffer_load_dword v1, v4, s[0:3], 0 offen
	buffer_load_dword v2, v4, s[0:3], 0 offen offset:4
	buffer_load_dword v3, v4, s[0:3], 0 offen offset:8
	;; [unrolled: 1-line block ×3, first 2 shown]
	s_waitcnt vmcnt(0)
	ds_write_b128 v38, v[1:4]
	s_waitcnt lgkmcnt(0)
	s_waitcnt_vscnt null, 0x0
	s_barrier
	buffer_gl0_inv
	v_cmpx_gt_u32_e32 11, v0
	s_cbranch_execz .LBB15_207
; %bb.200:
	ds_read_b128 v[1:4], v38
	v_cmp_ne_u32_e32 vcc_lo, 1, v39
	s_cbranch_vccnz .LBB15_202
; %bb.201:
	s_clause 0x3
	buffer_load_dword v40, v37, s[0:3], 0 offen offset:8
	buffer_load_dword v41, v37, s[0:3], 0 offen offset:12
	buffer_load_dword v44, v37, s[0:3], 0 offen
	buffer_load_dword v45, v37, s[0:3], 0 offen offset:4
	s_waitcnt vmcnt(2) lgkmcnt(0)
	v_mul_f64 v[46:47], v[3:4], v[40:41]
	v_mul_f64 v[40:41], v[1:2], v[40:41]
	s_waitcnt vmcnt(0)
	v_fma_f64 v[1:2], v[1:2], v[44:45], -v[46:47]
	v_fma_f64 v[3:4], v[3:4], v[44:45], v[40:41]
.LBB15_202:
	s_mov_b32 s6, exec_lo
	v_cmpx_ne_u32_e32 10, v0
	s_cbranch_execz .LBB15_206
; %bb.203:
	v_add_nc_u32_e32 v40, 0x110, v43
	v_add3_u32 v41, 0, v43, 16
	v_mov_b32_e32 v42, v0
	s_mov_b32 s8, 0
	.p2align	6
.LBB15_204:                             ; =>This Inner Loop Header: Depth=1
	s_clause 0x3
	buffer_load_dword v48, v41, s[0:3], 0 offen offset:8
	buffer_load_dword v49, v41, s[0:3], 0 offen offset:12
	buffer_load_dword v50, v41, s[0:3], 0 offen
	buffer_load_dword v51, v41, s[0:3], 0 offen offset:4
	ds_read_b128 v[44:47], v40
	v_add_nc_u32_e32 v42, 1, v42
	v_add_nc_u32_e32 v40, 16, v40
	;; [unrolled: 1-line block ×3, first 2 shown]
	v_cmp_lt_u32_e32 vcc_lo, 9, v42
	s_or_b32 s8, vcc_lo, s8
	s_waitcnt vmcnt(2) lgkmcnt(0)
	v_mul_f64 v[52:53], v[46:47], v[48:49]
	v_mul_f64 v[48:49], v[44:45], v[48:49]
	s_waitcnt vmcnt(0)
	v_fma_f64 v[44:45], v[44:45], v[50:51], -v[52:53]
	v_fma_f64 v[46:47], v[46:47], v[50:51], v[48:49]
	v_add_f64 v[1:2], v[1:2], v[44:45]
	v_add_f64 v[3:4], v[3:4], v[46:47]
	s_andn2_b32 exec_lo, exec_lo, s8
	s_cbranch_execnz .LBB15_204
; %bb.205:
	s_or_b32 exec_lo, exec_lo, s8
.LBB15_206:
	s_or_b32 exec_lo, exec_lo, s6
	v_mov_b32_e32 v40, 0
	ds_read_b128 v[44:47], v40 offset:176
	s_waitcnt lgkmcnt(0)
	v_mul_f64 v[40:41], v[3:4], v[46:47]
	v_mul_f64 v[46:47], v[1:2], v[46:47]
	v_fma_f64 v[1:2], v[1:2], v[44:45], -v[40:41]
	v_fma_f64 v[3:4], v[3:4], v[44:45], v[46:47]
	buffer_store_dword v2, off, s[0:3], 0 offset:180
	buffer_store_dword v1, off, s[0:3], 0 offset:176
	;; [unrolled: 1-line block ×4, first 2 shown]
.LBB15_207:
	s_or_b32 exec_lo, exec_lo, s4
	v_mov_b32_e32 v4, s11
	s_mov_b32 s4, exec_lo
	s_clause 0x3
	buffer_load_dword v1, v4, s[0:3], 0 offen
	buffer_load_dword v2, v4, s[0:3], 0 offen offset:4
	buffer_load_dword v3, v4, s[0:3], 0 offen offset:8
	buffer_load_dword v4, v4, s[0:3], 0 offen offset:12
	s_waitcnt vmcnt(0)
	ds_write_b128 v38, v[1:4]
	s_waitcnt lgkmcnt(0)
	s_waitcnt_vscnt null, 0x0
	s_barrier
	buffer_gl0_inv
	v_cmpx_gt_u32_e32 12, v0
	s_cbranch_execz .LBB15_215
; %bb.208:
	ds_read_b128 v[1:4], v38
	v_cmp_ne_u32_e32 vcc_lo, 1, v39
	s_cbranch_vccnz .LBB15_210
; %bb.209:
	s_clause 0x3
	buffer_load_dword v40, v37, s[0:3], 0 offen offset:8
	buffer_load_dword v41, v37, s[0:3], 0 offen offset:12
	buffer_load_dword v44, v37, s[0:3], 0 offen
	buffer_load_dword v45, v37, s[0:3], 0 offen offset:4
	s_waitcnt vmcnt(2) lgkmcnt(0)
	v_mul_f64 v[46:47], v[3:4], v[40:41]
	v_mul_f64 v[40:41], v[1:2], v[40:41]
	s_waitcnt vmcnt(0)
	v_fma_f64 v[1:2], v[1:2], v[44:45], -v[46:47]
	v_fma_f64 v[3:4], v[3:4], v[44:45], v[40:41]
.LBB15_210:
	s_mov_b32 s6, exec_lo
	v_cmpx_ne_u32_e32 11, v0
	s_cbranch_execz .LBB15_214
; %bb.211:
	v_add_nc_u32_e32 v40, 0x110, v43
	v_add3_u32 v41, 0, v43, 16
	v_mov_b32_e32 v42, v0
	s_mov_b32 s8, 0
	.p2align	6
.LBB15_212:                             ; =>This Inner Loop Header: Depth=1
	s_clause 0x3
	buffer_load_dword v48, v41, s[0:3], 0 offen offset:8
	buffer_load_dword v49, v41, s[0:3], 0 offen offset:12
	buffer_load_dword v50, v41, s[0:3], 0 offen
	buffer_load_dword v51, v41, s[0:3], 0 offen offset:4
	ds_read_b128 v[44:47], v40
	v_add_nc_u32_e32 v42, 1, v42
	v_add_nc_u32_e32 v40, 16, v40
	;; [unrolled: 1-line block ×3, first 2 shown]
	v_cmp_lt_u32_e32 vcc_lo, 10, v42
	s_or_b32 s8, vcc_lo, s8
	s_waitcnt vmcnt(2) lgkmcnt(0)
	v_mul_f64 v[52:53], v[46:47], v[48:49]
	v_mul_f64 v[48:49], v[44:45], v[48:49]
	s_waitcnt vmcnt(0)
	v_fma_f64 v[44:45], v[44:45], v[50:51], -v[52:53]
	v_fma_f64 v[46:47], v[46:47], v[50:51], v[48:49]
	v_add_f64 v[1:2], v[1:2], v[44:45]
	v_add_f64 v[3:4], v[3:4], v[46:47]
	s_andn2_b32 exec_lo, exec_lo, s8
	s_cbranch_execnz .LBB15_212
; %bb.213:
	s_or_b32 exec_lo, exec_lo, s8
.LBB15_214:
	s_or_b32 exec_lo, exec_lo, s6
	v_mov_b32_e32 v40, 0
	ds_read_b128 v[44:47], v40 offset:192
	s_waitcnt lgkmcnt(0)
	v_mul_f64 v[40:41], v[3:4], v[46:47]
	v_mul_f64 v[46:47], v[1:2], v[46:47]
	v_fma_f64 v[1:2], v[1:2], v[44:45], -v[40:41]
	v_fma_f64 v[3:4], v[3:4], v[44:45], v[46:47]
	buffer_store_dword v2, off, s[0:3], 0 offset:196
	buffer_store_dword v1, off, s[0:3], 0 offset:192
	;; [unrolled: 1-line block ×4, first 2 shown]
.LBB15_215:
	s_or_b32 exec_lo, exec_lo, s4
	v_mov_b32_e32 v4, s10
	s_mov_b32 s4, exec_lo
	s_clause 0x3
	buffer_load_dword v1, v4, s[0:3], 0 offen
	buffer_load_dword v2, v4, s[0:3], 0 offen offset:4
	buffer_load_dword v3, v4, s[0:3], 0 offen offset:8
	;; [unrolled: 1-line block ×3, first 2 shown]
	s_waitcnt vmcnt(0)
	ds_write_b128 v38, v[1:4]
	s_waitcnt lgkmcnt(0)
	s_waitcnt_vscnt null, 0x0
	s_barrier
	buffer_gl0_inv
	v_cmpx_gt_u32_e32 13, v0
	s_cbranch_execz .LBB15_223
; %bb.216:
	ds_read_b128 v[1:4], v38
	v_cmp_ne_u32_e32 vcc_lo, 1, v39
	s_cbranch_vccnz .LBB15_218
; %bb.217:
	s_clause 0x3
	buffer_load_dword v40, v37, s[0:3], 0 offen offset:8
	buffer_load_dword v41, v37, s[0:3], 0 offen offset:12
	buffer_load_dword v44, v37, s[0:3], 0 offen
	buffer_load_dword v45, v37, s[0:3], 0 offen offset:4
	s_waitcnt vmcnt(2) lgkmcnt(0)
	v_mul_f64 v[46:47], v[3:4], v[40:41]
	v_mul_f64 v[40:41], v[1:2], v[40:41]
	s_waitcnt vmcnt(0)
	v_fma_f64 v[1:2], v[1:2], v[44:45], -v[46:47]
	v_fma_f64 v[3:4], v[3:4], v[44:45], v[40:41]
.LBB15_218:
	s_mov_b32 s6, exec_lo
	v_cmpx_ne_u32_e32 12, v0
	s_cbranch_execz .LBB15_222
; %bb.219:
	v_add_nc_u32_e32 v40, 0x110, v43
	v_add3_u32 v41, 0, v43, 16
	v_mov_b32_e32 v42, v0
	s_mov_b32 s8, 0
	.p2align	6
.LBB15_220:                             ; =>This Inner Loop Header: Depth=1
	s_clause 0x3
	buffer_load_dword v48, v41, s[0:3], 0 offen offset:8
	buffer_load_dword v49, v41, s[0:3], 0 offen offset:12
	buffer_load_dword v50, v41, s[0:3], 0 offen
	buffer_load_dword v51, v41, s[0:3], 0 offen offset:4
	ds_read_b128 v[44:47], v40
	v_add_nc_u32_e32 v42, 1, v42
	v_add_nc_u32_e32 v40, 16, v40
	;; [unrolled: 1-line block ×3, first 2 shown]
	v_cmp_lt_u32_e32 vcc_lo, 11, v42
	s_or_b32 s8, vcc_lo, s8
	s_waitcnt vmcnt(2) lgkmcnt(0)
	v_mul_f64 v[52:53], v[46:47], v[48:49]
	v_mul_f64 v[48:49], v[44:45], v[48:49]
	s_waitcnt vmcnt(0)
	v_fma_f64 v[44:45], v[44:45], v[50:51], -v[52:53]
	v_fma_f64 v[46:47], v[46:47], v[50:51], v[48:49]
	v_add_f64 v[1:2], v[1:2], v[44:45]
	v_add_f64 v[3:4], v[3:4], v[46:47]
	s_andn2_b32 exec_lo, exec_lo, s8
	s_cbranch_execnz .LBB15_220
; %bb.221:
	s_or_b32 exec_lo, exec_lo, s8
.LBB15_222:
	s_or_b32 exec_lo, exec_lo, s6
	v_mov_b32_e32 v40, 0
	ds_read_b128 v[44:47], v40 offset:208
	s_waitcnt lgkmcnt(0)
	v_mul_f64 v[40:41], v[3:4], v[46:47]
	v_mul_f64 v[46:47], v[1:2], v[46:47]
	v_fma_f64 v[1:2], v[1:2], v[44:45], -v[40:41]
	v_fma_f64 v[3:4], v[3:4], v[44:45], v[46:47]
	buffer_store_dword v2, off, s[0:3], 0 offset:212
	buffer_store_dword v1, off, s[0:3], 0 offset:208
	;; [unrolled: 1-line block ×4, first 2 shown]
.LBB15_223:
	s_or_b32 exec_lo, exec_lo, s4
	v_mov_b32_e32 v4, s9
	v_cmp_gt_u32_e64 s4, 14, v0
	s_clause 0x3
	buffer_load_dword v1, v4, s[0:3], 0 offen
	buffer_load_dword v2, v4, s[0:3], 0 offen offset:4
	buffer_load_dword v3, v4, s[0:3], 0 offen offset:8
	;; [unrolled: 1-line block ×3, first 2 shown]
	s_waitcnt vmcnt(0)
	ds_write_b128 v38, v[1:4]
	s_waitcnt lgkmcnt(0)
	s_waitcnt_vscnt null, 0x0
	s_barrier
	buffer_gl0_inv
	s_and_saveexec_b32 s6, s4
	s_cbranch_execz .LBB15_231
; %bb.224:
	ds_read_b128 v[1:4], v38
	v_cmp_ne_u32_e32 vcc_lo, 1, v39
	s_cbranch_vccnz .LBB15_226
; %bb.225:
	s_clause 0x3
	buffer_load_dword v40, v37, s[0:3], 0 offen offset:8
	buffer_load_dword v41, v37, s[0:3], 0 offen offset:12
	buffer_load_dword v44, v37, s[0:3], 0 offen
	buffer_load_dword v45, v37, s[0:3], 0 offen offset:4
	s_waitcnt vmcnt(2) lgkmcnt(0)
	v_mul_f64 v[46:47], v[3:4], v[40:41]
	v_mul_f64 v[40:41], v[1:2], v[40:41]
	s_waitcnt vmcnt(0)
	v_fma_f64 v[1:2], v[1:2], v[44:45], -v[46:47]
	v_fma_f64 v[3:4], v[3:4], v[44:45], v[40:41]
.LBB15_226:
	s_mov_b32 s8, exec_lo
	v_cmpx_ne_u32_e32 13, v0
	s_cbranch_execz .LBB15_230
; %bb.227:
	v_add_nc_u32_e32 v40, 0x110, v43
	v_add3_u32 v41, 0, v43, 16
	v_mov_b32_e32 v42, v0
	s_mov_b32 s23, 0
	.p2align	6
.LBB15_228:                             ; =>This Inner Loop Header: Depth=1
	s_clause 0x3
	buffer_load_dword v48, v41, s[0:3], 0 offen offset:8
	buffer_load_dword v49, v41, s[0:3], 0 offen offset:12
	buffer_load_dword v50, v41, s[0:3], 0 offen
	buffer_load_dword v51, v41, s[0:3], 0 offen offset:4
	ds_read_b128 v[44:47], v40
	v_add_nc_u32_e32 v42, 1, v42
	v_add_nc_u32_e32 v40, 16, v40
	;; [unrolled: 1-line block ×3, first 2 shown]
	v_cmp_lt_u32_e32 vcc_lo, 12, v42
	s_or_b32 s23, vcc_lo, s23
	s_waitcnt vmcnt(2) lgkmcnt(0)
	v_mul_f64 v[52:53], v[46:47], v[48:49]
	v_mul_f64 v[48:49], v[44:45], v[48:49]
	s_waitcnt vmcnt(0)
	v_fma_f64 v[44:45], v[44:45], v[50:51], -v[52:53]
	v_fma_f64 v[46:47], v[46:47], v[50:51], v[48:49]
	v_add_f64 v[1:2], v[1:2], v[44:45]
	v_add_f64 v[3:4], v[3:4], v[46:47]
	s_andn2_b32 exec_lo, exec_lo, s23
	s_cbranch_execnz .LBB15_228
; %bb.229:
	s_or_b32 exec_lo, exec_lo, s23
.LBB15_230:
	s_or_b32 exec_lo, exec_lo, s8
	v_mov_b32_e32 v40, 0
	ds_read_b128 v[44:47], v40 offset:224
	s_waitcnt lgkmcnt(0)
	v_mul_f64 v[40:41], v[3:4], v[46:47]
	v_mul_f64 v[46:47], v[1:2], v[46:47]
	v_fma_f64 v[1:2], v[1:2], v[44:45], -v[40:41]
	v_fma_f64 v[3:4], v[3:4], v[44:45], v[46:47]
	buffer_store_dword v2, off, s[0:3], 0 offset:228
	buffer_store_dword v1, off, s[0:3], 0 offset:224
	;; [unrolled: 1-line block ×4, first 2 shown]
.LBB15_231:
	s_or_b32 exec_lo, exec_lo, s6
	v_mov_b32_e32 v4, s7
	s_mov_b32 s6, exec_lo
                                        ; implicit-def: $sgpr24
	s_clause 0x3
	buffer_load_dword v1, v4, s[0:3], 0 offen
	buffer_load_dword v2, v4, s[0:3], 0 offen offset:4
	buffer_load_dword v3, v4, s[0:3], 0 offen offset:8
	;; [unrolled: 1-line block ×3, first 2 shown]
	s_waitcnt vmcnt(0)
	ds_write_b128 v38, v[1:4]
	s_waitcnt lgkmcnt(0)
	s_waitcnt_vscnt null, 0x0
	s_barrier
	buffer_gl0_inv
                                        ; implicit-def: $vgpr1_vgpr2
	v_cmpx_ne_u32_e32 15, v0
	s_cbranch_execz .LBB15_239
; %bb.232:
	ds_read_b128 v[1:4], v38
	v_cmp_ne_u32_e32 vcc_lo, 1, v39
	s_cbranch_vccnz .LBB15_234
; %bb.233:
	s_clause 0x3
	buffer_load_dword v38, v37, s[0:3], 0 offen offset:8
	buffer_load_dword v39, v37, s[0:3], 0 offen offset:12
	buffer_load_dword v40, v37, s[0:3], 0 offen
	buffer_load_dword v41, v37, s[0:3], 0 offen offset:4
	s_waitcnt vmcnt(2) lgkmcnt(0)
	v_mul_f64 v[44:45], v[3:4], v[38:39]
	v_mul_f64 v[37:38], v[1:2], v[38:39]
	s_waitcnt vmcnt(0)
	v_fma_f64 v[1:2], v[1:2], v[40:41], -v[44:45]
	v_fma_f64 v[3:4], v[3:4], v[40:41], v[37:38]
.LBB15_234:
	s_and_saveexec_b32 s8, s4
	s_cbranch_execz .LBB15_238
; %bb.235:
	v_add_nc_u32_e32 v37, 0x110, v43
	v_add3_u32 v38, 0, v43, 16
	s_mov_b32 s4, 0
	.p2align	6
.LBB15_236:                             ; =>This Inner Loop Header: Depth=1
	s_clause 0x3
	buffer_load_dword v43, v38, s[0:3], 0 offen offset:8
	buffer_load_dword v44, v38, s[0:3], 0 offen offset:12
	buffer_load_dword v45, v38, s[0:3], 0 offen
	buffer_load_dword v46, v38, s[0:3], 0 offen offset:4
	ds_read_b128 v[39:42], v37
	v_add_nc_u32_e32 v0, 1, v0
	v_add_nc_u32_e32 v37, 16, v37
	;; [unrolled: 1-line block ×3, first 2 shown]
	v_cmp_lt_u32_e32 vcc_lo, 13, v0
	s_or_b32 s4, vcc_lo, s4
	s_waitcnt vmcnt(2) lgkmcnt(0)
	v_mul_f64 v[47:48], v[41:42], v[43:44]
	v_mul_f64 v[43:44], v[39:40], v[43:44]
	s_waitcnt vmcnt(0)
	v_fma_f64 v[39:40], v[39:40], v[45:46], -v[47:48]
	v_fma_f64 v[41:42], v[41:42], v[45:46], v[43:44]
	v_add_f64 v[1:2], v[1:2], v[39:40]
	v_add_f64 v[3:4], v[3:4], v[41:42]
	s_andn2_b32 exec_lo, exec_lo, s4
	s_cbranch_execnz .LBB15_236
; %bb.237:
	s_or_b32 exec_lo, exec_lo, s4
.LBB15_238:
	s_or_b32 exec_lo, exec_lo, s8
	v_mov_b32_e32 v0, 0
	s_movk_i32 s24, 0xf8
	s_or_b32 s5, s5, exec_lo
	ds_read_b128 v[37:40], v0 offset:240
	s_waitcnt lgkmcnt(0)
	v_mul_f64 v[41:42], v[3:4], v[39:40]
	v_mul_f64 v[39:40], v[1:2], v[39:40]
	v_fma_f64 v[41:42], v[1:2], v[37:38], -v[41:42]
	v_fma_f64 v[1:2], v[3:4], v[37:38], v[39:40]
	buffer_store_dword v42, off, s[0:3], 0 offset:244
	buffer_store_dword v41, off, s[0:3], 0 offset:240
.LBB15_239:
	s_or_b32 exec_lo, exec_lo, s6
.LBB15_240:
	s_and_saveexec_b32 s4, s5
	s_cbranch_execz .LBB15_242
; %bb.241:
	v_mov_b32_e32 v0, s24
	buffer_store_dword v2, v0, s[0:3], 0 offen offset:4
	buffer_store_dword v1, v0, s[0:3], 0 offen
.LBB15_242:
	s_or_b32 exec_lo, exec_lo, s4
	v_mov_b32_e32 v4, s22
	s_clause 0x7
	buffer_load_dword v0, off, s[0:3], 0
	buffer_load_dword v1, off, s[0:3], 0 offset:4
	buffer_load_dword v2, off, s[0:3], 0 offset:8
	;; [unrolled: 1-line block ×3, first 2 shown]
	buffer_load_dword v37, v4, s[0:3], 0 offen
	buffer_load_dword v38, v4, s[0:3], 0 offen offset:4
	buffer_load_dword v39, v4, s[0:3], 0 offen offset:8
	;; [unrolled: 1-line block ×3, first 2 shown]
	v_mov_b32_e32 v4, s21
	v_mov_b32_e32 v58, s15
	;; [unrolled: 1-line block ×4, first 2 shown]
	s_clause 0x3
	buffer_load_dword v41, v4, s[0:3], 0 offen
	buffer_load_dword v42, v4, s[0:3], 0 offen offset:4
	buffer_load_dword v43, v4, s[0:3], 0 offen offset:8
	;; [unrolled: 1-line block ×3, first 2 shown]
	v_mov_b32_e32 v4, s20
	v_mov_b32_e32 v63, s9
	;; [unrolled: 1-line block ×3, first 2 shown]
	s_clause 0x3
	buffer_load_dword v45, v4, s[0:3], 0 offen
	buffer_load_dword v46, v4, s[0:3], 0 offen offset:4
	buffer_load_dword v47, v4, s[0:3], 0 offen offset:8
	;; [unrolled: 1-line block ×3, first 2 shown]
	v_mov_b32_e32 v4, s19
	v_mov_b32_e32 v60, s12
	s_clause 0x3
	buffer_load_dword v49, v4, s[0:3], 0 offen
	buffer_load_dword v50, v4, s[0:3], 0 offen offset:4
	buffer_load_dword v51, v4, s[0:3], 0 offen offset:8
	;; [unrolled: 1-line block ×3, first 2 shown]
	v_mov_b32_e32 v4, s18
	s_clause 0x3
	buffer_load_dword v53, v4, s[0:3], 0 offen
	buffer_load_dword v54, v4, s[0:3], 0 offen offset:4
	buffer_load_dword v55, v4, s[0:3], 0 offen offset:8
	;; [unrolled: 1-line block ×3, first 2 shown]
	v_mov_b32_e32 v4, s17
	v_mov_b32_e32 v62, s10
	s_waitcnt vmcnt(20)
	global_store_dwordx4 v[13:14], v[0:3], off
	v_mov_b32_e32 v14, s13
	s_waitcnt vmcnt(16)
	global_store_dwordx4 v[7:8], v[37:40], off
	s_clause 0x7
	buffer_load_dword v0, v4, s[0:3], 0 offen
	buffer_load_dword v1, v4, s[0:3], 0 offen offset:4
	buffer_load_dword v2, v4, s[0:3], 0 offen offset:8
	;; [unrolled: 1-line block ×3, first 2 shown]
	buffer_load_dword v37, v57, s[0:3], 0 offen
	buffer_load_dword v38, v57, s[0:3], 0 offen offset:4
	buffer_load_dword v39, v57, s[0:3], 0 offen offset:8
	;; [unrolled: 1-line block ×3, first 2 shown]
	v_mov_b32_e32 v8, s7
	s_waitcnt vmcnt(20)
	global_store_dwordx4 v[5:6], v[41:44], off
	s_clause 0x7
	buffer_load_dword v4, v58, s[0:3], 0 offen
	buffer_load_dword v5, v58, s[0:3], 0 offen offset:4
	buffer_load_dword v6, v58, s[0:3], 0 offen offset:8
	buffer_load_dword v7, v58, s[0:3], 0 offen offset:12
	buffer_load_dword v41, v59, s[0:3], 0 offen
	buffer_load_dword v42, v59, s[0:3], 0 offen offset:4
	buffer_load_dword v43, v59, s[0:3], 0 offen offset:8
	buffer_load_dword v44, v59, s[0:3], 0 offen offset:12
	s_waitcnt vmcnt(24)
	global_store_dwordx4 v[11:12], v[45:48], off
	s_clause 0x7
	buffer_load_dword v11, v14, s[0:3], 0 offen
	buffer_load_dword v12, v14, s[0:3], 0 offen offset:4
	buffer_load_dword v13, v14, s[0:3], 0 offen offset:8
	buffer_load_dword v14, v14, s[0:3], 0 offen offset:12
	buffer_load_dword v45, v60, s[0:3], 0 offen
	buffer_load_dword v46, v60, s[0:3], 0 offen offset:4
	buffer_load_dword v47, v60, s[0:3], 0 offen offset:8
	buffer_load_dword v48, v60, s[0:3], 0 offen offset:12
	;; [unrolled: 11-line block ×4, first 2 shown]
	s_waitcnt vmcnt(36)
	global_store_dwordx4 v[19:20], v[0:3], off
	s_waitcnt vmcnt(32)
	global_store_dwordx4 v[21:22], v[37:40], off
	;; [unrolled: 2-line block ×10, first 2 shown]
.LBB15_243:
	s_endpgm
	.section	.rodata,"a",@progbits
	.p2align	6, 0x0
	.amdhsa_kernel _ZN9rocsolver6v33100L18trti2_kernel_smallILi16E19rocblas_complex_numIdEPS3_EEv13rocblas_fill_17rocblas_diagonal_T1_iil
		.amdhsa_group_segment_fixed_size 512
		.amdhsa_private_segment_fixed_size 272
		.amdhsa_kernarg_size 32
		.amdhsa_user_sgpr_count 6
		.amdhsa_user_sgpr_private_segment_buffer 1
		.amdhsa_user_sgpr_dispatch_ptr 0
		.amdhsa_user_sgpr_queue_ptr 0
		.amdhsa_user_sgpr_kernarg_segment_ptr 1
		.amdhsa_user_sgpr_dispatch_id 0
		.amdhsa_user_sgpr_flat_scratch_init 0
		.amdhsa_user_sgpr_private_segment_size 0
		.amdhsa_wavefront_size32 1
		.amdhsa_uses_dynamic_stack 0
		.amdhsa_system_sgpr_private_segment_wavefront_offset 1
		.amdhsa_system_sgpr_workgroup_id_x 1
		.amdhsa_system_sgpr_workgroup_id_y 0
		.amdhsa_system_sgpr_workgroup_id_z 0
		.amdhsa_system_sgpr_workgroup_info 0
		.amdhsa_system_vgpr_workitem_id 0
		.amdhsa_next_free_vgpr 70
		.amdhsa_next_free_sgpr 28
		.amdhsa_reserve_vcc 1
		.amdhsa_reserve_flat_scratch 0
		.amdhsa_float_round_mode_32 0
		.amdhsa_float_round_mode_16_64 0
		.amdhsa_float_denorm_mode_32 3
		.amdhsa_float_denorm_mode_16_64 3
		.amdhsa_dx10_clamp 1
		.amdhsa_ieee_mode 1
		.amdhsa_fp16_overflow 0
		.amdhsa_workgroup_processor_mode 1
		.amdhsa_memory_ordered 1
		.amdhsa_forward_progress 1
		.amdhsa_shared_vgpr_count 0
		.amdhsa_exception_fp_ieee_invalid_op 0
		.amdhsa_exception_fp_denorm_src 0
		.amdhsa_exception_fp_ieee_div_zero 0
		.amdhsa_exception_fp_ieee_overflow 0
		.amdhsa_exception_fp_ieee_underflow 0
		.amdhsa_exception_fp_ieee_inexact 0
		.amdhsa_exception_int_div_zero 0
	.end_amdhsa_kernel
	.section	.text._ZN9rocsolver6v33100L18trti2_kernel_smallILi16E19rocblas_complex_numIdEPS3_EEv13rocblas_fill_17rocblas_diagonal_T1_iil,"axG",@progbits,_ZN9rocsolver6v33100L18trti2_kernel_smallILi16E19rocblas_complex_numIdEPS3_EEv13rocblas_fill_17rocblas_diagonal_T1_iil,comdat
.Lfunc_end15:
	.size	_ZN9rocsolver6v33100L18trti2_kernel_smallILi16E19rocblas_complex_numIdEPS3_EEv13rocblas_fill_17rocblas_diagonal_T1_iil, .Lfunc_end15-_ZN9rocsolver6v33100L18trti2_kernel_smallILi16E19rocblas_complex_numIdEPS3_EEv13rocblas_fill_17rocblas_diagonal_T1_iil
                                        ; -- End function
	.set _ZN9rocsolver6v33100L18trti2_kernel_smallILi16E19rocblas_complex_numIdEPS3_EEv13rocblas_fill_17rocblas_diagonal_T1_iil.num_vgpr, 70
	.set _ZN9rocsolver6v33100L18trti2_kernel_smallILi16E19rocblas_complex_numIdEPS3_EEv13rocblas_fill_17rocblas_diagonal_T1_iil.num_agpr, 0
	.set _ZN9rocsolver6v33100L18trti2_kernel_smallILi16E19rocblas_complex_numIdEPS3_EEv13rocblas_fill_17rocblas_diagonal_T1_iil.numbered_sgpr, 28
	.set _ZN9rocsolver6v33100L18trti2_kernel_smallILi16E19rocblas_complex_numIdEPS3_EEv13rocblas_fill_17rocblas_diagonal_T1_iil.num_named_barrier, 0
	.set _ZN9rocsolver6v33100L18trti2_kernel_smallILi16E19rocblas_complex_numIdEPS3_EEv13rocblas_fill_17rocblas_diagonal_T1_iil.private_seg_size, 272
	.set _ZN9rocsolver6v33100L18trti2_kernel_smallILi16E19rocblas_complex_numIdEPS3_EEv13rocblas_fill_17rocblas_diagonal_T1_iil.uses_vcc, 1
	.set _ZN9rocsolver6v33100L18trti2_kernel_smallILi16E19rocblas_complex_numIdEPS3_EEv13rocblas_fill_17rocblas_diagonal_T1_iil.uses_flat_scratch, 0
	.set _ZN9rocsolver6v33100L18trti2_kernel_smallILi16E19rocblas_complex_numIdEPS3_EEv13rocblas_fill_17rocblas_diagonal_T1_iil.has_dyn_sized_stack, 0
	.set _ZN9rocsolver6v33100L18trti2_kernel_smallILi16E19rocblas_complex_numIdEPS3_EEv13rocblas_fill_17rocblas_diagonal_T1_iil.has_recursion, 0
	.set _ZN9rocsolver6v33100L18trti2_kernel_smallILi16E19rocblas_complex_numIdEPS3_EEv13rocblas_fill_17rocblas_diagonal_T1_iil.has_indirect_call, 0
	.section	.AMDGPU.csdata,"",@progbits
; Kernel info:
; codeLenInByte = 15836
; TotalNumSgprs: 30
; NumVgprs: 70
; ScratchSize: 272
; MemoryBound: 0
; FloatMode: 240
; IeeeMode: 1
; LDSByteSize: 512 bytes/workgroup (compile time only)
; SGPRBlocks: 0
; VGPRBlocks: 8
; NumSGPRsForWavesPerEU: 30
; NumVGPRsForWavesPerEU: 70
; Occupancy: 12
; WaveLimiterHint : 0
; COMPUTE_PGM_RSRC2:SCRATCH_EN: 1
; COMPUTE_PGM_RSRC2:USER_SGPR: 6
; COMPUTE_PGM_RSRC2:TRAP_HANDLER: 0
; COMPUTE_PGM_RSRC2:TGID_X_EN: 1
; COMPUTE_PGM_RSRC2:TGID_Y_EN: 0
; COMPUTE_PGM_RSRC2:TGID_Z_EN: 0
; COMPUTE_PGM_RSRC2:TIDIG_COMP_CNT: 0
	.section	.text._ZN9rocsolver6v33100L18trti2_kernel_smallILi17E19rocblas_complex_numIdEPS3_EEv13rocblas_fill_17rocblas_diagonal_T1_iil,"axG",@progbits,_ZN9rocsolver6v33100L18trti2_kernel_smallILi17E19rocblas_complex_numIdEPS3_EEv13rocblas_fill_17rocblas_diagonal_T1_iil,comdat
	.globl	_ZN9rocsolver6v33100L18trti2_kernel_smallILi17E19rocblas_complex_numIdEPS3_EEv13rocblas_fill_17rocblas_diagonal_T1_iil ; -- Begin function _ZN9rocsolver6v33100L18trti2_kernel_smallILi17E19rocblas_complex_numIdEPS3_EEv13rocblas_fill_17rocblas_diagonal_T1_iil
	.p2align	8
	.type	_ZN9rocsolver6v33100L18trti2_kernel_smallILi17E19rocblas_complex_numIdEPS3_EEv13rocblas_fill_17rocblas_diagonal_T1_iil,@function
_ZN9rocsolver6v33100L18trti2_kernel_smallILi17E19rocblas_complex_numIdEPS3_EEv13rocblas_fill_17rocblas_diagonal_T1_iil: ; @_ZN9rocsolver6v33100L18trti2_kernel_smallILi17E19rocblas_complex_numIdEPS3_EEv13rocblas_fill_17rocblas_diagonal_T1_iil
; %bb.0:
	s_add_u32 s0, s0, s7
	s_addc_u32 s1, s1, 0
	s_mov_b32 s7, exec_lo
	v_cmpx_gt_u32_e32 17, v0
	s_cbranch_execz .LBB16_259
; %bb.1:
	s_load_dwordx8 s[8:15], s[4:5], 0x0
	s_ashr_i32 s7, s6, 31
	v_lshlrev_b32_e32 v45, 4, v0
	s_movk_i32 s24, 0xc0
	s_movk_i32 s25, 0xd0
	;; [unrolled: 1-line block ×5, first 2 shown]
	s_waitcnt lgkmcnt(0)
	s_ashr_i32 s5, s12, 31
	s_mov_b32 s4, s12
	s_mul_hi_u32 s12, s14, s6
	s_mul_i32 s7, s14, s7
	s_mul_i32 s15, s15, s6
	v_add3_u32 v1, s13, s13, v0
	s_add_i32 s7, s12, s7
	s_mul_i32 s6, s14, s6
	s_add_i32 s7, s7, s15
	s_mov_b32 s14, s13
	s_lshl_b64 s[6:7], s[6:7], 4
	v_add_nc_u32_e32 v5, s13, v1
	s_add_u32 s6, s10, s6
	s_addc_u32 s7, s11, s7
	s_lshl_b64 s[4:5], s[4:5], 4
	v_ashrrev_i32_e32 v2, 31, v1
	s_add_u32 s4, s6, s4
	v_add_nc_u32_e32 v11, s13, v5
	s_addc_u32 s5, s7, s5
	v_add_co_u32 v23, s6, s4, v45
	s_ashr_i32 s15, s13, 31
	v_ashrrev_i32_e32 v6, 31, v5
	v_add_co_ci_u32_e64 v24, null, s5, 0, s6
	v_lshlrev_b64 v[7:8], 4, v[1:2]
	s_lshl_b64 s[6:7], s[14:15], 4
	v_ashrrev_i32_e32 v12, 31, v11
	v_add_co_u32 v15, vcc_lo, v23, s6
	v_lshlrev_b64 v[5:6], 4, v[5:6]
	v_add_co_ci_u32_e64 v16, null, s7, v24, vcc_lo
	global_load_dwordx4 v[1:4], v45, s[4:5]
	v_add_co_u32 v7, vcc_lo, s4, v7
	v_lshlrev_b64 v[12:13], 4, v[11:12]
	v_add_co_ci_u32_e64 v8, null, s5, v8, vcc_lo
	global_load_dwordx4 v[39:42], v[15:16], off
	v_add_co_u32 v9, vcc_lo, s4, v5
	v_add_co_ci_u32_e64 v10, null, s5, v6, vcc_lo
	v_add_co_u32 v5, vcc_lo, s4, v12
	global_load_dwordx4 v[46:49], v[7:8], off
	v_add_co_ci_u32_e64 v6, null, s5, v13, vcc_lo
	s_clause 0x1
	global_load_dwordx4 v[50:53], v[9:10], off
	global_load_dwordx4 v[54:57], v[5:6], off
	v_add_nc_u32_e32 v11, s13, v11
	s_cmpk_lg_i32 s9, 0x84
	s_movk_i32 s6, 0x70
	s_movk_i32 s7, 0x80
	;; [unrolled: 1-line block ×3, first 2 shown]
	v_add_nc_u32_e32 v13, s13, v11
	v_ashrrev_i32_e32 v12, 31, v11
	s_movk_i32 s11, 0xa0
	s_movk_i32 s12, 0xb0
	s_cselect_b32 s23, -1, 0
	v_add_nc_u32_e32 v17, s13, v13
	v_ashrrev_i32_e32 v14, 31, v13
	v_lshlrev_b64 v[11:12], 4, v[11:12]
	s_cmpk_eq_i32 s9, 0x84
	v_add_nc_u32_e32 v19, s13, v17
	v_ashrrev_i32_e32 v18, 31, v17
	v_lshlrev_b64 v[13:14], 4, v[13:14]
	v_add_co_u32 v11, vcc_lo, s4, v11
	v_add_nc_u32_e32 v21, s13, v19
	v_ashrrev_i32_e32 v20, 31, v19
	v_add_co_ci_u32_e64 v12, null, s5, v12, vcc_lo
	v_lshlrev_b64 v[17:18], 4, v[17:18]
	v_add_co_u32 v13, vcc_lo, s4, v13
	v_add_nc_u32_e32 v25, s13, v21
	v_ashrrev_i32_e32 v22, 31, v21
	v_add_co_ci_u32_e64 v14, null, s5, v14, vcc_lo
	v_lshlrev_b64 v[19:20], 4, v[19:20]
	global_load_dwordx4 v[58:61], v[11:12], off
	v_add_co_u32 v17, vcc_lo, s4, v17
	v_ashrrev_i32_e32 v26, 31, v25
	v_add_co_ci_u32_e64 v18, null, s5, v18, vcc_lo
	v_lshlrev_b64 v[21:22], 4, v[21:22]
	v_add_co_u32 v19, vcc_lo, s4, v19
	v_add_nc_u32_e32 v27, s13, v25
	v_add_co_ci_u32_e64 v20, null, s5, v20, vcc_lo
	v_lshlrev_b64 v[25:26], 4, v[25:26]
	v_add_co_u32 v21, vcc_lo, s4, v21
	v_add_co_ci_u32_e64 v22, null, s5, v22, vcc_lo
	v_add_nc_u32_e32 v29, s13, v27
	v_add_co_u32 v25, vcc_lo, s4, v25
	v_add_co_ci_u32_e64 v26, null, s5, v26, vcc_lo
	v_ashrrev_i32_e32 v28, 31, v27
	v_add_nc_u32_e32 v31, s13, v29
	v_ashrrev_i32_e32 v30, 31, v29
	s_waitcnt vmcnt(5)
	buffer_store_dword v4, off, s[0:3], 0 offset:12
	buffer_store_dword v3, off, s[0:3], 0 offset:8
	buffer_store_dword v2, off, s[0:3], 0 offset:4
	buffer_store_dword v1, off, s[0:3], 0
	global_load_dwordx4 v[1:4], v[13:14], off
	s_waitcnt vmcnt(5)
	buffer_store_dword v42, off, s[0:3], 0 offset:28
	buffer_store_dword v41, off, s[0:3], 0 offset:24
	buffer_store_dword v40, off, s[0:3], 0 offset:20
	buffer_store_dword v39, off, s[0:3], 0 offset:16
	global_load_dwordx4 v[39:42], v[17:18], off
	s_waitcnt vmcnt(5)
	buffer_store_dword v49, off, s[0:3], 0 offset:44
	buffer_store_dword v48, off, s[0:3], 0 offset:40
	buffer_store_dword v47, off, s[0:3], 0 offset:36
	buffer_store_dword v46, off, s[0:3], 0 offset:32
	;; [unrolled: 6-line block ×4, first 2 shown]
	global_load_dwordx4 v[54:57], v[25:26], off
	v_lshlrev_b64 v[27:28], 4, v[27:28]
	v_add_nc_u32_e32 v33, s13, v31
	v_lshlrev_b64 v[29:30], 4, v[29:30]
	v_ashrrev_i32_e32 v32, 31, v31
	s_waitcnt vmcnt(5)
	buffer_store_dword v61, off, s[0:3], 0 offset:92
	buffer_store_dword v60, off, s[0:3], 0 offset:88
	;; [unrolled: 1-line block ×4, first 2 shown]
	s_waitcnt vmcnt(4)
	buffer_store_dword v4, off, s[0:3], 0 offset:108
	buffer_store_dword v3, off, s[0:3], 0 offset:104
	;; [unrolled: 1-line block ×4, first 2 shown]
	v_add_co_u32 v27, vcc_lo, s4, v27
	v_add_nc_u32_e32 v35, s13, v33
	v_add_co_ci_u32_e64 v28, null, s5, v28, vcc_lo
	v_ashrrev_i32_e32 v34, 31, v33
	v_add_co_u32 v29, vcc_lo, s4, v29
	v_lshlrev_b64 v[31:32], 4, v[31:32]
	v_add_co_ci_u32_e64 v30, null, s5, v30, vcc_lo
	v_add_nc_u32_e32 v37, s13, v35
	v_ashrrev_i32_e32 v36, 31, v35
	v_lshlrev_b64 v[33:34], 4, v[33:34]
	s_clause 0x1
	global_load_dwordx4 v[1:4], v[27:28], off
	global_load_dwordx4 v[58:61], v[29:30], off
	v_add_co_u32 v31, vcc_lo, s4, v31
	v_ashrrev_i32_e32 v38, 31, v37
	v_add_co_ci_u32_e64 v32, null, s5, v32, vcc_lo
	v_lshlrev_b64 v[35:36], 4, v[35:36]
	v_add_co_u32 v33, vcc_lo, s4, v33
	v_add_co_ci_u32_e64 v34, null, s5, v34, vcc_lo
	v_lshlrev_b64 v[43:44], 4, v[37:38]
	s_waitcnt vmcnt(5)
	buffer_store_dword v42, off, s[0:3], 0 offset:124
	buffer_store_dword v41, off, s[0:3], 0 offset:120
	;; [unrolled: 1-line block ×4, first 2 shown]
	global_load_dwordx4 v[39:42], v[31:32], off
	v_add_co_u32 v37, vcc_lo, s4, v35
	v_add_co_ci_u32_e64 v38, null, s5, v36, vcc_lo
	s_waitcnt vmcnt(5)
	buffer_store_dword v49, off, s[0:3], 0 offset:140
	buffer_store_dword v48, off, s[0:3], 0 offset:136
	;; [unrolled: 1-line block ×4, first 2 shown]
	global_load_dwordx4 v[46:49], v[33:34], off
	v_add_co_u32 v35, vcc_lo, s4, v43
	v_add_co_ci_u32_e64 v36, null, s5, v44, vcc_lo
	s_waitcnt vmcnt(5)
	buffer_store_dword v50, off, s[0:3], 0 offset:144
	buffer_store_dword v51, off, s[0:3], 0 offset:148
	;; [unrolled: 1-line block ×4, first 2 shown]
	global_load_dwordx4 v[50:53], v[37:38], off
	s_waitcnt vmcnt(5)
	buffer_store_dword v54, off, s[0:3], 0 offset:160
	buffer_store_dword v55, off, s[0:3], 0 offset:164
	;; [unrolled: 1-line block ×4, first 2 shown]
	global_load_dwordx4 v[54:57], v[35:36], off
	s_movk_i32 s4, 0x50
	s_movk_i32 s5, 0x60
	s_waitcnt vmcnt(5)
	buffer_store_dword v1, off, s[0:3], 0 offset:176
	buffer_store_dword v2, off, s[0:3], 0 offset:180
	buffer_store_dword v3, off, s[0:3], 0 offset:184
	buffer_store_dword v4, off, s[0:3], 0 offset:188
	s_waitcnt vmcnt(4)
	buffer_store_dword v61, off, s[0:3], 0 offset:204
	buffer_store_dword v60, off, s[0:3], 0 offset:200
	buffer_store_dword v59, off, s[0:3], 0 offset:196
	buffer_store_dword v58, off, s[0:3], 0 offset:192
	;; [unrolled: 5-line block ×6, first 2 shown]
	s_cbranch_scc1 .LBB16_7
; %bb.2:
	v_lshl_add_u32 v46, v0, 4, 0
                                        ; implicit-def: $vgpr41_vgpr42
                                        ; implicit-def: $vgpr3_vgpr4
	s_clause 0x3
	buffer_load_dword v39, v46, s[0:3], 0 offen
	buffer_load_dword v40, v46, s[0:3], 0 offen offset:4
	buffer_load_dword v43, v46, s[0:3], 0 offen offset:8
	buffer_load_dword v44, v46, s[0:3], 0 offen offset:12
	s_waitcnt vmcnt(0)
	v_cmp_ngt_f64_e64 s9, |v[39:40]|, |v[43:44]|
	s_and_saveexec_b32 s13, s9
	s_xor_b32 s9, exec_lo, s13
	s_cbranch_execz .LBB16_4
; %bb.3:
	v_div_scale_f64 v[1:2], null, v[43:44], v[43:44], v[39:40]
	v_div_scale_f64 v[47:48], vcc_lo, v[39:40], v[43:44], v[39:40]
	v_rcp_f64_e32 v[3:4], v[1:2]
	v_fma_f64 v[41:42], -v[1:2], v[3:4], 1.0
	v_fma_f64 v[3:4], v[3:4], v[41:42], v[3:4]
	v_fma_f64 v[41:42], -v[1:2], v[3:4], 1.0
	v_fma_f64 v[3:4], v[3:4], v[41:42], v[3:4]
	v_mul_f64 v[41:42], v[47:48], v[3:4]
	v_fma_f64 v[1:2], -v[1:2], v[41:42], v[47:48]
	v_div_fmas_f64 v[1:2], v[1:2], v[3:4], v[41:42]
	v_div_fixup_f64 v[1:2], v[1:2], v[43:44], v[39:40]
	v_fma_f64 v[3:4], v[39:40], v[1:2], v[43:44]
	v_div_scale_f64 v[39:40], null, v[3:4], v[3:4], 1.0
	v_div_scale_f64 v[47:48], vcc_lo, 1.0, v[3:4], 1.0
	v_rcp_f64_e32 v[41:42], v[39:40]
	v_fma_f64 v[43:44], -v[39:40], v[41:42], 1.0
	v_fma_f64 v[41:42], v[41:42], v[43:44], v[41:42]
	v_fma_f64 v[43:44], -v[39:40], v[41:42], 1.0
	v_fma_f64 v[41:42], v[41:42], v[43:44], v[41:42]
	v_mul_f64 v[43:44], v[47:48], v[41:42]
	v_fma_f64 v[39:40], -v[39:40], v[43:44], v[47:48]
	v_div_fmas_f64 v[39:40], v[39:40], v[41:42], v[43:44]
                                        ; implicit-def: $vgpr43_vgpr44
	v_div_fixup_f64 v[3:4], v[39:40], v[3:4], 1.0
                                        ; implicit-def: $vgpr39_vgpr40
	v_mul_f64 v[41:42], v[1:2], v[3:4]
	v_xor_b32_e32 v4, 0x80000000, v4
	v_xor_b32_e32 v2, 0x80000000, v42
	v_mov_b32_e32 v1, v41
.LBB16_4:
	s_andn2_saveexec_b32 s9, s9
	s_cbranch_execz .LBB16_6
; %bb.5:
	v_div_scale_f64 v[1:2], null, v[39:40], v[39:40], v[43:44]
	v_div_scale_f64 v[47:48], vcc_lo, v[43:44], v[39:40], v[43:44]
	v_rcp_f64_e32 v[3:4], v[1:2]
	v_fma_f64 v[41:42], -v[1:2], v[3:4], 1.0
	v_fma_f64 v[3:4], v[3:4], v[41:42], v[3:4]
	v_fma_f64 v[41:42], -v[1:2], v[3:4], 1.0
	v_fma_f64 v[3:4], v[3:4], v[41:42], v[3:4]
	v_mul_f64 v[41:42], v[47:48], v[3:4]
	v_fma_f64 v[1:2], -v[1:2], v[41:42], v[47:48]
	v_div_fmas_f64 v[1:2], v[1:2], v[3:4], v[41:42]
	v_div_fixup_f64 v[1:2], v[1:2], v[39:40], v[43:44]
	v_fma_f64 v[3:4], v[43:44], v[1:2], v[39:40]
	v_div_scale_f64 v[39:40], null, v[3:4], v[3:4], 1.0
	v_rcp_f64_e32 v[41:42], v[39:40]
	v_fma_f64 v[43:44], -v[39:40], v[41:42], 1.0
	v_fma_f64 v[41:42], v[41:42], v[43:44], v[41:42]
	v_fma_f64 v[43:44], -v[39:40], v[41:42], 1.0
	v_fma_f64 v[41:42], v[41:42], v[43:44], v[41:42]
	v_div_scale_f64 v[43:44], vcc_lo, 1.0, v[3:4], 1.0
	v_mul_f64 v[47:48], v[43:44], v[41:42]
	v_fma_f64 v[39:40], -v[39:40], v[47:48], v[43:44]
	v_div_fmas_f64 v[39:40], v[39:40], v[41:42], v[47:48]
	v_div_fixup_f64 v[41:42], v[39:40], v[3:4], 1.0
	v_mul_f64 v[3:4], v[1:2], -v[41:42]
	v_xor_b32_e32 v2, 0x80000000, v42
	v_mov_b32_e32 v1, v41
.LBB16_6:
	s_or_b32 exec_lo, exec_lo, s9
	buffer_store_dword v4, v46, s[0:3], 0 offen offset:12
	v_xor_b32_e32 v4, 0x80000000, v4
	buffer_store_dword v42, v46, s[0:3], 0 offen offset:4
	buffer_store_dword v41, v46, s[0:3], 0 offen
	buffer_store_dword v3, v46, s[0:3], 0 offen offset:8
	s_branch .LBB16_8
.LBB16_7:
	v_mov_b32_e32 v1, 0
	v_mov_b32_e32 v3, 0
	v_mov_b32_e32 v2, 0xbff00000
	v_mov_b32_e32 v4, 0
.LBB16_8:
	v_add_nc_u32_e32 v40, 0x110, v45
	v_mov_b32_e32 v39, v45
	s_mov_b32 s22, 16
	s_mov_b32 s21, 32
	;; [unrolled: 1-line block ×15, first 2 shown]
	s_cmpk_eq_i32 s8, 0x79
	ds_write_b128 v45, v[1:4]
	s_cbranch_scc1 .LBB16_132
; %bb.9:
	v_mov_b32_e32 v4, s7
	v_cmp_eq_u32_e64 s4, 16, v0
	s_clause 0x3
	buffer_load_dword v1, v4, s[0:3], 0 offen
	buffer_load_dword v2, v4, s[0:3], 0 offen offset:4
	buffer_load_dword v3, v4, s[0:3], 0 offen offset:8
	;; [unrolled: 1-line block ×3, first 2 shown]
	s_waitcnt vmcnt(0)
	ds_write_b128 v40, v[1:4]
	s_waitcnt lgkmcnt(0)
	s_waitcnt_vscnt null, 0x0
	s_barrier
	buffer_gl0_inv
	s_and_saveexec_b32 s5, s4
	s_cbranch_execz .LBB16_13
; %bb.10:
	ds_read_b128 v[1:4], v40
	s_andn2_b32 vcc_lo, exec_lo, s23
	s_cbranch_vccnz .LBB16_12
; %bb.11:
	s_clause 0x3
	buffer_load_dword v41, v39, s[0:3], 0 offen offset:8
	buffer_load_dword v42, v39, s[0:3], 0 offen offset:12
	buffer_load_dword v43, v39, s[0:3], 0 offen
	buffer_load_dword v44, v39, s[0:3], 0 offen offset:4
	s_waitcnt vmcnt(2) lgkmcnt(0)
	v_mul_f64 v[46:47], v[3:4], v[41:42]
	v_mul_f64 v[41:42], v[1:2], v[41:42]
	s_waitcnt vmcnt(0)
	v_fma_f64 v[1:2], v[1:2], v[43:44], -v[46:47]
	v_fma_f64 v[3:4], v[3:4], v[43:44], v[41:42]
.LBB16_12:
	v_mov_b32_e32 v41, 0
	ds_read_b128 v[41:44], v41 offset:240
	s_waitcnt lgkmcnt(0)
	v_mul_f64 v[46:47], v[3:4], v[43:44]
	v_mul_f64 v[43:44], v[1:2], v[43:44]
	v_fma_f64 v[1:2], v[1:2], v[41:42], -v[46:47]
	v_fma_f64 v[3:4], v[3:4], v[41:42], v[43:44]
	buffer_store_dword v2, off, s[0:3], 0 offset:244
	buffer_store_dword v1, off, s[0:3], 0 offset:240
	;; [unrolled: 1-line block ×4, first 2 shown]
.LBB16_13:
	s_or_b32 exec_lo, exec_lo, s5
	v_mov_b32_e32 v4, s9
	v_cmp_lt_u32_e64 s5, 14, v0
	s_clause 0x3
	buffer_load_dword v1, v4, s[0:3], 0 offen
	buffer_load_dword v2, v4, s[0:3], 0 offen offset:4
	buffer_load_dword v3, v4, s[0:3], 0 offen offset:8
	;; [unrolled: 1-line block ×3, first 2 shown]
	s_waitcnt vmcnt(0)
	ds_write_b128 v40, v[1:4]
	s_waitcnt lgkmcnt(0)
	s_waitcnt_vscnt null, 0x0
	s_barrier
	buffer_gl0_inv
	s_and_saveexec_b32 s8, s5
	s_cbranch_execz .LBB16_19
; %bb.14:
	ds_read_b128 v[1:4], v40
	s_andn2_b32 vcc_lo, exec_lo, s23
	s_cbranch_vccnz .LBB16_16
; %bb.15:
	s_clause 0x3
	buffer_load_dword v41, v39, s[0:3], 0 offen offset:8
	buffer_load_dword v42, v39, s[0:3], 0 offen offset:12
	buffer_load_dword v43, v39, s[0:3], 0 offen
	buffer_load_dword v44, v39, s[0:3], 0 offen offset:4
	s_waitcnt vmcnt(2) lgkmcnt(0)
	v_mul_f64 v[46:47], v[3:4], v[41:42]
	v_mul_f64 v[41:42], v[1:2], v[41:42]
	s_waitcnt vmcnt(0)
	v_fma_f64 v[1:2], v[1:2], v[43:44], -v[46:47]
	v_fma_f64 v[3:4], v[3:4], v[43:44], v[41:42]
.LBB16_16:
	s_and_saveexec_b32 s24, s4
	s_cbranch_execz .LBB16_18
; %bb.17:
	s_clause 0x3
	buffer_load_dword v46, off, s[0:3], 0 offset:248
	buffer_load_dword v47, off, s[0:3], 0 offset:252
	;; [unrolled: 1-line block ×4, first 2 shown]
	v_mov_b32_e32 v41, 0
	ds_read_b128 v[41:44], v41 offset:512
	s_waitcnt vmcnt(2) lgkmcnt(0)
	v_mul_f64 v[50:51], v[41:42], v[46:47]
	v_mul_f64 v[46:47], v[43:44], v[46:47]
	s_waitcnt vmcnt(0)
	v_fma_f64 v[43:44], v[43:44], v[48:49], v[50:51]
	v_fma_f64 v[41:42], v[41:42], v[48:49], -v[46:47]
	v_add_f64 v[3:4], v[3:4], v[43:44]
	v_add_f64 v[1:2], v[1:2], v[41:42]
.LBB16_18:
	s_or_b32 exec_lo, exec_lo, s24
	v_mov_b32_e32 v41, 0
	ds_read_b128 v[41:44], v41 offset:224
	s_waitcnt lgkmcnt(0)
	v_mul_f64 v[46:47], v[3:4], v[43:44]
	v_mul_f64 v[43:44], v[1:2], v[43:44]
	v_fma_f64 v[1:2], v[1:2], v[41:42], -v[46:47]
	v_fma_f64 v[3:4], v[3:4], v[41:42], v[43:44]
	buffer_store_dword v2, off, s[0:3], 0 offset:228
	buffer_store_dword v1, off, s[0:3], 0 offset:224
	;; [unrolled: 1-line block ×4, first 2 shown]
.LBB16_19:
	s_or_b32 exec_lo, exec_lo, s8
	v_mov_b32_e32 v4, s10
	v_cmp_lt_u32_e64 s4, 13, v0
	s_clause 0x3
	buffer_load_dword v1, v4, s[0:3], 0 offen
	buffer_load_dword v2, v4, s[0:3], 0 offen offset:4
	buffer_load_dword v3, v4, s[0:3], 0 offen offset:8
	;; [unrolled: 1-line block ×3, first 2 shown]
	s_waitcnt vmcnt(0)
	ds_write_b128 v40, v[1:4]
	s_waitcnt lgkmcnt(0)
	s_waitcnt_vscnt null, 0x0
	s_barrier
	buffer_gl0_inv
	s_and_saveexec_b32 s8, s4
	s_cbranch_execz .LBB16_27
; %bb.20:
	ds_read_b128 v[1:4], v40
	s_andn2_b32 vcc_lo, exec_lo, s23
	s_cbranch_vccnz .LBB16_22
; %bb.21:
	s_clause 0x3
	buffer_load_dword v41, v39, s[0:3], 0 offen offset:8
	buffer_load_dword v42, v39, s[0:3], 0 offen offset:12
	buffer_load_dword v43, v39, s[0:3], 0 offen
	buffer_load_dword v44, v39, s[0:3], 0 offen offset:4
	s_waitcnt vmcnt(2) lgkmcnt(0)
	v_mul_f64 v[46:47], v[3:4], v[41:42]
	v_mul_f64 v[41:42], v[1:2], v[41:42]
	s_waitcnt vmcnt(0)
	v_fma_f64 v[1:2], v[1:2], v[43:44], -v[46:47]
	v_fma_f64 v[3:4], v[3:4], v[43:44], v[41:42]
.LBB16_22:
	s_and_saveexec_b32 s24, s5
	s_cbranch_execz .LBB16_26
; %bb.23:
	v_add_nc_u32_e32 v41, -14, v0
	s_movk_i32 s25, 0x1f0
	s_mov_b32 s5, 0
	s_mov_b32 s26, s9
	.p2align	6
.LBB16_24:                              ; =>This Inner Loop Header: Depth=1
	v_mov_b32_e32 v44, s26
	v_add_nc_u32_e32 v41, -1, v41
	s_add_i32 s26, s26, 16
	s_clause 0x3
	buffer_load_dword v42, v44, s[0:3], 0 offen offset:8
	buffer_load_dword v43, v44, s[0:3], 0 offen offset:12
	buffer_load_dword v50, v44, s[0:3], 0 offen
	buffer_load_dword v51, v44, s[0:3], 0 offen offset:4
	v_mov_b32_e32 v44, s25
	v_cmp_eq_u32_e32 vcc_lo, 0, v41
	s_add_i32 s25, s25, 16
	ds_read_b128 v[46:49], v44
	s_or_b32 s5, vcc_lo, s5
	s_waitcnt vmcnt(2) lgkmcnt(0)
	v_mul_f64 v[52:53], v[48:49], v[42:43]
	v_mul_f64 v[42:43], v[46:47], v[42:43]
	s_waitcnt vmcnt(0)
	v_fma_f64 v[46:47], v[46:47], v[50:51], -v[52:53]
	v_fma_f64 v[42:43], v[48:49], v[50:51], v[42:43]
	v_add_f64 v[1:2], v[1:2], v[46:47]
	v_add_f64 v[3:4], v[3:4], v[42:43]
	s_andn2_b32 exec_lo, exec_lo, s5
	s_cbranch_execnz .LBB16_24
; %bb.25:
	s_or_b32 exec_lo, exec_lo, s5
.LBB16_26:
	s_or_b32 exec_lo, exec_lo, s24
	v_mov_b32_e32 v41, 0
	ds_read_b128 v[41:44], v41 offset:208
	s_waitcnt lgkmcnt(0)
	v_mul_f64 v[46:47], v[3:4], v[43:44]
	v_mul_f64 v[43:44], v[1:2], v[43:44]
	v_fma_f64 v[1:2], v[1:2], v[41:42], -v[46:47]
	v_fma_f64 v[3:4], v[3:4], v[41:42], v[43:44]
	buffer_store_dword v2, off, s[0:3], 0 offset:212
	buffer_store_dword v1, off, s[0:3], 0 offset:208
	;; [unrolled: 1-line block ×4, first 2 shown]
.LBB16_27:
	s_or_b32 exec_lo, exec_lo, s8
	v_mov_b32_e32 v4, s11
	v_cmp_lt_u32_e64 s5, 12, v0
	s_clause 0x3
	buffer_load_dword v1, v4, s[0:3], 0 offen
	buffer_load_dword v2, v4, s[0:3], 0 offen offset:4
	buffer_load_dword v3, v4, s[0:3], 0 offen offset:8
	;; [unrolled: 1-line block ×3, first 2 shown]
	s_waitcnt vmcnt(0)
	ds_write_b128 v40, v[1:4]
	s_waitcnt lgkmcnt(0)
	s_waitcnt_vscnt null, 0x0
	s_barrier
	buffer_gl0_inv
	s_and_saveexec_b32 s8, s5
	s_cbranch_execz .LBB16_35
; %bb.28:
	ds_read_b128 v[1:4], v40
	s_andn2_b32 vcc_lo, exec_lo, s23
	s_cbranch_vccnz .LBB16_30
; %bb.29:
	s_clause 0x3
	buffer_load_dword v41, v39, s[0:3], 0 offen offset:8
	buffer_load_dword v42, v39, s[0:3], 0 offen offset:12
	buffer_load_dword v43, v39, s[0:3], 0 offen
	buffer_load_dword v44, v39, s[0:3], 0 offen offset:4
	s_waitcnt vmcnt(2) lgkmcnt(0)
	v_mul_f64 v[46:47], v[3:4], v[41:42]
	v_mul_f64 v[41:42], v[1:2], v[41:42]
	s_waitcnt vmcnt(0)
	v_fma_f64 v[1:2], v[1:2], v[43:44], -v[46:47]
	v_fma_f64 v[3:4], v[3:4], v[43:44], v[41:42]
.LBB16_30:
	s_and_saveexec_b32 s24, s4
	s_cbranch_execz .LBB16_34
; %bb.31:
	v_add_nc_u32_e32 v41, -13, v0
	s_movk_i32 s25, 0x1e0
	s_mov_b32 s4, 0
	s_mov_b32 s26, s10
	.p2align	6
.LBB16_32:                              ; =>This Inner Loop Header: Depth=1
	v_mov_b32_e32 v44, s26
	v_add_nc_u32_e32 v41, -1, v41
	s_add_i32 s26, s26, 16
	s_clause 0x3
	buffer_load_dword v42, v44, s[0:3], 0 offen offset:8
	buffer_load_dword v43, v44, s[0:3], 0 offen offset:12
	buffer_load_dword v50, v44, s[0:3], 0 offen
	buffer_load_dword v51, v44, s[0:3], 0 offen offset:4
	v_mov_b32_e32 v44, s25
	v_cmp_eq_u32_e32 vcc_lo, 0, v41
	s_add_i32 s25, s25, 16
	ds_read_b128 v[46:49], v44
	s_or_b32 s4, vcc_lo, s4
	s_waitcnt vmcnt(2) lgkmcnt(0)
	v_mul_f64 v[52:53], v[48:49], v[42:43]
	v_mul_f64 v[42:43], v[46:47], v[42:43]
	s_waitcnt vmcnt(0)
	v_fma_f64 v[46:47], v[46:47], v[50:51], -v[52:53]
	v_fma_f64 v[42:43], v[48:49], v[50:51], v[42:43]
	v_add_f64 v[1:2], v[1:2], v[46:47]
	v_add_f64 v[3:4], v[3:4], v[42:43]
	s_andn2_b32 exec_lo, exec_lo, s4
	s_cbranch_execnz .LBB16_32
; %bb.33:
	s_or_b32 exec_lo, exec_lo, s4
.LBB16_34:
	s_or_b32 exec_lo, exec_lo, s24
	v_mov_b32_e32 v41, 0
	ds_read_b128 v[41:44], v41 offset:192
	s_waitcnt lgkmcnt(0)
	v_mul_f64 v[46:47], v[3:4], v[43:44]
	v_mul_f64 v[43:44], v[1:2], v[43:44]
	v_fma_f64 v[1:2], v[1:2], v[41:42], -v[46:47]
	v_fma_f64 v[3:4], v[3:4], v[41:42], v[43:44]
	buffer_store_dword v2, off, s[0:3], 0 offset:196
	buffer_store_dword v1, off, s[0:3], 0 offset:192
	;; [unrolled: 1-line block ×4, first 2 shown]
.LBB16_35:
	s_or_b32 exec_lo, exec_lo, s8
	v_mov_b32_e32 v4, s12
	v_cmp_lt_u32_e64 s4, 11, v0
	s_clause 0x3
	buffer_load_dword v1, v4, s[0:3], 0 offen
	buffer_load_dword v2, v4, s[0:3], 0 offen offset:4
	buffer_load_dword v3, v4, s[0:3], 0 offen offset:8
	buffer_load_dword v4, v4, s[0:3], 0 offen offset:12
	s_waitcnt vmcnt(0)
	ds_write_b128 v40, v[1:4]
	s_waitcnt lgkmcnt(0)
	s_waitcnt_vscnt null, 0x0
	s_barrier
	buffer_gl0_inv
	s_and_saveexec_b32 s8, s4
	s_cbranch_execz .LBB16_43
; %bb.36:
	ds_read_b128 v[1:4], v40
	s_andn2_b32 vcc_lo, exec_lo, s23
	s_cbranch_vccnz .LBB16_38
; %bb.37:
	s_clause 0x3
	buffer_load_dword v41, v39, s[0:3], 0 offen offset:8
	buffer_load_dword v42, v39, s[0:3], 0 offen offset:12
	buffer_load_dword v43, v39, s[0:3], 0 offen
	buffer_load_dword v44, v39, s[0:3], 0 offen offset:4
	s_waitcnt vmcnt(2) lgkmcnt(0)
	v_mul_f64 v[46:47], v[3:4], v[41:42]
	v_mul_f64 v[41:42], v[1:2], v[41:42]
	s_waitcnt vmcnt(0)
	v_fma_f64 v[1:2], v[1:2], v[43:44], -v[46:47]
	v_fma_f64 v[3:4], v[3:4], v[43:44], v[41:42]
.LBB16_38:
	s_and_saveexec_b32 s24, s5
	s_cbranch_execz .LBB16_42
; %bb.39:
	v_add_nc_u32_e32 v41, -12, v0
	s_movk_i32 s25, 0x1d0
	s_mov_b32 s5, 0
	s_mov_b32 s26, s11
	.p2align	6
.LBB16_40:                              ; =>This Inner Loop Header: Depth=1
	v_mov_b32_e32 v44, s26
	v_add_nc_u32_e32 v41, -1, v41
	s_add_i32 s26, s26, 16
	s_clause 0x3
	buffer_load_dword v42, v44, s[0:3], 0 offen offset:8
	buffer_load_dword v43, v44, s[0:3], 0 offen offset:12
	buffer_load_dword v50, v44, s[0:3], 0 offen
	buffer_load_dword v51, v44, s[0:3], 0 offen offset:4
	v_mov_b32_e32 v44, s25
	v_cmp_eq_u32_e32 vcc_lo, 0, v41
	s_add_i32 s25, s25, 16
	ds_read_b128 v[46:49], v44
	s_or_b32 s5, vcc_lo, s5
	s_waitcnt vmcnt(2) lgkmcnt(0)
	v_mul_f64 v[52:53], v[48:49], v[42:43]
	v_mul_f64 v[42:43], v[46:47], v[42:43]
	s_waitcnt vmcnt(0)
	v_fma_f64 v[46:47], v[46:47], v[50:51], -v[52:53]
	v_fma_f64 v[42:43], v[48:49], v[50:51], v[42:43]
	v_add_f64 v[1:2], v[1:2], v[46:47]
	v_add_f64 v[3:4], v[3:4], v[42:43]
	s_andn2_b32 exec_lo, exec_lo, s5
	s_cbranch_execnz .LBB16_40
; %bb.41:
	s_or_b32 exec_lo, exec_lo, s5
.LBB16_42:
	s_or_b32 exec_lo, exec_lo, s24
	v_mov_b32_e32 v41, 0
	ds_read_b128 v[41:44], v41 offset:176
	s_waitcnt lgkmcnt(0)
	v_mul_f64 v[46:47], v[3:4], v[43:44]
	v_mul_f64 v[43:44], v[1:2], v[43:44]
	v_fma_f64 v[1:2], v[1:2], v[41:42], -v[46:47]
	v_fma_f64 v[3:4], v[3:4], v[41:42], v[43:44]
	buffer_store_dword v2, off, s[0:3], 0 offset:180
	buffer_store_dword v1, off, s[0:3], 0 offset:176
	;; [unrolled: 1-line block ×4, first 2 shown]
.LBB16_43:
	s_or_b32 exec_lo, exec_lo, s8
	v_mov_b32_e32 v4, s13
	v_cmp_lt_u32_e64 s5, 10, v0
	s_clause 0x3
	buffer_load_dword v1, v4, s[0:3], 0 offen
	buffer_load_dword v2, v4, s[0:3], 0 offen offset:4
	buffer_load_dword v3, v4, s[0:3], 0 offen offset:8
	;; [unrolled: 1-line block ×3, first 2 shown]
	s_waitcnt vmcnt(0)
	ds_write_b128 v40, v[1:4]
	s_waitcnt lgkmcnt(0)
	s_waitcnt_vscnt null, 0x0
	s_barrier
	buffer_gl0_inv
	s_and_saveexec_b32 s8, s5
	s_cbranch_execz .LBB16_51
; %bb.44:
	ds_read_b128 v[1:4], v40
	s_andn2_b32 vcc_lo, exec_lo, s23
	s_cbranch_vccnz .LBB16_46
; %bb.45:
	s_clause 0x3
	buffer_load_dword v41, v39, s[0:3], 0 offen offset:8
	buffer_load_dword v42, v39, s[0:3], 0 offen offset:12
	buffer_load_dword v43, v39, s[0:3], 0 offen
	buffer_load_dword v44, v39, s[0:3], 0 offen offset:4
	s_waitcnt vmcnt(2) lgkmcnt(0)
	v_mul_f64 v[46:47], v[3:4], v[41:42]
	v_mul_f64 v[41:42], v[1:2], v[41:42]
	s_waitcnt vmcnt(0)
	v_fma_f64 v[1:2], v[1:2], v[43:44], -v[46:47]
	v_fma_f64 v[3:4], v[3:4], v[43:44], v[41:42]
.LBB16_46:
	s_and_saveexec_b32 s24, s4
	s_cbranch_execz .LBB16_50
; %bb.47:
	v_add_nc_u32_e32 v41, -11, v0
	s_movk_i32 s25, 0x1c0
	s_mov_b32 s4, 0
	s_mov_b32 s26, s12
	.p2align	6
.LBB16_48:                              ; =>This Inner Loop Header: Depth=1
	v_mov_b32_e32 v44, s26
	v_add_nc_u32_e32 v41, -1, v41
	s_add_i32 s26, s26, 16
	s_clause 0x3
	buffer_load_dword v42, v44, s[0:3], 0 offen offset:8
	buffer_load_dword v43, v44, s[0:3], 0 offen offset:12
	buffer_load_dword v50, v44, s[0:3], 0 offen
	buffer_load_dword v51, v44, s[0:3], 0 offen offset:4
	v_mov_b32_e32 v44, s25
	v_cmp_eq_u32_e32 vcc_lo, 0, v41
	s_add_i32 s25, s25, 16
	ds_read_b128 v[46:49], v44
	s_or_b32 s4, vcc_lo, s4
	s_waitcnt vmcnt(2) lgkmcnt(0)
	v_mul_f64 v[52:53], v[48:49], v[42:43]
	v_mul_f64 v[42:43], v[46:47], v[42:43]
	s_waitcnt vmcnt(0)
	v_fma_f64 v[46:47], v[46:47], v[50:51], -v[52:53]
	v_fma_f64 v[42:43], v[48:49], v[50:51], v[42:43]
	v_add_f64 v[1:2], v[1:2], v[46:47]
	v_add_f64 v[3:4], v[3:4], v[42:43]
	s_andn2_b32 exec_lo, exec_lo, s4
	s_cbranch_execnz .LBB16_48
; %bb.49:
	s_or_b32 exec_lo, exec_lo, s4
.LBB16_50:
	s_or_b32 exec_lo, exec_lo, s24
	v_mov_b32_e32 v41, 0
	ds_read_b128 v[41:44], v41 offset:160
	s_waitcnt lgkmcnt(0)
	v_mul_f64 v[46:47], v[3:4], v[43:44]
	v_mul_f64 v[43:44], v[1:2], v[43:44]
	v_fma_f64 v[1:2], v[1:2], v[41:42], -v[46:47]
	v_fma_f64 v[3:4], v[3:4], v[41:42], v[43:44]
	buffer_store_dword v2, off, s[0:3], 0 offset:164
	buffer_store_dword v1, off, s[0:3], 0 offset:160
	;; [unrolled: 1-line block ×4, first 2 shown]
.LBB16_51:
	s_or_b32 exec_lo, exec_lo, s8
	v_mov_b32_e32 v4, s14
	v_cmp_lt_u32_e64 s4, 9, v0
	s_clause 0x3
	buffer_load_dword v1, v4, s[0:3], 0 offen
	buffer_load_dword v2, v4, s[0:3], 0 offen offset:4
	buffer_load_dword v3, v4, s[0:3], 0 offen offset:8
	;; [unrolled: 1-line block ×3, first 2 shown]
	s_waitcnt vmcnt(0)
	ds_write_b128 v40, v[1:4]
	s_waitcnt lgkmcnt(0)
	s_waitcnt_vscnt null, 0x0
	s_barrier
	buffer_gl0_inv
	s_and_saveexec_b32 s8, s4
	s_cbranch_execz .LBB16_59
; %bb.52:
	ds_read_b128 v[1:4], v40
	s_andn2_b32 vcc_lo, exec_lo, s23
	s_cbranch_vccnz .LBB16_54
; %bb.53:
	s_clause 0x3
	buffer_load_dword v41, v39, s[0:3], 0 offen offset:8
	buffer_load_dword v42, v39, s[0:3], 0 offen offset:12
	buffer_load_dword v43, v39, s[0:3], 0 offen
	buffer_load_dword v44, v39, s[0:3], 0 offen offset:4
	s_waitcnt vmcnt(2) lgkmcnt(0)
	v_mul_f64 v[46:47], v[3:4], v[41:42]
	v_mul_f64 v[41:42], v[1:2], v[41:42]
	s_waitcnt vmcnt(0)
	v_fma_f64 v[1:2], v[1:2], v[43:44], -v[46:47]
	v_fma_f64 v[3:4], v[3:4], v[43:44], v[41:42]
.LBB16_54:
	s_and_saveexec_b32 s24, s5
	s_cbranch_execz .LBB16_58
; %bb.55:
	v_add_nc_u32_e32 v41, -10, v0
	s_movk_i32 s25, 0x1b0
	s_mov_b32 s5, 0
	s_mov_b32 s26, s13
	.p2align	6
.LBB16_56:                              ; =>This Inner Loop Header: Depth=1
	v_mov_b32_e32 v44, s26
	v_add_nc_u32_e32 v41, -1, v41
	s_add_i32 s26, s26, 16
	s_clause 0x3
	buffer_load_dword v42, v44, s[0:3], 0 offen offset:8
	buffer_load_dword v43, v44, s[0:3], 0 offen offset:12
	buffer_load_dword v50, v44, s[0:3], 0 offen
	buffer_load_dword v51, v44, s[0:3], 0 offen offset:4
	v_mov_b32_e32 v44, s25
	v_cmp_eq_u32_e32 vcc_lo, 0, v41
	s_add_i32 s25, s25, 16
	ds_read_b128 v[46:49], v44
	s_or_b32 s5, vcc_lo, s5
	s_waitcnt vmcnt(2) lgkmcnt(0)
	v_mul_f64 v[52:53], v[48:49], v[42:43]
	v_mul_f64 v[42:43], v[46:47], v[42:43]
	s_waitcnt vmcnt(0)
	v_fma_f64 v[46:47], v[46:47], v[50:51], -v[52:53]
	v_fma_f64 v[42:43], v[48:49], v[50:51], v[42:43]
	v_add_f64 v[1:2], v[1:2], v[46:47]
	v_add_f64 v[3:4], v[3:4], v[42:43]
	s_andn2_b32 exec_lo, exec_lo, s5
	s_cbranch_execnz .LBB16_56
; %bb.57:
	s_or_b32 exec_lo, exec_lo, s5
.LBB16_58:
	s_or_b32 exec_lo, exec_lo, s24
	v_mov_b32_e32 v41, 0
	ds_read_b128 v[41:44], v41 offset:144
	s_waitcnt lgkmcnt(0)
	v_mul_f64 v[46:47], v[3:4], v[43:44]
	v_mul_f64 v[43:44], v[1:2], v[43:44]
	v_fma_f64 v[1:2], v[1:2], v[41:42], -v[46:47]
	v_fma_f64 v[3:4], v[3:4], v[41:42], v[43:44]
	buffer_store_dword v2, off, s[0:3], 0 offset:148
	buffer_store_dword v1, off, s[0:3], 0 offset:144
	;; [unrolled: 1-line block ×4, first 2 shown]
.LBB16_59:
	s_or_b32 exec_lo, exec_lo, s8
	v_mov_b32_e32 v4, s15
	v_cmp_lt_u32_e64 s5, 8, v0
	s_clause 0x3
	buffer_load_dword v1, v4, s[0:3], 0 offen
	buffer_load_dword v2, v4, s[0:3], 0 offen offset:4
	buffer_load_dword v3, v4, s[0:3], 0 offen offset:8
	;; [unrolled: 1-line block ×3, first 2 shown]
	s_waitcnt vmcnt(0)
	ds_write_b128 v40, v[1:4]
	s_waitcnt lgkmcnt(0)
	s_waitcnt_vscnt null, 0x0
	s_barrier
	buffer_gl0_inv
	s_and_saveexec_b32 s8, s5
	s_cbranch_execz .LBB16_67
; %bb.60:
	ds_read_b128 v[1:4], v40
	s_andn2_b32 vcc_lo, exec_lo, s23
	s_cbranch_vccnz .LBB16_62
; %bb.61:
	s_clause 0x3
	buffer_load_dword v41, v39, s[0:3], 0 offen offset:8
	buffer_load_dword v42, v39, s[0:3], 0 offen offset:12
	buffer_load_dword v43, v39, s[0:3], 0 offen
	buffer_load_dword v44, v39, s[0:3], 0 offen offset:4
	s_waitcnt vmcnt(2) lgkmcnt(0)
	v_mul_f64 v[46:47], v[3:4], v[41:42]
	v_mul_f64 v[41:42], v[1:2], v[41:42]
	s_waitcnt vmcnt(0)
	v_fma_f64 v[1:2], v[1:2], v[43:44], -v[46:47]
	v_fma_f64 v[3:4], v[3:4], v[43:44], v[41:42]
.LBB16_62:
	s_and_saveexec_b32 s24, s4
	s_cbranch_execz .LBB16_66
; %bb.63:
	v_add_nc_u32_e32 v41, -9, v0
	s_movk_i32 s25, 0x1a0
	s_mov_b32 s4, 0
	s_mov_b32 s26, s14
	.p2align	6
.LBB16_64:                              ; =>This Inner Loop Header: Depth=1
	v_mov_b32_e32 v44, s26
	v_add_nc_u32_e32 v41, -1, v41
	s_add_i32 s26, s26, 16
	s_clause 0x3
	buffer_load_dword v42, v44, s[0:3], 0 offen offset:8
	buffer_load_dword v43, v44, s[0:3], 0 offen offset:12
	buffer_load_dword v50, v44, s[0:3], 0 offen
	buffer_load_dword v51, v44, s[0:3], 0 offen offset:4
	v_mov_b32_e32 v44, s25
	v_cmp_eq_u32_e32 vcc_lo, 0, v41
	s_add_i32 s25, s25, 16
	ds_read_b128 v[46:49], v44
	s_or_b32 s4, vcc_lo, s4
	s_waitcnt vmcnt(2) lgkmcnt(0)
	v_mul_f64 v[52:53], v[48:49], v[42:43]
	v_mul_f64 v[42:43], v[46:47], v[42:43]
	s_waitcnt vmcnt(0)
	v_fma_f64 v[46:47], v[46:47], v[50:51], -v[52:53]
	v_fma_f64 v[42:43], v[48:49], v[50:51], v[42:43]
	v_add_f64 v[1:2], v[1:2], v[46:47]
	v_add_f64 v[3:4], v[3:4], v[42:43]
	s_andn2_b32 exec_lo, exec_lo, s4
	s_cbranch_execnz .LBB16_64
; %bb.65:
	s_or_b32 exec_lo, exec_lo, s4
.LBB16_66:
	s_or_b32 exec_lo, exec_lo, s24
	v_mov_b32_e32 v41, 0
	ds_read_b128 v[41:44], v41 offset:128
	s_waitcnt lgkmcnt(0)
	v_mul_f64 v[46:47], v[3:4], v[43:44]
	v_mul_f64 v[43:44], v[1:2], v[43:44]
	v_fma_f64 v[1:2], v[1:2], v[41:42], -v[46:47]
	v_fma_f64 v[3:4], v[3:4], v[41:42], v[43:44]
	buffer_store_dword v2, off, s[0:3], 0 offset:132
	buffer_store_dword v1, off, s[0:3], 0 offset:128
	;; [unrolled: 1-line block ×4, first 2 shown]
.LBB16_67:
	s_or_b32 exec_lo, exec_lo, s8
	v_mov_b32_e32 v4, s16
	v_cmp_lt_u32_e64 s4, 7, v0
	s_clause 0x3
	buffer_load_dword v1, v4, s[0:3], 0 offen
	buffer_load_dword v2, v4, s[0:3], 0 offen offset:4
	buffer_load_dword v3, v4, s[0:3], 0 offen offset:8
	;; [unrolled: 1-line block ×3, first 2 shown]
	s_waitcnt vmcnt(0)
	ds_write_b128 v40, v[1:4]
	s_waitcnt lgkmcnt(0)
	s_waitcnt_vscnt null, 0x0
	s_barrier
	buffer_gl0_inv
	s_and_saveexec_b32 s8, s4
	s_cbranch_execz .LBB16_75
; %bb.68:
	ds_read_b128 v[1:4], v40
	s_andn2_b32 vcc_lo, exec_lo, s23
	s_cbranch_vccnz .LBB16_70
; %bb.69:
	s_clause 0x3
	buffer_load_dword v41, v39, s[0:3], 0 offen offset:8
	buffer_load_dword v42, v39, s[0:3], 0 offen offset:12
	buffer_load_dword v43, v39, s[0:3], 0 offen
	buffer_load_dword v44, v39, s[0:3], 0 offen offset:4
	s_waitcnt vmcnt(2) lgkmcnt(0)
	v_mul_f64 v[46:47], v[3:4], v[41:42]
	v_mul_f64 v[41:42], v[1:2], v[41:42]
	s_waitcnt vmcnt(0)
	v_fma_f64 v[1:2], v[1:2], v[43:44], -v[46:47]
	v_fma_f64 v[3:4], v[3:4], v[43:44], v[41:42]
.LBB16_70:
	s_and_saveexec_b32 s24, s5
	s_cbranch_execz .LBB16_74
; %bb.71:
	v_add_nc_u32_e32 v41, -8, v0
	s_movk_i32 s25, 0x190
	s_mov_b32 s5, 0
	s_mov_b32 s26, s15
	.p2align	6
.LBB16_72:                              ; =>This Inner Loop Header: Depth=1
	v_mov_b32_e32 v44, s26
	v_add_nc_u32_e32 v41, -1, v41
	s_add_i32 s26, s26, 16
	s_clause 0x3
	buffer_load_dword v42, v44, s[0:3], 0 offen offset:8
	buffer_load_dword v43, v44, s[0:3], 0 offen offset:12
	buffer_load_dword v50, v44, s[0:3], 0 offen
	buffer_load_dword v51, v44, s[0:3], 0 offen offset:4
	v_mov_b32_e32 v44, s25
	v_cmp_eq_u32_e32 vcc_lo, 0, v41
	s_add_i32 s25, s25, 16
	ds_read_b128 v[46:49], v44
	s_or_b32 s5, vcc_lo, s5
	s_waitcnt vmcnt(2) lgkmcnt(0)
	v_mul_f64 v[52:53], v[48:49], v[42:43]
	v_mul_f64 v[42:43], v[46:47], v[42:43]
	s_waitcnt vmcnt(0)
	v_fma_f64 v[46:47], v[46:47], v[50:51], -v[52:53]
	v_fma_f64 v[42:43], v[48:49], v[50:51], v[42:43]
	v_add_f64 v[1:2], v[1:2], v[46:47]
	v_add_f64 v[3:4], v[3:4], v[42:43]
	s_andn2_b32 exec_lo, exec_lo, s5
	s_cbranch_execnz .LBB16_72
; %bb.73:
	s_or_b32 exec_lo, exec_lo, s5
.LBB16_74:
	s_or_b32 exec_lo, exec_lo, s24
	v_mov_b32_e32 v41, 0
	ds_read_b128 v[41:44], v41 offset:112
	s_waitcnt lgkmcnt(0)
	v_mul_f64 v[46:47], v[3:4], v[43:44]
	v_mul_f64 v[43:44], v[1:2], v[43:44]
	v_fma_f64 v[1:2], v[1:2], v[41:42], -v[46:47]
	v_fma_f64 v[3:4], v[3:4], v[41:42], v[43:44]
	buffer_store_dword v2, off, s[0:3], 0 offset:116
	buffer_store_dword v1, off, s[0:3], 0 offset:112
	;; [unrolled: 1-line block ×4, first 2 shown]
.LBB16_75:
	s_or_b32 exec_lo, exec_lo, s8
	v_mov_b32_e32 v4, s17
	v_cmp_lt_u32_e64 s5, 6, v0
	s_clause 0x3
	buffer_load_dword v1, v4, s[0:3], 0 offen
	buffer_load_dword v2, v4, s[0:3], 0 offen offset:4
	buffer_load_dword v3, v4, s[0:3], 0 offen offset:8
	;; [unrolled: 1-line block ×3, first 2 shown]
	s_waitcnt vmcnt(0)
	ds_write_b128 v40, v[1:4]
	s_waitcnt lgkmcnt(0)
	s_waitcnt_vscnt null, 0x0
	s_barrier
	buffer_gl0_inv
	s_and_saveexec_b32 s8, s5
	s_cbranch_execz .LBB16_83
; %bb.76:
	ds_read_b128 v[1:4], v40
	s_andn2_b32 vcc_lo, exec_lo, s23
	s_cbranch_vccnz .LBB16_78
; %bb.77:
	s_clause 0x3
	buffer_load_dword v41, v39, s[0:3], 0 offen offset:8
	buffer_load_dword v42, v39, s[0:3], 0 offen offset:12
	buffer_load_dword v43, v39, s[0:3], 0 offen
	buffer_load_dword v44, v39, s[0:3], 0 offen offset:4
	s_waitcnt vmcnt(2) lgkmcnt(0)
	v_mul_f64 v[46:47], v[3:4], v[41:42]
	v_mul_f64 v[41:42], v[1:2], v[41:42]
	s_waitcnt vmcnt(0)
	v_fma_f64 v[1:2], v[1:2], v[43:44], -v[46:47]
	v_fma_f64 v[3:4], v[3:4], v[43:44], v[41:42]
.LBB16_78:
	s_and_saveexec_b32 s24, s4
	s_cbranch_execz .LBB16_82
; %bb.79:
	v_add_nc_u32_e32 v41, -7, v0
	s_movk_i32 s25, 0x180
	s_mov_b32 s4, 0
	s_mov_b32 s26, s16
	.p2align	6
.LBB16_80:                              ; =>This Inner Loop Header: Depth=1
	v_mov_b32_e32 v44, s26
	v_add_nc_u32_e32 v41, -1, v41
	s_add_i32 s26, s26, 16
	s_clause 0x3
	buffer_load_dword v42, v44, s[0:3], 0 offen offset:8
	buffer_load_dword v43, v44, s[0:3], 0 offen offset:12
	buffer_load_dword v50, v44, s[0:3], 0 offen
	buffer_load_dword v51, v44, s[0:3], 0 offen offset:4
	v_mov_b32_e32 v44, s25
	v_cmp_eq_u32_e32 vcc_lo, 0, v41
	s_add_i32 s25, s25, 16
	ds_read_b128 v[46:49], v44
	s_or_b32 s4, vcc_lo, s4
	s_waitcnt vmcnt(2) lgkmcnt(0)
	v_mul_f64 v[52:53], v[48:49], v[42:43]
	v_mul_f64 v[42:43], v[46:47], v[42:43]
	s_waitcnt vmcnt(0)
	v_fma_f64 v[46:47], v[46:47], v[50:51], -v[52:53]
	v_fma_f64 v[42:43], v[48:49], v[50:51], v[42:43]
	v_add_f64 v[1:2], v[1:2], v[46:47]
	v_add_f64 v[3:4], v[3:4], v[42:43]
	s_andn2_b32 exec_lo, exec_lo, s4
	s_cbranch_execnz .LBB16_80
; %bb.81:
	s_or_b32 exec_lo, exec_lo, s4
.LBB16_82:
	s_or_b32 exec_lo, exec_lo, s24
	v_mov_b32_e32 v41, 0
	ds_read_b128 v[41:44], v41 offset:96
	s_waitcnt lgkmcnt(0)
	v_mul_f64 v[46:47], v[3:4], v[43:44]
	v_mul_f64 v[43:44], v[1:2], v[43:44]
	v_fma_f64 v[1:2], v[1:2], v[41:42], -v[46:47]
	v_fma_f64 v[3:4], v[3:4], v[41:42], v[43:44]
	buffer_store_dword v2, off, s[0:3], 0 offset:100
	buffer_store_dword v1, off, s[0:3], 0 offset:96
	buffer_store_dword v4, off, s[0:3], 0 offset:108
	buffer_store_dword v3, off, s[0:3], 0 offset:104
.LBB16_83:
	s_or_b32 exec_lo, exec_lo, s8
	v_mov_b32_e32 v4, s18
	v_cmp_lt_u32_e64 s4, 5, v0
	s_clause 0x3
	buffer_load_dword v1, v4, s[0:3], 0 offen
	buffer_load_dword v2, v4, s[0:3], 0 offen offset:4
	buffer_load_dword v3, v4, s[0:3], 0 offen offset:8
	;; [unrolled: 1-line block ×3, first 2 shown]
	s_waitcnt vmcnt(0)
	ds_write_b128 v40, v[1:4]
	s_waitcnt lgkmcnt(0)
	s_waitcnt_vscnt null, 0x0
	s_barrier
	buffer_gl0_inv
	s_and_saveexec_b32 s8, s4
	s_cbranch_execz .LBB16_91
; %bb.84:
	ds_read_b128 v[1:4], v40
	s_andn2_b32 vcc_lo, exec_lo, s23
	s_cbranch_vccnz .LBB16_86
; %bb.85:
	s_clause 0x3
	buffer_load_dword v41, v39, s[0:3], 0 offen offset:8
	buffer_load_dword v42, v39, s[0:3], 0 offen offset:12
	buffer_load_dword v43, v39, s[0:3], 0 offen
	buffer_load_dword v44, v39, s[0:3], 0 offen offset:4
	s_waitcnt vmcnt(2) lgkmcnt(0)
	v_mul_f64 v[46:47], v[3:4], v[41:42]
	v_mul_f64 v[41:42], v[1:2], v[41:42]
	s_waitcnt vmcnt(0)
	v_fma_f64 v[1:2], v[1:2], v[43:44], -v[46:47]
	v_fma_f64 v[3:4], v[3:4], v[43:44], v[41:42]
.LBB16_86:
	s_and_saveexec_b32 s24, s5
	s_cbranch_execz .LBB16_90
; %bb.87:
	v_add_nc_u32_e32 v41, -6, v0
	s_movk_i32 s25, 0x170
	s_mov_b32 s5, 0
	s_mov_b32 s26, s17
	.p2align	6
.LBB16_88:                              ; =>This Inner Loop Header: Depth=1
	v_mov_b32_e32 v44, s26
	v_add_nc_u32_e32 v41, -1, v41
	s_add_i32 s26, s26, 16
	s_clause 0x3
	buffer_load_dword v42, v44, s[0:3], 0 offen offset:8
	buffer_load_dword v43, v44, s[0:3], 0 offen offset:12
	buffer_load_dword v50, v44, s[0:3], 0 offen
	buffer_load_dword v51, v44, s[0:3], 0 offen offset:4
	v_mov_b32_e32 v44, s25
	v_cmp_eq_u32_e32 vcc_lo, 0, v41
	s_add_i32 s25, s25, 16
	ds_read_b128 v[46:49], v44
	s_or_b32 s5, vcc_lo, s5
	s_waitcnt vmcnt(2) lgkmcnt(0)
	v_mul_f64 v[52:53], v[48:49], v[42:43]
	v_mul_f64 v[42:43], v[46:47], v[42:43]
	s_waitcnt vmcnt(0)
	v_fma_f64 v[46:47], v[46:47], v[50:51], -v[52:53]
	v_fma_f64 v[42:43], v[48:49], v[50:51], v[42:43]
	v_add_f64 v[1:2], v[1:2], v[46:47]
	v_add_f64 v[3:4], v[3:4], v[42:43]
	s_andn2_b32 exec_lo, exec_lo, s5
	s_cbranch_execnz .LBB16_88
; %bb.89:
	s_or_b32 exec_lo, exec_lo, s5
.LBB16_90:
	s_or_b32 exec_lo, exec_lo, s24
	v_mov_b32_e32 v41, 0
	ds_read_b128 v[41:44], v41 offset:80
	s_waitcnt lgkmcnt(0)
	v_mul_f64 v[46:47], v[3:4], v[43:44]
	v_mul_f64 v[43:44], v[1:2], v[43:44]
	v_fma_f64 v[1:2], v[1:2], v[41:42], -v[46:47]
	v_fma_f64 v[3:4], v[3:4], v[41:42], v[43:44]
	buffer_store_dword v2, off, s[0:3], 0 offset:84
	buffer_store_dword v1, off, s[0:3], 0 offset:80
	;; [unrolled: 1-line block ×4, first 2 shown]
.LBB16_91:
	s_or_b32 exec_lo, exec_lo, s8
	v_mov_b32_e32 v4, s19
	v_cmp_lt_u32_e64 s5, 4, v0
	s_clause 0x3
	buffer_load_dword v1, v4, s[0:3], 0 offen
	buffer_load_dword v2, v4, s[0:3], 0 offen offset:4
	buffer_load_dword v3, v4, s[0:3], 0 offen offset:8
	;; [unrolled: 1-line block ×3, first 2 shown]
	s_waitcnt vmcnt(0)
	ds_write_b128 v40, v[1:4]
	s_waitcnt lgkmcnt(0)
	s_waitcnt_vscnt null, 0x0
	s_barrier
	buffer_gl0_inv
	s_and_saveexec_b32 s8, s5
	s_cbranch_execz .LBB16_99
; %bb.92:
	ds_read_b128 v[1:4], v40
	s_andn2_b32 vcc_lo, exec_lo, s23
	s_cbranch_vccnz .LBB16_94
; %bb.93:
	s_clause 0x3
	buffer_load_dword v41, v39, s[0:3], 0 offen offset:8
	buffer_load_dword v42, v39, s[0:3], 0 offen offset:12
	buffer_load_dword v43, v39, s[0:3], 0 offen
	buffer_load_dword v44, v39, s[0:3], 0 offen offset:4
	s_waitcnt vmcnt(2) lgkmcnt(0)
	v_mul_f64 v[46:47], v[3:4], v[41:42]
	v_mul_f64 v[41:42], v[1:2], v[41:42]
	s_waitcnt vmcnt(0)
	v_fma_f64 v[1:2], v[1:2], v[43:44], -v[46:47]
	v_fma_f64 v[3:4], v[3:4], v[43:44], v[41:42]
.LBB16_94:
	s_and_saveexec_b32 s24, s4
	s_cbranch_execz .LBB16_98
; %bb.95:
	v_add_nc_u32_e32 v41, -5, v0
	s_movk_i32 s25, 0x160
	s_mov_b32 s4, 0
	s_mov_b32 s26, s18
	.p2align	6
.LBB16_96:                              ; =>This Inner Loop Header: Depth=1
	v_mov_b32_e32 v44, s26
	v_add_nc_u32_e32 v41, -1, v41
	s_add_i32 s26, s26, 16
	s_clause 0x3
	buffer_load_dword v42, v44, s[0:3], 0 offen offset:8
	buffer_load_dword v43, v44, s[0:3], 0 offen offset:12
	buffer_load_dword v50, v44, s[0:3], 0 offen
	buffer_load_dword v51, v44, s[0:3], 0 offen offset:4
	v_mov_b32_e32 v44, s25
	v_cmp_eq_u32_e32 vcc_lo, 0, v41
	s_add_i32 s25, s25, 16
	ds_read_b128 v[46:49], v44
	s_or_b32 s4, vcc_lo, s4
	s_waitcnt vmcnt(2) lgkmcnt(0)
	v_mul_f64 v[52:53], v[48:49], v[42:43]
	v_mul_f64 v[42:43], v[46:47], v[42:43]
	s_waitcnt vmcnt(0)
	v_fma_f64 v[46:47], v[46:47], v[50:51], -v[52:53]
	v_fma_f64 v[42:43], v[48:49], v[50:51], v[42:43]
	v_add_f64 v[1:2], v[1:2], v[46:47]
	v_add_f64 v[3:4], v[3:4], v[42:43]
	s_andn2_b32 exec_lo, exec_lo, s4
	s_cbranch_execnz .LBB16_96
; %bb.97:
	s_or_b32 exec_lo, exec_lo, s4
.LBB16_98:
	s_or_b32 exec_lo, exec_lo, s24
	v_mov_b32_e32 v41, 0
	ds_read_b128 v[41:44], v41 offset:64
	s_waitcnt lgkmcnt(0)
	v_mul_f64 v[46:47], v[3:4], v[43:44]
	v_mul_f64 v[43:44], v[1:2], v[43:44]
	v_fma_f64 v[1:2], v[1:2], v[41:42], -v[46:47]
	v_fma_f64 v[3:4], v[3:4], v[41:42], v[43:44]
	buffer_store_dword v2, off, s[0:3], 0 offset:68
	buffer_store_dword v1, off, s[0:3], 0 offset:64
	;; [unrolled: 1-line block ×4, first 2 shown]
.LBB16_99:
	s_or_b32 exec_lo, exec_lo, s8
	v_mov_b32_e32 v4, s20
	v_cmp_lt_u32_e64 s4, 3, v0
	s_clause 0x3
	buffer_load_dword v1, v4, s[0:3], 0 offen
	buffer_load_dword v2, v4, s[0:3], 0 offen offset:4
	buffer_load_dword v3, v4, s[0:3], 0 offen offset:8
	;; [unrolled: 1-line block ×3, first 2 shown]
	s_waitcnt vmcnt(0)
	ds_write_b128 v40, v[1:4]
	s_waitcnt lgkmcnt(0)
	s_waitcnt_vscnt null, 0x0
	s_barrier
	buffer_gl0_inv
	s_and_saveexec_b32 s8, s4
	s_cbranch_execz .LBB16_107
; %bb.100:
	ds_read_b128 v[1:4], v40
	s_andn2_b32 vcc_lo, exec_lo, s23
	s_cbranch_vccnz .LBB16_102
; %bb.101:
	s_clause 0x3
	buffer_load_dword v41, v39, s[0:3], 0 offen offset:8
	buffer_load_dword v42, v39, s[0:3], 0 offen offset:12
	buffer_load_dword v43, v39, s[0:3], 0 offen
	buffer_load_dword v44, v39, s[0:3], 0 offen offset:4
	s_waitcnt vmcnt(2) lgkmcnt(0)
	v_mul_f64 v[46:47], v[3:4], v[41:42]
	v_mul_f64 v[41:42], v[1:2], v[41:42]
	s_waitcnt vmcnt(0)
	v_fma_f64 v[1:2], v[1:2], v[43:44], -v[46:47]
	v_fma_f64 v[3:4], v[3:4], v[43:44], v[41:42]
.LBB16_102:
	s_and_saveexec_b32 s24, s5
	s_cbranch_execz .LBB16_106
; %bb.103:
	v_add_nc_u32_e32 v41, -4, v0
	s_movk_i32 s25, 0x150
	s_mov_b32 s5, 0
	s_mov_b32 s26, s19
	.p2align	6
.LBB16_104:                             ; =>This Inner Loop Header: Depth=1
	v_mov_b32_e32 v44, s26
	v_add_nc_u32_e32 v41, -1, v41
	s_add_i32 s26, s26, 16
	s_clause 0x3
	buffer_load_dword v42, v44, s[0:3], 0 offen offset:8
	buffer_load_dword v43, v44, s[0:3], 0 offen offset:12
	buffer_load_dword v50, v44, s[0:3], 0 offen
	buffer_load_dword v51, v44, s[0:3], 0 offen offset:4
	v_mov_b32_e32 v44, s25
	v_cmp_eq_u32_e32 vcc_lo, 0, v41
	s_add_i32 s25, s25, 16
	ds_read_b128 v[46:49], v44
	s_or_b32 s5, vcc_lo, s5
	s_waitcnt vmcnt(2) lgkmcnt(0)
	v_mul_f64 v[52:53], v[48:49], v[42:43]
	v_mul_f64 v[42:43], v[46:47], v[42:43]
	s_waitcnt vmcnt(0)
	v_fma_f64 v[46:47], v[46:47], v[50:51], -v[52:53]
	v_fma_f64 v[42:43], v[48:49], v[50:51], v[42:43]
	v_add_f64 v[1:2], v[1:2], v[46:47]
	v_add_f64 v[3:4], v[3:4], v[42:43]
	s_andn2_b32 exec_lo, exec_lo, s5
	s_cbranch_execnz .LBB16_104
; %bb.105:
	s_or_b32 exec_lo, exec_lo, s5
.LBB16_106:
	s_or_b32 exec_lo, exec_lo, s24
	v_mov_b32_e32 v41, 0
	ds_read_b128 v[41:44], v41 offset:48
	s_waitcnt lgkmcnt(0)
	v_mul_f64 v[46:47], v[3:4], v[43:44]
	v_mul_f64 v[43:44], v[1:2], v[43:44]
	v_fma_f64 v[1:2], v[1:2], v[41:42], -v[46:47]
	v_fma_f64 v[3:4], v[3:4], v[41:42], v[43:44]
	buffer_store_dword v2, off, s[0:3], 0 offset:52
	buffer_store_dword v1, off, s[0:3], 0 offset:48
	;; [unrolled: 1-line block ×4, first 2 shown]
.LBB16_107:
	s_or_b32 exec_lo, exec_lo, s8
	v_mov_b32_e32 v4, s21
	v_cmp_lt_u32_e64 s5, 2, v0
	s_clause 0x3
	buffer_load_dword v1, v4, s[0:3], 0 offen
	buffer_load_dword v2, v4, s[0:3], 0 offen offset:4
	buffer_load_dword v3, v4, s[0:3], 0 offen offset:8
	;; [unrolled: 1-line block ×3, first 2 shown]
	s_waitcnt vmcnt(0)
	ds_write_b128 v40, v[1:4]
	s_waitcnt lgkmcnt(0)
	s_waitcnt_vscnt null, 0x0
	s_barrier
	buffer_gl0_inv
	s_and_saveexec_b32 s8, s5
	s_cbranch_execz .LBB16_115
; %bb.108:
	ds_read_b128 v[1:4], v40
	s_andn2_b32 vcc_lo, exec_lo, s23
	s_cbranch_vccnz .LBB16_110
; %bb.109:
	s_clause 0x3
	buffer_load_dword v41, v39, s[0:3], 0 offen offset:8
	buffer_load_dword v42, v39, s[0:3], 0 offen offset:12
	buffer_load_dword v43, v39, s[0:3], 0 offen
	buffer_load_dword v44, v39, s[0:3], 0 offen offset:4
	s_waitcnt vmcnt(2) lgkmcnt(0)
	v_mul_f64 v[46:47], v[3:4], v[41:42]
	v_mul_f64 v[41:42], v[1:2], v[41:42]
	s_waitcnt vmcnt(0)
	v_fma_f64 v[1:2], v[1:2], v[43:44], -v[46:47]
	v_fma_f64 v[3:4], v[3:4], v[43:44], v[41:42]
.LBB16_110:
	s_and_saveexec_b32 s24, s4
	s_cbranch_execz .LBB16_114
; %bb.111:
	v_add_nc_u32_e32 v41, -3, v0
	s_movk_i32 s25, 0x140
	s_mov_b32 s4, 0
	s_mov_b32 s26, s20
	.p2align	6
.LBB16_112:                             ; =>This Inner Loop Header: Depth=1
	v_mov_b32_e32 v44, s26
	v_add_nc_u32_e32 v41, -1, v41
	s_add_i32 s26, s26, 16
	s_clause 0x3
	buffer_load_dword v42, v44, s[0:3], 0 offen offset:8
	buffer_load_dword v43, v44, s[0:3], 0 offen offset:12
	buffer_load_dword v50, v44, s[0:3], 0 offen
	buffer_load_dword v51, v44, s[0:3], 0 offen offset:4
	v_mov_b32_e32 v44, s25
	v_cmp_eq_u32_e32 vcc_lo, 0, v41
	s_add_i32 s25, s25, 16
	ds_read_b128 v[46:49], v44
	s_or_b32 s4, vcc_lo, s4
	s_waitcnt vmcnt(2) lgkmcnt(0)
	v_mul_f64 v[52:53], v[48:49], v[42:43]
	v_mul_f64 v[42:43], v[46:47], v[42:43]
	s_waitcnt vmcnt(0)
	v_fma_f64 v[46:47], v[46:47], v[50:51], -v[52:53]
	v_fma_f64 v[42:43], v[48:49], v[50:51], v[42:43]
	v_add_f64 v[1:2], v[1:2], v[46:47]
	v_add_f64 v[3:4], v[3:4], v[42:43]
	s_andn2_b32 exec_lo, exec_lo, s4
	s_cbranch_execnz .LBB16_112
; %bb.113:
	s_or_b32 exec_lo, exec_lo, s4
.LBB16_114:
	s_or_b32 exec_lo, exec_lo, s24
	v_mov_b32_e32 v41, 0
	ds_read_b128 v[41:44], v41 offset:32
	s_waitcnt lgkmcnt(0)
	v_mul_f64 v[46:47], v[3:4], v[43:44]
	v_mul_f64 v[43:44], v[1:2], v[43:44]
	v_fma_f64 v[1:2], v[1:2], v[41:42], -v[46:47]
	v_fma_f64 v[3:4], v[3:4], v[41:42], v[43:44]
	buffer_store_dword v2, off, s[0:3], 0 offset:36
	buffer_store_dword v1, off, s[0:3], 0 offset:32
	;; [unrolled: 1-line block ×4, first 2 shown]
.LBB16_115:
	s_or_b32 exec_lo, exec_lo, s8
	v_mov_b32_e32 v4, s22
	v_cmp_lt_u32_e64 s4, 1, v0
	s_clause 0x3
	buffer_load_dword v1, v4, s[0:3], 0 offen
	buffer_load_dword v2, v4, s[0:3], 0 offen offset:4
	buffer_load_dword v3, v4, s[0:3], 0 offen offset:8
	;; [unrolled: 1-line block ×3, first 2 shown]
	s_waitcnt vmcnt(0)
	ds_write_b128 v40, v[1:4]
	s_waitcnt lgkmcnt(0)
	s_waitcnt_vscnt null, 0x0
	s_barrier
	buffer_gl0_inv
	s_and_saveexec_b32 s8, s4
	s_cbranch_execz .LBB16_123
; %bb.116:
	ds_read_b128 v[1:4], v40
	s_andn2_b32 vcc_lo, exec_lo, s23
	s_cbranch_vccnz .LBB16_118
; %bb.117:
	s_clause 0x3
	buffer_load_dword v41, v39, s[0:3], 0 offen offset:8
	buffer_load_dword v42, v39, s[0:3], 0 offen offset:12
	buffer_load_dword v43, v39, s[0:3], 0 offen
	buffer_load_dword v44, v39, s[0:3], 0 offen offset:4
	s_waitcnt vmcnt(2) lgkmcnt(0)
	v_mul_f64 v[46:47], v[3:4], v[41:42]
	v_mul_f64 v[41:42], v[1:2], v[41:42]
	s_waitcnt vmcnt(0)
	v_fma_f64 v[1:2], v[1:2], v[43:44], -v[46:47]
	v_fma_f64 v[3:4], v[3:4], v[43:44], v[41:42]
.LBB16_118:
	s_and_saveexec_b32 s24, s5
	s_cbranch_execz .LBB16_122
; %bb.119:
	v_add_nc_u32_e32 v41, -2, v0
	s_movk_i32 s25, 0x130
	s_mov_b32 s5, 0
	s_mov_b32 s26, s21
	.p2align	6
.LBB16_120:                             ; =>This Inner Loop Header: Depth=1
	v_mov_b32_e32 v44, s26
	v_add_nc_u32_e32 v41, -1, v41
	s_add_i32 s26, s26, 16
	s_clause 0x3
	buffer_load_dword v42, v44, s[0:3], 0 offen offset:8
	buffer_load_dword v43, v44, s[0:3], 0 offen offset:12
	buffer_load_dword v50, v44, s[0:3], 0 offen
	buffer_load_dword v51, v44, s[0:3], 0 offen offset:4
	v_mov_b32_e32 v44, s25
	v_cmp_eq_u32_e32 vcc_lo, 0, v41
	s_add_i32 s25, s25, 16
	ds_read_b128 v[46:49], v44
	s_or_b32 s5, vcc_lo, s5
	s_waitcnt vmcnt(2) lgkmcnt(0)
	v_mul_f64 v[52:53], v[48:49], v[42:43]
	v_mul_f64 v[42:43], v[46:47], v[42:43]
	s_waitcnt vmcnt(0)
	v_fma_f64 v[46:47], v[46:47], v[50:51], -v[52:53]
	v_fma_f64 v[42:43], v[48:49], v[50:51], v[42:43]
	v_add_f64 v[1:2], v[1:2], v[46:47]
	v_add_f64 v[3:4], v[3:4], v[42:43]
	s_andn2_b32 exec_lo, exec_lo, s5
	s_cbranch_execnz .LBB16_120
; %bb.121:
	s_or_b32 exec_lo, exec_lo, s5
.LBB16_122:
	s_or_b32 exec_lo, exec_lo, s24
	v_mov_b32_e32 v41, 0
	ds_read_b128 v[41:44], v41 offset:16
	s_waitcnt lgkmcnt(0)
	v_mul_f64 v[46:47], v[3:4], v[43:44]
	v_mul_f64 v[43:44], v[1:2], v[43:44]
	v_fma_f64 v[1:2], v[1:2], v[41:42], -v[46:47]
	v_fma_f64 v[3:4], v[3:4], v[41:42], v[43:44]
	buffer_store_dword v2, off, s[0:3], 0 offset:20
	buffer_store_dword v1, off, s[0:3], 0 offset:16
	;; [unrolled: 1-line block ×4, first 2 shown]
.LBB16_123:
	s_or_b32 exec_lo, exec_lo, s8
	s_clause 0x3
	buffer_load_dword v1, off, s[0:3], 0
	buffer_load_dword v2, off, s[0:3], 0 offset:4
	buffer_load_dword v3, off, s[0:3], 0 offset:8
	;; [unrolled: 1-line block ×3, first 2 shown]
	s_mov_b32 s8, 0
	s_mov_b32 s5, 0
	s_mov_b32 s24, exec_lo
                                        ; implicit-def: $sgpr25
	s_waitcnt vmcnt(0)
	ds_write_b128 v40, v[1:4]
	s_waitcnt lgkmcnt(0)
	s_waitcnt_vscnt null, 0x0
	s_barrier
	buffer_gl0_inv
                                        ; implicit-def: $vgpr1_vgpr2
	v_cmpx_ne_u32_e32 0, v0
	s_cbranch_execz .LBB16_131
; %bb.124:
	ds_read_b128 v[1:4], v40
	s_andn2_b32 vcc_lo, exec_lo, s23
	s_cbranch_vccnz .LBB16_126
; %bb.125:
	s_clause 0x3
	buffer_load_dword v41, v39, s[0:3], 0 offen offset:8
	buffer_load_dword v42, v39, s[0:3], 0 offen offset:12
	buffer_load_dword v43, v39, s[0:3], 0 offen
	buffer_load_dword v44, v39, s[0:3], 0 offen offset:4
	s_waitcnt vmcnt(2) lgkmcnt(0)
	v_mul_f64 v[46:47], v[3:4], v[41:42]
	v_mul_f64 v[41:42], v[1:2], v[41:42]
	s_waitcnt vmcnt(0)
	v_fma_f64 v[1:2], v[1:2], v[43:44], -v[46:47]
	v_fma_f64 v[3:4], v[3:4], v[43:44], v[41:42]
.LBB16_126:
	s_and_saveexec_b32 s5, s4
	s_cbranch_execz .LBB16_130
; %bb.127:
	v_add_nc_u32_e32 v41, -1, v0
	s_movk_i32 s25, 0x120
	s_mov_b32 s4, 0
	s_mov_b32 s26, s22
	.p2align	6
.LBB16_128:                             ; =>This Inner Loop Header: Depth=1
	v_mov_b32_e32 v44, s26
	v_add_nc_u32_e32 v41, -1, v41
	s_add_i32 s26, s26, 16
	s_clause 0x3
	buffer_load_dword v42, v44, s[0:3], 0 offen offset:8
	buffer_load_dword v43, v44, s[0:3], 0 offen offset:12
	buffer_load_dword v50, v44, s[0:3], 0 offen
	buffer_load_dword v51, v44, s[0:3], 0 offen offset:4
	v_mov_b32_e32 v44, s25
	v_cmp_eq_u32_e32 vcc_lo, 0, v41
	s_add_i32 s25, s25, 16
	ds_read_b128 v[46:49], v44
	s_or_b32 s4, vcc_lo, s4
	s_waitcnt vmcnt(2) lgkmcnt(0)
	v_mul_f64 v[52:53], v[48:49], v[42:43]
	v_mul_f64 v[42:43], v[46:47], v[42:43]
	s_waitcnt vmcnt(0)
	v_fma_f64 v[46:47], v[46:47], v[50:51], -v[52:53]
	v_fma_f64 v[42:43], v[48:49], v[50:51], v[42:43]
	v_add_f64 v[1:2], v[1:2], v[46:47]
	v_add_f64 v[3:4], v[3:4], v[42:43]
	s_andn2_b32 exec_lo, exec_lo, s4
	s_cbranch_execnz .LBB16_128
; %bb.129:
	s_or_b32 exec_lo, exec_lo, s4
.LBB16_130:
	s_or_b32 exec_lo, exec_lo, s5
	v_mov_b32_e32 v41, 0
	s_mov_b32 s5, exec_lo
	s_or_b32 s25, 0, 8
	ds_read_b128 v[41:44], v41
	s_waitcnt lgkmcnt(0)
	v_mul_f64 v[46:47], v[3:4], v[43:44]
	v_mul_f64 v[43:44], v[1:2], v[43:44]
	v_fma_f64 v[46:47], v[1:2], v[41:42], -v[46:47]
	v_fma_f64 v[1:2], v[3:4], v[41:42], v[43:44]
	buffer_store_dword v47, off, s[0:3], 0 offset:4
	buffer_store_dword v46, off, s[0:3], 0
.LBB16_131:
	s_or_b32 exec_lo, exec_lo, s24
	s_and_b32 vcc_lo, exec_lo, s8
	s_cbranch_vccnz .LBB16_133
	s_branch .LBB16_256
.LBB16_132:
	s_mov_b32 s5, 0
                                        ; implicit-def: $vgpr1_vgpr2
                                        ; implicit-def: $sgpr25
	s_cbranch_execz .LBB16_256
.LBB16_133:
	v_mov_b32_e32 v4, s22
	v_cmp_eq_u32_e64 s4, 0, v0
	v_cndmask_b32_e64 v41, 0, 1, s23
	s_clause 0x3
	buffer_load_dword v1, v4, s[0:3], 0 offen
	buffer_load_dword v2, v4, s[0:3], 0 offen offset:4
	buffer_load_dword v3, v4, s[0:3], 0 offen offset:8
	;; [unrolled: 1-line block ×3, first 2 shown]
	s_waitcnt vmcnt(0)
	ds_write_b128 v40, v[1:4]
	s_waitcnt lgkmcnt(0)
	s_waitcnt_vscnt null, 0x0
	s_barrier
	buffer_gl0_inv
	s_and_saveexec_b32 s8, s4
	s_cbranch_execz .LBB16_137
; %bb.134:
	ds_read_b128 v[1:4], v40
	s_andn2_b32 vcc_lo, exec_lo, s23
	s_cbranch_vccnz .LBB16_136
; %bb.135:
	s_clause 0x3
	buffer_load_dword v42, v39, s[0:3], 0 offen offset:8
	buffer_load_dword v43, v39, s[0:3], 0 offen offset:12
	buffer_load_dword v46, v39, s[0:3], 0 offen
	buffer_load_dword v47, v39, s[0:3], 0 offen offset:4
	s_waitcnt vmcnt(2) lgkmcnt(0)
	v_mul_f64 v[48:49], v[3:4], v[42:43]
	v_mul_f64 v[42:43], v[1:2], v[42:43]
	s_waitcnt vmcnt(0)
	v_fma_f64 v[1:2], v[1:2], v[46:47], -v[48:49]
	v_fma_f64 v[3:4], v[3:4], v[46:47], v[42:43]
.LBB16_136:
	v_mov_b32_e32 v42, 0
	ds_read_b128 v[46:49], v42 offset:16
	s_waitcnt lgkmcnt(0)
	v_mul_f64 v[42:43], v[3:4], v[48:49]
	v_mul_f64 v[48:49], v[1:2], v[48:49]
	v_fma_f64 v[1:2], v[1:2], v[46:47], -v[42:43]
	v_fma_f64 v[3:4], v[3:4], v[46:47], v[48:49]
	buffer_store_dword v2, off, s[0:3], 0 offset:20
	buffer_store_dword v1, off, s[0:3], 0 offset:16
	;; [unrolled: 1-line block ×4, first 2 shown]
.LBB16_137:
	s_or_b32 exec_lo, exec_lo, s8
	v_mov_b32_e32 v4, s21
	s_mov_b32 s8, exec_lo
	s_clause 0x3
	buffer_load_dword v1, v4, s[0:3], 0 offen
	buffer_load_dword v2, v4, s[0:3], 0 offen offset:4
	buffer_load_dword v3, v4, s[0:3], 0 offen offset:8
	;; [unrolled: 1-line block ×3, first 2 shown]
	s_waitcnt vmcnt(0)
	ds_write_b128 v40, v[1:4]
	s_waitcnt lgkmcnt(0)
	s_waitcnt_vscnt null, 0x0
	s_barrier
	buffer_gl0_inv
	v_cmpx_gt_u32_e32 2, v0
	s_cbranch_execz .LBB16_143
; %bb.138:
	ds_read_b128 v[1:4], v40
	v_cmp_ne_u32_e32 vcc_lo, 1, v41
	s_cbranch_vccnz .LBB16_140
; %bb.139:
	s_clause 0x3
	buffer_load_dword v42, v39, s[0:3], 0 offen offset:8
	buffer_load_dword v43, v39, s[0:3], 0 offen offset:12
	buffer_load_dword v46, v39, s[0:3], 0 offen
	buffer_load_dword v47, v39, s[0:3], 0 offen offset:4
	s_waitcnt vmcnt(2) lgkmcnt(0)
	v_mul_f64 v[48:49], v[3:4], v[42:43]
	v_mul_f64 v[42:43], v[1:2], v[42:43]
	s_waitcnt vmcnt(0)
	v_fma_f64 v[1:2], v[1:2], v[46:47], -v[48:49]
	v_fma_f64 v[3:4], v[3:4], v[46:47], v[42:43]
.LBB16_140:
	s_and_saveexec_b32 s23, s4
	s_cbranch_execz .LBB16_142
; %bb.141:
	s_clause 0x3
	buffer_load_dword v42, off, s[0:3], 0 offset:24
	buffer_load_dword v43, off, s[0:3], 0 offset:28
	buffer_load_dword v50, off, s[0:3], 0 offset:16
	buffer_load_dword v51, off, s[0:3], 0 offset:20
	v_mov_b32_e32 v44, 0
	ds_read_b128 v[46:49], v44 offset:288
	s_waitcnt vmcnt(2) lgkmcnt(0)
	v_mul_f64 v[52:53], v[48:49], v[42:43]
	v_mul_f64 v[42:43], v[46:47], v[42:43]
	s_waitcnt vmcnt(0)
	v_fma_f64 v[46:47], v[46:47], v[50:51], -v[52:53]
	v_fma_f64 v[42:43], v[48:49], v[50:51], v[42:43]
	v_add_f64 v[1:2], v[1:2], v[46:47]
	v_add_f64 v[3:4], v[3:4], v[42:43]
.LBB16_142:
	s_or_b32 exec_lo, exec_lo, s23
	v_mov_b32_e32 v42, 0
	ds_read_b128 v[46:49], v42 offset:32
	s_waitcnt lgkmcnt(0)
	v_mul_f64 v[42:43], v[3:4], v[48:49]
	v_mul_f64 v[48:49], v[1:2], v[48:49]
	v_fma_f64 v[1:2], v[1:2], v[46:47], -v[42:43]
	v_fma_f64 v[3:4], v[3:4], v[46:47], v[48:49]
	buffer_store_dword v2, off, s[0:3], 0 offset:36
	buffer_store_dword v1, off, s[0:3], 0 offset:32
	;; [unrolled: 1-line block ×4, first 2 shown]
.LBB16_143:
	s_or_b32 exec_lo, exec_lo, s8
	v_mov_b32_e32 v4, s20
	s_mov_b32 s8, exec_lo
	s_clause 0x3
	buffer_load_dword v1, v4, s[0:3], 0 offen
	buffer_load_dword v2, v4, s[0:3], 0 offen offset:4
	buffer_load_dword v3, v4, s[0:3], 0 offen offset:8
	;; [unrolled: 1-line block ×3, first 2 shown]
	s_waitcnt vmcnt(0)
	ds_write_b128 v40, v[1:4]
	s_waitcnt lgkmcnt(0)
	s_waitcnt_vscnt null, 0x0
	s_barrier
	buffer_gl0_inv
	v_cmpx_gt_u32_e32 3, v0
	s_cbranch_execz .LBB16_151
; %bb.144:
	ds_read_b128 v[1:4], v40
	v_cmp_ne_u32_e32 vcc_lo, 1, v41
	s_cbranch_vccnz .LBB16_146
; %bb.145:
	s_clause 0x3
	buffer_load_dword v42, v39, s[0:3], 0 offen offset:8
	buffer_load_dword v43, v39, s[0:3], 0 offen offset:12
	buffer_load_dword v46, v39, s[0:3], 0 offen
	buffer_load_dword v47, v39, s[0:3], 0 offen offset:4
	s_waitcnt vmcnt(2) lgkmcnt(0)
	v_mul_f64 v[48:49], v[3:4], v[42:43]
	v_mul_f64 v[42:43], v[1:2], v[42:43]
	s_waitcnt vmcnt(0)
	v_fma_f64 v[1:2], v[1:2], v[46:47], -v[48:49]
	v_fma_f64 v[3:4], v[3:4], v[46:47], v[42:43]
.LBB16_146:
	s_mov_b32 s23, exec_lo
	v_cmpx_ne_u32_e32 2, v0
	s_cbranch_execz .LBB16_150
; %bb.147:
	s_clause 0x3
	buffer_load_dword v42, v39, s[0:3], 0 offen offset:24
	buffer_load_dword v43, v39, s[0:3], 0 offen offset:28
	;; [unrolled: 1-line block ×4, first 2 shown]
	ds_read_b128 v[46:49], v40 offset:16
	s_waitcnt vmcnt(2) lgkmcnt(0)
	v_mul_f64 v[52:53], v[48:49], v[42:43]
	v_mul_f64 v[42:43], v[46:47], v[42:43]
	s_waitcnt vmcnt(0)
	v_fma_f64 v[46:47], v[46:47], v[50:51], -v[52:53]
	v_fma_f64 v[42:43], v[48:49], v[50:51], v[42:43]
	v_add_f64 v[1:2], v[1:2], v[46:47]
	v_add_f64 v[3:4], v[3:4], v[42:43]
	s_and_saveexec_b32 s24, s4
	s_cbranch_execz .LBB16_149
; %bb.148:
	s_clause 0x3
	buffer_load_dword v42, off, s[0:3], 0 offset:40
	buffer_load_dword v43, off, s[0:3], 0 offset:44
	;; [unrolled: 1-line block ×4, first 2 shown]
	v_mov_b32_e32 v44, 0
	ds_read_b128 v[46:49], v44 offset:304
	s_waitcnt vmcnt(2) lgkmcnt(0)
	v_mul_f64 v[52:53], v[46:47], v[42:43]
	v_mul_f64 v[42:43], v[48:49], v[42:43]
	s_waitcnt vmcnt(0)
	v_fma_f64 v[48:49], v[48:49], v[50:51], v[52:53]
	v_fma_f64 v[42:43], v[46:47], v[50:51], -v[42:43]
	v_add_f64 v[3:4], v[3:4], v[48:49]
	v_add_f64 v[1:2], v[1:2], v[42:43]
.LBB16_149:
	s_or_b32 exec_lo, exec_lo, s24
.LBB16_150:
	s_or_b32 exec_lo, exec_lo, s23
	v_mov_b32_e32 v42, 0
	ds_read_b128 v[46:49], v42 offset:48
	s_waitcnt lgkmcnt(0)
	v_mul_f64 v[42:43], v[3:4], v[48:49]
	v_mul_f64 v[48:49], v[1:2], v[48:49]
	v_fma_f64 v[1:2], v[1:2], v[46:47], -v[42:43]
	v_fma_f64 v[3:4], v[3:4], v[46:47], v[48:49]
	buffer_store_dword v2, off, s[0:3], 0 offset:52
	buffer_store_dword v1, off, s[0:3], 0 offset:48
	;; [unrolled: 1-line block ×4, first 2 shown]
.LBB16_151:
	s_or_b32 exec_lo, exec_lo, s8
	v_mov_b32_e32 v4, s19
	s_mov_b32 s4, exec_lo
	s_clause 0x3
	buffer_load_dword v1, v4, s[0:3], 0 offen
	buffer_load_dword v2, v4, s[0:3], 0 offen offset:4
	buffer_load_dword v3, v4, s[0:3], 0 offen offset:8
	;; [unrolled: 1-line block ×3, first 2 shown]
	s_waitcnt vmcnt(0)
	ds_write_b128 v40, v[1:4]
	s_waitcnt lgkmcnt(0)
	s_waitcnt_vscnt null, 0x0
	s_barrier
	buffer_gl0_inv
	v_cmpx_gt_u32_e32 4, v0
	s_cbranch_execz .LBB16_159
; %bb.152:
	ds_read_b128 v[1:4], v40
	v_cmp_ne_u32_e32 vcc_lo, 1, v41
	s_cbranch_vccnz .LBB16_154
; %bb.153:
	s_clause 0x3
	buffer_load_dword v42, v39, s[0:3], 0 offen offset:8
	buffer_load_dword v43, v39, s[0:3], 0 offen offset:12
	buffer_load_dword v46, v39, s[0:3], 0 offen
	buffer_load_dword v47, v39, s[0:3], 0 offen offset:4
	s_waitcnt vmcnt(2) lgkmcnt(0)
	v_mul_f64 v[48:49], v[3:4], v[42:43]
	v_mul_f64 v[42:43], v[1:2], v[42:43]
	s_waitcnt vmcnt(0)
	v_fma_f64 v[1:2], v[1:2], v[46:47], -v[48:49]
	v_fma_f64 v[3:4], v[3:4], v[46:47], v[42:43]
.LBB16_154:
	s_mov_b32 s8, exec_lo
	v_cmpx_ne_u32_e32 3, v0
	s_cbranch_execz .LBB16_158
; %bb.155:
	v_add_nc_u32_e32 v42, 0x120, v45
	v_add3_u32 v43, 0, v45, 16
	v_mov_b32_e32 v44, v0
	s_mov_b32 s23, 0
	.p2align	6
.LBB16_156:                             ; =>This Inner Loop Header: Depth=1
	s_clause 0x3
	buffer_load_dword v50, v43, s[0:3], 0 offen offset:8
	buffer_load_dword v51, v43, s[0:3], 0 offen offset:12
	buffer_load_dword v52, v43, s[0:3], 0 offen
	buffer_load_dword v53, v43, s[0:3], 0 offen offset:4
	ds_read_b128 v[46:49], v42
	v_add_nc_u32_e32 v44, 1, v44
	v_add_nc_u32_e32 v42, 16, v42
	;; [unrolled: 1-line block ×3, first 2 shown]
	v_cmp_lt_u32_e32 vcc_lo, 2, v44
	s_or_b32 s23, vcc_lo, s23
	s_waitcnt vmcnt(2) lgkmcnt(0)
	v_mul_f64 v[54:55], v[48:49], v[50:51]
	v_mul_f64 v[50:51], v[46:47], v[50:51]
	s_waitcnt vmcnt(0)
	v_fma_f64 v[46:47], v[46:47], v[52:53], -v[54:55]
	v_fma_f64 v[48:49], v[48:49], v[52:53], v[50:51]
	v_add_f64 v[1:2], v[1:2], v[46:47]
	v_add_f64 v[3:4], v[3:4], v[48:49]
	s_andn2_b32 exec_lo, exec_lo, s23
	s_cbranch_execnz .LBB16_156
; %bb.157:
	s_or_b32 exec_lo, exec_lo, s23
.LBB16_158:
	s_or_b32 exec_lo, exec_lo, s8
	v_mov_b32_e32 v42, 0
	ds_read_b128 v[46:49], v42 offset:64
	s_waitcnt lgkmcnt(0)
	v_mul_f64 v[42:43], v[3:4], v[48:49]
	v_mul_f64 v[48:49], v[1:2], v[48:49]
	v_fma_f64 v[1:2], v[1:2], v[46:47], -v[42:43]
	v_fma_f64 v[3:4], v[3:4], v[46:47], v[48:49]
	buffer_store_dword v2, off, s[0:3], 0 offset:68
	buffer_store_dword v1, off, s[0:3], 0 offset:64
	;; [unrolled: 1-line block ×4, first 2 shown]
.LBB16_159:
	s_or_b32 exec_lo, exec_lo, s4
	v_mov_b32_e32 v4, s18
	s_mov_b32 s4, exec_lo
	s_clause 0x3
	buffer_load_dword v1, v4, s[0:3], 0 offen
	buffer_load_dword v2, v4, s[0:3], 0 offen offset:4
	buffer_load_dword v3, v4, s[0:3], 0 offen offset:8
	;; [unrolled: 1-line block ×3, first 2 shown]
	s_waitcnt vmcnt(0)
	ds_write_b128 v40, v[1:4]
	s_waitcnt lgkmcnt(0)
	s_waitcnt_vscnt null, 0x0
	s_barrier
	buffer_gl0_inv
	v_cmpx_gt_u32_e32 5, v0
	s_cbranch_execz .LBB16_167
; %bb.160:
	ds_read_b128 v[1:4], v40
	v_cmp_ne_u32_e32 vcc_lo, 1, v41
	s_cbranch_vccnz .LBB16_162
; %bb.161:
	s_clause 0x3
	buffer_load_dword v42, v39, s[0:3], 0 offen offset:8
	buffer_load_dword v43, v39, s[0:3], 0 offen offset:12
	buffer_load_dword v46, v39, s[0:3], 0 offen
	buffer_load_dword v47, v39, s[0:3], 0 offen offset:4
	s_waitcnt vmcnt(2) lgkmcnt(0)
	v_mul_f64 v[48:49], v[3:4], v[42:43]
	v_mul_f64 v[42:43], v[1:2], v[42:43]
	s_waitcnt vmcnt(0)
	v_fma_f64 v[1:2], v[1:2], v[46:47], -v[48:49]
	v_fma_f64 v[3:4], v[3:4], v[46:47], v[42:43]
.LBB16_162:
	s_mov_b32 s8, exec_lo
	v_cmpx_ne_u32_e32 4, v0
	s_cbranch_execz .LBB16_166
; %bb.163:
	v_add_nc_u32_e32 v42, 0x120, v45
	v_add3_u32 v43, 0, v45, 16
	v_mov_b32_e32 v44, v0
	s_mov_b32 s23, 0
	.p2align	6
.LBB16_164:                             ; =>This Inner Loop Header: Depth=1
	s_clause 0x3
	buffer_load_dword v50, v43, s[0:3], 0 offen offset:8
	buffer_load_dword v51, v43, s[0:3], 0 offen offset:12
	buffer_load_dword v52, v43, s[0:3], 0 offen
	buffer_load_dword v53, v43, s[0:3], 0 offen offset:4
	ds_read_b128 v[46:49], v42
	v_add_nc_u32_e32 v44, 1, v44
	v_add_nc_u32_e32 v42, 16, v42
	;; [unrolled: 1-line block ×3, first 2 shown]
	v_cmp_lt_u32_e32 vcc_lo, 3, v44
	s_or_b32 s23, vcc_lo, s23
	s_waitcnt vmcnt(2) lgkmcnt(0)
	v_mul_f64 v[54:55], v[48:49], v[50:51]
	v_mul_f64 v[50:51], v[46:47], v[50:51]
	s_waitcnt vmcnt(0)
	v_fma_f64 v[46:47], v[46:47], v[52:53], -v[54:55]
	v_fma_f64 v[48:49], v[48:49], v[52:53], v[50:51]
	v_add_f64 v[1:2], v[1:2], v[46:47]
	v_add_f64 v[3:4], v[3:4], v[48:49]
	s_andn2_b32 exec_lo, exec_lo, s23
	s_cbranch_execnz .LBB16_164
; %bb.165:
	s_or_b32 exec_lo, exec_lo, s23
.LBB16_166:
	s_or_b32 exec_lo, exec_lo, s8
	v_mov_b32_e32 v42, 0
	ds_read_b128 v[46:49], v42 offset:80
	s_waitcnt lgkmcnt(0)
	v_mul_f64 v[42:43], v[3:4], v[48:49]
	v_mul_f64 v[48:49], v[1:2], v[48:49]
	v_fma_f64 v[1:2], v[1:2], v[46:47], -v[42:43]
	v_fma_f64 v[3:4], v[3:4], v[46:47], v[48:49]
	buffer_store_dword v2, off, s[0:3], 0 offset:84
	buffer_store_dword v1, off, s[0:3], 0 offset:80
	;; [unrolled: 1-line block ×4, first 2 shown]
.LBB16_167:
	s_or_b32 exec_lo, exec_lo, s4
	v_mov_b32_e32 v4, s17
	s_mov_b32 s4, exec_lo
	s_clause 0x3
	buffer_load_dword v1, v4, s[0:3], 0 offen
	buffer_load_dword v2, v4, s[0:3], 0 offen offset:4
	buffer_load_dword v3, v4, s[0:3], 0 offen offset:8
	buffer_load_dword v4, v4, s[0:3], 0 offen offset:12
	s_waitcnt vmcnt(0)
	ds_write_b128 v40, v[1:4]
	s_waitcnt lgkmcnt(0)
	s_waitcnt_vscnt null, 0x0
	s_barrier
	buffer_gl0_inv
	v_cmpx_gt_u32_e32 6, v0
	s_cbranch_execz .LBB16_175
; %bb.168:
	ds_read_b128 v[1:4], v40
	v_cmp_ne_u32_e32 vcc_lo, 1, v41
	s_cbranch_vccnz .LBB16_170
; %bb.169:
	s_clause 0x3
	buffer_load_dword v42, v39, s[0:3], 0 offen offset:8
	buffer_load_dword v43, v39, s[0:3], 0 offen offset:12
	buffer_load_dword v46, v39, s[0:3], 0 offen
	buffer_load_dword v47, v39, s[0:3], 0 offen offset:4
	s_waitcnt vmcnt(2) lgkmcnt(0)
	v_mul_f64 v[48:49], v[3:4], v[42:43]
	v_mul_f64 v[42:43], v[1:2], v[42:43]
	s_waitcnt vmcnt(0)
	v_fma_f64 v[1:2], v[1:2], v[46:47], -v[48:49]
	v_fma_f64 v[3:4], v[3:4], v[46:47], v[42:43]
.LBB16_170:
	s_mov_b32 s8, exec_lo
	v_cmpx_ne_u32_e32 5, v0
	s_cbranch_execz .LBB16_174
; %bb.171:
	v_add_nc_u32_e32 v42, 0x120, v45
	v_add3_u32 v43, 0, v45, 16
	v_mov_b32_e32 v44, v0
	s_mov_b32 s23, 0
	.p2align	6
.LBB16_172:                             ; =>This Inner Loop Header: Depth=1
	s_clause 0x3
	buffer_load_dword v50, v43, s[0:3], 0 offen offset:8
	buffer_load_dword v51, v43, s[0:3], 0 offen offset:12
	buffer_load_dword v52, v43, s[0:3], 0 offen
	buffer_load_dword v53, v43, s[0:3], 0 offen offset:4
	ds_read_b128 v[46:49], v42
	v_add_nc_u32_e32 v44, 1, v44
	v_add_nc_u32_e32 v42, 16, v42
	v_add_nc_u32_e32 v43, 16, v43
	v_cmp_lt_u32_e32 vcc_lo, 4, v44
	s_or_b32 s23, vcc_lo, s23
	s_waitcnt vmcnt(2) lgkmcnt(0)
	v_mul_f64 v[54:55], v[48:49], v[50:51]
	v_mul_f64 v[50:51], v[46:47], v[50:51]
	s_waitcnt vmcnt(0)
	v_fma_f64 v[46:47], v[46:47], v[52:53], -v[54:55]
	v_fma_f64 v[48:49], v[48:49], v[52:53], v[50:51]
	v_add_f64 v[1:2], v[1:2], v[46:47]
	v_add_f64 v[3:4], v[3:4], v[48:49]
	s_andn2_b32 exec_lo, exec_lo, s23
	s_cbranch_execnz .LBB16_172
; %bb.173:
	s_or_b32 exec_lo, exec_lo, s23
.LBB16_174:
	s_or_b32 exec_lo, exec_lo, s8
	v_mov_b32_e32 v42, 0
	ds_read_b128 v[46:49], v42 offset:96
	s_waitcnt lgkmcnt(0)
	v_mul_f64 v[42:43], v[3:4], v[48:49]
	v_mul_f64 v[48:49], v[1:2], v[48:49]
	v_fma_f64 v[1:2], v[1:2], v[46:47], -v[42:43]
	v_fma_f64 v[3:4], v[3:4], v[46:47], v[48:49]
	buffer_store_dword v2, off, s[0:3], 0 offset:100
	buffer_store_dword v1, off, s[0:3], 0 offset:96
	;; [unrolled: 1-line block ×4, first 2 shown]
.LBB16_175:
	s_or_b32 exec_lo, exec_lo, s4
	v_mov_b32_e32 v4, s16
	s_mov_b32 s4, exec_lo
	s_clause 0x3
	buffer_load_dword v1, v4, s[0:3], 0 offen
	buffer_load_dword v2, v4, s[0:3], 0 offen offset:4
	buffer_load_dword v3, v4, s[0:3], 0 offen offset:8
	;; [unrolled: 1-line block ×3, first 2 shown]
	s_waitcnt vmcnt(0)
	ds_write_b128 v40, v[1:4]
	s_waitcnt lgkmcnt(0)
	s_waitcnt_vscnt null, 0x0
	s_barrier
	buffer_gl0_inv
	v_cmpx_gt_u32_e32 7, v0
	s_cbranch_execz .LBB16_183
; %bb.176:
	ds_read_b128 v[1:4], v40
	v_cmp_ne_u32_e32 vcc_lo, 1, v41
	s_cbranch_vccnz .LBB16_178
; %bb.177:
	s_clause 0x3
	buffer_load_dword v42, v39, s[0:3], 0 offen offset:8
	buffer_load_dword v43, v39, s[0:3], 0 offen offset:12
	buffer_load_dword v46, v39, s[0:3], 0 offen
	buffer_load_dword v47, v39, s[0:3], 0 offen offset:4
	s_waitcnt vmcnt(2) lgkmcnt(0)
	v_mul_f64 v[48:49], v[3:4], v[42:43]
	v_mul_f64 v[42:43], v[1:2], v[42:43]
	s_waitcnt vmcnt(0)
	v_fma_f64 v[1:2], v[1:2], v[46:47], -v[48:49]
	v_fma_f64 v[3:4], v[3:4], v[46:47], v[42:43]
.LBB16_178:
	s_mov_b32 s8, exec_lo
	v_cmpx_ne_u32_e32 6, v0
	s_cbranch_execz .LBB16_182
; %bb.179:
	v_add_nc_u32_e32 v42, 0x120, v45
	v_add3_u32 v43, 0, v45, 16
	v_mov_b32_e32 v44, v0
	s_mov_b32 s23, 0
	.p2align	6
.LBB16_180:                             ; =>This Inner Loop Header: Depth=1
	s_clause 0x3
	buffer_load_dword v50, v43, s[0:3], 0 offen offset:8
	buffer_load_dword v51, v43, s[0:3], 0 offen offset:12
	buffer_load_dword v52, v43, s[0:3], 0 offen
	buffer_load_dword v53, v43, s[0:3], 0 offen offset:4
	ds_read_b128 v[46:49], v42
	v_add_nc_u32_e32 v44, 1, v44
	v_add_nc_u32_e32 v42, 16, v42
	;; [unrolled: 1-line block ×3, first 2 shown]
	v_cmp_lt_u32_e32 vcc_lo, 5, v44
	s_or_b32 s23, vcc_lo, s23
	s_waitcnt vmcnt(2) lgkmcnt(0)
	v_mul_f64 v[54:55], v[48:49], v[50:51]
	v_mul_f64 v[50:51], v[46:47], v[50:51]
	s_waitcnt vmcnt(0)
	v_fma_f64 v[46:47], v[46:47], v[52:53], -v[54:55]
	v_fma_f64 v[48:49], v[48:49], v[52:53], v[50:51]
	v_add_f64 v[1:2], v[1:2], v[46:47]
	v_add_f64 v[3:4], v[3:4], v[48:49]
	s_andn2_b32 exec_lo, exec_lo, s23
	s_cbranch_execnz .LBB16_180
; %bb.181:
	s_or_b32 exec_lo, exec_lo, s23
.LBB16_182:
	s_or_b32 exec_lo, exec_lo, s8
	v_mov_b32_e32 v42, 0
	ds_read_b128 v[46:49], v42 offset:112
	s_waitcnt lgkmcnt(0)
	v_mul_f64 v[42:43], v[3:4], v[48:49]
	v_mul_f64 v[48:49], v[1:2], v[48:49]
	v_fma_f64 v[1:2], v[1:2], v[46:47], -v[42:43]
	v_fma_f64 v[3:4], v[3:4], v[46:47], v[48:49]
	buffer_store_dword v2, off, s[0:3], 0 offset:116
	buffer_store_dword v1, off, s[0:3], 0 offset:112
	;; [unrolled: 1-line block ×4, first 2 shown]
.LBB16_183:
	s_or_b32 exec_lo, exec_lo, s4
	v_mov_b32_e32 v4, s15
	s_mov_b32 s4, exec_lo
	s_clause 0x3
	buffer_load_dword v1, v4, s[0:3], 0 offen
	buffer_load_dword v2, v4, s[0:3], 0 offen offset:4
	buffer_load_dword v3, v4, s[0:3], 0 offen offset:8
	buffer_load_dword v4, v4, s[0:3], 0 offen offset:12
	s_waitcnt vmcnt(0)
	ds_write_b128 v40, v[1:4]
	s_waitcnt lgkmcnt(0)
	s_waitcnt_vscnt null, 0x0
	s_barrier
	buffer_gl0_inv
	v_cmpx_gt_u32_e32 8, v0
	s_cbranch_execz .LBB16_191
; %bb.184:
	ds_read_b128 v[1:4], v40
	v_cmp_ne_u32_e32 vcc_lo, 1, v41
	s_cbranch_vccnz .LBB16_186
; %bb.185:
	s_clause 0x3
	buffer_load_dword v42, v39, s[0:3], 0 offen offset:8
	buffer_load_dword v43, v39, s[0:3], 0 offen offset:12
	buffer_load_dword v46, v39, s[0:3], 0 offen
	buffer_load_dword v47, v39, s[0:3], 0 offen offset:4
	s_waitcnt vmcnt(2) lgkmcnt(0)
	v_mul_f64 v[48:49], v[3:4], v[42:43]
	v_mul_f64 v[42:43], v[1:2], v[42:43]
	s_waitcnt vmcnt(0)
	v_fma_f64 v[1:2], v[1:2], v[46:47], -v[48:49]
	v_fma_f64 v[3:4], v[3:4], v[46:47], v[42:43]
.LBB16_186:
	s_mov_b32 s8, exec_lo
	v_cmpx_ne_u32_e32 7, v0
	s_cbranch_execz .LBB16_190
; %bb.187:
	v_add_nc_u32_e32 v42, 0x120, v45
	v_add3_u32 v43, 0, v45, 16
	v_mov_b32_e32 v44, v0
	s_mov_b32 s23, 0
	.p2align	6
.LBB16_188:                             ; =>This Inner Loop Header: Depth=1
	s_clause 0x3
	buffer_load_dword v50, v43, s[0:3], 0 offen offset:8
	buffer_load_dword v51, v43, s[0:3], 0 offen offset:12
	buffer_load_dword v52, v43, s[0:3], 0 offen
	buffer_load_dword v53, v43, s[0:3], 0 offen offset:4
	ds_read_b128 v[46:49], v42
	v_add_nc_u32_e32 v44, 1, v44
	v_add_nc_u32_e32 v42, 16, v42
	;; [unrolled: 1-line block ×3, first 2 shown]
	v_cmp_lt_u32_e32 vcc_lo, 6, v44
	s_or_b32 s23, vcc_lo, s23
	s_waitcnt vmcnt(2) lgkmcnt(0)
	v_mul_f64 v[54:55], v[48:49], v[50:51]
	v_mul_f64 v[50:51], v[46:47], v[50:51]
	s_waitcnt vmcnt(0)
	v_fma_f64 v[46:47], v[46:47], v[52:53], -v[54:55]
	v_fma_f64 v[48:49], v[48:49], v[52:53], v[50:51]
	v_add_f64 v[1:2], v[1:2], v[46:47]
	v_add_f64 v[3:4], v[3:4], v[48:49]
	s_andn2_b32 exec_lo, exec_lo, s23
	s_cbranch_execnz .LBB16_188
; %bb.189:
	s_or_b32 exec_lo, exec_lo, s23
.LBB16_190:
	s_or_b32 exec_lo, exec_lo, s8
	v_mov_b32_e32 v42, 0
	ds_read_b128 v[46:49], v42 offset:128
	s_waitcnt lgkmcnt(0)
	v_mul_f64 v[42:43], v[3:4], v[48:49]
	v_mul_f64 v[48:49], v[1:2], v[48:49]
	v_fma_f64 v[1:2], v[1:2], v[46:47], -v[42:43]
	v_fma_f64 v[3:4], v[3:4], v[46:47], v[48:49]
	buffer_store_dword v2, off, s[0:3], 0 offset:132
	buffer_store_dword v1, off, s[0:3], 0 offset:128
	buffer_store_dword v4, off, s[0:3], 0 offset:140
	buffer_store_dword v3, off, s[0:3], 0 offset:136
.LBB16_191:
	s_or_b32 exec_lo, exec_lo, s4
	v_mov_b32_e32 v4, s14
	s_mov_b32 s4, exec_lo
	s_clause 0x3
	buffer_load_dword v1, v4, s[0:3], 0 offen
	buffer_load_dword v2, v4, s[0:3], 0 offen offset:4
	buffer_load_dword v3, v4, s[0:3], 0 offen offset:8
	;; [unrolled: 1-line block ×3, first 2 shown]
	s_waitcnt vmcnt(0)
	ds_write_b128 v40, v[1:4]
	s_waitcnt lgkmcnt(0)
	s_waitcnt_vscnt null, 0x0
	s_barrier
	buffer_gl0_inv
	v_cmpx_gt_u32_e32 9, v0
	s_cbranch_execz .LBB16_199
; %bb.192:
	ds_read_b128 v[1:4], v40
	v_cmp_ne_u32_e32 vcc_lo, 1, v41
	s_cbranch_vccnz .LBB16_194
; %bb.193:
	s_clause 0x3
	buffer_load_dword v42, v39, s[0:3], 0 offen offset:8
	buffer_load_dword v43, v39, s[0:3], 0 offen offset:12
	buffer_load_dword v46, v39, s[0:3], 0 offen
	buffer_load_dword v47, v39, s[0:3], 0 offen offset:4
	s_waitcnt vmcnt(2) lgkmcnt(0)
	v_mul_f64 v[48:49], v[3:4], v[42:43]
	v_mul_f64 v[42:43], v[1:2], v[42:43]
	s_waitcnt vmcnt(0)
	v_fma_f64 v[1:2], v[1:2], v[46:47], -v[48:49]
	v_fma_f64 v[3:4], v[3:4], v[46:47], v[42:43]
.LBB16_194:
	s_mov_b32 s8, exec_lo
	v_cmpx_ne_u32_e32 8, v0
	s_cbranch_execz .LBB16_198
; %bb.195:
	v_add_nc_u32_e32 v42, 0x120, v45
	v_add3_u32 v43, 0, v45, 16
	v_mov_b32_e32 v44, v0
	s_mov_b32 s23, 0
	.p2align	6
.LBB16_196:                             ; =>This Inner Loop Header: Depth=1
	s_clause 0x3
	buffer_load_dword v50, v43, s[0:3], 0 offen offset:8
	buffer_load_dword v51, v43, s[0:3], 0 offen offset:12
	buffer_load_dword v52, v43, s[0:3], 0 offen
	buffer_load_dword v53, v43, s[0:3], 0 offen offset:4
	ds_read_b128 v[46:49], v42
	v_add_nc_u32_e32 v44, 1, v44
	v_add_nc_u32_e32 v42, 16, v42
	;; [unrolled: 1-line block ×3, first 2 shown]
	v_cmp_lt_u32_e32 vcc_lo, 7, v44
	s_or_b32 s23, vcc_lo, s23
	s_waitcnt vmcnt(2) lgkmcnt(0)
	v_mul_f64 v[54:55], v[48:49], v[50:51]
	v_mul_f64 v[50:51], v[46:47], v[50:51]
	s_waitcnt vmcnt(0)
	v_fma_f64 v[46:47], v[46:47], v[52:53], -v[54:55]
	v_fma_f64 v[48:49], v[48:49], v[52:53], v[50:51]
	v_add_f64 v[1:2], v[1:2], v[46:47]
	v_add_f64 v[3:4], v[3:4], v[48:49]
	s_andn2_b32 exec_lo, exec_lo, s23
	s_cbranch_execnz .LBB16_196
; %bb.197:
	s_or_b32 exec_lo, exec_lo, s23
.LBB16_198:
	s_or_b32 exec_lo, exec_lo, s8
	v_mov_b32_e32 v42, 0
	ds_read_b128 v[46:49], v42 offset:144
	s_waitcnt lgkmcnt(0)
	v_mul_f64 v[42:43], v[3:4], v[48:49]
	v_mul_f64 v[48:49], v[1:2], v[48:49]
	v_fma_f64 v[1:2], v[1:2], v[46:47], -v[42:43]
	v_fma_f64 v[3:4], v[3:4], v[46:47], v[48:49]
	buffer_store_dword v2, off, s[0:3], 0 offset:148
	buffer_store_dword v1, off, s[0:3], 0 offset:144
	;; [unrolled: 1-line block ×4, first 2 shown]
.LBB16_199:
	s_or_b32 exec_lo, exec_lo, s4
	v_mov_b32_e32 v4, s13
	s_mov_b32 s4, exec_lo
	s_clause 0x3
	buffer_load_dword v1, v4, s[0:3], 0 offen
	buffer_load_dword v2, v4, s[0:3], 0 offen offset:4
	buffer_load_dword v3, v4, s[0:3], 0 offen offset:8
	;; [unrolled: 1-line block ×3, first 2 shown]
	s_waitcnt vmcnt(0)
	ds_write_b128 v40, v[1:4]
	s_waitcnt lgkmcnt(0)
	s_waitcnt_vscnt null, 0x0
	s_barrier
	buffer_gl0_inv
	v_cmpx_gt_u32_e32 10, v0
	s_cbranch_execz .LBB16_207
; %bb.200:
	ds_read_b128 v[1:4], v40
	v_cmp_ne_u32_e32 vcc_lo, 1, v41
	s_cbranch_vccnz .LBB16_202
; %bb.201:
	s_clause 0x3
	buffer_load_dword v42, v39, s[0:3], 0 offen offset:8
	buffer_load_dword v43, v39, s[0:3], 0 offen offset:12
	buffer_load_dword v46, v39, s[0:3], 0 offen
	buffer_load_dword v47, v39, s[0:3], 0 offen offset:4
	s_waitcnt vmcnt(2) lgkmcnt(0)
	v_mul_f64 v[48:49], v[3:4], v[42:43]
	v_mul_f64 v[42:43], v[1:2], v[42:43]
	s_waitcnt vmcnt(0)
	v_fma_f64 v[1:2], v[1:2], v[46:47], -v[48:49]
	v_fma_f64 v[3:4], v[3:4], v[46:47], v[42:43]
.LBB16_202:
	s_mov_b32 s8, exec_lo
	v_cmpx_ne_u32_e32 9, v0
	s_cbranch_execz .LBB16_206
; %bb.203:
	v_add_nc_u32_e32 v42, 0x120, v45
	v_add3_u32 v43, 0, v45, 16
	v_mov_b32_e32 v44, v0
	s_mov_b32 s23, 0
	.p2align	6
.LBB16_204:                             ; =>This Inner Loop Header: Depth=1
	s_clause 0x3
	buffer_load_dword v50, v43, s[0:3], 0 offen offset:8
	buffer_load_dword v51, v43, s[0:3], 0 offen offset:12
	buffer_load_dword v52, v43, s[0:3], 0 offen
	buffer_load_dword v53, v43, s[0:3], 0 offen offset:4
	ds_read_b128 v[46:49], v42
	v_add_nc_u32_e32 v44, 1, v44
	v_add_nc_u32_e32 v42, 16, v42
	;; [unrolled: 1-line block ×3, first 2 shown]
	v_cmp_lt_u32_e32 vcc_lo, 8, v44
	s_or_b32 s23, vcc_lo, s23
	s_waitcnt vmcnt(2) lgkmcnt(0)
	v_mul_f64 v[54:55], v[48:49], v[50:51]
	v_mul_f64 v[50:51], v[46:47], v[50:51]
	s_waitcnt vmcnt(0)
	v_fma_f64 v[46:47], v[46:47], v[52:53], -v[54:55]
	v_fma_f64 v[48:49], v[48:49], v[52:53], v[50:51]
	v_add_f64 v[1:2], v[1:2], v[46:47]
	v_add_f64 v[3:4], v[3:4], v[48:49]
	s_andn2_b32 exec_lo, exec_lo, s23
	s_cbranch_execnz .LBB16_204
; %bb.205:
	s_or_b32 exec_lo, exec_lo, s23
.LBB16_206:
	s_or_b32 exec_lo, exec_lo, s8
	v_mov_b32_e32 v42, 0
	ds_read_b128 v[46:49], v42 offset:160
	s_waitcnt lgkmcnt(0)
	v_mul_f64 v[42:43], v[3:4], v[48:49]
	v_mul_f64 v[48:49], v[1:2], v[48:49]
	v_fma_f64 v[1:2], v[1:2], v[46:47], -v[42:43]
	v_fma_f64 v[3:4], v[3:4], v[46:47], v[48:49]
	buffer_store_dword v2, off, s[0:3], 0 offset:164
	buffer_store_dword v1, off, s[0:3], 0 offset:160
	;; [unrolled: 1-line block ×4, first 2 shown]
.LBB16_207:
	s_or_b32 exec_lo, exec_lo, s4
	v_mov_b32_e32 v4, s12
	s_mov_b32 s4, exec_lo
	s_clause 0x3
	buffer_load_dword v1, v4, s[0:3], 0 offen
	buffer_load_dword v2, v4, s[0:3], 0 offen offset:4
	buffer_load_dword v3, v4, s[0:3], 0 offen offset:8
	;; [unrolled: 1-line block ×3, first 2 shown]
	s_waitcnt vmcnt(0)
	ds_write_b128 v40, v[1:4]
	s_waitcnt lgkmcnt(0)
	s_waitcnt_vscnt null, 0x0
	s_barrier
	buffer_gl0_inv
	v_cmpx_gt_u32_e32 11, v0
	s_cbranch_execz .LBB16_215
; %bb.208:
	ds_read_b128 v[1:4], v40
	v_cmp_ne_u32_e32 vcc_lo, 1, v41
	s_cbranch_vccnz .LBB16_210
; %bb.209:
	s_clause 0x3
	buffer_load_dword v42, v39, s[0:3], 0 offen offset:8
	buffer_load_dword v43, v39, s[0:3], 0 offen offset:12
	buffer_load_dword v46, v39, s[0:3], 0 offen
	buffer_load_dword v47, v39, s[0:3], 0 offen offset:4
	s_waitcnt vmcnt(2) lgkmcnt(0)
	v_mul_f64 v[48:49], v[3:4], v[42:43]
	v_mul_f64 v[42:43], v[1:2], v[42:43]
	s_waitcnt vmcnt(0)
	v_fma_f64 v[1:2], v[1:2], v[46:47], -v[48:49]
	v_fma_f64 v[3:4], v[3:4], v[46:47], v[42:43]
.LBB16_210:
	s_mov_b32 s8, exec_lo
	v_cmpx_ne_u32_e32 10, v0
	s_cbranch_execz .LBB16_214
; %bb.211:
	v_add_nc_u32_e32 v42, 0x120, v45
	v_add3_u32 v43, 0, v45, 16
	v_mov_b32_e32 v44, v0
	s_mov_b32 s23, 0
	.p2align	6
.LBB16_212:                             ; =>This Inner Loop Header: Depth=1
	s_clause 0x3
	buffer_load_dword v50, v43, s[0:3], 0 offen offset:8
	buffer_load_dword v51, v43, s[0:3], 0 offen offset:12
	buffer_load_dword v52, v43, s[0:3], 0 offen
	buffer_load_dword v53, v43, s[0:3], 0 offen offset:4
	ds_read_b128 v[46:49], v42
	v_add_nc_u32_e32 v44, 1, v44
	v_add_nc_u32_e32 v42, 16, v42
	;; [unrolled: 1-line block ×3, first 2 shown]
	v_cmp_lt_u32_e32 vcc_lo, 9, v44
	s_or_b32 s23, vcc_lo, s23
	s_waitcnt vmcnt(2) lgkmcnt(0)
	v_mul_f64 v[54:55], v[48:49], v[50:51]
	v_mul_f64 v[50:51], v[46:47], v[50:51]
	s_waitcnt vmcnt(0)
	v_fma_f64 v[46:47], v[46:47], v[52:53], -v[54:55]
	v_fma_f64 v[48:49], v[48:49], v[52:53], v[50:51]
	v_add_f64 v[1:2], v[1:2], v[46:47]
	v_add_f64 v[3:4], v[3:4], v[48:49]
	s_andn2_b32 exec_lo, exec_lo, s23
	s_cbranch_execnz .LBB16_212
; %bb.213:
	s_or_b32 exec_lo, exec_lo, s23
.LBB16_214:
	s_or_b32 exec_lo, exec_lo, s8
	v_mov_b32_e32 v42, 0
	ds_read_b128 v[46:49], v42 offset:176
	s_waitcnt lgkmcnt(0)
	v_mul_f64 v[42:43], v[3:4], v[48:49]
	v_mul_f64 v[48:49], v[1:2], v[48:49]
	v_fma_f64 v[1:2], v[1:2], v[46:47], -v[42:43]
	v_fma_f64 v[3:4], v[3:4], v[46:47], v[48:49]
	buffer_store_dword v2, off, s[0:3], 0 offset:180
	buffer_store_dword v1, off, s[0:3], 0 offset:176
	;; [unrolled: 1-line block ×4, first 2 shown]
.LBB16_215:
	s_or_b32 exec_lo, exec_lo, s4
	v_mov_b32_e32 v4, s11
	s_mov_b32 s4, exec_lo
	s_clause 0x3
	buffer_load_dword v1, v4, s[0:3], 0 offen
	buffer_load_dword v2, v4, s[0:3], 0 offen offset:4
	buffer_load_dword v3, v4, s[0:3], 0 offen offset:8
	;; [unrolled: 1-line block ×3, first 2 shown]
	s_waitcnt vmcnt(0)
	ds_write_b128 v40, v[1:4]
	s_waitcnt lgkmcnt(0)
	s_waitcnt_vscnt null, 0x0
	s_barrier
	buffer_gl0_inv
	v_cmpx_gt_u32_e32 12, v0
	s_cbranch_execz .LBB16_223
; %bb.216:
	ds_read_b128 v[1:4], v40
	v_cmp_ne_u32_e32 vcc_lo, 1, v41
	s_cbranch_vccnz .LBB16_218
; %bb.217:
	s_clause 0x3
	buffer_load_dword v42, v39, s[0:3], 0 offen offset:8
	buffer_load_dword v43, v39, s[0:3], 0 offen offset:12
	buffer_load_dword v46, v39, s[0:3], 0 offen
	buffer_load_dword v47, v39, s[0:3], 0 offen offset:4
	s_waitcnt vmcnt(2) lgkmcnt(0)
	v_mul_f64 v[48:49], v[3:4], v[42:43]
	v_mul_f64 v[42:43], v[1:2], v[42:43]
	s_waitcnt vmcnt(0)
	v_fma_f64 v[1:2], v[1:2], v[46:47], -v[48:49]
	v_fma_f64 v[3:4], v[3:4], v[46:47], v[42:43]
.LBB16_218:
	s_mov_b32 s8, exec_lo
	v_cmpx_ne_u32_e32 11, v0
	s_cbranch_execz .LBB16_222
; %bb.219:
	v_add_nc_u32_e32 v42, 0x120, v45
	v_add3_u32 v43, 0, v45, 16
	v_mov_b32_e32 v44, v0
	s_mov_b32 s23, 0
	.p2align	6
.LBB16_220:                             ; =>This Inner Loop Header: Depth=1
	s_clause 0x3
	buffer_load_dword v50, v43, s[0:3], 0 offen offset:8
	buffer_load_dword v51, v43, s[0:3], 0 offen offset:12
	buffer_load_dword v52, v43, s[0:3], 0 offen
	buffer_load_dword v53, v43, s[0:3], 0 offen offset:4
	ds_read_b128 v[46:49], v42
	v_add_nc_u32_e32 v44, 1, v44
	v_add_nc_u32_e32 v42, 16, v42
	;; [unrolled: 1-line block ×3, first 2 shown]
	v_cmp_lt_u32_e32 vcc_lo, 10, v44
	s_or_b32 s23, vcc_lo, s23
	s_waitcnt vmcnt(2) lgkmcnt(0)
	v_mul_f64 v[54:55], v[48:49], v[50:51]
	v_mul_f64 v[50:51], v[46:47], v[50:51]
	s_waitcnt vmcnt(0)
	v_fma_f64 v[46:47], v[46:47], v[52:53], -v[54:55]
	v_fma_f64 v[48:49], v[48:49], v[52:53], v[50:51]
	v_add_f64 v[1:2], v[1:2], v[46:47]
	v_add_f64 v[3:4], v[3:4], v[48:49]
	s_andn2_b32 exec_lo, exec_lo, s23
	s_cbranch_execnz .LBB16_220
; %bb.221:
	s_or_b32 exec_lo, exec_lo, s23
.LBB16_222:
	s_or_b32 exec_lo, exec_lo, s8
	v_mov_b32_e32 v42, 0
	ds_read_b128 v[46:49], v42 offset:192
	s_waitcnt lgkmcnt(0)
	v_mul_f64 v[42:43], v[3:4], v[48:49]
	v_mul_f64 v[48:49], v[1:2], v[48:49]
	v_fma_f64 v[1:2], v[1:2], v[46:47], -v[42:43]
	v_fma_f64 v[3:4], v[3:4], v[46:47], v[48:49]
	buffer_store_dword v2, off, s[0:3], 0 offset:196
	buffer_store_dword v1, off, s[0:3], 0 offset:192
	;; [unrolled: 1-line block ×4, first 2 shown]
.LBB16_223:
	s_or_b32 exec_lo, exec_lo, s4
	v_mov_b32_e32 v4, s10
	s_mov_b32 s4, exec_lo
	s_clause 0x3
	buffer_load_dword v1, v4, s[0:3], 0 offen
	buffer_load_dword v2, v4, s[0:3], 0 offen offset:4
	buffer_load_dword v3, v4, s[0:3], 0 offen offset:8
	;; [unrolled: 1-line block ×3, first 2 shown]
	s_waitcnt vmcnt(0)
	ds_write_b128 v40, v[1:4]
	s_waitcnt lgkmcnt(0)
	s_waitcnt_vscnt null, 0x0
	s_barrier
	buffer_gl0_inv
	v_cmpx_gt_u32_e32 13, v0
	s_cbranch_execz .LBB16_231
; %bb.224:
	ds_read_b128 v[1:4], v40
	v_cmp_ne_u32_e32 vcc_lo, 1, v41
	s_cbranch_vccnz .LBB16_226
; %bb.225:
	s_clause 0x3
	buffer_load_dword v42, v39, s[0:3], 0 offen offset:8
	buffer_load_dword v43, v39, s[0:3], 0 offen offset:12
	buffer_load_dword v46, v39, s[0:3], 0 offen
	buffer_load_dword v47, v39, s[0:3], 0 offen offset:4
	s_waitcnt vmcnt(2) lgkmcnt(0)
	v_mul_f64 v[48:49], v[3:4], v[42:43]
	v_mul_f64 v[42:43], v[1:2], v[42:43]
	s_waitcnt vmcnt(0)
	v_fma_f64 v[1:2], v[1:2], v[46:47], -v[48:49]
	v_fma_f64 v[3:4], v[3:4], v[46:47], v[42:43]
.LBB16_226:
	s_mov_b32 s8, exec_lo
	v_cmpx_ne_u32_e32 12, v0
	s_cbranch_execz .LBB16_230
; %bb.227:
	v_add_nc_u32_e32 v42, 0x120, v45
	v_add3_u32 v43, 0, v45, 16
	v_mov_b32_e32 v44, v0
	s_mov_b32 s23, 0
	.p2align	6
.LBB16_228:                             ; =>This Inner Loop Header: Depth=1
	s_clause 0x3
	buffer_load_dword v50, v43, s[0:3], 0 offen offset:8
	buffer_load_dword v51, v43, s[0:3], 0 offen offset:12
	buffer_load_dword v52, v43, s[0:3], 0 offen
	buffer_load_dword v53, v43, s[0:3], 0 offen offset:4
	ds_read_b128 v[46:49], v42
	v_add_nc_u32_e32 v44, 1, v44
	v_add_nc_u32_e32 v42, 16, v42
	;; [unrolled: 1-line block ×3, first 2 shown]
	v_cmp_lt_u32_e32 vcc_lo, 11, v44
	s_or_b32 s23, vcc_lo, s23
	s_waitcnt vmcnt(2) lgkmcnt(0)
	v_mul_f64 v[54:55], v[48:49], v[50:51]
	v_mul_f64 v[50:51], v[46:47], v[50:51]
	s_waitcnt vmcnt(0)
	v_fma_f64 v[46:47], v[46:47], v[52:53], -v[54:55]
	v_fma_f64 v[48:49], v[48:49], v[52:53], v[50:51]
	v_add_f64 v[1:2], v[1:2], v[46:47]
	v_add_f64 v[3:4], v[3:4], v[48:49]
	s_andn2_b32 exec_lo, exec_lo, s23
	s_cbranch_execnz .LBB16_228
; %bb.229:
	s_or_b32 exec_lo, exec_lo, s23
.LBB16_230:
	s_or_b32 exec_lo, exec_lo, s8
	v_mov_b32_e32 v42, 0
	ds_read_b128 v[46:49], v42 offset:208
	s_waitcnt lgkmcnt(0)
	v_mul_f64 v[42:43], v[3:4], v[48:49]
	v_mul_f64 v[48:49], v[1:2], v[48:49]
	v_fma_f64 v[1:2], v[1:2], v[46:47], -v[42:43]
	v_fma_f64 v[3:4], v[3:4], v[46:47], v[48:49]
	buffer_store_dword v2, off, s[0:3], 0 offset:212
	buffer_store_dword v1, off, s[0:3], 0 offset:208
	;; [unrolled: 1-line block ×4, first 2 shown]
.LBB16_231:
	s_or_b32 exec_lo, exec_lo, s4
	v_mov_b32_e32 v4, s9
	s_mov_b32 s4, exec_lo
	s_clause 0x3
	buffer_load_dword v1, v4, s[0:3], 0 offen
	buffer_load_dword v2, v4, s[0:3], 0 offen offset:4
	buffer_load_dword v3, v4, s[0:3], 0 offen offset:8
	;; [unrolled: 1-line block ×3, first 2 shown]
	s_waitcnt vmcnt(0)
	ds_write_b128 v40, v[1:4]
	s_waitcnt lgkmcnt(0)
	s_waitcnt_vscnt null, 0x0
	s_barrier
	buffer_gl0_inv
	v_cmpx_gt_u32_e32 14, v0
	s_cbranch_execz .LBB16_239
; %bb.232:
	ds_read_b128 v[1:4], v40
	v_cmp_ne_u32_e32 vcc_lo, 1, v41
	s_cbranch_vccnz .LBB16_234
; %bb.233:
	s_clause 0x3
	buffer_load_dword v42, v39, s[0:3], 0 offen offset:8
	buffer_load_dword v43, v39, s[0:3], 0 offen offset:12
	buffer_load_dword v46, v39, s[0:3], 0 offen
	buffer_load_dword v47, v39, s[0:3], 0 offen offset:4
	s_waitcnt vmcnt(2) lgkmcnt(0)
	v_mul_f64 v[48:49], v[3:4], v[42:43]
	v_mul_f64 v[42:43], v[1:2], v[42:43]
	s_waitcnt vmcnt(0)
	v_fma_f64 v[1:2], v[1:2], v[46:47], -v[48:49]
	v_fma_f64 v[3:4], v[3:4], v[46:47], v[42:43]
.LBB16_234:
	s_mov_b32 s8, exec_lo
	v_cmpx_ne_u32_e32 13, v0
	s_cbranch_execz .LBB16_238
; %bb.235:
	v_add_nc_u32_e32 v42, 0x120, v45
	v_add3_u32 v43, 0, v45, 16
	v_mov_b32_e32 v44, v0
	s_mov_b32 s23, 0
	.p2align	6
.LBB16_236:                             ; =>This Inner Loop Header: Depth=1
	s_clause 0x3
	buffer_load_dword v50, v43, s[0:3], 0 offen offset:8
	buffer_load_dword v51, v43, s[0:3], 0 offen offset:12
	buffer_load_dword v52, v43, s[0:3], 0 offen
	buffer_load_dword v53, v43, s[0:3], 0 offen offset:4
	ds_read_b128 v[46:49], v42
	v_add_nc_u32_e32 v44, 1, v44
	v_add_nc_u32_e32 v42, 16, v42
	;; [unrolled: 1-line block ×3, first 2 shown]
	v_cmp_lt_u32_e32 vcc_lo, 12, v44
	s_or_b32 s23, vcc_lo, s23
	s_waitcnt vmcnt(2) lgkmcnt(0)
	v_mul_f64 v[54:55], v[48:49], v[50:51]
	v_mul_f64 v[50:51], v[46:47], v[50:51]
	s_waitcnt vmcnt(0)
	v_fma_f64 v[46:47], v[46:47], v[52:53], -v[54:55]
	v_fma_f64 v[48:49], v[48:49], v[52:53], v[50:51]
	v_add_f64 v[1:2], v[1:2], v[46:47]
	v_add_f64 v[3:4], v[3:4], v[48:49]
	s_andn2_b32 exec_lo, exec_lo, s23
	s_cbranch_execnz .LBB16_236
; %bb.237:
	s_or_b32 exec_lo, exec_lo, s23
.LBB16_238:
	s_or_b32 exec_lo, exec_lo, s8
	v_mov_b32_e32 v42, 0
	ds_read_b128 v[46:49], v42 offset:224
	s_waitcnt lgkmcnt(0)
	v_mul_f64 v[42:43], v[3:4], v[48:49]
	v_mul_f64 v[48:49], v[1:2], v[48:49]
	v_fma_f64 v[1:2], v[1:2], v[46:47], -v[42:43]
	v_fma_f64 v[3:4], v[3:4], v[46:47], v[48:49]
	buffer_store_dword v2, off, s[0:3], 0 offset:228
	buffer_store_dword v1, off, s[0:3], 0 offset:224
	;; [unrolled: 1-line block ×4, first 2 shown]
.LBB16_239:
	s_or_b32 exec_lo, exec_lo, s4
	v_mov_b32_e32 v4, s7
	v_cmp_gt_u32_e64 s4, 15, v0
	s_clause 0x3
	buffer_load_dword v1, v4, s[0:3], 0 offen
	buffer_load_dword v2, v4, s[0:3], 0 offen offset:4
	buffer_load_dword v3, v4, s[0:3], 0 offen offset:8
	;; [unrolled: 1-line block ×3, first 2 shown]
	s_waitcnt vmcnt(0)
	ds_write_b128 v40, v[1:4]
	s_waitcnt lgkmcnt(0)
	s_waitcnt_vscnt null, 0x0
	s_barrier
	buffer_gl0_inv
	s_and_saveexec_b32 s8, s4
	s_cbranch_execz .LBB16_247
; %bb.240:
	ds_read_b128 v[1:4], v40
	v_cmp_ne_u32_e32 vcc_lo, 1, v41
	s_cbranch_vccnz .LBB16_242
; %bb.241:
	s_clause 0x3
	buffer_load_dword v42, v39, s[0:3], 0 offen offset:8
	buffer_load_dword v43, v39, s[0:3], 0 offen offset:12
	buffer_load_dword v46, v39, s[0:3], 0 offen
	buffer_load_dword v47, v39, s[0:3], 0 offen offset:4
	s_waitcnt vmcnt(2) lgkmcnt(0)
	v_mul_f64 v[48:49], v[3:4], v[42:43]
	v_mul_f64 v[42:43], v[1:2], v[42:43]
	s_waitcnt vmcnt(0)
	v_fma_f64 v[1:2], v[1:2], v[46:47], -v[48:49]
	v_fma_f64 v[3:4], v[3:4], v[46:47], v[42:43]
.LBB16_242:
	s_mov_b32 s23, exec_lo
	v_cmpx_ne_u32_e32 14, v0
	s_cbranch_execz .LBB16_246
; %bb.243:
	v_add_nc_u32_e32 v42, 0x120, v45
	v_add3_u32 v43, 0, v45, 16
	v_mov_b32_e32 v44, v0
	s_mov_b32 s24, 0
	.p2align	6
.LBB16_244:                             ; =>This Inner Loop Header: Depth=1
	s_clause 0x3
	buffer_load_dword v50, v43, s[0:3], 0 offen offset:8
	buffer_load_dword v51, v43, s[0:3], 0 offen offset:12
	buffer_load_dword v52, v43, s[0:3], 0 offen
	buffer_load_dword v53, v43, s[0:3], 0 offen offset:4
	ds_read_b128 v[46:49], v42
	v_add_nc_u32_e32 v44, 1, v44
	v_add_nc_u32_e32 v42, 16, v42
	;; [unrolled: 1-line block ×3, first 2 shown]
	v_cmp_lt_u32_e32 vcc_lo, 13, v44
	s_or_b32 s24, vcc_lo, s24
	s_waitcnt vmcnt(2) lgkmcnt(0)
	v_mul_f64 v[54:55], v[48:49], v[50:51]
	v_mul_f64 v[50:51], v[46:47], v[50:51]
	s_waitcnt vmcnt(0)
	v_fma_f64 v[46:47], v[46:47], v[52:53], -v[54:55]
	v_fma_f64 v[48:49], v[48:49], v[52:53], v[50:51]
	v_add_f64 v[1:2], v[1:2], v[46:47]
	v_add_f64 v[3:4], v[3:4], v[48:49]
	s_andn2_b32 exec_lo, exec_lo, s24
	s_cbranch_execnz .LBB16_244
; %bb.245:
	s_or_b32 exec_lo, exec_lo, s24
.LBB16_246:
	s_or_b32 exec_lo, exec_lo, s23
	v_mov_b32_e32 v42, 0
	ds_read_b128 v[46:49], v42 offset:240
	s_waitcnt lgkmcnt(0)
	v_mul_f64 v[42:43], v[3:4], v[48:49]
	v_mul_f64 v[48:49], v[1:2], v[48:49]
	v_fma_f64 v[1:2], v[1:2], v[46:47], -v[42:43]
	v_fma_f64 v[3:4], v[3:4], v[46:47], v[48:49]
	buffer_store_dword v2, off, s[0:3], 0 offset:244
	buffer_store_dword v1, off, s[0:3], 0 offset:240
	;; [unrolled: 1-line block ×4, first 2 shown]
.LBB16_247:
	s_or_b32 exec_lo, exec_lo, s8
	v_mov_b32_e32 v4, s6
	s_mov_b32 s8, exec_lo
                                        ; implicit-def: $sgpr25
	s_clause 0x3
	buffer_load_dword v1, v4, s[0:3], 0 offen
	buffer_load_dword v2, v4, s[0:3], 0 offen offset:4
	buffer_load_dword v3, v4, s[0:3], 0 offen offset:8
	;; [unrolled: 1-line block ×3, first 2 shown]
	s_waitcnt vmcnt(0)
	ds_write_b128 v40, v[1:4]
	s_waitcnt lgkmcnt(0)
	s_waitcnt_vscnt null, 0x0
	s_barrier
	buffer_gl0_inv
                                        ; implicit-def: $vgpr1_vgpr2
	v_cmpx_ne_u32_e32 16, v0
	s_cbranch_execz .LBB16_255
; %bb.248:
	ds_read_b128 v[1:4], v40
	v_cmp_ne_u32_e32 vcc_lo, 1, v41
	s_cbranch_vccnz .LBB16_250
; %bb.249:
	s_clause 0x3
	buffer_load_dword v40, v39, s[0:3], 0 offen offset:8
	buffer_load_dword v41, v39, s[0:3], 0 offen offset:12
	buffer_load_dword v42, v39, s[0:3], 0 offen
	buffer_load_dword v43, v39, s[0:3], 0 offen offset:4
	s_waitcnt vmcnt(2) lgkmcnt(0)
	v_mul_f64 v[46:47], v[3:4], v[40:41]
	v_mul_f64 v[39:40], v[1:2], v[40:41]
	s_waitcnt vmcnt(0)
	v_fma_f64 v[1:2], v[1:2], v[42:43], -v[46:47]
	v_fma_f64 v[3:4], v[3:4], v[42:43], v[39:40]
.LBB16_250:
	s_and_saveexec_b32 s23, s4
	s_cbranch_execz .LBB16_254
; %bb.251:
	v_add_nc_u32_e32 v39, 0x120, v45
	v_add3_u32 v40, 0, v45, 16
	s_mov_b32 s4, 0
	.p2align	6
.LBB16_252:                             ; =>This Inner Loop Header: Depth=1
	s_clause 0x3
	buffer_load_dword v45, v40, s[0:3], 0 offen offset:8
	buffer_load_dword v46, v40, s[0:3], 0 offen offset:12
	buffer_load_dword v47, v40, s[0:3], 0 offen
	buffer_load_dword v48, v40, s[0:3], 0 offen offset:4
	ds_read_b128 v[41:44], v39
	v_add_nc_u32_e32 v0, 1, v0
	v_add_nc_u32_e32 v39, 16, v39
	;; [unrolled: 1-line block ×3, first 2 shown]
	v_cmp_lt_u32_e32 vcc_lo, 14, v0
	s_or_b32 s4, vcc_lo, s4
	s_waitcnt vmcnt(2) lgkmcnt(0)
	v_mul_f64 v[49:50], v[43:44], v[45:46]
	v_mul_f64 v[45:46], v[41:42], v[45:46]
	s_waitcnt vmcnt(0)
	v_fma_f64 v[41:42], v[41:42], v[47:48], -v[49:50]
	v_fma_f64 v[43:44], v[43:44], v[47:48], v[45:46]
	v_add_f64 v[1:2], v[1:2], v[41:42]
	v_add_f64 v[3:4], v[3:4], v[43:44]
	s_andn2_b32 exec_lo, exec_lo, s4
	s_cbranch_execnz .LBB16_252
; %bb.253:
	s_or_b32 exec_lo, exec_lo, s4
.LBB16_254:
	s_or_b32 exec_lo, exec_lo, s23
	v_mov_b32_e32 v0, 0
	s_movk_i32 s25, 0x108
	s_or_b32 s5, s5, exec_lo
	ds_read_b128 v[39:42], v0 offset:256
	s_waitcnt lgkmcnt(0)
	v_mul_f64 v[43:44], v[3:4], v[41:42]
	v_mul_f64 v[41:42], v[1:2], v[41:42]
	v_fma_f64 v[43:44], v[1:2], v[39:40], -v[43:44]
	v_fma_f64 v[1:2], v[3:4], v[39:40], v[41:42]
	buffer_store_dword v44, off, s[0:3], 0 offset:260
	buffer_store_dword v43, off, s[0:3], 0 offset:256
.LBB16_255:
	s_or_b32 exec_lo, exec_lo, s8
.LBB16_256:
	s_and_saveexec_b32 s4, s5
	s_cbranch_execz .LBB16_258
; %bb.257:
	v_mov_b32_e32 v0, s25
	buffer_store_dword v2, v0, s[0:3], 0 offen offset:4
	buffer_store_dword v1, v0, s[0:3], 0 offen
.LBB16_258:
	s_or_b32 exec_lo, exec_lo, s4
	s_clause 0x3
	buffer_load_dword v0, off, s[0:3], 0
	buffer_load_dword v1, off, s[0:3], 0 offset:4
	buffer_load_dword v2, off, s[0:3], 0 offset:8
	;; [unrolled: 1-line block ×3, first 2 shown]
	v_mov_b32_e32 v4, s22
	v_mov_b32_e32 v46, s21
	;; [unrolled: 1-line block ×4, first 2 shown]
	s_clause 0x3
	buffer_load_dword v39, v4, s[0:3], 0 offen
	buffer_load_dword v40, v4, s[0:3], 0 offen offset:4
	buffer_load_dword v41, v4, s[0:3], 0 offen offset:8
	;; [unrolled: 1-line block ×3, first 2 shown]
	v_mov_b32_e32 v4, s20
	s_clause 0x7
	buffer_load_dword v43, v46, s[0:3], 0 offen
	buffer_load_dword v44, v46, s[0:3], 0 offen offset:4
	buffer_load_dword v45, v46, s[0:3], 0 offen offset:8
	;; [unrolled: 1-line block ×3, first 2 shown]
	buffer_load_dword v47, v4, s[0:3], 0 offen
	buffer_load_dword v48, v4, s[0:3], 0 offen offset:4
	buffer_load_dword v49, v4, s[0:3], 0 offen offset:8
	;; [unrolled: 1-line block ×3, first 2 shown]
	v_mov_b32_e32 v4, s19
	v_mov_b32_e32 v62, s10
	s_clause 0x3
	buffer_load_dword v51, v4, s[0:3], 0 offen
	buffer_load_dword v52, v4, s[0:3], 0 offen offset:4
	buffer_load_dword v53, v4, s[0:3], 0 offen offset:8
	;; [unrolled: 1-line block ×3, first 2 shown]
	v_mov_b32_e32 v4, s18
	s_clause 0x3
	buffer_load_dword v55, v4, s[0:3], 0 offen
	buffer_load_dword v56, v4, s[0:3], 0 offen offset:4
	buffer_load_dword v57, v4, s[0:3], 0 offen offset:8
	;; [unrolled: 1-line block ×3, first 2 shown]
	v_mov_b32_e32 v4, s17
	v_mov_b32_e32 v64, s7
	;; [unrolled: 1-line block ×3, first 2 shown]
	s_waitcnt vmcnt(20)
	global_store_dwordx4 v[23:24], v[0:3], off
	s_clause 0x3
	buffer_load_dword v0, v4, s[0:3], 0 offen
	buffer_load_dword v1, v4, s[0:3], 0 offen offset:4
	buffer_load_dword v2, v4, s[0:3], 0 offen offset:8
	buffer_load_dword v3, v4, s[0:3], 0 offen offset:12
	v_mov_b32_e32 v4, s16
	v_mov_b32_e32 v23, s15
	;; [unrolled: 1-line block ×3, first 2 shown]
	s_waitcnt vmcnt(20)
	global_store_dwordx4 v[15:16], v[39:42], off
	v_mov_b32_e32 v16, s11
	s_waitcnt vmcnt(16)
	global_store_dwordx4 v[7:8], v[43:46], off
	s_clause 0x3
	buffer_load_dword v39, v4, s[0:3], 0 offen
	buffer_load_dword v40, v4, s[0:3], 0 offen offset:4
	buffer_load_dword v41, v4, s[0:3], 0 offen offset:8
	;; [unrolled: 1-line block ×3, first 2 shown]
	s_waitcnt vmcnt(16)
	global_store_dwordx4 v[9:10], v[47:50], off
	v_mov_b32_e32 v15, s12
	s_clause 0x7
	buffer_load_dword v7, v23, s[0:3], 0 offen
	buffer_load_dword v8, v23, s[0:3], 0 offen offset:4
	buffer_load_dword v9, v23, s[0:3], 0 offen offset:8
	buffer_load_dword v10, v23, s[0:3], 0 offen offset:12
	buffer_load_dword v43, v24, s[0:3], 0 offen
	buffer_load_dword v44, v24, s[0:3], 0 offen offset:4
	buffer_load_dword v45, v24, s[0:3], 0 offen offset:8
	buffer_load_dword v46, v24, s[0:3], 0 offen offset:12
	s_waitcnt vmcnt(20)
	global_store_dwordx4 v[5:6], v[51:54], off
	s_clause 0x7
	buffer_load_dword v47, v59, s[0:3], 0 offen
	buffer_load_dword v48, v59, s[0:3], 0 offen offset:4
	buffer_load_dword v49, v59, s[0:3], 0 offen offset:8
	buffer_load_dword v50, v59, s[0:3], 0 offen offset:12
	buffer_load_dword v51, v15, s[0:3], 0 offen
	buffer_load_dword v52, v15, s[0:3], 0 offen offset:4
	buffer_load_dword v53, v15, s[0:3], 0 offen offset:8
	buffer_load_dword v54, v15, s[0:3], 0 offen offset:12
	s_waitcnt vmcnt(24)
	global_store_dwordx4 v[11:12], v[55:58], off
	;; [unrolled: 11-line block ×3, first 2 shown]
	s_clause 0xb
	buffer_load_dword v0, v63, s[0:3], 0 offen
	buffer_load_dword v1, v63, s[0:3], 0 offen offset:4
	buffer_load_dword v2, v63, s[0:3], 0 offen offset:8
	buffer_load_dword v3, v63, s[0:3], 0 offen offset:12
	buffer_load_dword v11, v64, s[0:3], 0 offen
	buffer_load_dword v12, v64, s[0:3], 0 offen offset:4
	buffer_load_dword v13, v64, s[0:3], 0 offen offset:8
	buffer_load_dword v14, v64, s[0:3], 0 offen offset:12
	;; [unrolled: 4-line block ×3, first 2 shown]
	s_waitcnt vmcnt(36)
	global_store_dwordx4 v[17:18], v[39:42], off
	s_waitcnt vmcnt(32)
	global_store_dwordx4 v[19:20], v[7:10], off
	s_waitcnt vmcnt(28)
	global_store_dwordx4 v[21:22], v[43:46], off
	s_waitcnt vmcnt(24)
	global_store_dwordx4 v[25:26], v[47:50], off
	s_waitcnt vmcnt(20)
	global_store_dwordx4 v[27:28], v[51:54], off
	s_waitcnt vmcnt(16)
	global_store_dwordx4 v[29:30], v[55:58], off
	s_waitcnt vmcnt(12)
	global_store_dwordx4 v[31:32], v[59:62], off
	s_waitcnt vmcnt(8)
	global_store_dwordx4 v[33:34], v[0:3], off
	s_waitcnt vmcnt(4)
	global_store_dwordx4 v[37:38], v[11:14], off
	s_waitcnt vmcnt(0)
	global_store_dwordx4 v[35:36], v[63:66], off
.LBB16_259:
	s_endpgm
	.section	.rodata,"a",@progbits
	.p2align	6, 0x0
	.amdhsa_kernel _ZN9rocsolver6v33100L18trti2_kernel_smallILi17E19rocblas_complex_numIdEPS3_EEv13rocblas_fill_17rocblas_diagonal_T1_iil
		.amdhsa_group_segment_fixed_size 544
		.amdhsa_private_segment_fixed_size 288
		.amdhsa_kernarg_size 32
		.amdhsa_user_sgpr_count 6
		.amdhsa_user_sgpr_private_segment_buffer 1
		.amdhsa_user_sgpr_dispatch_ptr 0
		.amdhsa_user_sgpr_queue_ptr 0
		.amdhsa_user_sgpr_kernarg_segment_ptr 1
		.amdhsa_user_sgpr_dispatch_id 0
		.amdhsa_user_sgpr_flat_scratch_init 0
		.amdhsa_user_sgpr_private_segment_size 0
		.amdhsa_wavefront_size32 1
		.amdhsa_uses_dynamic_stack 0
		.amdhsa_system_sgpr_private_segment_wavefront_offset 1
		.amdhsa_system_sgpr_workgroup_id_x 1
		.amdhsa_system_sgpr_workgroup_id_y 0
		.amdhsa_system_sgpr_workgroup_id_z 0
		.amdhsa_system_sgpr_workgroup_info 0
		.amdhsa_system_vgpr_workitem_id 0
		.amdhsa_next_free_vgpr 67
		.amdhsa_next_free_sgpr 29
		.amdhsa_reserve_vcc 1
		.amdhsa_reserve_flat_scratch 0
		.amdhsa_float_round_mode_32 0
		.amdhsa_float_round_mode_16_64 0
		.amdhsa_float_denorm_mode_32 3
		.amdhsa_float_denorm_mode_16_64 3
		.amdhsa_dx10_clamp 1
		.amdhsa_ieee_mode 1
		.amdhsa_fp16_overflow 0
		.amdhsa_workgroup_processor_mode 1
		.amdhsa_memory_ordered 1
		.amdhsa_forward_progress 1
		.amdhsa_shared_vgpr_count 0
		.amdhsa_exception_fp_ieee_invalid_op 0
		.amdhsa_exception_fp_denorm_src 0
		.amdhsa_exception_fp_ieee_div_zero 0
		.amdhsa_exception_fp_ieee_overflow 0
		.amdhsa_exception_fp_ieee_underflow 0
		.amdhsa_exception_fp_ieee_inexact 0
		.amdhsa_exception_int_div_zero 0
	.end_amdhsa_kernel
	.section	.text._ZN9rocsolver6v33100L18trti2_kernel_smallILi17E19rocblas_complex_numIdEPS3_EEv13rocblas_fill_17rocblas_diagonal_T1_iil,"axG",@progbits,_ZN9rocsolver6v33100L18trti2_kernel_smallILi17E19rocblas_complex_numIdEPS3_EEv13rocblas_fill_17rocblas_diagonal_T1_iil,comdat
.Lfunc_end16:
	.size	_ZN9rocsolver6v33100L18trti2_kernel_smallILi17E19rocblas_complex_numIdEPS3_EEv13rocblas_fill_17rocblas_diagonal_T1_iil, .Lfunc_end16-_ZN9rocsolver6v33100L18trti2_kernel_smallILi17E19rocblas_complex_numIdEPS3_EEv13rocblas_fill_17rocblas_diagonal_T1_iil
                                        ; -- End function
	.set _ZN9rocsolver6v33100L18trti2_kernel_smallILi17E19rocblas_complex_numIdEPS3_EEv13rocblas_fill_17rocblas_diagonal_T1_iil.num_vgpr, 67
	.set _ZN9rocsolver6v33100L18trti2_kernel_smallILi17E19rocblas_complex_numIdEPS3_EEv13rocblas_fill_17rocblas_diagonal_T1_iil.num_agpr, 0
	.set _ZN9rocsolver6v33100L18trti2_kernel_smallILi17E19rocblas_complex_numIdEPS3_EEv13rocblas_fill_17rocblas_diagonal_T1_iil.numbered_sgpr, 29
	.set _ZN9rocsolver6v33100L18trti2_kernel_smallILi17E19rocblas_complex_numIdEPS3_EEv13rocblas_fill_17rocblas_diagonal_T1_iil.num_named_barrier, 0
	.set _ZN9rocsolver6v33100L18trti2_kernel_smallILi17E19rocblas_complex_numIdEPS3_EEv13rocblas_fill_17rocblas_diagonal_T1_iil.private_seg_size, 288
	.set _ZN9rocsolver6v33100L18trti2_kernel_smallILi17E19rocblas_complex_numIdEPS3_EEv13rocblas_fill_17rocblas_diagonal_T1_iil.uses_vcc, 1
	.set _ZN9rocsolver6v33100L18trti2_kernel_smallILi17E19rocblas_complex_numIdEPS3_EEv13rocblas_fill_17rocblas_diagonal_T1_iil.uses_flat_scratch, 0
	.set _ZN9rocsolver6v33100L18trti2_kernel_smallILi17E19rocblas_complex_numIdEPS3_EEv13rocblas_fill_17rocblas_diagonal_T1_iil.has_dyn_sized_stack, 0
	.set _ZN9rocsolver6v33100L18trti2_kernel_smallILi17E19rocblas_complex_numIdEPS3_EEv13rocblas_fill_17rocblas_diagonal_T1_iil.has_recursion, 0
	.set _ZN9rocsolver6v33100L18trti2_kernel_smallILi17E19rocblas_complex_numIdEPS3_EEv13rocblas_fill_17rocblas_diagonal_T1_iil.has_indirect_call, 0
	.section	.AMDGPU.csdata,"",@progbits
; Kernel info:
; codeLenInByte = 16848
; TotalNumSgprs: 31
; NumVgprs: 67
; ScratchSize: 288
; MemoryBound: 0
; FloatMode: 240
; IeeeMode: 1
; LDSByteSize: 544 bytes/workgroup (compile time only)
; SGPRBlocks: 0
; VGPRBlocks: 8
; NumSGPRsForWavesPerEU: 31
; NumVGPRsForWavesPerEU: 67
; Occupancy: 12
; WaveLimiterHint : 0
; COMPUTE_PGM_RSRC2:SCRATCH_EN: 1
; COMPUTE_PGM_RSRC2:USER_SGPR: 6
; COMPUTE_PGM_RSRC2:TRAP_HANDLER: 0
; COMPUTE_PGM_RSRC2:TGID_X_EN: 1
; COMPUTE_PGM_RSRC2:TGID_Y_EN: 0
; COMPUTE_PGM_RSRC2:TGID_Z_EN: 0
; COMPUTE_PGM_RSRC2:TIDIG_COMP_CNT: 0
	.section	.text._ZN9rocsolver6v33100L18trti2_kernel_smallILi18E19rocblas_complex_numIdEPS3_EEv13rocblas_fill_17rocblas_diagonal_T1_iil,"axG",@progbits,_ZN9rocsolver6v33100L18trti2_kernel_smallILi18E19rocblas_complex_numIdEPS3_EEv13rocblas_fill_17rocblas_diagonal_T1_iil,comdat
	.globl	_ZN9rocsolver6v33100L18trti2_kernel_smallILi18E19rocblas_complex_numIdEPS3_EEv13rocblas_fill_17rocblas_diagonal_T1_iil ; -- Begin function _ZN9rocsolver6v33100L18trti2_kernel_smallILi18E19rocblas_complex_numIdEPS3_EEv13rocblas_fill_17rocblas_diagonal_T1_iil
	.p2align	8
	.type	_ZN9rocsolver6v33100L18trti2_kernel_smallILi18E19rocblas_complex_numIdEPS3_EEv13rocblas_fill_17rocblas_diagonal_T1_iil,@function
_ZN9rocsolver6v33100L18trti2_kernel_smallILi18E19rocblas_complex_numIdEPS3_EEv13rocblas_fill_17rocblas_diagonal_T1_iil: ; @_ZN9rocsolver6v33100L18trti2_kernel_smallILi18E19rocblas_complex_numIdEPS3_EEv13rocblas_fill_17rocblas_diagonal_T1_iil
; %bb.0:
	s_add_u32 s0, s0, s7
	s_addc_u32 s1, s1, 0
	s_mov_b32 s7, exec_lo
	v_cmpx_gt_u32_e32 18, v0
	s_cbranch_execz .LBB17_275
; %bb.1:
	s_load_dwordx8 s[8:15], s[4:5], 0x0
	s_ashr_i32 s4, s6, 31
	v_lshlrev_b32_e32 v47, 4, v0
	s_movk_i32 s26, 0xd0
	s_movk_i32 s27, 0xe0
	;; [unrolled: 1-line block ×5, first 2 shown]
	s_waitcnt lgkmcnt(0)
	s_mul_hi_u32 s5, s14, s6
	s_mul_i32 s4, s14, s4
	s_mul_i32 s7, s15, s6
	s_add_i32 s5, s5, s4
	s_mul_i32 s4, s14, s6
	s_add_i32 s5, s5, s7
	s_ashr_i32 s7, s12, 31
	s_lshl_b64 s[4:5], s[4:5], 4
	s_mov_b32 s6, s12
	s_add_u32 s10, s10, s4
	s_addc_u32 s11, s11, s5
	s_lshl_b64 s[4:5], s[6:7], 4
	v_add3_u32 v5, s13, s13, v0
	s_add_u32 s4, s10, s4
	s_addc_u32 s5, s11, s5
	v_add_co_u32 v33, s10, s4, v47
	global_load_dwordx4 v[1:4], v47, s[4:5]
	v_add_nc_u32_e32 v7, s13, v5
	v_ashrrev_i32_e32 v6, 31, v5
	s_mov_b32 s6, s13
	s_ashr_i32 s7, s13, 31
	v_add_co_ci_u32_e64 v34, null, s5, 0, s10
	v_add_nc_u32_e32 v13, s13, v7
	v_ashrrev_i32_e32 v8, 31, v7
	v_lshlrev_b64 v[5:6], 4, v[5:6]
	s_lshl_b64 s[6:7], s[6:7], 4
	s_cmpk_lg_i32 s9, 0x84
	v_add_nc_u32_e32 v15, s13, v13
	v_add_co_u32 v35, vcc_lo, v33, s6
	v_lshlrev_b64 v[11:12], 4, v[7:8]
	v_ashrrev_i32_e32 v14, 31, v13
	v_add_nc_u32_e32 v17, s13, v15
	v_add_co_ci_u32_e64 v36, null, s7, v34, vcc_lo
	v_add_co_u32 v31, vcc_lo, s4, v5
	v_add_nc_u32_e32 v19, s13, v17
	v_add_co_ci_u32_e64 v32, null, s5, v6, vcc_lo
	v_add_co_u32 v11, vcc_lo, s4, v11
	v_add_nc_u32_e32 v29, s13, v19
	v_lshlrev_b64 v[13:14], 4, v[13:14]
	global_load_dwordx4 v[7:10], v[35:36], off
	v_add_co_ci_u32_e64 v12, null, s5, v12, vcc_lo
	v_add_nc_u32_e32 v45, s13, v29
	global_load_dwordx4 v[21:24], v[31:32], off
	v_ashrrev_i32_e32 v16, 31, v15
	v_ashrrev_i32_e32 v18, 31, v17
	;; [unrolled: 1-line block ×3, first 2 shown]
	v_add_nc_u32_e32 v52, s13, v45
	v_ashrrev_i32_e32 v30, 31, v29
	v_lshlrev_b64 v[15:16], 4, v[15:16]
	v_lshlrev_b64 v[48:49], 4, v[17:18]
	v_ashrrev_i32_e32 v46, 31, v45
	v_add_nc_u32_e32 v54, s13, v52
	v_ashrrev_i32_e32 v53, 31, v52
	s_movk_i32 s6, 0x70
	s_movk_i32 s7, 0x80
	;; [unrolled: 1-line block ×3, first 2 shown]
	v_add_nc_u32_e32 v56, s13, v54
	v_ashrrev_i32_e32 v55, 31, v54
	s_movk_i32 s11, 0xa0
	s_movk_i32 s12, 0xb0
	s_cselect_b32 s25, -1, 0
	v_add_nc_u32_e32 v58, s13, v56
	v_ashrrev_i32_e32 v57, 31, v56
	s_cmpk_eq_i32 s9, 0x84
	v_add_nc_u32_e32 v60, s13, v58
	v_ashrrev_i32_e32 v59, 31, v58
	v_add_nc_u32_e32 v62, s13, v60
	v_ashrrev_i32_e32 v61, 31, v60
	;; [unrolled: 2-line block ×4, first 2 shown]
	s_movk_i32 s13, 0xc0
	v_ashrrev_i32_e32 v26, 31, v25
	v_lshlrev_b64 v[5:6], 4, v[25:26]
	global_load_dwordx4 v[25:28], v[11:12], off
	v_add_co_u32 v5, vcc_lo, s4, v5
	v_add_co_ci_u32_e64 v6, null, s5, v6, vcc_lo
	v_add_co_u32 v13, vcc_lo, s4, v13
	v_add_co_ci_u32_e64 v14, null, s5, v14, vcc_lo
	global_load_dwordx4 v[41:44], v[5:6], off
	v_add_co_u32 v17, vcc_lo, s4, v15
	v_add_co_ci_u32_e64 v18, null, s5, v16, vcc_lo
	v_lshlrev_b64 v[15:16], 4, v[19:20]
	v_add_co_u32 v19, vcc_lo, s4, v48
	v_add_co_ci_u32_e64 v20, null, s5, v49, vcc_lo
	s_waitcnt vmcnt(4)
	buffer_store_dword v4, off, s[0:3], 0 offset:12
	buffer_store_dword v3, off, s[0:3], 0 offset:8
	;; [unrolled: 1-line block ×3, first 2 shown]
	buffer_store_dword v1, off, s[0:3], 0
	global_load_dwordx4 v[1:4], v[13:14], off
	s_waitcnt vmcnt(4)
	buffer_store_dword v10, off, s[0:3], 0 offset:28
	buffer_store_dword v9, off, s[0:3], 0 offset:24
	;; [unrolled: 1-line block ×4, first 2 shown]
	v_lshlrev_b64 v[7:8], 4, v[29:30]
	v_add_co_u32 v9, vcc_lo, s4, v15
	global_load_dwordx4 v[37:40], v[17:18], off
	v_add_co_ci_u32_e64 v10, null, s5, v16, vcc_lo
	s_waitcnt vmcnt(4)
	buffer_store_dword v24, off, s[0:3], 0 offset:44
	buffer_store_dword v23, off, s[0:3], 0 offset:40
	;; [unrolled: 1-line block ×4, first 2 shown]
	global_load_dwordx4 v[48:51], v[19:20], off
	v_add_co_u32 v7, vcc_lo, s4, v7
	v_add_co_ci_u32_e64 v8, null, s5, v8, vcc_lo
	v_lshlrev_b64 v[15:16], 4, v[45:46]
	v_lshlrev_b64 v[21:22], 4, v[52:53]
	;; [unrolled: 1-line block ×5, first 2 shown]
	s_waitcnt vmcnt(4)
	buffer_store_dword v28, off, s[0:3], 0 offset:60
	buffer_store_dword v27, off, s[0:3], 0 offset:56
	;; [unrolled: 1-line block ×4, first 2 shown]
	global_load_dwordx4 v[25:28], v[9:10], off
	v_add_co_u32 v15, vcc_lo, s4, v15
	v_add_co_ci_u32_e64 v16, null, s5, v16, vcc_lo
	v_add_co_u32 v21, vcc_lo, s4, v21
	v_add_co_ci_u32_e64 v22, null, s5, v22, vcc_lo
	;; [unrolled: 2-line block ×3, first 2 shown]
	s_waitcnt vmcnt(3)
	buffer_store_dword v4, off, s[0:3], 0 offset:76
	buffer_store_dword v3, off, s[0:3], 0 offset:72
	buffer_store_dword v2, off, s[0:3], 0 offset:68
	buffer_store_dword v1, off, s[0:3], 0 offset:64
	global_load_dwordx4 v[1:4], v[7:8], off
	s_waitcnt vmcnt(3)
	buffer_store_dword v40, off, s[0:3], 0 offset:92
	buffer_store_dword v39, off, s[0:3], 0 offset:88
	buffer_store_dword v38, off, s[0:3], 0 offset:84
	buffer_store_dword v37, off, s[0:3], 0 offset:80
	global_load_dwordx4 v[37:40], v[15:16], off
	;; [unrolled: 6-line block ×3, first 2 shown]
	s_waitcnt vmcnt(3)
	buffer_store_dword v28, off, s[0:3], 0 offset:124
	buffer_store_dword v27, off, s[0:3], 0 offset:120
	;; [unrolled: 1-line block ×4, first 2 shown]
	v_add_co_u32 v25, vcc_lo, s4, v29
	v_add_co_ci_u32_e64 v26, null, s5, v30, vcc_lo
	global_load_dwordx4 v[52:55], v[23:24], off
	v_lshlrev_b64 v[27:28], 4, v[58:59]
	v_lshlrev_b64 v[29:30], 4, v[60:61]
	;; [unrolled: 1-line block ×3, first 2 shown]
	s_waitcnt vmcnt(3)
	buffer_store_dword v4, off, s[0:3], 0 offset:140
	buffer_store_dword v3, off, s[0:3], 0 offset:136
	;; [unrolled: 1-line block ×4, first 2 shown]
	global_load_dwordx4 v[1:4], v[25:26], off
	v_add_co_u32 v27, vcc_lo, s4, v27
	v_add_co_ci_u32_e64 v28, null, s5, v28, vcc_lo
	v_add_co_u32 v29, vcc_lo, s4, v29
	v_add_co_ci_u32_e64 v30, null, s5, v30, vcc_lo
	s_waitcnt vmcnt(3)
	buffer_store_dword v37, off, s[0:3], 0 offset:144
	buffer_store_dword v38, off, s[0:3], 0 offset:148
	;; [unrolled: 1-line block ×4, first 2 shown]
	s_waitcnt vmcnt(2)
	buffer_store_dword v48, off, s[0:3], 0 offset:160
	buffer_store_dword v49, off, s[0:3], 0 offset:164
	;; [unrolled: 1-line block ×4, first 2 shown]
	s_clause 0x1
	global_load_dwordx4 v[48:51], v[27:28], off
	global_load_dwordx4 v[56:59], v[29:30], off
	v_add_co_u32 v37, vcc_lo, s4, v45
	v_add_co_ci_u32_e64 v38, null, s5, v46, vcc_lo
	v_add_co_u32 v39, vcc_lo, s4, v60
	v_add_co_ci_u32_e64 v40, null, s5, v61, vcc_lo
	s_movk_i32 s4, 0x50
	s_movk_i32 s5, 0x60
	s_waitcnt vmcnt(3)
	buffer_store_dword v52, off, s[0:3], 0 offset:176
	buffer_store_dword v53, off, s[0:3], 0 offset:180
	buffer_store_dword v54, off, s[0:3], 0 offset:184
	buffer_store_dword v55, off, s[0:3], 0 offset:188
	global_load_dwordx4 v[52:55], v[37:38], off
	s_waitcnt vmcnt(3)
	buffer_store_dword v4, off, s[0:3], 0 offset:204
	buffer_store_dword v3, off, s[0:3], 0 offset:200
	;; [unrolled: 1-line block ×4, first 2 shown]
	global_load_dwordx4 v[1:4], v[39:40], off
	s_waitcnt vmcnt(3)
	buffer_store_dword v51, off, s[0:3], 0 offset:220
	buffer_store_dword v50, off, s[0:3], 0 offset:216
	buffer_store_dword v49, off, s[0:3], 0 offset:212
	buffer_store_dword v48, off, s[0:3], 0 offset:208
	s_waitcnt vmcnt(2)
	buffer_store_dword v59, off, s[0:3], 0 offset:236
	buffer_store_dword v58, off, s[0:3], 0 offset:232
	buffer_store_dword v57, off, s[0:3], 0 offset:228
	buffer_store_dword v56, off, s[0:3], 0 offset:224
	;; [unrolled: 5-line block ×4, first 2 shown]
	buffer_store_dword v44, off, s[0:3], 0 offset:284
	buffer_store_dword v43, off, s[0:3], 0 offset:280
	;; [unrolled: 1-line block ×4, first 2 shown]
	s_cbranch_scc1 .LBB17_7
; %bb.2:
	v_lshl_add_u32 v48, v0, 4, 0
                                        ; implicit-def: $vgpr43_vgpr44
                                        ; implicit-def: $vgpr3_vgpr4
	s_clause 0x3
	buffer_load_dword v41, v48, s[0:3], 0 offen
	buffer_load_dword v42, v48, s[0:3], 0 offen offset:4
	buffer_load_dword v45, v48, s[0:3], 0 offen offset:8
	;; [unrolled: 1-line block ×3, first 2 shown]
	s_waitcnt vmcnt(0)
	v_cmp_ngt_f64_e64 s9, |v[41:42]|, |v[45:46]|
	s_and_saveexec_b32 s14, s9
	s_xor_b32 s9, exec_lo, s14
	s_cbranch_execz .LBB17_4
; %bb.3:
	v_div_scale_f64 v[1:2], null, v[45:46], v[45:46], v[41:42]
	v_div_scale_f64 v[49:50], vcc_lo, v[41:42], v[45:46], v[41:42]
	v_rcp_f64_e32 v[3:4], v[1:2]
	v_fma_f64 v[43:44], -v[1:2], v[3:4], 1.0
	v_fma_f64 v[3:4], v[3:4], v[43:44], v[3:4]
	v_fma_f64 v[43:44], -v[1:2], v[3:4], 1.0
	v_fma_f64 v[3:4], v[3:4], v[43:44], v[3:4]
	v_mul_f64 v[43:44], v[49:50], v[3:4]
	v_fma_f64 v[1:2], -v[1:2], v[43:44], v[49:50]
	v_div_fmas_f64 v[1:2], v[1:2], v[3:4], v[43:44]
	v_div_fixup_f64 v[1:2], v[1:2], v[45:46], v[41:42]
	v_fma_f64 v[3:4], v[41:42], v[1:2], v[45:46]
	v_div_scale_f64 v[41:42], null, v[3:4], v[3:4], 1.0
	v_div_scale_f64 v[49:50], vcc_lo, 1.0, v[3:4], 1.0
	v_rcp_f64_e32 v[43:44], v[41:42]
	v_fma_f64 v[45:46], -v[41:42], v[43:44], 1.0
	v_fma_f64 v[43:44], v[43:44], v[45:46], v[43:44]
	v_fma_f64 v[45:46], -v[41:42], v[43:44], 1.0
	v_fma_f64 v[43:44], v[43:44], v[45:46], v[43:44]
	v_mul_f64 v[45:46], v[49:50], v[43:44]
	v_fma_f64 v[41:42], -v[41:42], v[45:46], v[49:50]
	v_div_fmas_f64 v[41:42], v[41:42], v[43:44], v[45:46]
                                        ; implicit-def: $vgpr45_vgpr46
	v_div_fixup_f64 v[3:4], v[41:42], v[3:4], 1.0
                                        ; implicit-def: $vgpr41_vgpr42
	v_mul_f64 v[43:44], v[1:2], v[3:4]
	v_xor_b32_e32 v4, 0x80000000, v4
	v_xor_b32_e32 v2, 0x80000000, v44
	v_mov_b32_e32 v1, v43
.LBB17_4:
	s_andn2_saveexec_b32 s9, s9
	s_cbranch_execz .LBB17_6
; %bb.5:
	v_div_scale_f64 v[1:2], null, v[41:42], v[41:42], v[45:46]
	v_div_scale_f64 v[49:50], vcc_lo, v[45:46], v[41:42], v[45:46]
	v_rcp_f64_e32 v[3:4], v[1:2]
	v_fma_f64 v[43:44], -v[1:2], v[3:4], 1.0
	v_fma_f64 v[3:4], v[3:4], v[43:44], v[3:4]
	v_fma_f64 v[43:44], -v[1:2], v[3:4], 1.0
	v_fma_f64 v[3:4], v[3:4], v[43:44], v[3:4]
	v_mul_f64 v[43:44], v[49:50], v[3:4]
	v_fma_f64 v[1:2], -v[1:2], v[43:44], v[49:50]
	v_div_fmas_f64 v[1:2], v[1:2], v[3:4], v[43:44]
	v_div_fixup_f64 v[1:2], v[1:2], v[41:42], v[45:46]
	v_fma_f64 v[3:4], v[45:46], v[1:2], v[41:42]
	v_div_scale_f64 v[41:42], null, v[3:4], v[3:4], 1.0
	v_rcp_f64_e32 v[43:44], v[41:42]
	v_fma_f64 v[45:46], -v[41:42], v[43:44], 1.0
	v_fma_f64 v[43:44], v[43:44], v[45:46], v[43:44]
	v_fma_f64 v[45:46], -v[41:42], v[43:44], 1.0
	v_fma_f64 v[43:44], v[43:44], v[45:46], v[43:44]
	v_div_scale_f64 v[45:46], vcc_lo, 1.0, v[3:4], 1.0
	v_mul_f64 v[49:50], v[45:46], v[43:44]
	v_fma_f64 v[41:42], -v[41:42], v[49:50], v[45:46]
	v_div_fmas_f64 v[41:42], v[41:42], v[43:44], v[49:50]
	v_div_fixup_f64 v[43:44], v[41:42], v[3:4], 1.0
	v_mul_f64 v[3:4], v[1:2], -v[43:44]
	v_xor_b32_e32 v2, 0x80000000, v44
	v_mov_b32_e32 v1, v43
.LBB17_6:
	s_or_b32 exec_lo, exec_lo, s9
	buffer_store_dword v4, v48, s[0:3], 0 offen offset:12
	v_xor_b32_e32 v4, 0x80000000, v4
	buffer_store_dword v44, v48, s[0:3], 0 offen offset:4
	buffer_store_dword v43, v48, s[0:3], 0 offen
	buffer_store_dword v3, v48, s[0:3], 0 offen offset:8
	s_branch .LBB17_8
.LBB17_7:
	v_mov_b32_e32 v1, 0
	v_mov_b32_e32 v3, 0
	;; [unrolled: 1-line block ×4, first 2 shown]
.LBB17_8:
	v_add_nc_u32_e32 v42, 0x120, v47
	v_mov_b32_e32 v41, v47
	s_mov_b32 s23, 16
	s_mov_b32 s24, 32
	;; [unrolled: 1-line block ×16, first 2 shown]
	s_cmpk_eq_i32 s8, 0x79
	ds_write_b128 v47, v[1:4]
	s_cbranch_scc1 .LBB17_140
; %bb.9:
	v_mov_b32_e32 v4, s9
	v_cmp_eq_u32_e64 s4, 17, v0
	s_clause 0x3
	buffer_load_dword v1, v4, s[0:3], 0 offen
	buffer_load_dword v2, v4, s[0:3], 0 offen offset:4
	buffer_load_dword v3, v4, s[0:3], 0 offen offset:8
	buffer_load_dword v4, v4, s[0:3], 0 offen offset:12
	s_waitcnt vmcnt(0)
	ds_write_b128 v42, v[1:4]
	s_waitcnt lgkmcnt(0)
	s_waitcnt_vscnt null, 0x0
	s_barrier
	buffer_gl0_inv
	s_and_saveexec_b32 s5, s4
	s_cbranch_execz .LBB17_13
; %bb.10:
	ds_read_b128 v[1:4], v42
	s_andn2_b32 vcc_lo, exec_lo, s25
	s_cbranch_vccnz .LBB17_12
; %bb.11:
	s_clause 0x3
	buffer_load_dword v43, v41, s[0:3], 0 offen offset:8
	buffer_load_dword v44, v41, s[0:3], 0 offen offset:12
	buffer_load_dword v45, v41, s[0:3], 0 offen
	buffer_load_dword v46, v41, s[0:3], 0 offen offset:4
	s_waitcnt vmcnt(2) lgkmcnt(0)
	v_mul_f64 v[48:49], v[3:4], v[43:44]
	v_mul_f64 v[43:44], v[1:2], v[43:44]
	s_waitcnt vmcnt(0)
	v_fma_f64 v[1:2], v[1:2], v[45:46], -v[48:49]
	v_fma_f64 v[3:4], v[3:4], v[45:46], v[43:44]
.LBB17_12:
	v_mov_b32_e32 v43, 0
	ds_read_b128 v[43:46], v43 offset:256
	s_waitcnt lgkmcnt(0)
	v_mul_f64 v[48:49], v[3:4], v[45:46]
	v_mul_f64 v[45:46], v[1:2], v[45:46]
	v_fma_f64 v[1:2], v[1:2], v[43:44], -v[48:49]
	v_fma_f64 v[3:4], v[3:4], v[43:44], v[45:46]
	buffer_store_dword v2, off, s[0:3], 0 offset:260
	buffer_store_dword v1, off, s[0:3], 0 offset:256
	;; [unrolled: 1-line block ×4, first 2 shown]
.LBB17_13:
	s_or_b32 exec_lo, exec_lo, s5
	v_mov_b32_e32 v4, s10
	v_cmp_lt_u32_e64 s5, 15, v0
	s_clause 0x3
	buffer_load_dword v1, v4, s[0:3], 0 offen
	buffer_load_dword v2, v4, s[0:3], 0 offen offset:4
	buffer_load_dword v3, v4, s[0:3], 0 offen offset:8
	;; [unrolled: 1-line block ×3, first 2 shown]
	s_waitcnt vmcnt(0)
	ds_write_b128 v42, v[1:4]
	s_waitcnt lgkmcnt(0)
	s_waitcnt_vscnt null, 0x0
	s_barrier
	buffer_gl0_inv
	s_and_saveexec_b32 s6, s5
	s_cbranch_execz .LBB17_19
; %bb.14:
	ds_read_b128 v[1:4], v42
	s_andn2_b32 vcc_lo, exec_lo, s25
	s_cbranch_vccnz .LBB17_16
; %bb.15:
	s_clause 0x3
	buffer_load_dword v43, v41, s[0:3], 0 offen offset:8
	buffer_load_dword v44, v41, s[0:3], 0 offen offset:12
	buffer_load_dword v45, v41, s[0:3], 0 offen
	buffer_load_dword v46, v41, s[0:3], 0 offen offset:4
	s_waitcnt vmcnt(2) lgkmcnt(0)
	v_mul_f64 v[48:49], v[3:4], v[43:44]
	v_mul_f64 v[43:44], v[1:2], v[43:44]
	s_waitcnt vmcnt(0)
	v_fma_f64 v[1:2], v[1:2], v[45:46], -v[48:49]
	v_fma_f64 v[3:4], v[3:4], v[45:46], v[43:44]
.LBB17_16:
	s_and_saveexec_b32 s8, s4
	s_cbranch_execz .LBB17_18
; %bb.17:
	s_clause 0x3
	buffer_load_dword v48, off, s[0:3], 0 offset:264
	buffer_load_dword v49, off, s[0:3], 0 offset:268
	;; [unrolled: 1-line block ×4, first 2 shown]
	v_mov_b32_e32 v43, 0
	ds_read_b128 v[43:46], v43 offset:544
	s_waitcnt vmcnt(2) lgkmcnt(0)
	v_mul_f64 v[52:53], v[43:44], v[48:49]
	v_mul_f64 v[48:49], v[45:46], v[48:49]
	s_waitcnt vmcnt(0)
	v_fma_f64 v[45:46], v[45:46], v[50:51], v[52:53]
	v_fma_f64 v[43:44], v[43:44], v[50:51], -v[48:49]
	v_add_f64 v[3:4], v[3:4], v[45:46]
	v_add_f64 v[1:2], v[1:2], v[43:44]
.LBB17_18:
	s_or_b32 exec_lo, exec_lo, s8
	v_mov_b32_e32 v43, 0
	ds_read_b128 v[43:46], v43 offset:240
	s_waitcnt lgkmcnt(0)
	v_mul_f64 v[48:49], v[3:4], v[45:46]
	v_mul_f64 v[45:46], v[1:2], v[45:46]
	v_fma_f64 v[1:2], v[1:2], v[43:44], -v[48:49]
	v_fma_f64 v[3:4], v[3:4], v[43:44], v[45:46]
	buffer_store_dword v2, off, s[0:3], 0 offset:244
	buffer_store_dword v1, off, s[0:3], 0 offset:240
	;; [unrolled: 1-line block ×4, first 2 shown]
.LBB17_19:
	s_or_b32 exec_lo, exec_lo, s6
	v_mov_b32_e32 v4, s11
	v_cmp_lt_u32_e64 s4, 14, v0
	s_clause 0x3
	buffer_load_dword v1, v4, s[0:3], 0 offen
	buffer_load_dword v2, v4, s[0:3], 0 offen offset:4
	buffer_load_dword v3, v4, s[0:3], 0 offen offset:8
	buffer_load_dword v4, v4, s[0:3], 0 offen offset:12
	s_waitcnt vmcnt(0)
	ds_write_b128 v42, v[1:4]
	s_waitcnt lgkmcnt(0)
	s_waitcnt_vscnt null, 0x0
	s_barrier
	buffer_gl0_inv
	s_and_saveexec_b32 s6, s4
	s_cbranch_execz .LBB17_27
; %bb.20:
	ds_read_b128 v[1:4], v42
	s_andn2_b32 vcc_lo, exec_lo, s25
	s_cbranch_vccnz .LBB17_22
; %bb.21:
	s_clause 0x3
	buffer_load_dword v43, v41, s[0:3], 0 offen offset:8
	buffer_load_dword v44, v41, s[0:3], 0 offen offset:12
	buffer_load_dword v45, v41, s[0:3], 0 offen
	buffer_load_dword v46, v41, s[0:3], 0 offen offset:4
	s_waitcnt vmcnt(2) lgkmcnt(0)
	v_mul_f64 v[48:49], v[3:4], v[43:44]
	v_mul_f64 v[43:44], v[1:2], v[43:44]
	s_waitcnt vmcnt(0)
	v_fma_f64 v[1:2], v[1:2], v[45:46], -v[48:49]
	v_fma_f64 v[3:4], v[3:4], v[45:46], v[43:44]
.LBB17_22:
	s_and_saveexec_b32 s8, s5
	s_cbranch_execz .LBB17_26
; %bb.23:
	v_add_nc_u32_e32 v43, -15, v0
	s_movk_i32 s26, 0x210
	s_mov_b32 s5, 0
	s_mov_b32 s27, s10
	.p2align	6
.LBB17_24:                              ; =>This Inner Loop Header: Depth=1
	v_mov_b32_e32 v46, s27
	v_add_nc_u32_e32 v43, -1, v43
	s_add_i32 s27, s27, 16
	s_clause 0x3
	buffer_load_dword v44, v46, s[0:3], 0 offen offset:8
	buffer_load_dword v45, v46, s[0:3], 0 offen offset:12
	buffer_load_dword v52, v46, s[0:3], 0 offen
	buffer_load_dword v53, v46, s[0:3], 0 offen offset:4
	v_mov_b32_e32 v46, s26
	v_cmp_eq_u32_e32 vcc_lo, 0, v43
	s_add_i32 s26, s26, 16
	ds_read_b128 v[48:51], v46
	s_or_b32 s5, vcc_lo, s5
	s_waitcnt vmcnt(2) lgkmcnt(0)
	v_mul_f64 v[54:55], v[50:51], v[44:45]
	v_mul_f64 v[44:45], v[48:49], v[44:45]
	s_waitcnt vmcnt(0)
	v_fma_f64 v[48:49], v[48:49], v[52:53], -v[54:55]
	v_fma_f64 v[44:45], v[50:51], v[52:53], v[44:45]
	v_add_f64 v[1:2], v[1:2], v[48:49]
	v_add_f64 v[3:4], v[3:4], v[44:45]
	s_andn2_b32 exec_lo, exec_lo, s5
	s_cbranch_execnz .LBB17_24
; %bb.25:
	s_or_b32 exec_lo, exec_lo, s5
.LBB17_26:
	s_or_b32 exec_lo, exec_lo, s8
	v_mov_b32_e32 v43, 0
	ds_read_b128 v[43:46], v43 offset:224
	s_waitcnt lgkmcnt(0)
	v_mul_f64 v[48:49], v[3:4], v[45:46]
	v_mul_f64 v[45:46], v[1:2], v[45:46]
	v_fma_f64 v[1:2], v[1:2], v[43:44], -v[48:49]
	v_fma_f64 v[3:4], v[3:4], v[43:44], v[45:46]
	buffer_store_dword v2, off, s[0:3], 0 offset:228
	buffer_store_dword v1, off, s[0:3], 0 offset:224
	;; [unrolled: 1-line block ×4, first 2 shown]
.LBB17_27:
	s_or_b32 exec_lo, exec_lo, s6
	v_mov_b32_e32 v4, s12
	v_cmp_lt_u32_e64 s5, 13, v0
	s_clause 0x3
	buffer_load_dword v1, v4, s[0:3], 0 offen
	buffer_load_dword v2, v4, s[0:3], 0 offen offset:4
	buffer_load_dword v3, v4, s[0:3], 0 offen offset:8
	;; [unrolled: 1-line block ×3, first 2 shown]
	s_waitcnt vmcnt(0)
	ds_write_b128 v42, v[1:4]
	s_waitcnt lgkmcnt(0)
	s_waitcnt_vscnt null, 0x0
	s_barrier
	buffer_gl0_inv
	s_and_saveexec_b32 s6, s5
	s_cbranch_execz .LBB17_35
; %bb.28:
	ds_read_b128 v[1:4], v42
	s_andn2_b32 vcc_lo, exec_lo, s25
	s_cbranch_vccnz .LBB17_30
; %bb.29:
	s_clause 0x3
	buffer_load_dword v43, v41, s[0:3], 0 offen offset:8
	buffer_load_dword v44, v41, s[0:3], 0 offen offset:12
	buffer_load_dword v45, v41, s[0:3], 0 offen
	buffer_load_dword v46, v41, s[0:3], 0 offen offset:4
	s_waitcnt vmcnt(2) lgkmcnt(0)
	v_mul_f64 v[48:49], v[3:4], v[43:44]
	v_mul_f64 v[43:44], v[1:2], v[43:44]
	s_waitcnt vmcnt(0)
	v_fma_f64 v[1:2], v[1:2], v[45:46], -v[48:49]
	v_fma_f64 v[3:4], v[3:4], v[45:46], v[43:44]
.LBB17_30:
	s_and_saveexec_b32 s8, s4
	s_cbranch_execz .LBB17_34
; %bb.31:
	v_add_nc_u32_e32 v43, -14, v0
	s_movk_i32 s26, 0x200
	s_mov_b32 s4, 0
	s_mov_b32 s27, s11
	.p2align	6
.LBB17_32:                              ; =>This Inner Loop Header: Depth=1
	v_mov_b32_e32 v46, s27
	v_add_nc_u32_e32 v43, -1, v43
	s_add_i32 s27, s27, 16
	s_clause 0x3
	buffer_load_dword v44, v46, s[0:3], 0 offen offset:8
	buffer_load_dword v45, v46, s[0:3], 0 offen offset:12
	buffer_load_dword v52, v46, s[0:3], 0 offen
	buffer_load_dword v53, v46, s[0:3], 0 offen offset:4
	v_mov_b32_e32 v46, s26
	v_cmp_eq_u32_e32 vcc_lo, 0, v43
	s_add_i32 s26, s26, 16
	ds_read_b128 v[48:51], v46
	s_or_b32 s4, vcc_lo, s4
	s_waitcnt vmcnt(2) lgkmcnt(0)
	v_mul_f64 v[54:55], v[50:51], v[44:45]
	v_mul_f64 v[44:45], v[48:49], v[44:45]
	s_waitcnt vmcnt(0)
	v_fma_f64 v[48:49], v[48:49], v[52:53], -v[54:55]
	v_fma_f64 v[44:45], v[50:51], v[52:53], v[44:45]
	v_add_f64 v[1:2], v[1:2], v[48:49]
	v_add_f64 v[3:4], v[3:4], v[44:45]
	s_andn2_b32 exec_lo, exec_lo, s4
	s_cbranch_execnz .LBB17_32
; %bb.33:
	s_or_b32 exec_lo, exec_lo, s4
.LBB17_34:
	s_or_b32 exec_lo, exec_lo, s8
	v_mov_b32_e32 v43, 0
	ds_read_b128 v[43:46], v43 offset:208
	s_waitcnt lgkmcnt(0)
	v_mul_f64 v[48:49], v[3:4], v[45:46]
	v_mul_f64 v[45:46], v[1:2], v[45:46]
	v_fma_f64 v[1:2], v[1:2], v[43:44], -v[48:49]
	v_fma_f64 v[3:4], v[3:4], v[43:44], v[45:46]
	buffer_store_dword v2, off, s[0:3], 0 offset:212
	buffer_store_dword v1, off, s[0:3], 0 offset:208
	;; [unrolled: 1-line block ×4, first 2 shown]
.LBB17_35:
	s_or_b32 exec_lo, exec_lo, s6
	v_mov_b32_e32 v4, s13
	v_cmp_lt_u32_e64 s4, 12, v0
	s_clause 0x3
	buffer_load_dword v1, v4, s[0:3], 0 offen
	buffer_load_dword v2, v4, s[0:3], 0 offen offset:4
	buffer_load_dword v3, v4, s[0:3], 0 offen offset:8
	;; [unrolled: 1-line block ×3, first 2 shown]
	s_waitcnt vmcnt(0)
	ds_write_b128 v42, v[1:4]
	s_waitcnt lgkmcnt(0)
	s_waitcnt_vscnt null, 0x0
	s_barrier
	buffer_gl0_inv
	s_and_saveexec_b32 s6, s4
	s_cbranch_execz .LBB17_43
; %bb.36:
	ds_read_b128 v[1:4], v42
	s_andn2_b32 vcc_lo, exec_lo, s25
	s_cbranch_vccnz .LBB17_38
; %bb.37:
	s_clause 0x3
	buffer_load_dword v43, v41, s[0:3], 0 offen offset:8
	buffer_load_dword v44, v41, s[0:3], 0 offen offset:12
	buffer_load_dword v45, v41, s[0:3], 0 offen
	buffer_load_dword v46, v41, s[0:3], 0 offen offset:4
	s_waitcnt vmcnt(2) lgkmcnt(0)
	v_mul_f64 v[48:49], v[3:4], v[43:44]
	v_mul_f64 v[43:44], v[1:2], v[43:44]
	s_waitcnt vmcnt(0)
	v_fma_f64 v[1:2], v[1:2], v[45:46], -v[48:49]
	v_fma_f64 v[3:4], v[3:4], v[45:46], v[43:44]
.LBB17_38:
	s_and_saveexec_b32 s8, s5
	s_cbranch_execz .LBB17_42
; %bb.39:
	v_add_nc_u32_e32 v43, -13, v0
	s_movk_i32 s26, 0x1f0
	s_mov_b32 s5, 0
	s_mov_b32 s27, s12
	.p2align	6
.LBB17_40:                              ; =>This Inner Loop Header: Depth=1
	v_mov_b32_e32 v46, s27
	v_add_nc_u32_e32 v43, -1, v43
	s_add_i32 s27, s27, 16
	s_clause 0x3
	buffer_load_dword v44, v46, s[0:3], 0 offen offset:8
	buffer_load_dword v45, v46, s[0:3], 0 offen offset:12
	buffer_load_dword v52, v46, s[0:3], 0 offen
	buffer_load_dword v53, v46, s[0:3], 0 offen offset:4
	v_mov_b32_e32 v46, s26
	v_cmp_eq_u32_e32 vcc_lo, 0, v43
	s_add_i32 s26, s26, 16
	ds_read_b128 v[48:51], v46
	s_or_b32 s5, vcc_lo, s5
	s_waitcnt vmcnt(2) lgkmcnt(0)
	v_mul_f64 v[54:55], v[50:51], v[44:45]
	v_mul_f64 v[44:45], v[48:49], v[44:45]
	s_waitcnt vmcnt(0)
	v_fma_f64 v[48:49], v[48:49], v[52:53], -v[54:55]
	v_fma_f64 v[44:45], v[50:51], v[52:53], v[44:45]
	v_add_f64 v[1:2], v[1:2], v[48:49]
	v_add_f64 v[3:4], v[3:4], v[44:45]
	s_andn2_b32 exec_lo, exec_lo, s5
	s_cbranch_execnz .LBB17_40
; %bb.41:
	s_or_b32 exec_lo, exec_lo, s5
.LBB17_42:
	s_or_b32 exec_lo, exec_lo, s8
	v_mov_b32_e32 v43, 0
	ds_read_b128 v[43:46], v43 offset:192
	s_waitcnt lgkmcnt(0)
	v_mul_f64 v[48:49], v[3:4], v[45:46]
	v_mul_f64 v[45:46], v[1:2], v[45:46]
	v_fma_f64 v[1:2], v[1:2], v[43:44], -v[48:49]
	v_fma_f64 v[3:4], v[3:4], v[43:44], v[45:46]
	buffer_store_dword v2, off, s[0:3], 0 offset:196
	buffer_store_dword v1, off, s[0:3], 0 offset:192
	;; [unrolled: 1-line block ×4, first 2 shown]
.LBB17_43:
	s_or_b32 exec_lo, exec_lo, s6
	v_mov_b32_e32 v4, s14
	v_cmp_lt_u32_e64 s5, 11, v0
	s_clause 0x3
	buffer_load_dword v1, v4, s[0:3], 0 offen
	buffer_load_dword v2, v4, s[0:3], 0 offen offset:4
	buffer_load_dword v3, v4, s[0:3], 0 offen offset:8
	;; [unrolled: 1-line block ×3, first 2 shown]
	s_waitcnt vmcnt(0)
	ds_write_b128 v42, v[1:4]
	s_waitcnt lgkmcnt(0)
	s_waitcnt_vscnt null, 0x0
	s_barrier
	buffer_gl0_inv
	s_and_saveexec_b32 s6, s5
	s_cbranch_execz .LBB17_51
; %bb.44:
	ds_read_b128 v[1:4], v42
	s_andn2_b32 vcc_lo, exec_lo, s25
	s_cbranch_vccnz .LBB17_46
; %bb.45:
	s_clause 0x3
	buffer_load_dword v43, v41, s[0:3], 0 offen offset:8
	buffer_load_dword v44, v41, s[0:3], 0 offen offset:12
	buffer_load_dword v45, v41, s[0:3], 0 offen
	buffer_load_dword v46, v41, s[0:3], 0 offen offset:4
	s_waitcnt vmcnt(2) lgkmcnt(0)
	v_mul_f64 v[48:49], v[3:4], v[43:44]
	v_mul_f64 v[43:44], v[1:2], v[43:44]
	s_waitcnt vmcnt(0)
	v_fma_f64 v[1:2], v[1:2], v[45:46], -v[48:49]
	v_fma_f64 v[3:4], v[3:4], v[45:46], v[43:44]
.LBB17_46:
	s_and_saveexec_b32 s8, s4
	s_cbranch_execz .LBB17_50
; %bb.47:
	v_add_nc_u32_e32 v43, -12, v0
	s_movk_i32 s26, 0x1e0
	s_mov_b32 s4, 0
	s_mov_b32 s27, s13
	.p2align	6
.LBB17_48:                              ; =>This Inner Loop Header: Depth=1
	v_mov_b32_e32 v46, s27
	v_add_nc_u32_e32 v43, -1, v43
	s_add_i32 s27, s27, 16
	s_clause 0x3
	buffer_load_dword v44, v46, s[0:3], 0 offen offset:8
	buffer_load_dword v45, v46, s[0:3], 0 offen offset:12
	buffer_load_dword v52, v46, s[0:3], 0 offen
	buffer_load_dword v53, v46, s[0:3], 0 offen offset:4
	v_mov_b32_e32 v46, s26
	v_cmp_eq_u32_e32 vcc_lo, 0, v43
	s_add_i32 s26, s26, 16
	ds_read_b128 v[48:51], v46
	s_or_b32 s4, vcc_lo, s4
	s_waitcnt vmcnt(2) lgkmcnt(0)
	v_mul_f64 v[54:55], v[50:51], v[44:45]
	v_mul_f64 v[44:45], v[48:49], v[44:45]
	s_waitcnt vmcnt(0)
	v_fma_f64 v[48:49], v[48:49], v[52:53], -v[54:55]
	v_fma_f64 v[44:45], v[50:51], v[52:53], v[44:45]
	v_add_f64 v[1:2], v[1:2], v[48:49]
	v_add_f64 v[3:4], v[3:4], v[44:45]
	s_andn2_b32 exec_lo, exec_lo, s4
	s_cbranch_execnz .LBB17_48
; %bb.49:
	s_or_b32 exec_lo, exec_lo, s4
.LBB17_50:
	s_or_b32 exec_lo, exec_lo, s8
	v_mov_b32_e32 v43, 0
	ds_read_b128 v[43:46], v43 offset:176
	s_waitcnt lgkmcnt(0)
	v_mul_f64 v[48:49], v[3:4], v[45:46]
	v_mul_f64 v[45:46], v[1:2], v[45:46]
	v_fma_f64 v[1:2], v[1:2], v[43:44], -v[48:49]
	v_fma_f64 v[3:4], v[3:4], v[43:44], v[45:46]
	buffer_store_dword v2, off, s[0:3], 0 offset:180
	buffer_store_dword v1, off, s[0:3], 0 offset:176
	;; [unrolled: 1-line block ×4, first 2 shown]
.LBB17_51:
	s_or_b32 exec_lo, exec_lo, s6
	v_mov_b32_e32 v4, s15
	v_cmp_lt_u32_e64 s4, 10, v0
	s_clause 0x3
	buffer_load_dword v1, v4, s[0:3], 0 offen
	buffer_load_dword v2, v4, s[0:3], 0 offen offset:4
	buffer_load_dword v3, v4, s[0:3], 0 offen offset:8
	;; [unrolled: 1-line block ×3, first 2 shown]
	s_waitcnt vmcnt(0)
	ds_write_b128 v42, v[1:4]
	s_waitcnt lgkmcnt(0)
	s_waitcnt_vscnt null, 0x0
	s_barrier
	buffer_gl0_inv
	s_and_saveexec_b32 s6, s4
	s_cbranch_execz .LBB17_59
; %bb.52:
	ds_read_b128 v[1:4], v42
	s_andn2_b32 vcc_lo, exec_lo, s25
	s_cbranch_vccnz .LBB17_54
; %bb.53:
	s_clause 0x3
	buffer_load_dword v43, v41, s[0:3], 0 offen offset:8
	buffer_load_dword v44, v41, s[0:3], 0 offen offset:12
	buffer_load_dword v45, v41, s[0:3], 0 offen
	buffer_load_dword v46, v41, s[0:3], 0 offen offset:4
	s_waitcnt vmcnt(2) lgkmcnt(0)
	v_mul_f64 v[48:49], v[3:4], v[43:44]
	v_mul_f64 v[43:44], v[1:2], v[43:44]
	s_waitcnt vmcnt(0)
	v_fma_f64 v[1:2], v[1:2], v[45:46], -v[48:49]
	v_fma_f64 v[3:4], v[3:4], v[45:46], v[43:44]
.LBB17_54:
	s_and_saveexec_b32 s8, s5
	s_cbranch_execz .LBB17_58
; %bb.55:
	v_add_nc_u32_e32 v43, -11, v0
	s_movk_i32 s26, 0x1d0
	s_mov_b32 s5, 0
	s_mov_b32 s27, s14
	.p2align	6
.LBB17_56:                              ; =>This Inner Loop Header: Depth=1
	v_mov_b32_e32 v46, s27
	v_add_nc_u32_e32 v43, -1, v43
	s_add_i32 s27, s27, 16
	s_clause 0x3
	buffer_load_dword v44, v46, s[0:3], 0 offen offset:8
	buffer_load_dword v45, v46, s[0:3], 0 offen offset:12
	buffer_load_dword v52, v46, s[0:3], 0 offen
	buffer_load_dword v53, v46, s[0:3], 0 offen offset:4
	v_mov_b32_e32 v46, s26
	v_cmp_eq_u32_e32 vcc_lo, 0, v43
	s_add_i32 s26, s26, 16
	ds_read_b128 v[48:51], v46
	s_or_b32 s5, vcc_lo, s5
	s_waitcnt vmcnt(2) lgkmcnt(0)
	v_mul_f64 v[54:55], v[50:51], v[44:45]
	v_mul_f64 v[44:45], v[48:49], v[44:45]
	s_waitcnt vmcnt(0)
	v_fma_f64 v[48:49], v[48:49], v[52:53], -v[54:55]
	v_fma_f64 v[44:45], v[50:51], v[52:53], v[44:45]
	v_add_f64 v[1:2], v[1:2], v[48:49]
	v_add_f64 v[3:4], v[3:4], v[44:45]
	s_andn2_b32 exec_lo, exec_lo, s5
	s_cbranch_execnz .LBB17_56
; %bb.57:
	s_or_b32 exec_lo, exec_lo, s5
.LBB17_58:
	s_or_b32 exec_lo, exec_lo, s8
	v_mov_b32_e32 v43, 0
	ds_read_b128 v[43:46], v43 offset:160
	s_waitcnt lgkmcnt(0)
	v_mul_f64 v[48:49], v[3:4], v[45:46]
	v_mul_f64 v[45:46], v[1:2], v[45:46]
	v_fma_f64 v[1:2], v[1:2], v[43:44], -v[48:49]
	v_fma_f64 v[3:4], v[3:4], v[43:44], v[45:46]
	buffer_store_dword v2, off, s[0:3], 0 offset:164
	buffer_store_dword v1, off, s[0:3], 0 offset:160
	;; [unrolled: 1-line block ×4, first 2 shown]
.LBB17_59:
	s_or_b32 exec_lo, exec_lo, s6
	v_mov_b32_e32 v4, s16
	v_cmp_lt_u32_e64 s5, 9, v0
	s_clause 0x3
	buffer_load_dword v1, v4, s[0:3], 0 offen
	buffer_load_dword v2, v4, s[0:3], 0 offen offset:4
	buffer_load_dword v3, v4, s[0:3], 0 offen offset:8
	;; [unrolled: 1-line block ×3, first 2 shown]
	s_waitcnt vmcnt(0)
	ds_write_b128 v42, v[1:4]
	s_waitcnt lgkmcnt(0)
	s_waitcnt_vscnt null, 0x0
	s_barrier
	buffer_gl0_inv
	s_and_saveexec_b32 s6, s5
	s_cbranch_execz .LBB17_67
; %bb.60:
	ds_read_b128 v[1:4], v42
	s_andn2_b32 vcc_lo, exec_lo, s25
	s_cbranch_vccnz .LBB17_62
; %bb.61:
	s_clause 0x3
	buffer_load_dword v43, v41, s[0:3], 0 offen offset:8
	buffer_load_dword v44, v41, s[0:3], 0 offen offset:12
	buffer_load_dword v45, v41, s[0:3], 0 offen
	buffer_load_dword v46, v41, s[0:3], 0 offen offset:4
	s_waitcnt vmcnt(2) lgkmcnt(0)
	v_mul_f64 v[48:49], v[3:4], v[43:44]
	v_mul_f64 v[43:44], v[1:2], v[43:44]
	s_waitcnt vmcnt(0)
	v_fma_f64 v[1:2], v[1:2], v[45:46], -v[48:49]
	v_fma_f64 v[3:4], v[3:4], v[45:46], v[43:44]
.LBB17_62:
	s_and_saveexec_b32 s8, s4
	s_cbranch_execz .LBB17_66
; %bb.63:
	v_add_nc_u32_e32 v43, -10, v0
	s_movk_i32 s26, 0x1c0
	s_mov_b32 s4, 0
	s_mov_b32 s27, s15
	.p2align	6
.LBB17_64:                              ; =>This Inner Loop Header: Depth=1
	v_mov_b32_e32 v46, s27
	v_add_nc_u32_e32 v43, -1, v43
	s_add_i32 s27, s27, 16
	s_clause 0x3
	buffer_load_dword v44, v46, s[0:3], 0 offen offset:8
	buffer_load_dword v45, v46, s[0:3], 0 offen offset:12
	buffer_load_dword v52, v46, s[0:3], 0 offen
	buffer_load_dword v53, v46, s[0:3], 0 offen offset:4
	v_mov_b32_e32 v46, s26
	v_cmp_eq_u32_e32 vcc_lo, 0, v43
	s_add_i32 s26, s26, 16
	ds_read_b128 v[48:51], v46
	s_or_b32 s4, vcc_lo, s4
	s_waitcnt vmcnt(2) lgkmcnt(0)
	v_mul_f64 v[54:55], v[50:51], v[44:45]
	v_mul_f64 v[44:45], v[48:49], v[44:45]
	s_waitcnt vmcnt(0)
	v_fma_f64 v[48:49], v[48:49], v[52:53], -v[54:55]
	v_fma_f64 v[44:45], v[50:51], v[52:53], v[44:45]
	v_add_f64 v[1:2], v[1:2], v[48:49]
	v_add_f64 v[3:4], v[3:4], v[44:45]
	s_andn2_b32 exec_lo, exec_lo, s4
	s_cbranch_execnz .LBB17_64
; %bb.65:
	s_or_b32 exec_lo, exec_lo, s4
.LBB17_66:
	s_or_b32 exec_lo, exec_lo, s8
	v_mov_b32_e32 v43, 0
	ds_read_b128 v[43:46], v43 offset:144
	s_waitcnt lgkmcnt(0)
	v_mul_f64 v[48:49], v[3:4], v[45:46]
	v_mul_f64 v[45:46], v[1:2], v[45:46]
	v_fma_f64 v[1:2], v[1:2], v[43:44], -v[48:49]
	v_fma_f64 v[3:4], v[3:4], v[43:44], v[45:46]
	buffer_store_dword v2, off, s[0:3], 0 offset:148
	buffer_store_dword v1, off, s[0:3], 0 offset:144
	;; [unrolled: 1-line block ×4, first 2 shown]
.LBB17_67:
	s_or_b32 exec_lo, exec_lo, s6
	v_mov_b32_e32 v4, s17
	v_cmp_lt_u32_e64 s4, 8, v0
	s_clause 0x3
	buffer_load_dword v1, v4, s[0:3], 0 offen
	buffer_load_dword v2, v4, s[0:3], 0 offen offset:4
	buffer_load_dword v3, v4, s[0:3], 0 offen offset:8
	buffer_load_dword v4, v4, s[0:3], 0 offen offset:12
	s_waitcnt vmcnt(0)
	ds_write_b128 v42, v[1:4]
	s_waitcnt lgkmcnt(0)
	s_waitcnt_vscnt null, 0x0
	s_barrier
	buffer_gl0_inv
	s_and_saveexec_b32 s6, s4
	s_cbranch_execz .LBB17_75
; %bb.68:
	ds_read_b128 v[1:4], v42
	s_andn2_b32 vcc_lo, exec_lo, s25
	s_cbranch_vccnz .LBB17_70
; %bb.69:
	s_clause 0x3
	buffer_load_dword v43, v41, s[0:3], 0 offen offset:8
	buffer_load_dword v44, v41, s[0:3], 0 offen offset:12
	buffer_load_dword v45, v41, s[0:3], 0 offen
	buffer_load_dword v46, v41, s[0:3], 0 offen offset:4
	s_waitcnt vmcnt(2) lgkmcnt(0)
	v_mul_f64 v[48:49], v[3:4], v[43:44]
	v_mul_f64 v[43:44], v[1:2], v[43:44]
	s_waitcnt vmcnt(0)
	v_fma_f64 v[1:2], v[1:2], v[45:46], -v[48:49]
	v_fma_f64 v[3:4], v[3:4], v[45:46], v[43:44]
.LBB17_70:
	s_and_saveexec_b32 s8, s5
	s_cbranch_execz .LBB17_74
; %bb.71:
	v_add_nc_u32_e32 v43, -9, v0
	s_movk_i32 s26, 0x1b0
	s_mov_b32 s5, 0
	s_mov_b32 s27, s16
	.p2align	6
.LBB17_72:                              ; =>This Inner Loop Header: Depth=1
	v_mov_b32_e32 v46, s27
	v_add_nc_u32_e32 v43, -1, v43
	s_add_i32 s27, s27, 16
	s_clause 0x3
	buffer_load_dword v44, v46, s[0:3], 0 offen offset:8
	buffer_load_dword v45, v46, s[0:3], 0 offen offset:12
	buffer_load_dword v52, v46, s[0:3], 0 offen
	buffer_load_dword v53, v46, s[0:3], 0 offen offset:4
	v_mov_b32_e32 v46, s26
	v_cmp_eq_u32_e32 vcc_lo, 0, v43
	s_add_i32 s26, s26, 16
	ds_read_b128 v[48:51], v46
	s_or_b32 s5, vcc_lo, s5
	s_waitcnt vmcnt(2) lgkmcnt(0)
	v_mul_f64 v[54:55], v[50:51], v[44:45]
	v_mul_f64 v[44:45], v[48:49], v[44:45]
	s_waitcnt vmcnt(0)
	v_fma_f64 v[48:49], v[48:49], v[52:53], -v[54:55]
	v_fma_f64 v[44:45], v[50:51], v[52:53], v[44:45]
	v_add_f64 v[1:2], v[1:2], v[48:49]
	v_add_f64 v[3:4], v[3:4], v[44:45]
	s_andn2_b32 exec_lo, exec_lo, s5
	s_cbranch_execnz .LBB17_72
; %bb.73:
	s_or_b32 exec_lo, exec_lo, s5
.LBB17_74:
	s_or_b32 exec_lo, exec_lo, s8
	v_mov_b32_e32 v43, 0
	ds_read_b128 v[43:46], v43 offset:128
	s_waitcnt lgkmcnt(0)
	v_mul_f64 v[48:49], v[3:4], v[45:46]
	v_mul_f64 v[45:46], v[1:2], v[45:46]
	v_fma_f64 v[1:2], v[1:2], v[43:44], -v[48:49]
	v_fma_f64 v[3:4], v[3:4], v[43:44], v[45:46]
	buffer_store_dword v2, off, s[0:3], 0 offset:132
	buffer_store_dword v1, off, s[0:3], 0 offset:128
	;; [unrolled: 1-line block ×4, first 2 shown]
.LBB17_75:
	s_or_b32 exec_lo, exec_lo, s6
	v_mov_b32_e32 v4, s18
	v_cmp_lt_u32_e64 s5, 7, v0
	s_clause 0x3
	buffer_load_dword v1, v4, s[0:3], 0 offen
	buffer_load_dword v2, v4, s[0:3], 0 offen offset:4
	buffer_load_dword v3, v4, s[0:3], 0 offen offset:8
	;; [unrolled: 1-line block ×3, first 2 shown]
	s_waitcnt vmcnt(0)
	ds_write_b128 v42, v[1:4]
	s_waitcnt lgkmcnt(0)
	s_waitcnt_vscnt null, 0x0
	s_barrier
	buffer_gl0_inv
	s_and_saveexec_b32 s6, s5
	s_cbranch_execz .LBB17_83
; %bb.76:
	ds_read_b128 v[1:4], v42
	s_andn2_b32 vcc_lo, exec_lo, s25
	s_cbranch_vccnz .LBB17_78
; %bb.77:
	s_clause 0x3
	buffer_load_dword v43, v41, s[0:3], 0 offen offset:8
	buffer_load_dword v44, v41, s[0:3], 0 offen offset:12
	buffer_load_dword v45, v41, s[0:3], 0 offen
	buffer_load_dword v46, v41, s[0:3], 0 offen offset:4
	s_waitcnt vmcnt(2) lgkmcnt(0)
	v_mul_f64 v[48:49], v[3:4], v[43:44]
	v_mul_f64 v[43:44], v[1:2], v[43:44]
	s_waitcnt vmcnt(0)
	v_fma_f64 v[1:2], v[1:2], v[45:46], -v[48:49]
	v_fma_f64 v[3:4], v[3:4], v[45:46], v[43:44]
.LBB17_78:
	s_and_saveexec_b32 s8, s4
	s_cbranch_execz .LBB17_82
; %bb.79:
	v_add_nc_u32_e32 v43, -8, v0
	s_movk_i32 s26, 0x1a0
	s_mov_b32 s4, 0
	s_mov_b32 s27, s17
	.p2align	6
.LBB17_80:                              ; =>This Inner Loop Header: Depth=1
	v_mov_b32_e32 v46, s27
	v_add_nc_u32_e32 v43, -1, v43
	s_add_i32 s27, s27, 16
	s_clause 0x3
	buffer_load_dword v44, v46, s[0:3], 0 offen offset:8
	buffer_load_dword v45, v46, s[0:3], 0 offen offset:12
	buffer_load_dword v52, v46, s[0:3], 0 offen
	buffer_load_dword v53, v46, s[0:3], 0 offen offset:4
	v_mov_b32_e32 v46, s26
	v_cmp_eq_u32_e32 vcc_lo, 0, v43
	s_add_i32 s26, s26, 16
	ds_read_b128 v[48:51], v46
	s_or_b32 s4, vcc_lo, s4
	s_waitcnt vmcnt(2) lgkmcnt(0)
	v_mul_f64 v[54:55], v[50:51], v[44:45]
	v_mul_f64 v[44:45], v[48:49], v[44:45]
	s_waitcnt vmcnt(0)
	v_fma_f64 v[48:49], v[48:49], v[52:53], -v[54:55]
	v_fma_f64 v[44:45], v[50:51], v[52:53], v[44:45]
	v_add_f64 v[1:2], v[1:2], v[48:49]
	v_add_f64 v[3:4], v[3:4], v[44:45]
	s_andn2_b32 exec_lo, exec_lo, s4
	s_cbranch_execnz .LBB17_80
; %bb.81:
	s_or_b32 exec_lo, exec_lo, s4
.LBB17_82:
	s_or_b32 exec_lo, exec_lo, s8
	v_mov_b32_e32 v43, 0
	ds_read_b128 v[43:46], v43 offset:112
	s_waitcnt lgkmcnt(0)
	v_mul_f64 v[48:49], v[3:4], v[45:46]
	v_mul_f64 v[45:46], v[1:2], v[45:46]
	v_fma_f64 v[1:2], v[1:2], v[43:44], -v[48:49]
	v_fma_f64 v[3:4], v[3:4], v[43:44], v[45:46]
	buffer_store_dword v2, off, s[0:3], 0 offset:116
	buffer_store_dword v1, off, s[0:3], 0 offset:112
	;; [unrolled: 1-line block ×4, first 2 shown]
.LBB17_83:
	s_or_b32 exec_lo, exec_lo, s6
	v_mov_b32_e32 v4, s19
	v_cmp_lt_u32_e64 s4, 6, v0
	s_clause 0x3
	buffer_load_dword v1, v4, s[0:3], 0 offen
	buffer_load_dword v2, v4, s[0:3], 0 offen offset:4
	buffer_load_dword v3, v4, s[0:3], 0 offen offset:8
	;; [unrolled: 1-line block ×3, first 2 shown]
	s_waitcnt vmcnt(0)
	ds_write_b128 v42, v[1:4]
	s_waitcnt lgkmcnt(0)
	s_waitcnt_vscnt null, 0x0
	s_barrier
	buffer_gl0_inv
	s_and_saveexec_b32 s6, s4
	s_cbranch_execz .LBB17_91
; %bb.84:
	ds_read_b128 v[1:4], v42
	s_andn2_b32 vcc_lo, exec_lo, s25
	s_cbranch_vccnz .LBB17_86
; %bb.85:
	s_clause 0x3
	buffer_load_dword v43, v41, s[0:3], 0 offen offset:8
	buffer_load_dword v44, v41, s[0:3], 0 offen offset:12
	buffer_load_dword v45, v41, s[0:3], 0 offen
	buffer_load_dword v46, v41, s[0:3], 0 offen offset:4
	s_waitcnt vmcnt(2) lgkmcnt(0)
	v_mul_f64 v[48:49], v[3:4], v[43:44]
	v_mul_f64 v[43:44], v[1:2], v[43:44]
	s_waitcnt vmcnt(0)
	v_fma_f64 v[1:2], v[1:2], v[45:46], -v[48:49]
	v_fma_f64 v[3:4], v[3:4], v[45:46], v[43:44]
.LBB17_86:
	s_and_saveexec_b32 s8, s5
	s_cbranch_execz .LBB17_90
; %bb.87:
	v_add_nc_u32_e32 v43, -7, v0
	s_movk_i32 s26, 0x190
	s_mov_b32 s5, 0
	s_mov_b32 s27, s18
	.p2align	6
.LBB17_88:                              ; =>This Inner Loop Header: Depth=1
	v_mov_b32_e32 v46, s27
	v_add_nc_u32_e32 v43, -1, v43
	s_add_i32 s27, s27, 16
	s_clause 0x3
	buffer_load_dword v44, v46, s[0:3], 0 offen offset:8
	buffer_load_dword v45, v46, s[0:3], 0 offen offset:12
	buffer_load_dword v52, v46, s[0:3], 0 offen
	buffer_load_dword v53, v46, s[0:3], 0 offen offset:4
	v_mov_b32_e32 v46, s26
	v_cmp_eq_u32_e32 vcc_lo, 0, v43
	s_add_i32 s26, s26, 16
	ds_read_b128 v[48:51], v46
	s_or_b32 s5, vcc_lo, s5
	s_waitcnt vmcnt(2) lgkmcnt(0)
	v_mul_f64 v[54:55], v[50:51], v[44:45]
	v_mul_f64 v[44:45], v[48:49], v[44:45]
	s_waitcnt vmcnt(0)
	v_fma_f64 v[48:49], v[48:49], v[52:53], -v[54:55]
	v_fma_f64 v[44:45], v[50:51], v[52:53], v[44:45]
	v_add_f64 v[1:2], v[1:2], v[48:49]
	v_add_f64 v[3:4], v[3:4], v[44:45]
	s_andn2_b32 exec_lo, exec_lo, s5
	s_cbranch_execnz .LBB17_88
; %bb.89:
	s_or_b32 exec_lo, exec_lo, s5
.LBB17_90:
	s_or_b32 exec_lo, exec_lo, s8
	v_mov_b32_e32 v43, 0
	ds_read_b128 v[43:46], v43 offset:96
	s_waitcnt lgkmcnt(0)
	v_mul_f64 v[48:49], v[3:4], v[45:46]
	v_mul_f64 v[45:46], v[1:2], v[45:46]
	v_fma_f64 v[1:2], v[1:2], v[43:44], -v[48:49]
	v_fma_f64 v[3:4], v[3:4], v[43:44], v[45:46]
	buffer_store_dword v2, off, s[0:3], 0 offset:100
	buffer_store_dword v1, off, s[0:3], 0 offset:96
	;; [unrolled: 1-line block ×4, first 2 shown]
.LBB17_91:
	s_or_b32 exec_lo, exec_lo, s6
	v_mov_b32_e32 v4, s20
	v_cmp_lt_u32_e64 s5, 5, v0
	s_clause 0x3
	buffer_load_dword v1, v4, s[0:3], 0 offen
	buffer_load_dword v2, v4, s[0:3], 0 offen offset:4
	buffer_load_dword v3, v4, s[0:3], 0 offen offset:8
	buffer_load_dword v4, v4, s[0:3], 0 offen offset:12
	s_waitcnt vmcnt(0)
	ds_write_b128 v42, v[1:4]
	s_waitcnt lgkmcnt(0)
	s_waitcnt_vscnt null, 0x0
	s_barrier
	buffer_gl0_inv
	s_and_saveexec_b32 s6, s5
	s_cbranch_execz .LBB17_99
; %bb.92:
	ds_read_b128 v[1:4], v42
	s_andn2_b32 vcc_lo, exec_lo, s25
	s_cbranch_vccnz .LBB17_94
; %bb.93:
	s_clause 0x3
	buffer_load_dword v43, v41, s[0:3], 0 offen offset:8
	buffer_load_dword v44, v41, s[0:3], 0 offen offset:12
	buffer_load_dword v45, v41, s[0:3], 0 offen
	buffer_load_dword v46, v41, s[0:3], 0 offen offset:4
	s_waitcnt vmcnt(2) lgkmcnt(0)
	v_mul_f64 v[48:49], v[3:4], v[43:44]
	v_mul_f64 v[43:44], v[1:2], v[43:44]
	s_waitcnt vmcnt(0)
	v_fma_f64 v[1:2], v[1:2], v[45:46], -v[48:49]
	v_fma_f64 v[3:4], v[3:4], v[45:46], v[43:44]
.LBB17_94:
	s_and_saveexec_b32 s8, s4
	s_cbranch_execz .LBB17_98
; %bb.95:
	v_add_nc_u32_e32 v43, -6, v0
	s_movk_i32 s26, 0x180
	s_mov_b32 s4, 0
	s_mov_b32 s27, s19
	.p2align	6
.LBB17_96:                              ; =>This Inner Loop Header: Depth=1
	v_mov_b32_e32 v46, s27
	v_add_nc_u32_e32 v43, -1, v43
	s_add_i32 s27, s27, 16
	s_clause 0x3
	buffer_load_dword v44, v46, s[0:3], 0 offen offset:8
	buffer_load_dword v45, v46, s[0:3], 0 offen offset:12
	buffer_load_dword v52, v46, s[0:3], 0 offen
	buffer_load_dword v53, v46, s[0:3], 0 offen offset:4
	v_mov_b32_e32 v46, s26
	v_cmp_eq_u32_e32 vcc_lo, 0, v43
	s_add_i32 s26, s26, 16
	ds_read_b128 v[48:51], v46
	s_or_b32 s4, vcc_lo, s4
	s_waitcnt vmcnt(2) lgkmcnt(0)
	v_mul_f64 v[54:55], v[50:51], v[44:45]
	v_mul_f64 v[44:45], v[48:49], v[44:45]
	s_waitcnt vmcnt(0)
	v_fma_f64 v[48:49], v[48:49], v[52:53], -v[54:55]
	v_fma_f64 v[44:45], v[50:51], v[52:53], v[44:45]
	v_add_f64 v[1:2], v[1:2], v[48:49]
	v_add_f64 v[3:4], v[3:4], v[44:45]
	s_andn2_b32 exec_lo, exec_lo, s4
	s_cbranch_execnz .LBB17_96
; %bb.97:
	s_or_b32 exec_lo, exec_lo, s4
.LBB17_98:
	s_or_b32 exec_lo, exec_lo, s8
	v_mov_b32_e32 v43, 0
	ds_read_b128 v[43:46], v43 offset:80
	s_waitcnt lgkmcnt(0)
	v_mul_f64 v[48:49], v[3:4], v[45:46]
	v_mul_f64 v[45:46], v[1:2], v[45:46]
	v_fma_f64 v[1:2], v[1:2], v[43:44], -v[48:49]
	v_fma_f64 v[3:4], v[3:4], v[43:44], v[45:46]
	buffer_store_dword v2, off, s[0:3], 0 offset:84
	buffer_store_dword v1, off, s[0:3], 0 offset:80
	;; [unrolled: 1-line block ×4, first 2 shown]
.LBB17_99:
	s_or_b32 exec_lo, exec_lo, s6
	v_mov_b32_e32 v4, s21
	v_cmp_lt_u32_e64 s4, 4, v0
	s_clause 0x3
	buffer_load_dword v1, v4, s[0:3], 0 offen
	buffer_load_dword v2, v4, s[0:3], 0 offen offset:4
	buffer_load_dword v3, v4, s[0:3], 0 offen offset:8
	;; [unrolled: 1-line block ×3, first 2 shown]
	s_waitcnt vmcnt(0)
	ds_write_b128 v42, v[1:4]
	s_waitcnt lgkmcnt(0)
	s_waitcnt_vscnt null, 0x0
	s_barrier
	buffer_gl0_inv
	s_and_saveexec_b32 s6, s4
	s_cbranch_execz .LBB17_107
; %bb.100:
	ds_read_b128 v[1:4], v42
	s_andn2_b32 vcc_lo, exec_lo, s25
	s_cbranch_vccnz .LBB17_102
; %bb.101:
	s_clause 0x3
	buffer_load_dword v43, v41, s[0:3], 0 offen offset:8
	buffer_load_dword v44, v41, s[0:3], 0 offen offset:12
	buffer_load_dword v45, v41, s[0:3], 0 offen
	buffer_load_dword v46, v41, s[0:3], 0 offen offset:4
	s_waitcnt vmcnt(2) lgkmcnt(0)
	v_mul_f64 v[48:49], v[3:4], v[43:44]
	v_mul_f64 v[43:44], v[1:2], v[43:44]
	s_waitcnt vmcnt(0)
	v_fma_f64 v[1:2], v[1:2], v[45:46], -v[48:49]
	v_fma_f64 v[3:4], v[3:4], v[45:46], v[43:44]
.LBB17_102:
	s_and_saveexec_b32 s8, s5
	s_cbranch_execz .LBB17_106
; %bb.103:
	v_add_nc_u32_e32 v43, -5, v0
	s_movk_i32 s26, 0x170
	s_mov_b32 s5, 0
	s_mov_b32 s27, s20
	.p2align	6
.LBB17_104:                             ; =>This Inner Loop Header: Depth=1
	v_mov_b32_e32 v46, s27
	v_add_nc_u32_e32 v43, -1, v43
	s_add_i32 s27, s27, 16
	s_clause 0x3
	buffer_load_dword v44, v46, s[0:3], 0 offen offset:8
	buffer_load_dword v45, v46, s[0:3], 0 offen offset:12
	buffer_load_dword v52, v46, s[0:3], 0 offen
	buffer_load_dword v53, v46, s[0:3], 0 offen offset:4
	v_mov_b32_e32 v46, s26
	v_cmp_eq_u32_e32 vcc_lo, 0, v43
	s_add_i32 s26, s26, 16
	ds_read_b128 v[48:51], v46
	s_or_b32 s5, vcc_lo, s5
	s_waitcnt vmcnt(2) lgkmcnt(0)
	v_mul_f64 v[54:55], v[50:51], v[44:45]
	v_mul_f64 v[44:45], v[48:49], v[44:45]
	s_waitcnt vmcnt(0)
	v_fma_f64 v[48:49], v[48:49], v[52:53], -v[54:55]
	v_fma_f64 v[44:45], v[50:51], v[52:53], v[44:45]
	v_add_f64 v[1:2], v[1:2], v[48:49]
	v_add_f64 v[3:4], v[3:4], v[44:45]
	s_andn2_b32 exec_lo, exec_lo, s5
	s_cbranch_execnz .LBB17_104
; %bb.105:
	s_or_b32 exec_lo, exec_lo, s5
.LBB17_106:
	s_or_b32 exec_lo, exec_lo, s8
	v_mov_b32_e32 v43, 0
	ds_read_b128 v[43:46], v43 offset:64
	s_waitcnt lgkmcnt(0)
	v_mul_f64 v[48:49], v[3:4], v[45:46]
	v_mul_f64 v[45:46], v[1:2], v[45:46]
	v_fma_f64 v[1:2], v[1:2], v[43:44], -v[48:49]
	v_fma_f64 v[3:4], v[3:4], v[43:44], v[45:46]
	buffer_store_dword v2, off, s[0:3], 0 offset:68
	buffer_store_dword v1, off, s[0:3], 0 offset:64
	;; [unrolled: 1-line block ×4, first 2 shown]
.LBB17_107:
	s_or_b32 exec_lo, exec_lo, s6
	v_mov_b32_e32 v4, s22
	v_cmp_lt_u32_e64 s5, 3, v0
	s_clause 0x3
	buffer_load_dword v1, v4, s[0:3], 0 offen
	buffer_load_dword v2, v4, s[0:3], 0 offen offset:4
	buffer_load_dword v3, v4, s[0:3], 0 offen offset:8
	;; [unrolled: 1-line block ×3, first 2 shown]
	s_waitcnt vmcnt(0)
	ds_write_b128 v42, v[1:4]
	s_waitcnt lgkmcnt(0)
	s_waitcnt_vscnt null, 0x0
	s_barrier
	buffer_gl0_inv
	s_and_saveexec_b32 s6, s5
	s_cbranch_execz .LBB17_115
; %bb.108:
	ds_read_b128 v[1:4], v42
	s_andn2_b32 vcc_lo, exec_lo, s25
	s_cbranch_vccnz .LBB17_110
; %bb.109:
	s_clause 0x3
	buffer_load_dword v43, v41, s[0:3], 0 offen offset:8
	buffer_load_dword v44, v41, s[0:3], 0 offen offset:12
	buffer_load_dword v45, v41, s[0:3], 0 offen
	buffer_load_dword v46, v41, s[0:3], 0 offen offset:4
	s_waitcnt vmcnt(2) lgkmcnt(0)
	v_mul_f64 v[48:49], v[3:4], v[43:44]
	v_mul_f64 v[43:44], v[1:2], v[43:44]
	s_waitcnt vmcnt(0)
	v_fma_f64 v[1:2], v[1:2], v[45:46], -v[48:49]
	v_fma_f64 v[3:4], v[3:4], v[45:46], v[43:44]
.LBB17_110:
	s_and_saveexec_b32 s8, s4
	s_cbranch_execz .LBB17_114
; %bb.111:
	v_add_nc_u32_e32 v43, -4, v0
	s_movk_i32 s26, 0x160
	s_mov_b32 s4, 0
	s_mov_b32 s27, s21
	.p2align	6
.LBB17_112:                             ; =>This Inner Loop Header: Depth=1
	v_mov_b32_e32 v46, s27
	v_add_nc_u32_e32 v43, -1, v43
	s_add_i32 s27, s27, 16
	s_clause 0x3
	buffer_load_dword v44, v46, s[0:3], 0 offen offset:8
	buffer_load_dword v45, v46, s[0:3], 0 offen offset:12
	buffer_load_dword v52, v46, s[0:3], 0 offen
	buffer_load_dword v53, v46, s[0:3], 0 offen offset:4
	v_mov_b32_e32 v46, s26
	v_cmp_eq_u32_e32 vcc_lo, 0, v43
	s_add_i32 s26, s26, 16
	ds_read_b128 v[48:51], v46
	s_or_b32 s4, vcc_lo, s4
	s_waitcnt vmcnt(2) lgkmcnt(0)
	v_mul_f64 v[54:55], v[50:51], v[44:45]
	v_mul_f64 v[44:45], v[48:49], v[44:45]
	s_waitcnt vmcnt(0)
	v_fma_f64 v[48:49], v[48:49], v[52:53], -v[54:55]
	v_fma_f64 v[44:45], v[50:51], v[52:53], v[44:45]
	v_add_f64 v[1:2], v[1:2], v[48:49]
	v_add_f64 v[3:4], v[3:4], v[44:45]
	s_andn2_b32 exec_lo, exec_lo, s4
	s_cbranch_execnz .LBB17_112
; %bb.113:
	s_or_b32 exec_lo, exec_lo, s4
.LBB17_114:
	s_or_b32 exec_lo, exec_lo, s8
	v_mov_b32_e32 v43, 0
	ds_read_b128 v[43:46], v43 offset:48
	s_waitcnt lgkmcnt(0)
	v_mul_f64 v[48:49], v[3:4], v[45:46]
	v_mul_f64 v[45:46], v[1:2], v[45:46]
	v_fma_f64 v[1:2], v[1:2], v[43:44], -v[48:49]
	v_fma_f64 v[3:4], v[3:4], v[43:44], v[45:46]
	buffer_store_dword v2, off, s[0:3], 0 offset:52
	buffer_store_dword v1, off, s[0:3], 0 offset:48
	;; [unrolled: 1-line block ×4, first 2 shown]
.LBB17_115:
	s_or_b32 exec_lo, exec_lo, s6
	v_mov_b32_e32 v4, s24
	v_cmp_lt_u32_e64 s6, 2, v0
	s_clause 0x3
	buffer_load_dword v1, v4, s[0:3], 0 offen
	buffer_load_dword v2, v4, s[0:3], 0 offen offset:4
	buffer_load_dword v3, v4, s[0:3], 0 offen offset:8
	;; [unrolled: 1-line block ×3, first 2 shown]
	s_waitcnt vmcnt(0)
	ds_write_b128 v42, v[1:4]
	s_waitcnt lgkmcnt(0)
	s_waitcnt_vscnt null, 0x0
	s_barrier
	buffer_gl0_inv
	s_and_saveexec_b32 s4, s6
	s_cbranch_execz .LBB17_123
; %bb.116:
	ds_read_b128 v[1:4], v42
	s_andn2_b32 vcc_lo, exec_lo, s25
	s_cbranch_vccnz .LBB17_118
; %bb.117:
	s_clause 0x3
	buffer_load_dword v43, v41, s[0:3], 0 offen offset:8
	buffer_load_dword v44, v41, s[0:3], 0 offen offset:12
	buffer_load_dword v45, v41, s[0:3], 0 offen
	buffer_load_dword v46, v41, s[0:3], 0 offen offset:4
	s_waitcnt vmcnt(2) lgkmcnt(0)
	v_mul_f64 v[48:49], v[3:4], v[43:44]
	v_mul_f64 v[43:44], v[1:2], v[43:44]
	s_waitcnt vmcnt(0)
	v_fma_f64 v[1:2], v[1:2], v[45:46], -v[48:49]
	v_fma_f64 v[3:4], v[3:4], v[45:46], v[43:44]
.LBB17_118:
	s_and_saveexec_b32 s8, s5
	s_cbranch_execz .LBB17_122
; %bb.119:
	v_add_nc_u32_e32 v43, -3, v0
	s_movk_i32 s26, 0x150
	s_mov_b32 s5, 0
	s_mov_b32 s27, s22
	.p2align	6
.LBB17_120:                             ; =>This Inner Loop Header: Depth=1
	v_mov_b32_e32 v46, s27
	v_add_nc_u32_e32 v43, -1, v43
	s_add_i32 s27, s27, 16
	s_clause 0x3
	buffer_load_dword v44, v46, s[0:3], 0 offen offset:8
	buffer_load_dword v45, v46, s[0:3], 0 offen offset:12
	buffer_load_dword v52, v46, s[0:3], 0 offen
	buffer_load_dword v53, v46, s[0:3], 0 offen offset:4
	v_mov_b32_e32 v46, s26
	v_cmp_eq_u32_e32 vcc_lo, 0, v43
	s_add_i32 s26, s26, 16
	ds_read_b128 v[48:51], v46
	s_or_b32 s5, vcc_lo, s5
	s_waitcnt vmcnt(2) lgkmcnt(0)
	v_mul_f64 v[54:55], v[50:51], v[44:45]
	v_mul_f64 v[44:45], v[48:49], v[44:45]
	s_waitcnt vmcnt(0)
	v_fma_f64 v[48:49], v[48:49], v[52:53], -v[54:55]
	v_fma_f64 v[44:45], v[50:51], v[52:53], v[44:45]
	v_add_f64 v[1:2], v[1:2], v[48:49]
	v_add_f64 v[3:4], v[3:4], v[44:45]
	s_andn2_b32 exec_lo, exec_lo, s5
	s_cbranch_execnz .LBB17_120
; %bb.121:
	s_or_b32 exec_lo, exec_lo, s5
.LBB17_122:
	s_or_b32 exec_lo, exec_lo, s8
	v_mov_b32_e32 v43, 0
	ds_read_b128 v[43:46], v43 offset:32
	s_waitcnt lgkmcnt(0)
	v_mul_f64 v[48:49], v[3:4], v[45:46]
	v_mul_f64 v[45:46], v[1:2], v[45:46]
	v_fma_f64 v[1:2], v[1:2], v[43:44], -v[48:49]
	v_fma_f64 v[3:4], v[3:4], v[43:44], v[45:46]
	buffer_store_dword v2, off, s[0:3], 0 offset:36
	buffer_store_dword v1, off, s[0:3], 0 offset:32
	;; [unrolled: 1-line block ×4, first 2 shown]
.LBB17_123:
	s_or_b32 exec_lo, exec_lo, s4
	v_mov_b32_e32 v4, s23
	v_cmp_lt_u32_e64 s4, 1, v0
	s_clause 0x3
	buffer_load_dword v1, v4, s[0:3], 0 offen
	buffer_load_dword v2, v4, s[0:3], 0 offen offset:4
	buffer_load_dword v3, v4, s[0:3], 0 offen offset:8
	;; [unrolled: 1-line block ×3, first 2 shown]
	s_waitcnt vmcnt(0)
	ds_write_b128 v42, v[1:4]
	s_waitcnt lgkmcnt(0)
	s_waitcnt_vscnt null, 0x0
	s_barrier
	buffer_gl0_inv
	s_and_saveexec_b32 s5, s4
	s_cbranch_execz .LBB17_131
; %bb.124:
	ds_read_b128 v[1:4], v42
	s_andn2_b32 vcc_lo, exec_lo, s25
	s_cbranch_vccnz .LBB17_126
; %bb.125:
	s_clause 0x3
	buffer_load_dword v43, v41, s[0:3], 0 offen offset:8
	buffer_load_dword v44, v41, s[0:3], 0 offen offset:12
	buffer_load_dword v45, v41, s[0:3], 0 offen
	buffer_load_dword v46, v41, s[0:3], 0 offen offset:4
	s_waitcnt vmcnt(2) lgkmcnt(0)
	v_mul_f64 v[48:49], v[3:4], v[43:44]
	v_mul_f64 v[43:44], v[1:2], v[43:44]
	s_waitcnt vmcnt(0)
	v_fma_f64 v[1:2], v[1:2], v[45:46], -v[48:49]
	v_fma_f64 v[3:4], v[3:4], v[45:46], v[43:44]
.LBB17_126:
	s_and_saveexec_b32 s8, s6
	s_cbranch_execz .LBB17_130
; %bb.127:
	v_add_nc_u32_e32 v43, -2, v0
	s_movk_i32 s26, 0x140
	s_mov_b32 s6, 0
	s_mov_b32 s27, s24
	.p2align	6
.LBB17_128:                             ; =>This Inner Loop Header: Depth=1
	v_mov_b32_e32 v46, s27
	v_add_nc_u32_e32 v43, -1, v43
	s_add_i32 s27, s27, 16
	s_clause 0x3
	buffer_load_dword v44, v46, s[0:3], 0 offen offset:8
	buffer_load_dword v45, v46, s[0:3], 0 offen offset:12
	buffer_load_dword v52, v46, s[0:3], 0 offen
	buffer_load_dword v53, v46, s[0:3], 0 offen offset:4
	v_mov_b32_e32 v46, s26
	v_cmp_eq_u32_e32 vcc_lo, 0, v43
	s_add_i32 s26, s26, 16
	ds_read_b128 v[48:51], v46
	s_or_b32 s6, vcc_lo, s6
	s_waitcnt vmcnt(2) lgkmcnt(0)
	v_mul_f64 v[54:55], v[50:51], v[44:45]
	v_mul_f64 v[44:45], v[48:49], v[44:45]
	s_waitcnt vmcnt(0)
	v_fma_f64 v[48:49], v[48:49], v[52:53], -v[54:55]
	v_fma_f64 v[44:45], v[50:51], v[52:53], v[44:45]
	v_add_f64 v[1:2], v[1:2], v[48:49]
	v_add_f64 v[3:4], v[3:4], v[44:45]
	s_andn2_b32 exec_lo, exec_lo, s6
	s_cbranch_execnz .LBB17_128
; %bb.129:
	s_or_b32 exec_lo, exec_lo, s6
.LBB17_130:
	s_or_b32 exec_lo, exec_lo, s8
	v_mov_b32_e32 v43, 0
	ds_read_b128 v[43:46], v43 offset:16
	s_waitcnt lgkmcnt(0)
	v_mul_f64 v[48:49], v[3:4], v[45:46]
	v_mul_f64 v[45:46], v[1:2], v[45:46]
	v_fma_f64 v[1:2], v[1:2], v[43:44], -v[48:49]
	v_fma_f64 v[3:4], v[3:4], v[43:44], v[45:46]
	buffer_store_dword v2, off, s[0:3], 0 offset:20
	buffer_store_dword v1, off, s[0:3], 0 offset:16
	;; [unrolled: 1-line block ×4, first 2 shown]
.LBB17_131:
	s_or_b32 exec_lo, exec_lo, s5
	s_clause 0x3
	buffer_load_dword v1, off, s[0:3], 0
	buffer_load_dword v2, off, s[0:3], 0 offset:4
	buffer_load_dword v3, off, s[0:3], 0 offset:8
	;; [unrolled: 1-line block ×3, first 2 shown]
	s_mov_b32 s6, 0
	s_mov_b32 s5, 0
	s_mov_b32 s8, exec_lo
                                        ; implicit-def: $sgpr26
	s_waitcnt vmcnt(0)
	ds_write_b128 v42, v[1:4]
	s_waitcnt lgkmcnt(0)
	s_waitcnt_vscnt null, 0x0
	s_barrier
	buffer_gl0_inv
                                        ; implicit-def: $vgpr1_vgpr2
	v_cmpx_ne_u32_e32 0, v0
	s_cbranch_execz .LBB17_139
; %bb.132:
	ds_read_b128 v[1:4], v42
	s_andn2_b32 vcc_lo, exec_lo, s25
	s_cbranch_vccnz .LBB17_134
; %bb.133:
	s_clause 0x3
	buffer_load_dword v43, v41, s[0:3], 0 offen offset:8
	buffer_load_dword v44, v41, s[0:3], 0 offen offset:12
	buffer_load_dword v45, v41, s[0:3], 0 offen
	buffer_load_dword v46, v41, s[0:3], 0 offen offset:4
	s_waitcnt vmcnt(2) lgkmcnt(0)
	v_mul_f64 v[48:49], v[3:4], v[43:44]
	v_mul_f64 v[43:44], v[1:2], v[43:44]
	s_waitcnt vmcnt(0)
	v_fma_f64 v[1:2], v[1:2], v[45:46], -v[48:49]
	v_fma_f64 v[3:4], v[3:4], v[45:46], v[43:44]
.LBB17_134:
	s_and_saveexec_b32 s5, s4
	s_cbranch_execz .LBB17_138
; %bb.135:
	v_add_nc_u32_e32 v43, -1, v0
	s_movk_i32 s26, 0x130
	s_mov_b32 s4, 0
	s_mov_b32 s27, s23
	.p2align	6
.LBB17_136:                             ; =>This Inner Loop Header: Depth=1
	v_mov_b32_e32 v46, s27
	v_add_nc_u32_e32 v43, -1, v43
	s_add_i32 s27, s27, 16
	s_clause 0x3
	buffer_load_dword v44, v46, s[0:3], 0 offen offset:8
	buffer_load_dword v45, v46, s[0:3], 0 offen offset:12
	buffer_load_dword v52, v46, s[0:3], 0 offen
	buffer_load_dword v53, v46, s[0:3], 0 offen offset:4
	v_mov_b32_e32 v46, s26
	v_cmp_eq_u32_e32 vcc_lo, 0, v43
	s_add_i32 s26, s26, 16
	ds_read_b128 v[48:51], v46
	s_or_b32 s4, vcc_lo, s4
	s_waitcnt vmcnt(2) lgkmcnt(0)
	v_mul_f64 v[54:55], v[50:51], v[44:45]
	v_mul_f64 v[44:45], v[48:49], v[44:45]
	s_waitcnt vmcnt(0)
	v_fma_f64 v[48:49], v[48:49], v[52:53], -v[54:55]
	v_fma_f64 v[44:45], v[50:51], v[52:53], v[44:45]
	v_add_f64 v[1:2], v[1:2], v[48:49]
	v_add_f64 v[3:4], v[3:4], v[44:45]
	s_andn2_b32 exec_lo, exec_lo, s4
	s_cbranch_execnz .LBB17_136
; %bb.137:
	s_or_b32 exec_lo, exec_lo, s4
.LBB17_138:
	s_or_b32 exec_lo, exec_lo, s5
	v_mov_b32_e32 v43, 0
	s_mov_b32 s5, exec_lo
	s_or_b32 s26, 0, 8
	ds_read_b128 v[43:46], v43
	s_waitcnt lgkmcnt(0)
	v_mul_f64 v[48:49], v[3:4], v[45:46]
	v_mul_f64 v[45:46], v[1:2], v[45:46]
	v_fma_f64 v[48:49], v[1:2], v[43:44], -v[48:49]
	v_fma_f64 v[1:2], v[3:4], v[43:44], v[45:46]
	buffer_store_dword v49, off, s[0:3], 0 offset:4
	buffer_store_dword v48, off, s[0:3], 0
.LBB17_139:
	s_or_b32 exec_lo, exec_lo, s8
	s_and_b32 vcc_lo, exec_lo, s6
	s_cbranch_vccnz .LBB17_141
	s_branch .LBB17_272
.LBB17_140:
	s_mov_b32 s5, 0
                                        ; implicit-def: $vgpr1_vgpr2
                                        ; implicit-def: $sgpr26
	s_cbranch_execz .LBB17_272
.LBB17_141:
	v_mov_b32_e32 v4, s23
	v_cmp_eq_u32_e64 s4, 0, v0
	v_cndmask_b32_e64 v43, 0, 1, s25
	s_clause 0x3
	buffer_load_dword v1, v4, s[0:3], 0 offen
	buffer_load_dword v2, v4, s[0:3], 0 offen offset:4
	buffer_load_dword v3, v4, s[0:3], 0 offen offset:8
	;; [unrolled: 1-line block ×3, first 2 shown]
	s_waitcnt vmcnt(0)
	ds_write_b128 v42, v[1:4]
	s_waitcnt lgkmcnt(0)
	s_waitcnt_vscnt null, 0x0
	s_barrier
	buffer_gl0_inv
	s_and_saveexec_b32 s6, s4
	s_cbranch_execz .LBB17_145
; %bb.142:
	ds_read_b128 v[1:4], v42
	s_andn2_b32 vcc_lo, exec_lo, s25
	s_cbranch_vccnz .LBB17_144
; %bb.143:
	s_clause 0x3
	buffer_load_dword v44, v41, s[0:3], 0 offen offset:8
	buffer_load_dword v45, v41, s[0:3], 0 offen offset:12
	buffer_load_dword v48, v41, s[0:3], 0 offen
	buffer_load_dword v49, v41, s[0:3], 0 offen offset:4
	s_waitcnt vmcnt(2) lgkmcnt(0)
	v_mul_f64 v[50:51], v[3:4], v[44:45]
	v_mul_f64 v[44:45], v[1:2], v[44:45]
	s_waitcnt vmcnt(0)
	v_fma_f64 v[1:2], v[1:2], v[48:49], -v[50:51]
	v_fma_f64 v[3:4], v[3:4], v[48:49], v[44:45]
.LBB17_144:
	v_mov_b32_e32 v44, 0
	ds_read_b128 v[48:51], v44 offset:16
	s_waitcnt lgkmcnt(0)
	v_mul_f64 v[44:45], v[3:4], v[50:51]
	v_mul_f64 v[50:51], v[1:2], v[50:51]
	v_fma_f64 v[1:2], v[1:2], v[48:49], -v[44:45]
	v_fma_f64 v[3:4], v[3:4], v[48:49], v[50:51]
	buffer_store_dword v2, off, s[0:3], 0 offset:20
	buffer_store_dword v1, off, s[0:3], 0 offset:16
	;; [unrolled: 1-line block ×4, first 2 shown]
.LBB17_145:
	s_or_b32 exec_lo, exec_lo, s6
	v_mov_b32_e32 v4, s24
	s_mov_b32 s6, exec_lo
	s_clause 0x3
	buffer_load_dword v1, v4, s[0:3], 0 offen
	buffer_load_dword v2, v4, s[0:3], 0 offen offset:4
	buffer_load_dword v3, v4, s[0:3], 0 offen offset:8
	;; [unrolled: 1-line block ×3, first 2 shown]
	s_waitcnt vmcnt(0)
	ds_write_b128 v42, v[1:4]
	s_waitcnt lgkmcnt(0)
	s_waitcnt_vscnt null, 0x0
	s_barrier
	buffer_gl0_inv
	v_cmpx_gt_u32_e32 2, v0
	s_cbranch_execz .LBB17_151
; %bb.146:
	ds_read_b128 v[1:4], v42
	v_cmp_ne_u32_e32 vcc_lo, 1, v43
	s_cbranch_vccnz .LBB17_148
; %bb.147:
	s_clause 0x3
	buffer_load_dword v44, v41, s[0:3], 0 offen offset:8
	buffer_load_dword v45, v41, s[0:3], 0 offen offset:12
	buffer_load_dword v48, v41, s[0:3], 0 offen
	buffer_load_dword v49, v41, s[0:3], 0 offen offset:4
	s_waitcnt vmcnt(2) lgkmcnt(0)
	v_mul_f64 v[50:51], v[3:4], v[44:45]
	v_mul_f64 v[44:45], v[1:2], v[44:45]
	s_waitcnt vmcnt(0)
	v_fma_f64 v[1:2], v[1:2], v[48:49], -v[50:51]
	v_fma_f64 v[3:4], v[3:4], v[48:49], v[44:45]
.LBB17_148:
	s_and_saveexec_b32 s8, s4
	s_cbranch_execz .LBB17_150
; %bb.149:
	s_clause 0x3
	buffer_load_dword v44, off, s[0:3], 0 offset:24
	buffer_load_dword v45, off, s[0:3], 0 offset:28
	;; [unrolled: 1-line block ×4, first 2 shown]
	v_mov_b32_e32 v46, 0
	ds_read_b128 v[48:51], v46 offset:304
	s_waitcnt vmcnt(2) lgkmcnt(0)
	v_mul_f64 v[54:55], v[50:51], v[44:45]
	v_mul_f64 v[44:45], v[48:49], v[44:45]
	s_waitcnt vmcnt(0)
	v_fma_f64 v[48:49], v[48:49], v[52:53], -v[54:55]
	v_fma_f64 v[44:45], v[50:51], v[52:53], v[44:45]
	v_add_f64 v[1:2], v[1:2], v[48:49]
	v_add_f64 v[3:4], v[3:4], v[44:45]
.LBB17_150:
	s_or_b32 exec_lo, exec_lo, s8
	v_mov_b32_e32 v44, 0
	ds_read_b128 v[48:51], v44 offset:32
	s_waitcnt lgkmcnt(0)
	v_mul_f64 v[44:45], v[3:4], v[50:51]
	v_mul_f64 v[50:51], v[1:2], v[50:51]
	v_fma_f64 v[1:2], v[1:2], v[48:49], -v[44:45]
	v_fma_f64 v[3:4], v[3:4], v[48:49], v[50:51]
	buffer_store_dword v2, off, s[0:3], 0 offset:36
	buffer_store_dword v1, off, s[0:3], 0 offset:32
	;; [unrolled: 1-line block ×4, first 2 shown]
.LBB17_151:
	s_or_b32 exec_lo, exec_lo, s6
	v_mov_b32_e32 v4, s22
	s_mov_b32 s6, exec_lo
	s_clause 0x3
	buffer_load_dword v1, v4, s[0:3], 0 offen
	buffer_load_dword v2, v4, s[0:3], 0 offen offset:4
	buffer_load_dword v3, v4, s[0:3], 0 offen offset:8
	;; [unrolled: 1-line block ×3, first 2 shown]
	s_waitcnt vmcnt(0)
	ds_write_b128 v42, v[1:4]
	s_waitcnt lgkmcnt(0)
	s_waitcnt_vscnt null, 0x0
	s_barrier
	buffer_gl0_inv
	v_cmpx_gt_u32_e32 3, v0
	s_cbranch_execz .LBB17_159
; %bb.152:
	ds_read_b128 v[1:4], v42
	v_cmp_ne_u32_e32 vcc_lo, 1, v43
	s_cbranch_vccnz .LBB17_154
; %bb.153:
	s_clause 0x3
	buffer_load_dword v44, v41, s[0:3], 0 offen offset:8
	buffer_load_dword v45, v41, s[0:3], 0 offen offset:12
	buffer_load_dword v48, v41, s[0:3], 0 offen
	buffer_load_dword v49, v41, s[0:3], 0 offen offset:4
	s_waitcnt vmcnt(2) lgkmcnt(0)
	v_mul_f64 v[50:51], v[3:4], v[44:45]
	v_mul_f64 v[44:45], v[1:2], v[44:45]
	s_waitcnt vmcnt(0)
	v_fma_f64 v[1:2], v[1:2], v[48:49], -v[50:51]
	v_fma_f64 v[3:4], v[3:4], v[48:49], v[44:45]
.LBB17_154:
	s_mov_b32 s8, exec_lo
	v_cmpx_ne_u32_e32 2, v0
	s_cbranch_execz .LBB17_158
; %bb.155:
	s_clause 0x3
	buffer_load_dword v44, v41, s[0:3], 0 offen offset:24
	buffer_load_dword v45, v41, s[0:3], 0 offen offset:28
	;; [unrolled: 1-line block ×4, first 2 shown]
	ds_read_b128 v[48:51], v42 offset:16
	s_waitcnt vmcnt(2) lgkmcnt(0)
	v_mul_f64 v[54:55], v[50:51], v[44:45]
	v_mul_f64 v[44:45], v[48:49], v[44:45]
	s_waitcnt vmcnt(0)
	v_fma_f64 v[48:49], v[48:49], v[52:53], -v[54:55]
	v_fma_f64 v[44:45], v[50:51], v[52:53], v[44:45]
	v_add_f64 v[1:2], v[1:2], v[48:49]
	v_add_f64 v[3:4], v[3:4], v[44:45]
	s_and_saveexec_b32 s25, s4
	s_cbranch_execz .LBB17_157
; %bb.156:
	s_clause 0x3
	buffer_load_dword v44, off, s[0:3], 0 offset:40
	buffer_load_dword v45, off, s[0:3], 0 offset:44
	;; [unrolled: 1-line block ×4, first 2 shown]
	v_mov_b32_e32 v46, 0
	ds_read_b128 v[48:51], v46 offset:320
	s_waitcnt vmcnt(2) lgkmcnt(0)
	v_mul_f64 v[54:55], v[48:49], v[44:45]
	v_mul_f64 v[44:45], v[50:51], v[44:45]
	s_waitcnt vmcnt(0)
	v_fma_f64 v[50:51], v[50:51], v[52:53], v[54:55]
	v_fma_f64 v[44:45], v[48:49], v[52:53], -v[44:45]
	v_add_f64 v[3:4], v[3:4], v[50:51]
	v_add_f64 v[1:2], v[1:2], v[44:45]
.LBB17_157:
	s_or_b32 exec_lo, exec_lo, s25
.LBB17_158:
	s_or_b32 exec_lo, exec_lo, s8
	v_mov_b32_e32 v44, 0
	ds_read_b128 v[48:51], v44 offset:48
	s_waitcnt lgkmcnt(0)
	v_mul_f64 v[44:45], v[3:4], v[50:51]
	v_mul_f64 v[50:51], v[1:2], v[50:51]
	v_fma_f64 v[1:2], v[1:2], v[48:49], -v[44:45]
	v_fma_f64 v[3:4], v[3:4], v[48:49], v[50:51]
	buffer_store_dword v2, off, s[0:3], 0 offset:52
	buffer_store_dword v1, off, s[0:3], 0 offset:48
	;; [unrolled: 1-line block ×4, first 2 shown]
.LBB17_159:
	s_or_b32 exec_lo, exec_lo, s6
	v_mov_b32_e32 v4, s21
	s_mov_b32 s4, exec_lo
	s_clause 0x3
	buffer_load_dword v1, v4, s[0:3], 0 offen
	buffer_load_dword v2, v4, s[0:3], 0 offen offset:4
	buffer_load_dword v3, v4, s[0:3], 0 offen offset:8
	;; [unrolled: 1-line block ×3, first 2 shown]
	s_waitcnt vmcnt(0)
	ds_write_b128 v42, v[1:4]
	s_waitcnt lgkmcnt(0)
	s_waitcnt_vscnt null, 0x0
	s_barrier
	buffer_gl0_inv
	v_cmpx_gt_u32_e32 4, v0
	s_cbranch_execz .LBB17_167
; %bb.160:
	ds_read_b128 v[1:4], v42
	v_cmp_ne_u32_e32 vcc_lo, 1, v43
	s_cbranch_vccnz .LBB17_162
; %bb.161:
	s_clause 0x3
	buffer_load_dword v44, v41, s[0:3], 0 offen offset:8
	buffer_load_dword v45, v41, s[0:3], 0 offen offset:12
	buffer_load_dword v48, v41, s[0:3], 0 offen
	buffer_load_dword v49, v41, s[0:3], 0 offen offset:4
	s_waitcnt vmcnt(2) lgkmcnt(0)
	v_mul_f64 v[50:51], v[3:4], v[44:45]
	v_mul_f64 v[44:45], v[1:2], v[44:45]
	s_waitcnt vmcnt(0)
	v_fma_f64 v[1:2], v[1:2], v[48:49], -v[50:51]
	v_fma_f64 v[3:4], v[3:4], v[48:49], v[44:45]
.LBB17_162:
	s_mov_b32 s6, exec_lo
	v_cmpx_ne_u32_e32 3, v0
	s_cbranch_execz .LBB17_166
; %bb.163:
	v_add_nc_u32_e32 v44, 0x130, v47
	v_add3_u32 v45, 0, v47, 16
	v_mov_b32_e32 v46, v0
	s_mov_b32 s8, 0
	.p2align	6
.LBB17_164:                             ; =>This Inner Loop Header: Depth=1
	s_clause 0x3
	buffer_load_dword v52, v45, s[0:3], 0 offen offset:8
	buffer_load_dword v53, v45, s[0:3], 0 offen offset:12
	buffer_load_dword v54, v45, s[0:3], 0 offen
	buffer_load_dword v55, v45, s[0:3], 0 offen offset:4
	ds_read_b128 v[48:51], v44
	v_add_nc_u32_e32 v46, 1, v46
	v_add_nc_u32_e32 v44, 16, v44
	;; [unrolled: 1-line block ×3, first 2 shown]
	v_cmp_lt_u32_e32 vcc_lo, 2, v46
	s_or_b32 s8, vcc_lo, s8
	s_waitcnt vmcnt(2) lgkmcnt(0)
	v_mul_f64 v[56:57], v[50:51], v[52:53]
	v_mul_f64 v[52:53], v[48:49], v[52:53]
	s_waitcnt vmcnt(0)
	v_fma_f64 v[48:49], v[48:49], v[54:55], -v[56:57]
	v_fma_f64 v[50:51], v[50:51], v[54:55], v[52:53]
	v_add_f64 v[1:2], v[1:2], v[48:49]
	v_add_f64 v[3:4], v[3:4], v[50:51]
	s_andn2_b32 exec_lo, exec_lo, s8
	s_cbranch_execnz .LBB17_164
; %bb.165:
	s_or_b32 exec_lo, exec_lo, s8
.LBB17_166:
	s_or_b32 exec_lo, exec_lo, s6
	v_mov_b32_e32 v44, 0
	ds_read_b128 v[48:51], v44 offset:64
	s_waitcnt lgkmcnt(0)
	v_mul_f64 v[44:45], v[3:4], v[50:51]
	v_mul_f64 v[50:51], v[1:2], v[50:51]
	v_fma_f64 v[1:2], v[1:2], v[48:49], -v[44:45]
	v_fma_f64 v[3:4], v[3:4], v[48:49], v[50:51]
	buffer_store_dword v2, off, s[0:3], 0 offset:68
	buffer_store_dword v1, off, s[0:3], 0 offset:64
	;; [unrolled: 1-line block ×4, first 2 shown]
.LBB17_167:
	s_or_b32 exec_lo, exec_lo, s4
	v_mov_b32_e32 v4, s20
	s_mov_b32 s4, exec_lo
	s_clause 0x3
	buffer_load_dword v1, v4, s[0:3], 0 offen
	buffer_load_dword v2, v4, s[0:3], 0 offen offset:4
	buffer_load_dword v3, v4, s[0:3], 0 offen offset:8
	;; [unrolled: 1-line block ×3, first 2 shown]
	s_waitcnt vmcnt(0)
	ds_write_b128 v42, v[1:4]
	s_waitcnt lgkmcnt(0)
	s_waitcnt_vscnt null, 0x0
	s_barrier
	buffer_gl0_inv
	v_cmpx_gt_u32_e32 5, v0
	s_cbranch_execz .LBB17_175
; %bb.168:
	ds_read_b128 v[1:4], v42
	v_cmp_ne_u32_e32 vcc_lo, 1, v43
	s_cbranch_vccnz .LBB17_170
; %bb.169:
	s_clause 0x3
	buffer_load_dword v44, v41, s[0:3], 0 offen offset:8
	buffer_load_dword v45, v41, s[0:3], 0 offen offset:12
	buffer_load_dword v48, v41, s[0:3], 0 offen
	buffer_load_dword v49, v41, s[0:3], 0 offen offset:4
	s_waitcnt vmcnt(2) lgkmcnt(0)
	v_mul_f64 v[50:51], v[3:4], v[44:45]
	v_mul_f64 v[44:45], v[1:2], v[44:45]
	s_waitcnt vmcnt(0)
	v_fma_f64 v[1:2], v[1:2], v[48:49], -v[50:51]
	v_fma_f64 v[3:4], v[3:4], v[48:49], v[44:45]
.LBB17_170:
	s_mov_b32 s6, exec_lo
	v_cmpx_ne_u32_e32 4, v0
	s_cbranch_execz .LBB17_174
; %bb.171:
	v_add_nc_u32_e32 v44, 0x130, v47
	v_add3_u32 v45, 0, v47, 16
	v_mov_b32_e32 v46, v0
	s_mov_b32 s8, 0
	.p2align	6
.LBB17_172:                             ; =>This Inner Loop Header: Depth=1
	s_clause 0x3
	buffer_load_dword v52, v45, s[0:3], 0 offen offset:8
	buffer_load_dword v53, v45, s[0:3], 0 offen offset:12
	buffer_load_dword v54, v45, s[0:3], 0 offen
	buffer_load_dword v55, v45, s[0:3], 0 offen offset:4
	ds_read_b128 v[48:51], v44
	v_add_nc_u32_e32 v46, 1, v46
	v_add_nc_u32_e32 v44, 16, v44
	;; [unrolled: 1-line block ×3, first 2 shown]
	v_cmp_lt_u32_e32 vcc_lo, 3, v46
	s_or_b32 s8, vcc_lo, s8
	s_waitcnt vmcnt(2) lgkmcnt(0)
	v_mul_f64 v[56:57], v[50:51], v[52:53]
	v_mul_f64 v[52:53], v[48:49], v[52:53]
	s_waitcnt vmcnt(0)
	v_fma_f64 v[48:49], v[48:49], v[54:55], -v[56:57]
	v_fma_f64 v[50:51], v[50:51], v[54:55], v[52:53]
	v_add_f64 v[1:2], v[1:2], v[48:49]
	v_add_f64 v[3:4], v[3:4], v[50:51]
	s_andn2_b32 exec_lo, exec_lo, s8
	s_cbranch_execnz .LBB17_172
; %bb.173:
	s_or_b32 exec_lo, exec_lo, s8
.LBB17_174:
	s_or_b32 exec_lo, exec_lo, s6
	v_mov_b32_e32 v44, 0
	ds_read_b128 v[48:51], v44 offset:80
	s_waitcnt lgkmcnt(0)
	v_mul_f64 v[44:45], v[3:4], v[50:51]
	v_mul_f64 v[50:51], v[1:2], v[50:51]
	v_fma_f64 v[1:2], v[1:2], v[48:49], -v[44:45]
	v_fma_f64 v[3:4], v[3:4], v[48:49], v[50:51]
	buffer_store_dword v2, off, s[0:3], 0 offset:84
	buffer_store_dword v1, off, s[0:3], 0 offset:80
	;; [unrolled: 1-line block ×4, first 2 shown]
.LBB17_175:
	s_or_b32 exec_lo, exec_lo, s4
	v_mov_b32_e32 v4, s19
	s_mov_b32 s4, exec_lo
	s_clause 0x3
	buffer_load_dword v1, v4, s[0:3], 0 offen
	buffer_load_dword v2, v4, s[0:3], 0 offen offset:4
	buffer_load_dword v3, v4, s[0:3], 0 offen offset:8
	buffer_load_dword v4, v4, s[0:3], 0 offen offset:12
	s_waitcnt vmcnt(0)
	ds_write_b128 v42, v[1:4]
	s_waitcnt lgkmcnt(0)
	s_waitcnt_vscnt null, 0x0
	s_barrier
	buffer_gl0_inv
	v_cmpx_gt_u32_e32 6, v0
	s_cbranch_execz .LBB17_183
; %bb.176:
	ds_read_b128 v[1:4], v42
	v_cmp_ne_u32_e32 vcc_lo, 1, v43
	s_cbranch_vccnz .LBB17_178
; %bb.177:
	s_clause 0x3
	buffer_load_dword v44, v41, s[0:3], 0 offen offset:8
	buffer_load_dword v45, v41, s[0:3], 0 offen offset:12
	buffer_load_dword v48, v41, s[0:3], 0 offen
	buffer_load_dword v49, v41, s[0:3], 0 offen offset:4
	s_waitcnt vmcnt(2) lgkmcnt(0)
	v_mul_f64 v[50:51], v[3:4], v[44:45]
	v_mul_f64 v[44:45], v[1:2], v[44:45]
	s_waitcnt vmcnt(0)
	v_fma_f64 v[1:2], v[1:2], v[48:49], -v[50:51]
	v_fma_f64 v[3:4], v[3:4], v[48:49], v[44:45]
.LBB17_178:
	s_mov_b32 s6, exec_lo
	v_cmpx_ne_u32_e32 5, v0
	s_cbranch_execz .LBB17_182
; %bb.179:
	v_add_nc_u32_e32 v44, 0x130, v47
	v_add3_u32 v45, 0, v47, 16
	v_mov_b32_e32 v46, v0
	s_mov_b32 s8, 0
	.p2align	6
.LBB17_180:                             ; =>This Inner Loop Header: Depth=1
	s_clause 0x3
	buffer_load_dword v52, v45, s[0:3], 0 offen offset:8
	buffer_load_dword v53, v45, s[0:3], 0 offen offset:12
	buffer_load_dword v54, v45, s[0:3], 0 offen
	buffer_load_dword v55, v45, s[0:3], 0 offen offset:4
	ds_read_b128 v[48:51], v44
	v_add_nc_u32_e32 v46, 1, v46
	v_add_nc_u32_e32 v44, 16, v44
	;; [unrolled: 1-line block ×3, first 2 shown]
	v_cmp_lt_u32_e32 vcc_lo, 4, v46
	s_or_b32 s8, vcc_lo, s8
	s_waitcnt vmcnt(2) lgkmcnt(0)
	v_mul_f64 v[56:57], v[50:51], v[52:53]
	v_mul_f64 v[52:53], v[48:49], v[52:53]
	s_waitcnt vmcnt(0)
	v_fma_f64 v[48:49], v[48:49], v[54:55], -v[56:57]
	v_fma_f64 v[50:51], v[50:51], v[54:55], v[52:53]
	v_add_f64 v[1:2], v[1:2], v[48:49]
	v_add_f64 v[3:4], v[3:4], v[50:51]
	s_andn2_b32 exec_lo, exec_lo, s8
	s_cbranch_execnz .LBB17_180
; %bb.181:
	s_or_b32 exec_lo, exec_lo, s8
.LBB17_182:
	s_or_b32 exec_lo, exec_lo, s6
	v_mov_b32_e32 v44, 0
	ds_read_b128 v[48:51], v44 offset:96
	s_waitcnt lgkmcnt(0)
	v_mul_f64 v[44:45], v[3:4], v[50:51]
	v_mul_f64 v[50:51], v[1:2], v[50:51]
	v_fma_f64 v[1:2], v[1:2], v[48:49], -v[44:45]
	v_fma_f64 v[3:4], v[3:4], v[48:49], v[50:51]
	buffer_store_dword v2, off, s[0:3], 0 offset:100
	buffer_store_dword v1, off, s[0:3], 0 offset:96
	;; [unrolled: 1-line block ×4, first 2 shown]
.LBB17_183:
	s_or_b32 exec_lo, exec_lo, s4
	v_mov_b32_e32 v4, s18
	s_mov_b32 s4, exec_lo
	s_clause 0x3
	buffer_load_dword v1, v4, s[0:3], 0 offen
	buffer_load_dword v2, v4, s[0:3], 0 offen offset:4
	buffer_load_dword v3, v4, s[0:3], 0 offen offset:8
	buffer_load_dword v4, v4, s[0:3], 0 offen offset:12
	s_waitcnt vmcnt(0)
	ds_write_b128 v42, v[1:4]
	s_waitcnt lgkmcnt(0)
	s_waitcnt_vscnt null, 0x0
	s_barrier
	buffer_gl0_inv
	v_cmpx_gt_u32_e32 7, v0
	s_cbranch_execz .LBB17_191
; %bb.184:
	ds_read_b128 v[1:4], v42
	v_cmp_ne_u32_e32 vcc_lo, 1, v43
	s_cbranch_vccnz .LBB17_186
; %bb.185:
	s_clause 0x3
	buffer_load_dword v44, v41, s[0:3], 0 offen offset:8
	buffer_load_dword v45, v41, s[0:3], 0 offen offset:12
	buffer_load_dword v48, v41, s[0:3], 0 offen
	buffer_load_dword v49, v41, s[0:3], 0 offen offset:4
	s_waitcnt vmcnt(2) lgkmcnt(0)
	v_mul_f64 v[50:51], v[3:4], v[44:45]
	v_mul_f64 v[44:45], v[1:2], v[44:45]
	s_waitcnt vmcnt(0)
	v_fma_f64 v[1:2], v[1:2], v[48:49], -v[50:51]
	v_fma_f64 v[3:4], v[3:4], v[48:49], v[44:45]
.LBB17_186:
	s_mov_b32 s6, exec_lo
	v_cmpx_ne_u32_e32 6, v0
	s_cbranch_execz .LBB17_190
; %bb.187:
	v_add_nc_u32_e32 v44, 0x130, v47
	v_add3_u32 v45, 0, v47, 16
	v_mov_b32_e32 v46, v0
	s_mov_b32 s8, 0
	.p2align	6
.LBB17_188:                             ; =>This Inner Loop Header: Depth=1
	s_clause 0x3
	buffer_load_dword v52, v45, s[0:3], 0 offen offset:8
	buffer_load_dword v53, v45, s[0:3], 0 offen offset:12
	buffer_load_dword v54, v45, s[0:3], 0 offen
	buffer_load_dword v55, v45, s[0:3], 0 offen offset:4
	ds_read_b128 v[48:51], v44
	v_add_nc_u32_e32 v46, 1, v46
	v_add_nc_u32_e32 v44, 16, v44
	;; [unrolled: 1-line block ×3, first 2 shown]
	v_cmp_lt_u32_e32 vcc_lo, 5, v46
	s_or_b32 s8, vcc_lo, s8
	s_waitcnt vmcnt(2) lgkmcnt(0)
	v_mul_f64 v[56:57], v[50:51], v[52:53]
	v_mul_f64 v[52:53], v[48:49], v[52:53]
	s_waitcnt vmcnt(0)
	v_fma_f64 v[48:49], v[48:49], v[54:55], -v[56:57]
	v_fma_f64 v[50:51], v[50:51], v[54:55], v[52:53]
	v_add_f64 v[1:2], v[1:2], v[48:49]
	v_add_f64 v[3:4], v[3:4], v[50:51]
	s_andn2_b32 exec_lo, exec_lo, s8
	s_cbranch_execnz .LBB17_188
; %bb.189:
	s_or_b32 exec_lo, exec_lo, s8
.LBB17_190:
	s_or_b32 exec_lo, exec_lo, s6
	v_mov_b32_e32 v44, 0
	ds_read_b128 v[48:51], v44 offset:112
	s_waitcnt lgkmcnt(0)
	v_mul_f64 v[44:45], v[3:4], v[50:51]
	v_mul_f64 v[50:51], v[1:2], v[50:51]
	v_fma_f64 v[1:2], v[1:2], v[48:49], -v[44:45]
	v_fma_f64 v[3:4], v[3:4], v[48:49], v[50:51]
	buffer_store_dword v2, off, s[0:3], 0 offset:116
	buffer_store_dword v1, off, s[0:3], 0 offset:112
	buffer_store_dword v4, off, s[0:3], 0 offset:124
	buffer_store_dword v3, off, s[0:3], 0 offset:120
.LBB17_191:
	s_or_b32 exec_lo, exec_lo, s4
	v_mov_b32_e32 v4, s17
	s_mov_b32 s4, exec_lo
	s_clause 0x3
	buffer_load_dword v1, v4, s[0:3], 0 offen
	buffer_load_dword v2, v4, s[0:3], 0 offen offset:4
	buffer_load_dword v3, v4, s[0:3], 0 offen offset:8
	;; [unrolled: 1-line block ×3, first 2 shown]
	s_waitcnt vmcnt(0)
	ds_write_b128 v42, v[1:4]
	s_waitcnt lgkmcnt(0)
	s_waitcnt_vscnt null, 0x0
	s_barrier
	buffer_gl0_inv
	v_cmpx_gt_u32_e32 8, v0
	s_cbranch_execz .LBB17_199
; %bb.192:
	ds_read_b128 v[1:4], v42
	v_cmp_ne_u32_e32 vcc_lo, 1, v43
	s_cbranch_vccnz .LBB17_194
; %bb.193:
	s_clause 0x3
	buffer_load_dword v44, v41, s[0:3], 0 offen offset:8
	buffer_load_dword v45, v41, s[0:3], 0 offen offset:12
	buffer_load_dword v48, v41, s[0:3], 0 offen
	buffer_load_dword v49, v41, s[0:3], 0 offen offset:4
	s_waitcnt vmcnt(2) lgkmcnt(0)
	v_mul_f64 v[50:51], v[3:4], v[44:45]
	v_mul_f64 v[44:45], v[1:2], v[44:45]
	s_waitcnt vmcnt(0)
	v_fma_f64 v[1:2], v[1:2], v[48:49], -v[50:51]
	v_fma_f64 v[3:4], v[3:4], v[48:49], v[44:45]
.LBB17_194:
	s_mov_b32 s6, exec_lo
	v_cmpx_ne_u32_e32 7, v0
	s_cbranch_execz .LBB17_198
; %bb.195:
	v_add_nc_u32_e32 v44, 0x130, v47
	v_add3_u32 v45, 0, v47, 16
	v_mov_b32_e32 v46, v0
	s_mov_b32 s8, 0
	.p2align	6
.LBB17_196:                             ; =>This Inner Loop Header: Depth=1
	s_clause 0x3
	buffer_load_dword v52, v45, s[0:3], 0 offen offset:8
	buffer_load_dword v53, v45, s[0:3], 0 offen offset:12
	buffer_load_dword v54, v45, s[0:3], 0 offen
	buffer_load_dword v55, v45, s[0:3], 0 offen offset:4
	ds_read_b128 v[48:51], v44
	v_add_nc_u32_e32 v46, 1, v46
	v_add_nc_u32_e32 v44, 16, v44
	;; [unrolled: 1-line block ×3, first 2 shown]
	v_cmp_lt_u32_e32 vcc_lo, 6, v46
	s_or_b32 s8, vcc_lo, s8
	s_waitcnt vmcnt(2) lgkmcnt(0)
	v_mul_f64 v[56:57], v[50:51], v[52:53]
	v_mul_f64 v[52:53], v[48:49], v[52:53]
	s_waitcnt vmcnt(0)
	v_fma_f64 v[48:49], v[48:49], v[54:55], -v[56:57]
	v_fma_f64 v[50:51], v[50:51], v[54:55], v[52:53]
	v_add_f64 v[1:2], v[1:2], v[48:49]
	v_add_f64 v[3:4], v[3:4], v[50:51]
	s_andn2_b32 exec_lo, exec_lo, s8
	s_cbranch_execnz .LBB17_196
; %bb.197:
	s_or_b32 exec_lo, exec_lo, s8
.LBB17_198:
	s_or_b32 exec_lo, exec_lo, s6
	v_mov_b32_e32 v44, 0
	ds_read_b128 v[48:51], v44 offset:128
	s_waitcnt lgkmcnt(0)
	v_mul_f64 v[44:45], v[3:4], v[50:51]
	v_mul_f64 v[50:51], v[1:2], v[50:51]
	v_fma_f64 v[1:2], v[1:2], v[48:49], -v[44:45]
	v_fma_f64 v[3:4], v[3:4], v[48:49], v[50:51]
	buffer_store_dword v2, off, s[0:3], 0 offset:132
	buffer_store_dword v1, off, s[0:3], 0 offset:128
	;; [unrolled: 1-line block ×4, first 2 shown]
.LBB17_199:
	s_or_b32 exec_lo, exec_lo, s4
	v_mov_b32_e32 v4, s16
	s_mov_b32 s4, exec_lo
	s_clause 0x3
	buffer_load_dword v1, v4, s[0:3], 0 offen
	buffer_load_dword v2, v4, s[0:3], 0 offen offset:4
	buffer_load_dword v3, v4, s[0:3], 0 offen offset:8
	;; [unrolled: 1-line block ×3, first 2 shown]
	s_waitcnt vmcnt(0)
	ds_write_b128 v42, v[1:4]
	s_waitcnt lgkmcnt(0)
	s_waitcnt_vscnt null, 0x0
	s_barrier
	buffer_gl0_inv
	v_cmpx_gt_u32_e32 9, v0
	s_cbranch_execz .LBB17_207
; %bb.200:
	ds_read_b128 v[1:4], v42
	v_cmp_ne_u32_e32 vcc_lo, 1, v43
	s_cbranch_vccnz .LBB17_202
; %bb.201:
	s_clause 0x3
	buffer_load_dword v44, v41, s[0:3], 0 offen offset:8
	buffer_load_dword v45, v41, s[0:3], 0 offen offset:12
	buffer_load_dword v48, v41, s[0:3], 0 offen
	buffer_load_dword v49, v41, s[0:3], 0 offen offset:4
	s_waitcnt vmcnt(2) lgkmcnt(0)
	v_mul_f64 v[50:51], v[3:4], v[44:45]
	v_mul_f64 v[44:45], v[1:2], v[44:45]
	s_waitcnt vmcnt(0)
	v_fma_f64 v[1:2], v[1:2], v[48:49], -v[50:51]
	v_fma_f64 v[3:4], v[3:4], v[48:49], v[44:45]
.LBB17_202:
	s_mov_b32 s6, exec_lo
	v_cmpx_ne_u32_e32 8, v0
	s_cbranch_execz .LBB17_206
; %bb.203:
	v_add_nc_u32_e32 v44, 0x130, v47
	v_add3_u32 v45, 0, v47, 16
	v_mov_b32_e32 v46, v0
	s_mov_b32 s8, 0
	.p2align	6
.LBB17_204:                             ; =>This Inner Loop Header: Depth=1
	s_clause 0x3
	buffer_load_dword v52, v45, s[0:3], 0 offen offset:8
	buffer_load_dword v53, v45, s[0:3], 0 offen offset:12
	buffer_load_dword v54, v45, s[0:3], 0 offen
	buffer_load_dword v55, v45, s[0:3], 0 offen offset:4
	ds_read_b128 v[48:51], v44
	v_add_nc_u32_e32 v46, 1, v46
	v_add_nc_u32_e32 v44, 16, v44
	;; [unrolled: 1-line block ×3, first 2 shown]
	v_cmp_lt_u32_e32 vcc_lo, 7, v46
	s_or_b32 s8, vcc_lo, s8
	s_waitcnt vmcnt(2) lgkmcnt(0)
	v_mul_f64 v[56:57], v[50:51], v[52:53]
	v_mul_f64 v[52:53], v[48:49], v[52:53]
	s_waitcnt vmcnt(0)
	v_fma_f64 v[48:49], v[48:49], v[54:55], -v[56:57]
	v_fma_f64 v[50:51], v[50:51], v[54:55], v[52:53]
	v_add_f64 v[1:2], v[1:2], v[48:49]
	v_add_f64 v[3:4], v[3:4], v[50:51]
	s_andn2_b32 exec_lo, exec_lo, s8
	s_cbranch_execnz .LBB17_204
; %bb.205:
	s_or_b32 exec_lo, exec_lo, s8
.LBB17_206:
	s_or_b32 exec_lo, exec_lo, s6
	v_mov_b32_e32 v44, 0
	ds_read_b128 v[48:51], v44 offset:144
	s_waitcnt lgkmcnt(0)
	v_mul_f64 v[44:45], v[3:4], v[50:51]
	v_mul_f64 v[50:51], v[1:2], v[50:51]
	v_fma_f64 v[1:2], v[1:2], v[48:49], -v[44:45]
	v_fma_f64 v[3:4], v[3:4], v[48:49], v[50:51]
	buffer_store_dword v2, off, s[0:3], 0 offset:148
	buffer_store_dword v1, off, s[0:3], 0 offset:144
	buffer_store_dword v4, off, s[0:3], 0 offset:156
	buffer_store_dword v3, off, s[0:3], 0 offset:152
.LBB17_207:
	s_or_b32 exec_lo, exec_lo, s4
	v_mov_b32_e32 v4, s15
	s_mov_b32 s4, exec_lo
	s_clause 0x3
	buffer_load_dword v1, v4, s[0:3], 0 offen
	buffer_load_dword v2, v4, s[0:3], 0 offen offset:4
	buffer_load_dword v3, v4, s[0:3], 0 offen offset:8
	;; [unrolled: 1-line block ×3, first 2 shown]
	s_waitcnt vmcnt(0)
	ds_write_b128 v42, v[1:4]
	s_waitcnt lgkmcnt(0)
	s_waitcnt_vscnt null, 0x0
	s_barrier
	buffer_gl0_inv
	v_cmpx_gt_u32_e32 10, v0
	s_cbranch_execz .LBB17_215
; %bb.208:
	ds_read_b128 v[1:4], v42
	v_cmp_ne_u32_e32 vcc_lo, 1, v43
	s_cbranch_vccnz .LBB17_210
; %bb.209:
	s_clause 0x3
	buffer_load_dword v44, v41, s[0:3], 0 offen offset:8
	buffer_load_dword v45, v41, s[0:3], 0 offen offset:12
	buffer_load_dword v48, v41, s[0:3], 0 offen
	buffer_load_dword v49, v41, s[0:3], 0 offen offset:4
	s_waitcnt vmcnt(2) lgkmcnt(0)
	v_mul_f64 v[50:51], v[3:4], v[44:45]
	v_mul_f64 v[44:45], v[1:2], v[44:45]
	s_waitcnt vmcnt(0)
	v_fma_f64 v[1:2], v[1:2], v[48:49], -v[50:51]
	v_fma_f64 v[3:4], v[3:4], v[48:49], v[44:45]
.LBB17_210:
	s_mov_b32 s6, exec_lo
	v_cmpx_ne_u32_e32 9, v0
	s_cbranch_execz .LBB17_214
; %bb.211:
	v_add_nc_u32_e32 v44, 0x130, v47
	v_add3_u32 v45, 0, v47, 16
	v_mov_b32_e32 v46, v0
	s_mov_b32 s8, 0
	.p2align	6
.LBB17_212:                             ; =>This Inner Loop Header: Depth=1
	s_clause 0x3
	buffer_load_dword v52, v45, s[0:3], 0 offen offset:8
	buffer_load_dword v53, v45, s[0:3], 0 offen offset:12
	buffer_load_dword v54, v45, s[0:3], 0 offen
	buffer_load_dword v55, v45, s[0:3], 0 offen offset:4
	ds_read_b128 v[48:51], v44
	v_add_nc_u32_e32 v46, 1, v46
	v_add_nc_u32_e32 v44, 16, v44
	;; [unrolled: 1-line block ×3, first 2 shown]
	v_cmp_lt_u32_e32 vcc_lo, 8, v46
	s_or_b32 s8, vcc_lo, s8
	s_waitcnt vmcnt(2) lgkmcnt(0)
	v_mul_f64 v[56:57], v[50:51], v[52:53]
	v_mul_f64 v[52:53], v[48:49], v[52:53]
	s_waitcnt vmcnt(0)
	v_fma_f64 v[48:49], v[48:49], v[54:55], -v[56:57]
	v_fma_f64 v[50:51], v[50:51], v[54:55], v[52:53]
	v_add_f64 v[1:2], v[1:2], v[48:49]
	v_add_f64 v[3:4], v[3:4], v[50:51]
	s_andn2_b32 exec_lo, exec_lo, s8
	s_cbranch_execnz .LBB17_212
; %bb.213:
	s_or_b32 exec_lo, exec_lo, s8
.LBB17_214:
	s_or_b32 exec_lo, exec_lo, s6
	v_mov_b32_e32 v44, 0
	ds_read_b128 v[48:51], v44 offset:160
	s_waitcnt lgkmcnt(0)
	v_mul_f64 v[44:45], v[3:4], v[50:51]
	v_mul_f64 v[50:51], v[1:2], v[50:51]
	v_fma_f64 v[1:2], v[1:2], v[48:49], -v[44:45]
	v_fma_f64 v[3:4], v[3:4], v[48:49], v[50:51]
	buffer_store_dword v2, off, s[0:3], 0 offset:164
	buffer_store_dword v1, off, s[0:3], 0 offset:160
	;; [unrolled: 1-line block ×4, first 2 shown]
.LBB17_215:
	s_or_b32 exec_lo, exec_lo, s4
	v_mov_b32_e32 v4, s14
	s_mov_b32 s4, exec_lo
	s_clause 0x3
	buffer_load_dword v1, v4, s[0:3], 0 offen
	buffer_load_dword v2, v4, s[0:3], 0 offen offset:4
	buffer_load_dword v3, v4, s[0:3], 0 offen offset:8
	;; [unrolled: 1-line block ×3, first 2 shown]
	s_waitcnt vmcnt(0)
	ds_write_b128 v42, v[1:4]
	s_waitcnt lgkmcnt(0)
	s_waitcnt_vscnt null, 0x0
	s_barrier
	buffer_gl0_inv
	v_cmpx_gt_u32_e32 11, v0
	s_cbranch_execz .LBB17_223
; %bb.216:
	ds_read_b128 v[1:4], v42
	v_cmp_ne_u32_e32 vcc_lo, 1, v43
	s_cbranch_vccnz .LBB17_218
; %bb.217:
	s_clause 0x3
	buffer_load_dword v44, v41, s[0:3], 0 offen offset:8
	buffer_load_dword v45, v41, s[0:3], 0 offen offset:12
	buffer_load_dword v48, v41, s[0:3], 0 offen
	buffer_load_dword v49, v41, s[0:3], 0 offen offset:4
	s_waitcnt vmcnt(2) lgkmcnt(0)
	v_mul_f64 v[50:51], v[3:4], v[44:45]
	v_mul_f64 v[44:45], v[1:2], v[44:45]
	s_waitcnt vmcnt(0)
	v_fma_f64 v[1:2], v[1:2], v[48:49], -v[50:51]
	v_fma_f64 v[3:4], v[3:4], v[48:49], v[44:45]
.LBB17_218:
	s_mov_b32 s6, exec_lo
	v_cmpx_ne_u32_e32 10, v0
	s_cbranch_execz .LBB17_222
; %bb.219:
	v_add_nc_u32_e32 v44, 0x130, v47
	v_add3_u32 v45, 0, v47, 16
	v_mov_b32_e32 v46, v0
	s_mov_b32 s8, 0
	.p2align	6
.LBB17_220:                             ; =>This Inner Loop Header: Depth=1
	s_clause 0x3
	buffer_load_dword v52, v45, s[0:3], 0 offen offset:8
	buffer_load_dword v53, v45, s[0:3], 0 offen offset:12
	buffer_load_dword v54, v45, s[0:3], 0 offen
	buffer_load_dword v55, v45, s[0:3], 0 offen offset:4
	ds_read_b128 v[48:51], v44
	v_add_nc_u32_e32 v46, 1, v46
	v_add_nc_u32_e32 v44, 16, v44
	v_add_nc_u32_e32 v45, 16, v45
	v_cmp_lt_u32_e32 vcc_lo, 9, v46
	s_or_b32 s8, vcc_lo, s8
	s_waitcnt vmcnt(2) lgkmcnt(0)
	v_mul_f64 v[56:57], v[50:51], v[52:53]
	v_mul_f64 v[52:53], v[48:49], v[52:53]
	s_waitcnt vmcnt(0)
	v_fma_f64 v[48:49], v[48:49], v[54:55], -v[56:57]
	v_fma_f64 v[50:51], v[50:51], v[54:55], v[52:53]
	v_add_f64 v[1:2], v[1:2], v[48:49]
	v_add_f64 v[3:4], v[3:4], v[50:51]
	s_andn2_b32 exec_lo, exec_lo, s8
	s_cbranch_execnz .LBB17_220
; %bb.221:
	s_or_b32 exec_lo, exec_lo, s8
.LBB17_222:
	s_or_b32 exec_lo, exec_lo, s6
	v_mov_b32_e32 v44, 0
	ds_read_b128 v[48:51], v44 offset:176
	s_waitcnt lgkmcnt(0)
	v_mul_f64 v[44:45], v[3:4], v[50:51]
	v_mul_f64 v[50:51], v[1:2], v[50:51]
	v_fma_f64 v[1:2], v[1:2], v[48:49], -v[44:45]
	v_fma_f64 v[3:4], v[3:4], v[48:49], v[50:51]
	buffer_store_dword v2, off, s[0:3], 0 offset:180
	buffer_store_dword v1, off, s[0:3], 0 offset:176
	;; [unrolled: 1-line block ×4, first 2 shown]
.LBB17_223:
	s_or_b32 exec_lo, exec_lo, s4
	v_mov_b32_e32 v4, s13
	s_mov_b32 s4, exec_lo
	s_clause 0x3
	buffer_load_dword v1, v4, s[0:3], 0 offen
	buffer_load_dword v2, v4, s[0:3], 0 offen offset:4
	buffer_load_dword v3, v4, s[0:3], 0 offen offset:8
	;; [unrolled: 1-line block ×3, first 2 shown]
	s_waitcnt vmcnt(0)
	ds_write_b128 v42, v[1:4]
	s_waitcnt lgkmcnt(0)
	s_waitcnt_vscnt null, 0x0
	s_barrier
	buffer_gl0_inv
	v_cmpx_gt_u32_e32 12, v0
	s_cbranch_execz .LBB17_231
; %bb.224:
	ds_read_b128 v[1:4], v42
	v_cmp_ne_u32_e32 vcc_lo, 1, v43
	s_cbranch_vccnz .LBB17_226
; %bb.225:
	s_clause 0x3
	buffer_load_dword v44, v41, s[0:3], 0 offen offset:8
	buffer_load_dword v45, v41, s[0:3], 0 offen offset:12
	buffer_load_dword v48, v41, s[0:3], 0 offen
	buffer_load_dword v49, v41, s[0:3], 0 offen offset:4
	s_waitcnt vmcnt(2) lgkmcnt(0)
	v_mul_f64 v[50:51], v[3:4], v[44:45]
	v_mul_f64 v[44:45], v[1:2], v[44:45]
	s_waitcnt vmcnt(0)
	v_fma_f64 v[1:2], v[1:2], v[48:49], -v[50:51]
	v_fma_f64 v[3:4], v[3:4], v[48:49], v[44:45]
.LBB17_226:
	s_mov_b32 s6, exec_lo
	v_cmpx_ne_u32_e32 11, v0
	s_cbranch_execz .LBB17_230
; %bb.227:
	v_add_nc_u32_e32 v44, 0x130, v47
	v_add3_u32 v45, 0, v47, 16
	v_mov_b32_e32 v46, v0
	s_mov_b32 s8, 0
	.p2align	6
.LBB17_228:                             ; =>This Inner Loop Header: Depth=1
	s_clause 0x3
	buffer_load_dword v52, v45, s[0:3], 0 offen offset:8
	buffer_load_dword v53, v45, s[0:3], 0 offen offset:12
	buffer_load_dword v54, v45, s[0:3], 0 offen
	buffer_load_dword v55, v45, s[0:3], 0 offen offset:4
	ds_read_b128 v[48:51], v44
	v_add_nc_u32_e32 v46, 1, v46
	v_add_nc_u32_e32 v44, 16, v44
	v_add_nc_u32_e32 v45, 16, v45
	v_cmp_lt_u32_e32 vcc_lo, 10, v46
	s_or_b32 s8, vcc_lo, s8
	s_waitcnt vmcnt(2) lgkmcnt(0)
	v_mul_f64 v[56:57], v[50:51], v[52:53]
	v_mul_f64 v[52:53], v[48:49], v[52:53]
	s_waitcnt vmcnt(0)
	v_fma_f64 v[48:49], v[48:49], v[54:55], -v[56:57]
	v_fma_f64 v[50:51], v[50:51], v[54:55], v[52:53]
	v_add_f64 v[1:2], v[1:2], v[48:49]
	v_add_f64 v[3:4], v[3:4], v[50:51]
	s_andn2_b32 exec_lo, exec_lo, s8
	s_cbranch_execnz .LBB17_228
; %bb.229:
	s_or_b32 exec_lo, exec_lo, s8
.LBB17_230:
	s_or_b32 exec_lo, exec_lo, s6
	v_mov_b32_e32 v44, 0
	ds_read_b128 v[48:51], v44 offset:192
	s_waitcnt lgkmcnt(0)
	v_mul_f64 v[44:45], v[3:4], v[50:51]
	v_mul_f64 v[50:51], v[1:2], v[50:51]
	v_fma_f64 v[1:2], v[1:2], v[48:49], -v[44:45]
	v_fma_f64 v[3:4], v[3:4], v[48:49], v[50:51]
	buffer_store_dword v2, off, s[0:3], 0 offset:196
	buffer_store_dword v1, off, s[0:3], 0 offset:192
	;; [unrolled: 1-line block ×4, first 2 shown]
.LBB17_231:
	s_or_b32 exec_lo, exec_lo, s4
	v_mov_b32_e32 v4, s12
	s_mov_b32 s4, exec_lo
	s_clause 0x3
	buffer_load_dword v1, v4, s[0:3], 0 offen
	buffer_load_dword v2, v4, s[0:3], 0 offen offset:4
	buffer_load_dword v3, v4, s[0:3], 0 offen offset:8
	;; [unrolled: 1-line block ×3, first 2 shown]
	s_waitcnt vmcnt(0)
	ds_write_b128 v42, v[1:4]
	s_waitcnt lgkmcnt(0)
	s_waitcnt_vscnt null, 0x0
	s_barrier
	buffer_gl0_inv
	v_cmpx_gt_u32_e32 13, v0
	s_cbranch_execz .LBB17_239
; %bb.232:
	ds_read_b128 v[1:4], v42
	v_cmp_ne_u32_e32 vcc_lo, 1, v43
	s_cbranch_vccnz .LBB17_234
; %bb.233:
	s_clause 0x3
	buffer_load_dword v44, v41, s[0:3], 0 offen offset:8
	buffer_load_dword v45, v41, s[0:3], 0 offen offset:12
	buffer_load_dword v48, v41, s[0:3], 0 offen
	buffer_load_dword v49, v41, s[0:3], 0 offen offset:4
	s_waitcnt vmcnt(2) lgkmcnt(0)
	v_mul_f64 v[50:51], v[3:4], v[44:45]
	v_mul_f64 v[44:45], v[1:2], v[44:45]
	s_waitcnt vmcnt(0)
	v_fma_f64 v[1:2], v[1:2], v[48:49], -v[50:51]
	v_fma_f64 v[3:4], v[3:4], v[48:49], v[44:45]
.LBB17_234:
	s_mov_b32 s6, exec_lo
	v_cmpx_ne_u32_e32 12, v0
	s_cbranch_execz .LBB17_238
; %bb.235:
	v_add_nc_u32_e32 v44, 0x130, v47
	v_add3_u32 v45, 0, v47, 16
	v_mov_b32_e32 v46, v0
	s_mov_b32 s8, 0
	.p2align	6
.LBB17_236:                             ; =>This Inner Loop Header: Depth=1
	s_clause 0x3
	buffer_load_dword v52, v45, s[0:3], 0 offen offset:8
	buffer_load_dword v53, v45, s[0:3], 0 offen offset:12
	buffer_load_dword v54, v45, s[0:3], 0 offen
	buffer_load_dword v55, v45, s[0:3], 0 offen offset:4
	ds_read_b128 v[48:51], v44
	v_add_nc_u32_e32 v46, 1, v46
	v_add_nc_u32_e32 v44, 16, v44
	;; [unrolled: 1-line block ×3, first 2 shown]
	v_cmp_lt_u32_e32 vcc_lo, 11, v46
	s_or_b32 s8, vcc_lo, s8
	s_waitcnt vmcnt(2) lgkmcnt(0)
	v_mul_f64 v[56:57], v[50:51], v[52:53]
	v_mul_f64 v[52:53], v[48:49], v[52:53]
	s_waitcnt vmcnt(0)
	v_fma_f64 v[48:49], v[48:49], v[54:55], -v[56:57]
	v_fma_f64 v[50:51], v[50:51], v[54:55], v[52:53]
	v_add_f64 v[1:2], v[1:2], v[48:49]
	v_add_f64 v[3:4], v[3:4], v[50:51]
	s_andn2_b32 exec_lo, exec_lo, s8
	s_cbranch_execnz .LBB17_236
; %bb.237:
	s_or_b32 exec_lo, exec_lo, s8
.LBB17_238:
	s_or_b32 exec_lo, exec_lo, s6
	v_mov_b32_e32 v44, 0
	ds_read_b128 v[48:51], v44 offset:208
	s_waitcnt lgkmcnt(0)
	v_mul_f64 v[44:45], v[3:4], v[50:51]
	v_mul_f64 v[50:51], v[1:2], v[50:51]
	v_fma_f64 v[1:2], v[1:2], v[48:49], -v[44:45]
	v_fma_f64 v[3:4], v[3:4], v[48:49], v[50:51]
	buffer_store_dword v2, off, s[0:3], 0 offset:212
	buffer_store_dword v1, off, s[0:3], 0 offset:208
	;; [unrolled: 1-line block ×4, first 2 shown]
.LBB17_239:
	s_or_b32 exec_lo, exec_lo, s4
	v_mov_b32_e32 v4, s11
	s_mov_b32 s4, exec_lo
	s_clause 0x3
	buffer_load_dword v1, v4, s[0:3], 0 offen
	buffer_load_dword v2, v4, s[0:3], 0 offen offset:4
	buffer_load_dword v3, v4, s[0:3], 0 offen offset:8
	;; [unrolled: 1-line block ×3, first 2 shown]
	s_waitcnt vmcnt(0)
	ds_write_b128 v42, v[1:4]
	s_waitcnt lgkmcnt(0)
	s_waitcnt_vscnt null, 0x0
	s_barrier
	buffer_gl0_inv
	v_cmpx_gt_u32_e32 14, v0
	s_cbranch_execz .LBB17_247
; %bb.240:
	ds_read_b128 v[1:4], v42
	v_cmp_ne_u32_e32 vcc_lo, 1, v43
	s_cbranch_vccnz .LBB17_242
; %bb.241:
	s_clause 0x3
	buffer_load_dword v44, v41, s[0:3], 0 offen offset:8
	buffer_load_dword v45, v41, s[0:3], 0 offen offset:12
	buffer_load_dword v48, v41, s[0:3], 0 offen
	buffer_load_dword v49, v41, s[0:3], 0 offen offset:4
	s_waitcnt vmcnt(2) lgkmcnt(0)
	v_mul_f64 v[50:51], v[3:4], v[44:45]
	v_mul_f64 v[44:45], v[1:2], v[44:45]
	s_waitcnt vmcnt(0)
	v_fma_f64 v[1:2], v[1:2], v[48:49], -v[50:51]
	v_fma_f64 v[3:4], v[3:4], v[48:49], v[44:45]
.LBB17_242:
	s_mov_b32 s6, exec_lo
	v_cmpx_ne_u32_e32 13, v0
	s_cbranch_execz .LBB17_246
; %bb.243:
	v_add_nc_u32_e32 v44, 0x130, v47
	v_add3_u32 v45, 0, v47, 16
	v_mov_b32_e32 v46, v0
	s_mov_b32 s8, 0
	.p2align	6
.LBB17_244:                             ; =>This Inner Loop Header: Depth=1
	s_clause 0x3
	buffer_load_dword v52, v45, s[0:3], 0 offen offset:8
	buffer_load_dword v53, v45, s[0:3], 0 offen offset:12
	buffer_load_dword v54, v45, s[0:3], 0 offen
	buffer_load_dword v55, v45, s[0:3], 0 offen offset:4
	ds_read_b128 v[48:51], v44
	v_add_nc_u32_e32 v46, 1, v46
	v_add_nc_u32_e32 v44, 16, v44
	;; [unrolled: 1-line block ×3, first 2 shown]
	v_cmp_lt_u32_e32 vcc_lo, 12, v46
	s_or_b32 s8, vcc_lo, s8
	s_waitcnt vmcnt(2) lgkmcnt(0)
	v_mul_f64 v[56:57], v[50:51], v[52:53]
	v_mul_f64 v[52:53], v[48:49], v[52:53]
	s_waitcnt vmcnt(0)
	v_fma_f64 v[48:49], v[48:49], v[54:55], -v[56:57]
	v_fma_f64 v[50:51], v[50:51], v[54:55], v[52:53]
	v_add_f64 v[1:2], v[1:2], v[48:49]
	v_add_f64 v[3:4], v[3:4], v[50:51]
	s_andn2_b32 exec_lo, exec_lo, s8
	s_cbranch_execnz .LBB17_244
; %bb.245:
	s_or_b32 exec_lo, exec_lo, s8
.LBB17_246:
	s_or_b32 exec_lo, exec_lo, s6
	v_mov_b32_e32 v44, 0
	ds_read_b128 v[48:51], v44 offset:224
	s_waitcnt lgkmcnt(0)
	v_mul_f64 v[44:45], v[3:4], v[50:51]
	v_mul_f64 v[50:51], v[1:2], v[50:51]
	v_fma_f64 v[1:2], v[1:2], v[48:49], -v[44:45]
	v_fma_f64 v[3:4], v[3:4], v[48:49], v[50:51]
	buffer_store_dword v2, off, s[0:3], 0 offset:228
	buffer_store_dword v1, off, s[0:3], 0 offset:224
	;; [unrolled: 1-line block ×4, first 2 shown]
.LBB17_247:
	s_or_b32 exec_lo, exec_lo, s4
	v_mov_b32_e32 v4, s10
	s_mov_b32 s4, exec_lo
	s_clause 0x3
	buffer_load_dword v1, v4, s[0:3], 0 offen
	buffer_load_dword v2, v4, s[0:3], 0 offen offset:4
	buffer_load_dword v3, v4, s[0:3], 0 offen offset:8
	;; [unrolled: 1-line block ×3, first 2 shown]
	s_waitcnt vmcnt(0)
	ds_write_b128 v42, v[1:4]
	s_waitcnt lgkmcnt(0)
	s_waitcnt_vscnt null, 0x0
	s_barrier
	buffer_gl0_inv
	v_cmpx_gt_u32_e32 15, v0
	s_cbranch_execz .LBB17_255
; %bb.248:
	ds_read_b128 v[1:4], v42
	v_cmp_ne_u32_e32 vcc_lo, 1, v43
	s_cbranch_vccnz .LBB17_250
; %bb.249:
	s_clause 0x3
	buffer_load_dword v44, v41, s[0:3], 0 offen offset:8
	buffer_load_dword v45, v41, s[0:3], 0 offen offset:12
	buffer_load_dword v48, v41, s[0:3], 0 offen
	buffer_load_dword v49, v41, s[0:3], 0 offen offset:4
	s_waitcnt vmcnt(2) lgkmcnt(0)
	v_mul_f64 v[50:51], v[3:4], v[44:45]
	v_mul_f64 v[44:45], v[1:2], v[44:45]
	s_waitcnt vmcnt(0)
	v_fma_f64 v[1:2], v[1:2], v[48:49], -v[50:51]
	v_fma_f64 v[3:4], v[3:4], v[48:49], v[44:45]
.LBB17_250:
	s_mov_b32 s6, exec_lo
	v_cmpx_ne_u32_e32 14, v0
	s_cbranch_execz .LBB17_254
; %bb.251:
	v_add_nc_u32_e32 v44, 0x130, v47
	v_add3_u32 v45, 0, v47, 16
	v_mov_b32_e32 v46, v0
	s_mov_b32 s8, 0
	.p2align	6
.LBB17_252:                             ; =>This Inner Loop Header: Depth=1
	s_clause 0x3
	buffer_load_dword v52, v45, s[0:3], 0 offen offset:8
	buffer_load_dword v53, v45, s[0:3], 0 offen offset:12
	buffer_load_dword v54, v45, s[0:3], 0 offen
	buffer_load_dword v55, v45, s[0:3], 0 offen offset:4
	ds_read_b128 v[48:51], v44
	v_add_nc_u32_e32 v46, 1, v46
	v_add_nc_u32_e32 v44, 16, v44
	;; [unrolled: 1-line block ×3, first 2 shown]
	v_cmp_lt_u32_e32 vcc_lo, 13, v46
	s_or_b32 s8, vcc_lo, s8
	s_waitcnt vmcnt(2) lgkmcnt(0)
	v_mul_f64 v[56:57], v[50:51], v[52:53]
	v_mul_f64 v[52:53], v[48:49], v[52:53]
	s_waitcnt vmcnt(0)
	v_fma_f64 v[48:49], v[48:49], v[54:55], -v[56:57]
	v_fma_f64 v[50:51], v[50:51], v[54:55], v[52:53]
	v_add_f64 v[1:2], v[1:2], v[48:49]
	v_add_f64 v[3:4], v[3:4], v[50:51]
	s_andn2_b32 exec_lo, exec_lo, s8
	s_cbranch_execnz .LBB17_252
; %bb.253:
	s_or_b32 exec_lo, exec_lo, s8
.LBB17_254:
	s_or_b32 exec_lo, exec_lo, s6
	v_mov_b32_e32 v44, 0
	ds_read_b128 v[48:51], v44 offset:240
	s_waitcnt lgkmcnt(0)
	v_mul_f64 v[44:45], v[3:4], v[50:51]
	v_mul_f64 v[50:51], v[1:2], v[50:51]
	v_fma_f64 v[1:2], v[1:2], v[48:49], -v[44:45]
	v_fma_f64 v[3:4], v[3:4], v[48:49], v[50:51]
	buffer_store_dword v2, off, s[0:3], 0 offset:244
	buffer_store_dword v1, off, s[0:3], 0 offset:240
	;; [unrolled: 1-line block ×4, first 2 shown]
.LBB17_255:
	s_or_b32 exec_lo, exec_lo, s4
	v_mov_b32_e32 v4, s9
	v_cmp_gt_u32_e64 s4, 16, v0
	s_clause 0x3
	buffer_load_dword v1, v4, s[0:3], 0 offen
	buffer_load_dword v2, v4, s[0:3], 0 offen offset:4
	buffer_load_dword v3, v4, s[0:3], 0 offen offset:8
	;; [unrolled: 1-line block ×3, first 2 shown]
	s_waitcnt vmcnt(0)
	ds_write_b128 v42, v[1:4]
	s_waitcnt lgkmcnt(0)
	s_waitcnt_vscnt null, 0x0
	s_barrier
	buffer_gl0_inv
	s_and_saveexec_b32 s6, s4
	s_cbranch_execz .LBB17_263
; %bb.256:
	ds_read_b128 v[1:4], v42
	v_cmp_ne_u32_e32 vcc_lo, 1, v43
	s_cbranch_vccnz .LBB17_258
; %bb.257:
	s_clause 0x3
	buffer_load_dword v44, v41, s[0:3], 0 offen offset:8
	buffer_load_dword v45, v41, s[0:3], 0 offen offset:12
	buffer_load_dword v48, v41, s[0:3], 0 offen
	buffer_load_dword v49, v41, s[0:3], 0 offen offset:4
	s_waitcnt vmcnt(2) lgkmcnt(0)
	v_mul_f64 v[50:51], v[3:4], v[44:45]
	v_mul_f64 v[44:45], v[1:2], v[44:45]
	s_waitcnt vmcnt(0)
	v_fma_f64 v[1:2], v[1:2], v[48:49], -v[50:51]
	v_fma_f64 v[3:4], v[3:4], v[48:49], v[44:45]
.LBB17_258:
	s_mov_b32 s8, exec_lo
	v_cmpx_ne_u32_e32 15, v0
	s_cbranch_execz .LBB17_262
; %bb.259:
	v_add_nc_u32_e32 v44, 0x130, v47
	v_add3_u32 v45, 0, v47, 16
	v_mov_b32_e32 v46, v0
	s_mov_b32 s25, 0
	.p2align	6
.LBB17_260:                             ; =>This Inner Loop Header: Depth=1
	s_clause 0x3
	buffer_load_dword v52, v45, s[0:3], 0 offen offset:8
	buffer_load_dword v53, v45, s[0:3], 0 offen offset:12
	buffer_load_dword v54, v45, s[0:3], 0 offen
	buffer_load_dword v55, v45, s[0:3], 0 offen offset:4
	ds_read_b128 v[48:51], v44
	v_add_nc_u32_e32 v46, 1, v46
	v_add_nc_u32_e32 v44, 16, v44
	;; [unrolled: 1-line block ×3, first 2 shown]
	v_cmp_lt_u32_e32 vcc_lo, 14, v46
	s_or_b32 s25, vcc_lo, s25
	s_waitcnt vmcnt(2) lgkmcnt(0)
	v_mul_f64 v[56:57], v[50:51], v[52:53]
	v_mul_f64 v[52:53], v[48:49], v[52:53]
	s_waitcnt vmcnt(0)
	v_fma_f64 v[48:49], v[48:49], v[54:55], -v[56:57]
	v_fma_f64 v[50:51], v[50:51], v[54:55], v[52:53]
	v_add_f64 v[1:2], v[1:2], v[48:49]
	v_add_f64 v[3:4], v[3:4], v[50:51]
	s_andn2_b32 exec_lo, exec_lo, s25
	s_cbranch_execnz .LBB17_260
; %bb.261:
	s_or_b32 exec_lo, exec_lo, s25
.LBB17_262:
	s_or_b32 exec_lo, exec_lo, s8
	v_mov_b32_e32 v44, 0
	ds_read_b128 v[48:51], v44 offset:256
	s_waitcnt lgkmcnt(0)
	v_mul_f64 v[44:45], v[3:4], v[50:51]
	v_mul_f64 v[50:51], v[1:2], v[50:51]
	v_fma_f64 v[1:2], v[1:2], v[48:49], -v[44:45]
	v_fma_f64 v[3:4], v[3:4], v[48:49], v[50:51]
	buffer_store_dword v2, off, s[0:3], 0 offset:260
	buffer_store_dword v1, off, s[0:3], 0 offset:256
	;; [unrolled: 1-line block ×4, first 2 shown]
.LBB17_263:
	s_or_b32 exec_lo, exec_lo, s6
	v_mov_b32_e32 v4, s7
	s_mov_b32 s6, exec_lo
                                        ; implicit-def: $sgpr26
	s_clause 0x3
	buffer_load_dword v1, v4, s[0:3], 0 offen
	buffer_load_dword v2, v4, s[0:3], 0 offen offset:4
	buffer_load_dword v3, v4, s[0:3], 0 offen offset:8
	;; [unrolled: 1-line block ×3, first 2 shown]
	s_waitcnt vmcnt(0)
	ds_write_b128 v42, v[1:4]
	s_waitcnt lgkmcnt(0)
	s_waitcnt_vscnt null, 0x0
	s_barrier
	buffer_gl0_inv
                                        ; implicit-def: $vgpr1_vgpr2
	v_cmpx_ne_u32_e32 17, v0
	s_cbranch_execz .LBB17_271
; %bb.264:
	ds_read_b128 v[1:4], v42
	v_cmp_ne_u32_e32 vcc_lo, 1, v43
	s_cbranch_vccnz .LBB17_266
; %bb.265:
	s_clause 0x3
	buffer_load_dword v42, v41, s[0:3], 0 offen offset:8
	buffer_load_dword v43, v41, s[0:3], 0 offen offset:12
	buffer_load_dword v44, v41, s[0:3], 0 offen
	buffer_load_dword v45, v41, s[0:3], 0 offen offset:4
	s_waitcnt vmcnt(2) lgkmcnt(0)
	v_mul_f64 v[48:49], v[3:4], v[42:43]
	v_mul_f64 v[41:42], v[1:2], v[42:43]
	s_waitcnt vmcnt(0)
	v_fma_f64 v[1:2], v[1:2], v[44:45], -v[48:49]
	v_fma_f64 v[3:4], v[3:4], v[44:45], v[41:42]
.LBB17_266:
	s_and_saveexec_b32 s8, s4
	s_cbranch_execz .LBB17_270
; %bb.267:
	v_add_nc_u32_e32 v41, 0x130, v47
	v_add3_u32 v42, 0, v47, 16
	s_mov_b32 s4, 0
	.p2align	6
.LBB17_268:                             ; =>This Inner Loop Header: Depth=1
	s_clause 0x3
	buffer_load_dword v47, v42, s[0:3], 0 offen offset:8
	buffer_load_dword v48, v42, s[0:3], 0 offen offset:12
	buffer_load_dword v49, v42, s[0:3], 0 offen
	buffer_load_dword v50, v42, s[0:3], 0 offen offset:4
	ds_read_b128 v[43:46], v41
	v_add_nc_u32_e32 v0, 1, v0
	v_add_nc_u32_e32 v41, 16, v41
	;; [unrolled: 1-line block ×3, first 2 shown]
	v_cmp_lt_u32_e32 vcc_lo, 15, v0
	s_or_b32 s4, vcc_lo, s4
	s_waitcnt vmcnt(2) lgkmcnt(0)
	v_mul_f64 v[51:52], v[45:46], v[47:48]
	v_mul_f64 v[47:48], v[43:44], v[47:48]
	s_waitcnt vmcnt(0)
	v_fma_f64 v[43:44], v[43:44], v[49:50], -v[51:52]
	v_fma_f64 v[45:46], v[45:46], v[49:50], v[47:48]
	v_add_f64 v[1:2], v[1:2], v[43:44]
	v_add_f64 v[3:4], v[3:4], v[45:46]
	s_andn2_b32 exec_lo, exec_lo, s4
	s_cbranch_execnz .LBB17_268
; %bb.269:
	s_or_b32 exec_lo, exec_lo, s4
.LBB17_270:
	s_or_b32 exec_lo, exec_lo, s8
	v_mov_b32_e32 v0, 0
	s_movk_i32 s26, 0x118
	s_or_b32 s5, s5, exec_lo
	ds_read_b128 v[41:44], v0 offset:272
	s_waitcnt lgkmcnt(0)
	v_mul_f64 v[45:46], v[3:4], v[43:44]
	v_mul_f64 v[43:44], v[1:2], v[43:44]
	v_fma_f64 v[45:46], v[1:2], v[41:42], -v[45:46]
	v_fma_f64 v[1:2], v[3:4], v[41:42], v[43:44]
	buffer_store_dword v46, off, s[0:3], 0 offset:276
	buffer_store_dword v45, off, s[0:3], 0 offset:272
.LBB17_271:
	s_or_b32 exec_lo, exec_lo, s6
.LBB17_272:
	s_and_saveexec_b32 s4, s5
	s_cbranch_execz .LBB17_274
; %bb.273:
	v_mov_b32_e32 v0, s26
	buffer_store_dword v2, v0, s[0:3], 0 offen offset:4
	buffer_store_dword v1, v0, s[0:3], 0 offen
.LBB17_274:
	s_or_b32 exec_lo, exec_lo, s4
	v_mov_b32_e32 v3, s24
	v_mov_b32_e32 v48, s21
	;; [unrolled: 1-line block ×5, first 2 shown]
	s_clause 0x17
	buffer_load_dword v0, v3, s[0:3], 0 offen
	buffer_load_dword v1, v3, s[0:3], 0 offen offset:4
	buffer_load_dword v2, v3, s[0:3], 0 offen offset:8
	buffer_load_dword v3, v3, s[0:3], 0 offen offset:12
	buffer_load_dword v41, v44, s[0:3], 0 offen
	buffer_load_dword v42, v44, s[0:3], 0 offen offset:4
	buffer_load_dword v43, v44, s[0:3], 0 offen offset:8
	buffer_load_dword v44, v44, s[0:3], 0 offen offset:12
	;; [unrolled: 4-line block ×5, first 2 shown]
	buffer_load_dword v57, off, s[0:3], 0
	buffer_load_dword v58, off, s[0:3], 0 offset:4
	buffer_load_dword v59, off, s[0:3], 0 offset:8
	;; [unrolled: 1-line block ×3, first 2 shown]
	v_mov_b32_e32 v4, s19
	v_mov_b32_e32 v61, s11
	;; [unrolled: 1-line block ×4, first 2 shown]
	s_waitcnt vmcnt(0)
	global_store_dwordx4 v[33:34], v[57:60], off
	s_clause 0x3
	buffer_load_dword v57, v4, s[0:3], 0 offen
	buffer_load_dword v58, v4, s[0:3], 0 offen offset:4
	buffer_load_dword v59, v4, s[0:3], 0 offen offset:8
	buffer_load_dword v60, v4, s[0:3], 0 offen offset:12
	v_mov_b32_e32 v4, s18
	global_store_dwordx4 v[35:36], v[53:56], off
	v_mov_b32_e32 v54, s15
	s_clause 0x3
	buffer_load_dword v33, v4, s[0:3], 0 offen
	buffer_load_dword v34, v4, s[0:3], 0 offen offset:4
	buffer_load_dword v35, v4, s[0:3], 0 offen offset:8
	;; [unrolled: 1-line block ×3, first 2 shown]
	v_mov_b32_e32 v4, s17
	global_store_dwordx4 v[31:32], v[0:3], off
	v_mov_b32_e32 v31, s13
	v_mov_b32_e32 v53, s16
	global_store_dwordx4 v[11:12], v[41:44], off
	v_mov_b32_e32 v55, s14
	s_clause 0x7
	buffer_load_dword v0, v4, s[0:3], 0 offen
	buffer_load_dword v1, v4, s[0:3], 0 offen offset:4
	buffer_load_dword v2, v4, s[0:3], 0 offen offset:8
	;; [unrolled: 1-line block ×3, first 2 shown]
	buffer_load_dword v41, v53, s[0:3], 0 offen
	buffer_load_dword v42, v53, s[0:3], 0 offen offset:4
	buffer_load_dword v43, v53, s[0:3], 0 offen offset:8
	;; [unrolled: 1-line block ×3, first 2 shown]
	global_store_dwordx4 v[13:14], v[45:48], off
	v_mov_b32_e32 v32, s12
	s_clause 0x7
	buffer_load_dword v11, v54, s[0:3], 0 offen
	buffer_load_dword v12, v54, s[0:3], 0 offen offset:4
	buffer_load_dword v13, v54, s[0:3], 0 offen offset:8
	;; [unrolled: 1-line block ×3, first 2 shown]
	buffer_load_dword v45, v55, s[0:3], 0 offen
	buffer_load_dword v46, v55, s[0:3], 0 offen offset:4
	buffer_load_dword v47, v55, s[0:3], 0 offen offset:8
	;; [unrolled: 1-line block ×3, first 2 shown]
	global_store_dwordx4 v[17:18], v[49:52], off
	s_clause 0x7
	buffer_load_dword v49, v31, s[0:3], 0 offen
	buffer_load_dword v50, v31, s[0:3], 0 offen offset:4
	buffer_load_dword v51, v31, s[0:3], 0 offen offset:8
	buffer_load_dword v52, v31, s[0:3], 0 offen offset:12
	buffer_load_dword v53, v32, s[0:3], 0 offen
	buffer_load_dword v54, v32, s[0:3], 0 offen offset:4
	buffer_load_dword v55, v32, s[0:3], 0 offen offset:8
	;; [unrolled: 1-line block ×3, first 2 shown]
	v_mov_b32_e32 v4, s7
	s_waitcnt vmcnt(28)
	global_store_dwordx4 v[19:20], v[57:60], off
	s_clause 0x7
	buffer_load_dword v17, v61, s[0:3], 0 offen
	buffer_load_dword v18, v61, s[0:3], 0 offen offset:4
	buffer_load_dword v19, v61, s[0:3], 0 offen offset:8
	;; [unrolled: 1-line block ×3, first 2 shown]
	buffer_load_dword v57, v62, s[0:3], 0 offen
	buffer_load_dword v58, v62, s[0:3], 0 offen offset:4
	buffer_load_dword v59, v62, s[0:3], 0 offen offset:8
	;; [unrolled: 1-line block ×3, first 2 shown]
	s_waitcnt vmcnt(32)
	global_store_dwordx4 v[9:10], v[33:36], off
	s_clause 0x7
	buffer_load_dword v31, v63, s[0:3], 0 offen
	buffer_load_dword v32, v63, s[0:3], 0 offen offset:4
	buffer_load_dword v33, v63, s[0:3], 0 offen offset:8
	;; [unrolled: 1-line block ×3, first 2 shown]
	buffer_load_dword v61, v4, s[0:3], 0 offen
	buffer_load_dword v62, v4, s[0:3], 0 offen offset:4
	buffer_load_dword v63, v4, s[0:3], 0 offen offset:8
	buffer_load_dword v64, v4, s[0:3], 0 offen offset:12
	s_waitcnt vmcnt(36)
	global_store_dwordx4 v[7:8], v[0:3], off
	s_waitcnt vmcnt(32)
	global_store_dwordx4 v[15:16], v[41:44], off
	;; [unrolled: 2-line block ×10, first 2 shown]
.LBB17_275:
	s_endpgm
	.section	.rodata,"a",@progbits
	.p2align	6, 0x0
	.amdhsa_kernel _ZN9rocsolver6v33100L18trti2_kernel_smallILi18E19rocblas_complex_numIdEPS3_EEv13rocblas_fill_17rocblas_diagonal_T1_iil
		.amdhsa_group_segment_fixed_size 576
		.amdhsa_private_segment_fixed_size 304
		.amdhsa_kernarg_size 32
		.amdhsa_user_sgpr_count 6
		.amdhsa_user_sgpr_private_segment_buffer 1
		.amdhsa_user_sgpr_dispatch_ptr 0
		.amdhsa_user_sgpr_queue_ptr 0
		.amdhsa_user_sgpr_kernarg_segment_ptr 1
		.amdhsa_user_sgpr_dispatch_id 0
		.amdhsa_user_sgpr_flat_scratch_init 0
		.amdhsa_user_sgpr_private_segment_size 0
		.amdhsa_wavefront_size32 1
		.amdhsa_uses_dynamic_stack 0
		.amdhsa_system_sgpr_private_segment_wavefront_offset 1
		.amdhsa_system_sgpr_workgroup_id_x 1
		.amdhsa_system_sgpr_workgroup_id_y 0
		.amdhsa_system_sgpr_workgroup_id_z 0
		.amdhsa_system_sgpr_workgroup_info 0
		.amdhsa_system_vgpr_workitem_id 0
		.amdhsa_next_free_vgpr 66
		.amdhsa_next_free_sgpr 31
		.amdhsa_reserve_vcc 1
		.amdhsa_reserve_flat_scratch 0
		.amdhsa_float_round_mode_32 0
		.amdhsa_float_round_mode_16_64 0
		.amdhsa_float_denorm_mode_32 3
		.amdhsa_float_denorm_mode_16_64 3
		.amdhsa_dx10_clamp 1
		.amdhsa_ieee_mode 1
		.amdhsa_fp16_overflow 0
		.amdhsa_workgroup_processor_mode 1
		.amdhsa_memory_ordered 1
		.amdhsa_forward_progress 1
		.amdhsa_shared_vgpr_count 0
		.amdhsa_exception_fp_ieee_invalid_op 0
		.amdhsa_exception_fp_denorm_src 0
		.amdhsa_exception_fp_ieee_div_zero 0
		.amdhsa_exception_fp_ieee_overflow 0
		.amdhsa_exception_fp_ieee_underflow 0
		.amdhsa_exception_fp_ieee_inexact 0
		.amdhsa_exception_int_div_zero 0
	.end_amdhsa_kernel
	.section	.text._ZN9rocsolver6v33100L18trti2_kernel_smallILi18E19rocblas_complex_numIdEPS3_EEv13rocblas_fill_17rocblas_diagonal_T1_iil,"axG",@progbits,_ZN9rocsolver6v33100L18trti2_kernel_smallILi18E19rocblas_complex_numIdEPS3_EEv13rocblas_fill_17rocblas_diagonal_T1_iil,comdat
.Lfunc_end17:
	.size	_ZN9rocsolver6v33100L18trti2_kernel_smallILi18E19rocblas_complex_numIdEPS3_EEv13rocblas_fill_17rocblas_diagonal_T1_iil, .Lfunc_end17-_ZN9rocsolver6v33100L18trti2_kernel_smallILi18E19rocblas_complex_numIdEPS3_EEv13rocblas_fill_17rocblas_diagonal_T1_iil
                                        ; -- End function
	.set _ZN9rocsolver6v33100L18trti2_kernel_smallILi18E19rocblas_complex_numIdEPS3_EEv13rocblas_fill_17rocblas_diagonal_T1_iil.num_vgpr, 66
	.set _ZN9rocsolver6v33100L18trti2_kernel_smallILi18E19rocblas_complex_numIdEPS3_EEv13rocblas_fill_17rocblas_diagonal_T1_iil.num_agpr, 0
	.set _ZN9rocsolver6v33100L18trti2_kernel_smallILi18E19rocblas_complex_numIdEPS3_EEv13rocblas_fill_17rocblas_diagonal_T1_iil.numbered_sgpr, 31
	.set _ZN9rocsolver6v33100L18trti2_kernel_smallILi18E19rocblas_complex_numIdEPS3_EEv13rocblas_fill_17rocblas_diagonal_T1_iil.num_named_barrier, 0
	.set _ZN9rocsolver6v33100L18trti2_kernel_smallILi18E19rocblas_complex_numIdEPS3_EEv13rocblas_fill_17rocblas_diagonal_T1_iil.private_seg_size, 304
	.set _ZN9rocsolver6v33100L18trti2_kernel_smallILi18E19rocblas_complex_numIdEPS3_EEv13rocblas_fill_17rocblas_diagonal_T1_iil.uses_vcc, 1
	.set _ZN9rocsolver6v33100L18trti2_kernel_smallILi18E19rocblas_complex_numIdEPS3_EEv13rocblas_fill_17rocblas_diagonal_T1_iil.uses_flat_scratch, 0
	.set _ZN9rocsolver6v33100L18trti2_kernel_smallILi18E19rocblas_complex_numIdEPS3_EEv13rocblas_fill_17rocblas_diagonal_T1_iil.has_dyn_sized_stack, 0
	.set _ZN9rocsolver6v33100L18trti2_kernel_smallILi18E19rocblas_complex_numIdEPS3_EEv13rocblas_fill_17rocblas_diagonal_T1_iil.has_recursion, 0
	.set _ZN9rocsolver6v33100L18trti2_kernel_smallILi18E19rocblas_complex_numIdEPS3_EEv13rocblas_fill_17rocblas_diagonal_T1_iil.has_indirect_call, 0
	.section	.AMDGPU.csdata,"",@progbits
; Kernel info:
; codeLenInByte = 17824
; TotalNumSgprs: 33
; NumVgprs: 66
; ScratchSize: 304
; MemoryBound: 0
; FloatMode: 240
; IeeeMode: 1
; LDSByteSize: 576 bytes/workgroup (compile time only)
; SGPRBlocks: 0
; VGPRBlocks: 8
; NumSGPRsForWavesPerEU: 33
; NumVGPRsForWavesPerEU: 66
; Occupancy: 12
; WaveLimiterHint : 0
; COMPUTE_PGM_RSRC2:SCRATCH_EN: 1
; COMPUTE_PGM_RSRC2:USER_SGPR: 6
; COMPUTE_PGM_RSRC2:TRAP_HANDLER: 0
; COMPUTE_PGM_RSRC2:TGID_X_EN: 1
; COMPUTE_PGM_RSRC2:TGID_Y_EN: 0
; COMPUTE_PGM_RSRC2:TGID_Z_EN: 0
; COMPUTE_PGM_RSRC2:TIDIG_COMP_CNT: 0
	.section	.text._ZN9rocsolver6v33100L18trti2_kernel_smallILi19E19rocblas_complex_numIdEPS3_EEv13rocblas_fill_17rocblas_diagonal_T1_iil,"axG",@progbits,_ZN9rocsolver6v33100L18trti2_kernel_smallILi19E19rocblas_complex_numIdEPS3_EEv13rocblas_fill_17rocblas_diagonal_T1_iil,comdat
	.globl	_ZN9rocsolver6v33100L18trti2_kernel_smallILi19E19rocblas_complex_numIdEPS3_EEv13rocblas_fill_17rocblas_diagonal_T1_iil ; -- Begin function _ZN9rocsolver6v33100L18trti2_kernel_smallILi19E19rocblas_complex_numIdEPS3_EEv13rocblas_fill_17rocblas_diagonal_T1_iil
	.p2align	8
	.type	_ZN9rocsolver6v33100L18trti2_kernel_smallILi19E19rocblas_complex_numIdEPS3_EEv13rocblas_fill_17rocblas_diagonal_T1_iil,@function
_ZN9rocsolver6v33100L18trti2_kernel_smallILi19E19rocblas_complex_numIdEPS3_EEv13rocblas_fill_17rocblas_diagonal_T1_iil: ; @_ZN9rocsolver6v33100L18trti2_kernel_smallILi19E19rocblas_complex_numIdEPS3_EEv13rocblas_fill_17rocblas_diagonal_T1_iil
; %bb.0:
	s_add_u32 s0, s0, s7
	s_addc_u32 s1, s1, 0
	s_mov_b32 s7, exec_lo
	v_cmpx_gt_u32_e32 19, v0
	s_cbranch_execz .LBB18_291
; %bb.1:
	s_load_dwordx8 s[8:15], s[4:5], 0x0
	s_ashr_i32 s7, s6, 31
	v_lshlrev_b32_e32 v49, 4, v0
	s_movk_i32 s26, 0xd0
	s_movk_i32 s27, 0xe0
	;; [unrolled: 1-line block ×6, first 2 shown]
	s_waitcnt lgkmcnt(0)
	s_ashr_i32 s5, s12, 31
	s_mov_b32 s4, s12
	s_mul_hi_u32 s12, s14, s6
	s_mul_i32 s7, s14, s7
	s_mul_i32 s15, s15, s6
	s_add_i32 s7, s12, s7
	v_add3_u32 v1, s13, s13, v0
	s_mul_i32 s6, s14, s6
	s_add_i32 s7, s7, s15
	s_mov_b32 s14, s13
	s_lshl_b64 s[6:7], s[6:7], 4
	v_add_nc_u32_e32 v5, s13, v1
	s_add_u32 s6, s10, s6
	s_addc_u32 s7, s11, s7
	s_lshl_b64 s[4:5], s[4:5], 4
	v_ashrrev_i32_e32 v2, 31, v1
	s_add_u32 s4, s6, s4
	v_ashrrev_i32_e32 v6, 31, v5
	s_addc_u32 s5, s7, s5
	v_add_co_u32 v23, s6, s4, v49
	s_ashr_i32 s15, s13, 31
	v_add_co_ci_u32_e64 v24, null, s5, 0, s6
	v_lshlrev_b64 v[7:8], 4, v[1:2]
	s_lshl_b64 s[6:7], s[14:15], 4
	v_lshlrev_b64 v[9:10], 4, v[5:6]
	v_add_co_u32 v21, vcc_lo, v23, s6
	v_add_co_ci_u32_e64 v22, null, s7, v24, vcc_lo
	global_load_dwordx4 v[1:4], v49, s[4:5]
	v_add_co_u32 v17, vcc_lo, s4, v7
	v_add_co_ci_u32_e64 v18, null, s5, v8, vcc_lo
	v_add_co_u32 v7, vcc_lo, s4, v9
	global_load_dwordx4 v[43:46], v[21:22], off
	v_add_co_ci_u32_e64 v8, null, s5, v10, vcc_lo
	s_clause 0x1
	global_load_dwordx4 v[50:53], v[17:18], off
	global_load_dwordx4 v[54:57], v[7:8], off
	v_add_nc_u32_e32 v5, s13, v5
	s_cmpk_lg_i32 s9, 0x84
	s_movk_i32 s6, 0x70
	s_movk_i32 s7, 0x80
	;; [unrolled: 1-line block ×3, first 2 shown]
	v_add_nc_u32_e32 v9, s13, v5
	v_ashrrev_i32_e32 v6, 31, v5
	s_movk_i32 s11, 0xa0
	s_movk_i32 s12, 0xb0
	s_cselect_b32 s25, -1, 0
	v_add_nc_u32_e32 v11, s13, v9
	v_ashrrev_i32_e32 v10, 31, v9
	v_lshlrev_b64 v[5:6], 4, v[5:6]
	s_cmpk_eq_i32 s9, 0x84
	v_add_nc_u32_e32 v13, s13, v11
	v_ashrrev_i32_e32 v12, 31, v11
	v_lshlrev_b64 v[9:10], 4, v[9:10]
	v_add_co_u32 v5, vcc_lo, s4, v5
	v_add_nc_u32_e32 v15, s13, v13
	v_ashrrev_i32_e32 v14, 31, v13
	v_add_co_ci_u32_e64 v6, null, s5, v6, vcc_lo
	v_lshlrev_b64 v[11:12], 4, v[11:12]
	v_add_co_u32 v9, vcc_lo, s4, v9
	v_ashrrev_i32_e32 v16, 31, v15
	v_add_co_ci_u32_e64 v10, null, s5, v10, vcc_lo
	v_lshlrev_b64 v[13:14], 4, v[13:14]
	global_load_dwordx4 v[58:61], v[5:6], off
	v_add_co_u32 v11, vcc_lo, s4, v11
	v_add_nc_u32_e32 v19, s13, v15
	v_add_co_ci_u32_e64 v12, null, s5, v12, vcc_lo
	v_lshlrev_b64 v[15:16], 4, v[15:16]
	v_add_co_u32 v13, vcc_lo, s4, v13
	v_add_co_ci_u32_e64 v14, null, s5, v14, vcc_lo
	v_add_nc_u32_e32 v25, s13, v19
	v_add_co_u32 v15, vcc_lo, s4, v15
	v_add_co_ci_u32_e64 v16, null, s5, v16, vcc_lo
	v_ashrrev_i32_e32 v20, 31, v19
	v_add_nc_u32_e32 v27, s13, v25
	v_ashrrev_i32_e32 v26, 31, v25
	s_waitcnt vmcnt(4)
	buffer_store_dword v4, off, s[0:3], 0 offset:12
	buffer_store_dword v3, off, s[0:3], 0 offset:8
	;; [unrolled: 1-line block ×3, first 2 shown]
	buffer_store_dword v1, off, s[0:3], 0
	global_load_dwordx4 v[1:4], v[9:10], off
	s_waitcnt vmcnt(4)
	buffer_store_dword v46, off, s[0:3], 0 offset:28
	buffer_store_dword v45, off, s[0:3], 0 offset:24
	buffer_store_dword v44, off, s[0:3], 0 offset:20
	buffer_store_dword v43, off, s[0:3], 0 offset:16
	global_load_dwordx4 v[43:46], v[11:12], off
	s_waitcnt vmcnt(4)
	buffer_store_dword v53, off, s[0:3], 0 offset:44
	buffer_store_dword v52, off, s[0:3], 0 offset:40
	buffer_store_dword v51, off, s[0:3], 0 offset:36
	buffer_store_dword v50, off, s[0:3], 0 offset:32
	;; [unrolled: 6-line block ×3, first 2 shown]
	global_load_dwordx4 v[54:57], v[15:16], off
	v_lshlrev_b64 v[19:20], 4, v[19:20]
	v_add_nc_u32_e32 v29, s13, v27
	v_ashrrev_i32_e32 v28, 31, v27
	v_lshlrev_b64 v[25:26], 4, v[25:26]
	s_waitcnt vmcnt(4)
	buffer_store_dword v61, off, s[0:3], 0 offset:76
	buffer_store_dword v60, off, s[0:3], 0 offset:72
	;; [unrolled: 1-line block ×4, first 2 shown]
	v_add_co_u32 v19, vcc_lo, s4, v19
	v_add_nc_u32_e32 v31, s13, v29
	v_ashrrev_i32_e32 v30, 31, v29
	v_add_co_ci_u32_e64 v20, null, s5, v20, vcc_lo
	v_lshlrev_b64 v[27:28], 4, v[27:28]
	v_add_co_u32 v25, vcc_lo, s4, v25
	v_ashrrev_i32_e32 v32, 31, v31
	v_add_co_ci_u32_e64 v26, null, s5, v26, vcc_lo
	v_lshlrev_b64 v[29:30], 4, v[29:30]
	global_load_dwordx4 v[58:61], v[19:20], off
	v_add_co_u32 v27, vcc_lo, s4, v27
	v_add_nc_u32_e32 v33, s13, v31
	v_add_co_ci_u32_e64 v28, null, s5, v28, vcc_lo
	v_lshlrev_b64 v[31:32], 4, v[31:32]
	v_add_co_u32 v29, vcc_lo, s4, v29
	v_add_co_ci_u32_e64 v30, null, s5, v30, vcc_lo
	v_add_nc_u32_e32 v35, s13, v33
	v_add_co_u32 v31, vcc_lo, s4, v31
	v_add_co_ci_u32_e64 v32, null, s5, v32, vcc_lo
	v_ashrrev_i32_e32 v34, 31, v33
	v_add_nc_u32_e32 v37, s13, v35
	v_ashrrev_i32_e32 v36, 31, v35
	s_waitcnt vmcnt(4)
	buffer_store_dword v4, off, s[0:3], 0 offset:92
	buffer_store_dword v3, off, s[0:3], 0 offset:88
	buffer_store_dword v2, off, s[0:3], 0 offset:84
	buffer_store_dword v1, off, s[0:3], 0 offset:80
	global_load_dwordx4 v[1:4], v[25:26], off
	s_waitcnt vmcnt(4)
	buffer_store_dword v46, off, s[0:3], 0 offset:108
	buffer_store_dword v45, off, s[0:3], 0 offset:104
	buffer_store_dword v44, off, s[0:3], 0 offset:100
	buffer_store_dword v43, off, s[0:3], 0 offset:96
	global_load_dwordx4 v[43:46], v[27:28], off
	;; [unrolled: 6-line block ×4, first 2 shown]
	v_lshlrev_b64 v[33:34], 4, v[33:34]
	v_add_nc_u32_e32 v39, s13, v37
	v_ashrrev_i32_e32 v38, 31, v37
	v_lshlrev_b64 v[35:36], 4, v[35:36]
	s_waitcnt vmcnt(4)
	buffer_store_dword v58, off, s[0:3], 0 offset:144
	buffer_store_dword v59, off, s[0:3], 0 offset:148
	;; [unrolled: 1-line block ×4, first 2 shown]
	v_add_co_u32 v33, vcc_lo, s4, v33
	v_add_nc_u32_e32 v41, s13, v39
	v_ashrrev_i32_e32 v40, 31, v39
	v_add_co_ci_u32_e64 v34, null, s5, v34, vcc_lo
	v_lshlrev_b64 v[37:38], 4, v[37:38]
	v_add_co_u32 v35, vcc_lo, s4, v35
	v_ashrrev_i32_e32 v42, 31, v41
	v_add_co_ci_u32_e64 v36, null, s5, v36, vcc_lo
	v_lshlrev_b64 v[39:40], 4, v[39:40]
	global_load_dwordx4 v[58:61], v[33:34], off
	v_add_co_u32 v37, vcc_lo, s4, v37
	v_add_co_ci_u32_e64 v38, null, s5, v38, vcc_lo
	v_lshlrev_b64 v[47:48], 4, v[41:42]
	v_add_co_u32 v41, vcc_lo, s4, v39
	v_add_co_ci_u32_e64 v42, null, s5, v40, vcc_lo
	s_movk_i32 s13, 0xc0
	v_add_co_u32 v39, vcc_lo, s4, v47
	v_add_co_ci_u32_e64 v40, null, s5, v48, vcc_lo
	s_movk_i32 s4, 0x50
	s_movk_i32 s5, 0x60
	s_waitcnt vmcnt(4)
	buffer_store_dword v1, off, s[0:3], 0 offset:160
	buffer_store_dword v2, off, s[0:3], 0 offset:164
	buffer_store_dword v3, off, s[0:3], 0 offset:168
	buffer_store_dword v4, off, s[0:3], 0 offset:172
	global_load_dwordx4 v[1:4], v[35:36], off
	s_waitcnt vmcnt(4)
	buffer_store_dword v43, off, s[0:3], 0 offset:176
	buffer_store_dword v44, off, s[0:3], 0 offset:180
	buffer_store_dword v45, off, s[0:3], 0 offset:184
	buffer_store_dword v46, off, s[0:3], 0 offset:188
	global_load_dwordx4 v[43:46], v[37:38], off
	;; [unrolled: 6-line block ×4, first 2 shown]
	s_waitcnt vmcnt(4)
	buffer_store_dword v61, off, s[0:3], 0 offset:236
	buffer_store_dword v60, off, s[0:3], 0 offset:232
	buffer_store_dword v59, off, s[0:3], 0 offset:228
	buffer_store_dword v58, off, s[0:3], 0 offset:224
	s_waitcnt vmcnt(3)
	buffer_store_dword v4, off, s[0:3], 0 offset:252
	buffer_store_dword v3, off, s[0:3], 0 offset:248
	buffer_store_dword v2, off, s[0:3], 0 offset:244
	buffer_store_dword v1, off, s[0:3], 0 offset:240
	;; [unrolled: 5-line block ×5, first 2 shown]
	s_cbranch_scc1 .LBB18_7
; %bb.2:
	v_lshl_add_u32 v50, v0, 4, 0
                                        ; implicit-def: $vgpr45_vgpr46
                                        ; implicit-def: $vgpr3_vgpr4
	s_clause 0x3
	buffer_load_dword v43, v50, s[0:3], 0 offen
	buffer_load_dword v44, v50, s[0:3], 0 offen offset:4
	buffer_load_dword v47, v50, s[0:3], 0 offen offset:8
	;; [unrolled: 1-line block ×3, first 2 shown]
	s_waitcnt vmcnt(0)
	v_cmp_ngt_f64_e64 s9, |v[43:44]|, |v[47:48]|
	s_and_saveexec_b32 s14, s9
	s_xor_b32 s9, exec_lo, s14
	s_cbranch_execz .LBB18_4
; %bb.3:
	v_div_scale_f64 v[1:2], null, v[47:48], v[47:48], v[43:44]
	v_div_scale_f64 v[51:52], vcc_lo, v[43:44], v[47:48], v[43:44]
	v_rcp_f64_e32 v[3:4], v[1:2]
	v_fma_f64 v[45:46], -v[1:2], v[3:4], 1.0
	v_fma_f64 v[3:4], v[3:4], v[45:46], v[3:4]
	v_fma_f64 v[45:46], -v[1:2], v[3:4], 1.0
	v_fma_f64 v[3:4], v[3:4], v[45:46], v[3:4]
	v_mul_f64 v[45:46], v[51:52], v[3:4]
	v_fma_f64 v[1:2], -v[1:2], v[45:46], v[51:52]
	v_div_fmas_f64 v[1:2], v[1:2], v[3:4], v[45:46]
	v_div_fixup_f64 v[1:2], v[1:2], v[47:48], v[43:44]
	v_fma_f64 v[3:4], v[43:44], v[1:2], v[47:48]
	v_div_scale_f64 v[43:44], null, v[3:4], v[3:4], 1.0
	v_div_scale_f64 v[51:52], vcc_lo, 1.0, v[3:4], 1.0
	v_rcp_f64_e32 v[45:46], v[43:44]
	v_fma_f64 v[47:48], -v[43:44], v[45:46], 1.0
	v_fma_f64 v[45:46], v[45:46], v[47:48], v[45:46]
	v_fma_f64 v[47:48], -v[43:44], v[45:46], 1.0
	v_fma_f64 v[45:46], v[45:46], v[47:48], v[45:46]
	v_mul_f64 v[47:48], v[51:52], v[45:46]
	v_fma_f64 v[43:44], -v[43:44], v[47:48], v[51:52]
	v_div_fmas_f64 v[43:44], v[43:44], v[45:46], v[47:48]
                                        ; implicit-def: $vgpr47_vgpr48
	v_div_fixup_f64 v[3:4], v[43:44], v[3:4], 1.0
                                        ; implicit-def: $vgpr43_vgpr44
	v_mul_f64 v[45:46], v[1:2], v[3:4]
	v_xor_b32_e32 v4, 0x80000000, v4
	v_xor_b32_e32 v2, 0x80000000, v46
	v_mov_b32_e32 v1, v45
.LBB18_4:
	s_andn2_saveexec_b32 s9, s9
	s_cbranch_execz .LBB18_6
; %bb.5:
	v_div_scale_f64 v[1:2], null, v[43:44], v[43:44], v[47:48]
	v_div_scale_f64 v[51:52], vcc_lo, v[47:48], v[43:44], v[47:48]
	v_rcp_f64_e32 v[3:4], v[1:2]
	v_fma_f64 v[45:46], -v[1:2], v[3:4], 1.0
	v_fma_f64 v[3:4], v[3:4], v[45:46], v[3:4]
	v_fma_f64 v[45:46], -v[1:2], v[3:4], 1.0
	v_fma_f64 v[3:4], v[3:4], v[45:46], v[3:4]
	v_mul_f64 v[45:46], v[51:52], v[3:4]
	v_fma_f64 v[1:2], -v[1:2], v[45:46], v[51:52]
	v_div_fmas_f64 v[1:2], v[1:2], v[3:4], v[45:46]
	v_div_fixup_f64 v[1:2], v[1:2], v[43:44], v[47:48]
	v_fma_f64 v[3:4], v[47:48], v[1:2], v[43:44]
	v_div_scale_f64 v[43:44], null, v[3:4], v[3:4], 1.0
	v_rcp_f64_e32 v[45:46], v[43:44]
	v_fma_f64 v[47:48], -v[43:44], v[45:46], 1.0
	v_fma_f64 v[45:46], v[45:46], v[47:48], v[45:46]
	v_fma_f64 v[47:48], -v[43:44], v[45:46], 1.0
	v_fma_f64 v[45:46], v[45:46], v[47:48], v[45:46]
	v_div_scale_f64 v[47:48], vcc_lo, 1.0, v[3:4], 1.0
	v_mul_f64 v[51:52], v[47:48], v[45:46]
	v_fma_f64 v[43:44], -v[43:44], v[51:52], v[47:48]
	v_div_fmas_f64 v[43:44], v[43:44], v[45:46], v[51:52]
	v_div_fixup_f64 v[45:46], v[43:44], v[3:4], 1.0
	v_mul_f64 v[3:4], v[1:2], -v[45:46]
	v_xor_b32_e32 v2, 0x80000000, v46
	v_mov_b32_e32 v1, v45
.LBB18_6:
	s_or_b32 exec_lo, exec_lo, s9
	buffer_store_dword v4, v50, s[0:3], 0 offen offset:12
	v_xor_b32_e32 v4, 0x80000000, v4
	buffer_store_dword v46, v50, s[0:3], 0 offen offset:4
	buffer_store_dword v45, v50, s[0:3], 0 offen
	buffer_store_dword v3, v50, s[0:3], 0 offen offset:8
	s_branch .LBB18_8
.LBB18_7:
	v_mov_b32_e32 v1, 0
	v_mov_b32_e32 v3, 0
	;; [unrolled: 1-line block ×4, first 2 shown]
.LBB18_8:
	v_add_nc_u32_e32 v44, 0x130, v49
	v_mov_b32_e32 v43, v49
	s_mov_b32 s24, 16
	s_mov_b32 s23, 32
	;; [unrolled: 1-line block ×17, first 2 shown]
	s_cmpk_eq_i32 s8, 0x79
	ds_write_b128 v49, v[1:4]
	s_cbranch_scc1 .LBB18_148
; %bb.9:
	v_mov_b32_e32 v4, s7
	v_cmp_eq_u32_e64 s4, 18, v0
	s_clause 0x3
	buffer_load_dword v1, v4, s[0:3], 0 offen
	buffer_load_dword v2, v4, s[0:3], 0 offen offset:4
	buffer_load_dword v3, v4, s[0:3], 0 offen offset:8
	;; [unrolled: 1-line block ×3, first 2 shown]
	s_waitcnt vmcnt(0)
	ds_write_b128 v44, v[1:4]
	s_waitcnt lgkmcnt(0)
	s_waitcnt_vscnt null, 0x0
	s_barrier
	buffer_gl0_inv
	s_and_saveexec_b32 s5, s4
	s_cbranch_execz .LBB18_13
; %bb.10:
	ds_read_b128 v[1:4], v44
	s_andn2_b32 vcc_lo, exec_lo, s25
	s_cbranch_vccnz .LBB18_12
; %bb.11:
	s_clause 0x3
	buffer_load_dword v45, v43, s[0:3], 0 offen offset:8
	buffer_load_dword v46, v43, s[0:3], 0 offen offset:12
	buffer_load_dword v47, v43, s[0:3], 0 offen
	buffer_load_dword v48, v43, s[0:3], 0 offen offset:4
	s_waitcnt vmcnt(2) lgkmcnt(0)
	v_mul_f64 v[50:51], v[3:4], v[45:46]
	v_mul_f64 v[45:46], v[1:2], v[45:46]
	s_waitcnt vmcnt(0)
	v_fma_f64 v[1:2], v[1:2], v[47:48], -v[50:51]
	v_fma_f64 v[3:4], v[3:4], v[47:48], v[45:46]
.LBB18_12:
	v_mov_b32_e32 v45, 0
	ds_read_b128 v[45:48], v45 offset:272
	s_waitcnt lgkmcnt(0)
	v_mul_f64 v[50:51], v[3:4], v[47:48]
	v_mul_f64 v[47:48], v[1:2], v[47:48]
	v_fma_f64 v[1:2], v[1:2], v[45:46], -v[50:51]
	v_fma_f64 v[3:4], v[3:4], v[45:46], v[47:48]
	buffer_store_dword v2, off, s[0:3], 0 offset:276
	buffer_store_dword v1, off, s[0:3], 0 offset:272
	;; [unrolled: 1-line block ×4, first 2 shown]
.LBB18_13:
	s_or_b32 exec_lo, exec_lo, s5
	v_mov_b32_e32 v4, s9
	v_cmp_lt_u32_e64 s5, 16, v0
	s_clause 0x3
	buffer_load_dword v1, v4, s[0:3], 0 offen
	buffer_load_dword v2, v4, s[0:3], 0 offen offset:4
	buffer_load_dword v3, v4, s[0:3], 0 offen offset:8
	;; [unrolled: 1-line block ×3, first 2 shown]
	s_waitcnt vmcnt(0)
	ds_write_b128 v44, v[1:4]
	s_waitcnt lgkmcnt(0)
	s_waitcnt_vscnt null, 0x0
	s_barrier
	buffer_gl0_inv
	s_and_saveexec_b32 s8, s5
	s_cbranch_execz .LBB18_19
; %bb.14:
	ds_read_b128 v[1:4], v44
	s_andn2_b32 vcc_lo, exec_lo, s25
	s_cbranch_vccnz .LBB18_16
; %bb.15:
	s_clause 0x3
	buffer_load_dword v45, v43, s[0:3], 0 offen offset:8
	buffer_load_dword v46, v43, s[0:3], 0 offen offset:12
	buffer_load_dword v47, v43, s[0:3], 0 offen
	buffer_load_dword v48, v43, s[0:3], 0 offen offset:4
	s_waitcnt vmcnt(2) lgkmcnt(0)
	v_mul_f64 v[50:51], v[3:4], v[45:46]
	v_mul_f64 v[45:46], v[1:2], v[45:46]
	s_waitcnt vmcnt(0)
	v_fma_f64 v[1:2], v[1:2], v[47:48], -v[50:51]
	v_fma_f64 v[3:4], v[3:4], v[47:48], v[45:46]
.LBB18_16:
	s_and_saveexec_b32 s26, s4
	s_cbranch_execz .LBB18_18
; %bb.17:
	s_clause 0x3
	buffer_load_dword v50, off, s[0:3], 0 offset:280
	buffer_load_dword v51, off, s[0:3], 0 offset:284
	buffer_load_dword v52, off, s[0:3], 0 offset:272
	buffer_load_dword v53, off, s[0:3], 0 offset:276
	v_mov_b32_e32 v45, 0
	ds_read_b128 v[45:48], v45 offset:576
	s_waitcnt vmcnt(2) lgkmcnt(0)
	v_mul_f64 v[54:55], v[45:46], v[50:51]
	v_mul_f64 v[50:51], v[47:48], v[50:51]
	s_waitcnt vmcnt(0)
	v_fma_f64 v[47:48], v[47:48], v[52:53], v[54:55]
	v_fma_f64 v[45:46], v[45:46], v[52:53], -v[50:51]
	v_add_f64 v[3:4], v[3:4], v[47:48]
	v_add_f64 v[1:2], v[1:2], v[45:46]
.LBB18_18:
	s_or_b32 exec_lo, exec_lo, s26
	v_mov_b32_e32 v45, 0
	ds_read_b128 v[45:48], v45 offset:256
	s_waitcnt lgkmcnt(0)
	v_mul_f64 v[50:51], v[3:4], v[47:48]
	v_mul_f64 v[47:48], v[1:2], v[47:48]
	v_fma_f64 v[1:2], v[1:2], v[45:46], -v[50:51]
	v_fma_f64 v[3:4], v[3:4], v[45:46], v[47:48]
	buffer_store_dword v2, off, s[0:3], 0 offset:260
	buffer_store_dword v1, off, s[0:3], 0 offset:256
	;; [unrolled: 1-line block ×4, first 2 shown]
.LBB18_19:
	s_or_b32 exec_lo, exec_lo, s8
	v_mov_b32_e32 v4, s10
	v_cmp_lt_u32_e64 s4, 15, v0
	s_clause 0x3
	buffer_load_dword v1, v4, s[0:3], 0 offen
	buffer_load_dword v2, v4, s[0:3], 0 offen offset:4
	buffer_load_dword v3, v4, s[0:3], 0 offen offset:8
	;; [unrolled: 1-line block ×3, first 2 shown]
	s_waitcnt vmcnt(0)
	ds_write_b128 v44, v[1:4]
	s_waitcnt lgkmcnt(0)
	s_waitcnt_vscnt null, 0x0
	s_barrier
	buffer_gl0_inv
	s_and_saveexec_b32 s8, s4
	s_cbranch_execz .LBB18_27
; %bb.20:
	ds_read_b128 v[1:4], v44
	s_andn2_b32 vcc_lo, exec_lo, s25
	s_cbranch_vccnz .LBB18_22
; %bb.21:
	s_clause 0x3
	buffer_load_dword v45, v43, s[0:3], 0 offen offset:8
	buffer_load_dword v46, v43, s[0:3], 0 offen offset:12
	buffer_load_dword v47, v43, s[0:3], 0 offen
	buffer_load_dword v48, v43, s[0:3], 0 offen offset:4
	s_waitcnt vmcnt(2) lgkmcnt(0)
	v_mul_f64 v[50:51], v[3:4], v[45:46]
	v_mul_f64 v[45:46], v[1:2], v[45:46]
	s_waitcnt vmcnt(0)
	v_fma_f64 v[1:2], v[1:2], v[47:48], -v[50:51]
	v_fma_f64 v[3:4], v[3:4], v[47:48], v[45:46]
.LBB18_22:
	s_and_saveexec_b32 s26, s5
	s_cbranch_execz .LBB18_26
; %bb.23:
	v_add_nc_u32_e32 v45, -16, v0
	s_movk_i32 s27, 0x230
	s_mov_b32 s5, 0
	s_mov_b32 s28, s9
	.p2align	6
.LBB18_24:                              ; =>This Inner Loop Header: Depth=1
	v_mov_b32_e32 v48, s28
	v_add_nc_u32_e32 v45, -1, v45
	s_add_i32 s28, s28, 16
	s_clause 0x3
	buffer_load_dword v46, v48, s[0:3], 0 offen offset:8
	buffer_load_dword v47, v48, s[0:3], 0 offen offset:12
	buffer_load_dword v54, v48, s[0:3], 0 offen
	buffer_load_dword v55, v48, s[0:3], 0 offen offset:4
	v_mov_b32_e32 v48, s27
	v_cmp_eq_u32_e32 vcc_lo, 0, v45
	s_add_i32 s27, s27, 16
	ds_read_b128 v[50:53], v48
	s_or_b32 s5, vcc_lo, s5
	s_waitcnt vmcnt(2) lgkmcnt(0)
	v_mul_f64 v[56:57], v[52:53], v[46:47]
	v_mul_f64 v[46:47], v[50:51], v[46:47]
	s_waitcnt vmcnt(0)
	v_fma_f64 v[50:51], v[50:51], v[54:55], -v[56:57]
	v_fma_f64 v[46:47], v[52:53], v[54:55], v[46:47]
	v_add_f64 v[1:2], v[1:2], v[50:51]
	v_add_f64 v[3:4], v[3:4], v[46:47]
	s_andn2_b32 exec_lo, exec_lo, s5
	s_cbranch_execnz .LBB18_24
; %bb.25:
	s_or_b32 exec_lo, exec_lo, s5
.LBB18_26:
	s_or_b32 exec_lo, exec_lo, s26
	v_mov_b32_e32 v45, 0
	ds_read_b128 v[45:48], v45 offset:240
	s_waitcnt lgkmcnt(0)
	v_mul_f64 v[50:51], v[3:4], v[47:48]
	v_mul_f64 v[47:48], v[1:2], v[47:48]
	v_fma_f64 v[1:2], v[1:2], v[45:46], -v[50:51]
	v_fma_f64 v[3:4], v[3:4], v[45:46], v[47:48]
	buffer_store_dword v2, off, s[0:3], 0 offset:244
	buffer_store_dword v1, off, s[0:3], 0 offset:240
	;; [unrolled: 1-line block ×4, first 2 shown]
.LBB18_27:
	s_or_b32 exec_lo, exec_lo, s8
	v_mov_b32_e32 v4, s11
	v_cmp_lt_u32_e64 s5, 14, v0
	s_clause 0x3
	buffer_load_dword v1, v4, s[0:3], 0 offen
	buffer_load_dword v2, v4, s[0:3], 0 offen offset:4
	buffer_load_dword v3, v4, s[0:3], 0 offen offset:8
	;; [unrolled: 1-line block ×3, first 2 shown]
	s_waitcnt vmcnt(0)
	ds_write_b128 v44, v[1:4]
	s_waitcnt lgkmcnt(0)
	s_waitcnt_vscnt null, 0x0
	s_barrier
	buffer_gl0_inv
	s_and_saveexec_b32 s8, s5
	s_cbranch_execz .LBB18_35
; %bb.28:
	ds_read_b128 v[1:4], v44
	s_andn2_b32 vcc_lo, exec_lo, s25
	s_cbranch_vccnz .LBB18_30
; %bb.29:
	s_clause 0x3
	buffer_load_dword v45, v43, s[0:3], 0 offen offset:8
	buffer_load_dword v46, v43, s[0:3], 0 offen offset:12
	buffer_load_dword v47, v43, s[0:3], 0 offen
	buffer_load_dword v48, v43, s[0:3], 0 offen offset:4
	s_waitcnt vmcnt(2) lgkmcnt(0)
	v_mul_f64 v[50:51], v[3:4], v[45:46]
	v_mul_f64 v[45:46], v[1:2], v[45:46]
	s_waitcnt vmcnt(0)
	v_fma_f64 v[1:2], v[1:2], v[47:48], -v[50:51]
	v_fma_f64 v[3:4], v[3:4], v[47:48], v[45:46]
.LBB18_30:
	s_and_saveexec_b32 s26, s4
	s_cbranch_execz .LBB18_34
; %bb.31:
	v_add_nc_u32_e32 v45, -15, v0
	s_movk_i32 s27, 0x220
	s_mov_b32 s4, 0
	s_mov_b32 s28, s10
	.p2align	6
.LBB18_32:                              ; =>This Inner Loop Header: Depth=1
	v_mov_b32_e32 v48, s28
	v_add_nc_u32_e32 v45, -1, v45
	s_add_i32 s28, s28, 16
	s_clause 0x3
	buffer_load_dword v46, v48, s[0:3], 0 offen offset:8
	buffer_load_dword v47, v48, s[0:3], 0 offen offset:12
	buffer_load_dword v54, v48, s[0:3], 0 offen
	buffer_load_dword v55, v48, s[0:3], 0 offen offset:4
	v_mov_b32_e32 v48, s27
	v_cmp_eq_u32_e32 vcc_lo, 0, v45
	s_add_i32 s27, s27, 16
	ds_read_b128 v[50:53], v48
	s_or_b32 s4, vcc_lo, s4
	s_waitcnt vmcnt(2) lgkmcnt(0)
	v_mul_f64 v[56:57], v[52:53], v[46:47]
	v_mul_f64 v[46:47], v[50:51], v[46:47]
	s_waitcnt vmcnt(0)
	v_fma_f64 v[50:51], v[50:51], v[54:55], -v[56:57]
	v_fma_f64 v[46:47], v[52:53], v[54:55], v[46:47]
	v_add_f64 v[1:2], v[1:2], v[50:51]
	v_add_f64 v[3:4], v[3:4], v[46:47]
	s_andn2_b32 exec_lo, exec_lo, s4
	s_cbranch_execnz .LBB18_32
; %bb.33:
	s_or_b32 exec_lo, exec_lo, s4
.LBB18_34:
	s_or_b32 exec_lo, exec_lo, s26
	v_mov_b32_e32 v45, 0
	ds_read_b128 v[45:48], v45 offset:224
	s_waitcnt lgkmcnt(0)
	v_mul_f64 v[50:51], v[3:4], v[47:48]
	v_mul_f64 v[47:48], v[1:2], v[47:48]
	v_fma_f64 v[1:2], v[1:2], v[45:46], -v[50:51]
	v_fma_f64 v[3:4], v[3:4], v[45:46], v[47:48]
	buffer_store_dword v2, off, s[0:3], 0 offset:228
	buffer_store_dword v1, off, s[0:3], 0 offset:224
	;; [unrolled: 1-line block ×4, first 2 shown]
.LBB18_35:
	s_or_b32 exec_lo, exec_lo, s8
	v_mov_b32_e32 v4, s12
	v_cmp_lt_u32_e64 s4, 13, v0
	s_clause 0x3
	buffer_load_dword v1, v4, s[0:3], 0 offen
	buffer_load_dword v2, v4, s[0:3], 0 offen offset:4
	buffer_load_dword v3, v4, s[0:3], 0 offen offset:8
	;; [unrolled: 1-line block ×3, first 2 shown]
	s_waitcnt vmcnt(0)
	ds_write_b128 v44, v[1:4]
	s_waitcnt lgkmcnt(0)
	s_waitcnt_vscnt null, 0x0
	s_barrier
	buffer_gl0_inv
	s_and_saveexec_b32 s8, s4
	s_cbranch_execz .LBB18_43
; %bb.36:
	ds_read_b128 v[1:4], v44
	s_andn2_b32 vcc_lo, exec_lo, s25
	s_cbranch_vccnz .LBB18_38
; %bb.37:
	s_clause 0x3
	buffer_load_dword v45, v43, s[0:3], 0 offen offset:8
	buffer_load_dword v46, v43, s[0:3], 0 offen offset:12
	buffer_load_dword v47, v43, s[0:3], 0 offen
	buffer_load_dword v48, v43, s[0:3], 0 offen offset:4
	s_waitcnt vmcnt(2) lgkmcnt(0)
	v_mul_f64 v[50:51], v[3:4], v[45:46]
	v_mul_f64 v[45:46], v[1:2], v[45:46]
	s_waitcnt vmcnt(0)
	v_fma_f64 v[1:2], v[1:2], v[47:48], -v[50:51]
	v_fma_f64 v[3:4], v[3:4], v[47:48], v[45:46]
.LBB18_38:
	s_and_saveexec_b32 s26, s5
	s_cbranch_execz .LBB18_42
; %bb.39:
	v_add_nc_u32_e32 v45, -14, v0
	s_movk_i32 s27, 0x210
	s_mov_b32 s5, 0
	s_mov_b32 s28, s11
	.p2align	6
.LBB18_40:                              ; =>This Inner Loop Header: Depth=1
	v_mov_b32_e32 v48, s28
	v_add_nc_u32_e32 v45, -1, v45
	s_add_i32 s28, s28, 16
	s_clause 0x3
	buffer_load_dword v46, v48, s[0:3], 0 offen offset:8
	buffer_load_dword v47, v48, s[0:3], 0 offen offset:12
	buffer_load_dword v54, v48, s[0:3], 0 offen
	buffer_load_dword v55, v48, s[0:3], 0 offen offset:4
	v_mov_b32_e32 v48, s27
	v_cmp_eq_u32_e32 vcc_lo, 0, v45
	s_add_i32 s27, s27, 16
	ds_read_b128 v[50:53], v48
	s_or_b32 s5, vcc_lo, s5
	s_waitcnt vmcnt(2) lgkmcnt(0)
	v_mul_f64 v[56:57], v[52:53], v[46:47]
	v_mul_f64 v[46:47], v[50:51], v[46:47]
	s_waitcnt vmcnt(0)
	v_fma_f64 v[50:51], v[50:51], v[54:55], -v[56:57]
	v_fma_f64 v[46:47], v[52:53], v[54:55], v[46:47]
	v_add_f64 v[1:2], v[1:2], v[50:51]
	v_add_f64 v[3:4], v[3:4], v[46:47]
	s_andn2_b32 exec_lo, exec_lo, s5
	s_cbranch_execnz .LBB18_40
; %bb.41:
	s_or_b32 exec_lo, exec_lo, s5
.LBB18_42:
	s_or_b32 exec_lo, exec_lo, s26
	v_mov_b32_e32 v45, 0
	ds_read_b128 v[45:48], v45 offset:208
	s_waitcnt lgkmcnt(0)
	v_mul_f64 v[50:51], v[3:4], v[47:48]
	v_mul_f64 v[47:48], v[1:2], v[47:48]
	v_fma_f64 v[1:2], v[1:2], v[45:46], -v[50:51]
	v_fma_f64 v[3:4], v[3:4], v[45:46], v[47:48]
	buffer_store_dword v2, off, s[0:3], 0 offset:212
	buffer_store_dword v1, off, s[0:3], 0 offset:208
	;; [unrolled: 1-line block ×4, first 2 shown]
.LBB18_43:
	s_or_b32 exec_lo, exec_lo, s8
	v_mov_b32_e32 v4, s13
	v_cmp_lt_u32_e64 s5, 12, v0
	s_clause 0x3
	buffer_load_dword v1, v4, s[0:3], 0 offen
	buffer_load_dword v2, v4, s[0:3], 0 offen offset:4
	buffer_load_dword v3, v4, s[0:3], 0 offen offset:8
	;; [unrolled: 1-line block ×3, first 2 shown]
	s_waitcnt vmcnt(0)
	ds_write_b128 v44, v[1:4]
	s_waitcnt lgkmcnt(0)
	s_waitcnt_vscnt null, 0x0
	s_barrier
	buffer_gl0_inv
	s_and_saveexec_b32 s8, s5
	s_cbranch_execz .LBB18_51
; %bb.44:
	ds_read_b128 v[1:4], v44
	s_andn2_b32 vcc_lo, exec_lo, s25
	s_cbranch_vccnz .LBB18_46
; %bb.45:
	s_clause 0x3
	buffer_load_dword v45, v43, s[0:3], 0 offen offset:8
	buffer_load_dword v46, v43, s[0:3], 0 offen offset:12
	buffer_load_dword v47, v43, s[0:3], 0 offen
	buffer_load_dword v48, v43, s[0:3], 0 offen offset:4
	s_waitcnt vmcnt(2) lgkmcnt(0)
	v_mul_f64 v[50:51], v[3:4], v[45:46]
	v_mul_f64 v[45:46], v[1:2], v[45:46]
	s_waitcnt vmcnt(0)
	v_fma_f64 v[1:2], v[1:2], v[47:48], -v[50:51]
	v_fma_f64 v[3:4], v[3:4], v[47:48], v[45:46]
.LBB18_46:
	s_and_saveexec_b32 s26, s4
	s_cbranch_execz .LBB18_50
; %bb.47:
	v_add_nc_u32_e32 v45, -13, v0
	s_movk_i32 s27, 0x200
	s_mov_b32 s4, 0
	s_mov_b32 s28, s12
	.p2align	6
.LBB18_48:                              ; =>This Inner Loop Header: Depth=1
	v_mov_b32_e32 v48, s28
	v_add_nc_u32_e32 v45, -1, v45
	s_add_i32 s28, s28, 16
	s_clause 0x3
	buffer_load_dword v46, v48, s[0:3], 0 offen offset:8
	buffer_load_dword v47, v48, s[0:3], 0 offen offset:12
	buffer_load_dword v54, v48, s[0:3], 0 offen
	buffer_load_dword v55, v48, s[0:3], 0 offen offset:4
	v_mov_b32_e32 v48, s27
	v_cmp_eq_u32_e32 vcc_lo, 0, v45
	s_add_i32 s27, s27, 16
	ds_read_b128 v[50:53], v48
	s_or_b32 s4, vcc_lo, s4
	s_waitcnt vmcnt(2) lgkmcnt(0)
	v_mul_f64 v[56:57], v[52:53], v[46:47]
	v_mul_f64 v[46:47], v[50:51], v[46:47]
	s_waitcnt vmcnt(0)
	v_fma_f64 v[50:51], v[50:51], v[54:55], -v[56:57]
	v_fma_f64 v[46:47], v[52:53], v[54:55], v[46:47]
	v_add_f64 v[1:2], v[1:2], v[50:51]
	v_add_f64 v[3:4], v[3:4], v[46:47]
	s_andn2_b32 exec_lo, exec_lo, s4
	s_cbranch_execnz .LBB18_48
; %bb.49:
	s_or_b32 exec_lo, exec_lo, s4
.LBB18_50:
	s_or_b32 exec_lo, exec_lo, s26
	v_mov_b32_e32 v45, 0
	ds_read_b128 v[45:48], v45 offset:192
	s_waitcnt lgkmcnt(0)
	v_mul_f64 v[50:51], v[3:4], v[47:48]
	v_mul_f64 v[47:48], v[1:2], v[47:48]
	v_fma_f64 v[1:2], v[1:2], v[45:46], -v[50:51]
	v_fma_f64 v[3:4], v[3:4], v[45:46], v[47:48]
	buffer_store_dword v2, off, s[0:3], 0 offset:196
	buffer_store_dword v1, off, s[0:3], 0 offset:192
	;; [unrolled: 1-line block ×4, first 2 shown]
.LBB18_51:
	s_or_b32 exec_lo, exec_lo, s8
	v_mov_b32_e32 v4, s14
	v_cmp_lt_u32_e64 s4, 11, v0
	s_clause 0x3
	buffer_load_dword v1, v4, s[0:3], 0 offen
	buffer_load_dword v2, v4, s[0:3], 0 offen offset:4
	buffer_load_dword v3, v4, s[0:3], 0 offen offset:8
	;; [unrolled: 1-line block ×3, first 2 shown]
	s_waitcnt vmcnt(0)
	ds_write_b128 v44, v[1:4]
	s_waitcnt lgkmcnt(0)
	s_waitcnt_vscnt null, 0x0
	s_barrier
	buffer_gl0_inv
	s_and_saveexec_b32 s8, s4
	s_cbranch_execz .LBB18_59
; %bb.52:
	ds_read_b128 v[1:4], v44
	s_andn2_b32 vcc_lo, exec_lo, s25
	s_cbranch_vccnz .LBB18_54
; %bb.53:
	s_clause 0x3
	buffer_load_dword v45, v43, s[0:3], 0 offen offset:8
	buffer_load_dword v46, v43, s[0:3], 0 offen offset:12
	buffer_load_dword v47, v43, s[0:3], 0 offen
	buffer_load_dword v48, v43, s[0:3], 0 offen offset:4
	s_waitcnt vmcnt(2) lgkmcnt(0)
	v_mul_f64 v[50:51], v[3:4], v[45:46]
	v_mul_f64 v[45:46], v[1:2], v[45:46]
	s_waitcnt vmcnt(0)
	v_fma_f64 v[1:2], v[1:2], v[47:48], -v[50:51]
	v_fma_f64 v[3:4], v[3:4], v[47:48], v[45:46]
.LBB18_54:
	s_and_saveexec_b32 s26, s5
	s_cbranch_execz .LBB18_58
; %bb.55:
	v_add_nc_u32_e32 v45, -12, v0
	s_movk_i32 s27, 0x1f0
	s_mov_b32 s5, 0
	s_mov_b32 s28, s13
	.p2align	6
.LBB18_56:                              ; =>This Inner Loop Header: Depth=1
	v_mov_b32_e32 v48, s28
	v_add_nc_u32_e32 v45, -1, v45
	s_add_i32 s28, s28, 16
	s_clause 0x3
	buffer_load_dword v46, v48, s[0:3], 0 offen offset:8
	buffer_load_dword v47, v48, s[0:3], 0 offen offset:12
	buffer_load_dword v54, v48, s[0:3], 0 offen
	buffer_load_dword v55, v48, s[0:3], 0 offen offset:4
	v_mov_b32_e32 v48, s27
	v_cmp_eq_u32_e32 vcc_lo, 0, v45
	s_add_i32 s27, s27, 16
	ds_read_b128 v[50:53], v48
	s_or_b32 s5, vcc_lo, s5
	s_waitcnt vmcnt(2) lgkmcnt(0)
	v_mul_f64 v[56:57], v[52:53], v[46:47]
	v_mul_f64 v[46:47], v[50:51], v[46:47]
	s_waitcnt vmcnt(0)
	v_fma_f64 v[50:51], v[50:51], v[54:55], -v[56:57]
	v_fma_f64 v[46:47], v[52:53], v[54:55], v[46:47]
	v_add_f64 v[1:2], v[1:2], v[50:51]
	v_add_f64 v[3:4], v[3:4], v[46:47]
	s_andn2_b32 exec_lo, exec_lo, s5
	s_cbranch_execnz .LBB18_56
; %bb.57:
	s_or_b32 exec_lo, exec_lo, s5
.LBB18_58:
	s_or_b32 exec_lo, exec_lo, s26
	v_mov_b32_e32 v45, 0
	ds_read_b128 v[45:48], v45 offset:176
	s_waitcnt lgkmcnt(0)
	v_mul_f64 v[50:51], v[3:4], v[47:48]
	v_mul_f64 v[47:48], v[1:2], v[47:48]
	v_fma_f64 v[1:2], v[1:2], v[45:46], -v[50:51]
	v_fma_f64 v[3:4], v[3:4], v[45:46], v[47:48]
	buffer_store_dword v2, off, s[0:3], 0 offset:180
	buffer_store_dword v1, off, s[0:3], 0 offset:176
	;; [unrolled: 1-line block ×4, first 2 shown]
.LBB18_59:
	s_or_b32 exec_lo, exec_lo, s8
	v_mov_b32_e32 v4, s15
	v_cmp_lt_u32_e64 s5, 10, v0
	s_clause 0x3
	buffer_load_dword v1, v4, s[0:3], 0 offen
	buffer_load_dword v2, v4, s[0:3], 0 offen offset:4
	buffer_load_dword v3, v4, s[0:3], 0 offen offset:8
	;; [unrolled: 1-line block ×3, first 2 shown]
	s_waitcnt vmcnt(0)
	ds_write_b128 v44, v[1:4]
	s_waitcnt lgkmcnt(0)
	s_waitcnt_vscnt null, 0x0
	s_barrier
	buffer_gl0_inv
	s_and_saveexec_b32 s8, s5
	s_cbranch_execz .LBB18_67
; %bb.60:
	ds_read_b128 v[1:4], v44
	s_andn2_b32 vcc_lo, exec_lo, s25
	s_cbranch_vccnz .LBB18_62
; %bb.61:
	s_clause 0x3
	buffer_load_dword v45, v43, s[0:3], 0 offen offset:8
	buffer_load_dword v46, v43, s[0:3], 0 offen offset:12
	buffer_load_dword v47, v43, s[0:3], 0 offen
	buffer_load_dword v48, v43, s[0:3], 0 offen offset:4
	s_waitcnt vmcnt(2) lgkmcnt(0)
	v_mul_f64 v[50:51], v[3:4], v[45:46]
	v_mul_f64 v[45:46], v[1:2], v[45:46]
	s_waitcnt vmcnt(0)
	v_fma_f64 v[1:2], v[1:2], v[47:48], -v[50:51]
	v_fma_f64 v[3:4], v[3:4], v[47:48], v[45:46]
.LBB18_62:
	s_and_saveexec_b32 s26, s4
	s_cbranch_execz .LBB18_66
; %bb.63:
	v_add_nc_u32_e32 v45, -11, v0
	s_movk_i32 s27, 0x1e0
	s_mov_b32 s4, 0
	s_mov_b32 s28, s14
	.p2align	6
.LBB18_64:                              ; =>This Inner Loop Header: Depth=1
	v_mov_b32_e32 v48, s28
	v_add_nc_u32_e32 v45, -1, v45
	s_add_i32 s28, s28, 16
	s_clause 0x3
	buffer_load_dword v46, v48, s[0:3], 0 offen offset:8
	buffer_load_dword v47, v48, s[0:3], 0 offen offset:12
	buffer_load_dword v54, v48, s[0:3], 0 offen
	buffer_load_dword v55, v48, s[0:3], 0 offen offset:4
	v_mov_b32_e32 v48, s27
	v_cmp_eq_u32_e32 vcc_lo, 0, v45
	s_add_i32 s27, s27, 16
	ds_read_b128 v[50:53], v48
	s_or_b32 s4, vcc_lo, s4
	s_waitcnt vmcnt(2) lgkmcnt(0)
	v_mul_f64 v[56:57], v[52:53], v[46:47]
	v_mul_f64 v[46:47], v[50:51], v[46:47]
	s_waitcnt vmcnt(0)
	v_fma_f64 v[50:51], v[50:51], v[54:55], -v[56:57]
	v_fma_f64 v[46:47], v[52:53], v[54:55], v[46:47]
	v_add_f64 v[1:2], v[1:2], v[50:51]
	v_add_f64 v[3:4], v[3:4], v[46:47]
	s_andn2_b32 exec_lo, exec_lo, s4
	s_cbranch_execnz .LBB18_64
; %bb.65:
	s_or_b32 exec_lo, exec_lo, s4
.LBB18_66:
	s_or_b32 exec_lo, exec_lo, s26
	v_mov_b32_e32 v45, 0
	ds_read_b128 v[45:48], v45 offset:160
	s_waitcnt lgkmcnt(0)
	v_mul_f64 v[50:51], v[3:4], v[47:48]
	v_mul_f64 v[47:48], v[1:2], v[47:48]
	v_fma_f64 v[1:2], v[1:2], v[45:46], -v[50:51]
	v_fma_f64 v[3:4], v[3:4], v[45:46], v[47:48]
	buffer_store_dword v2, off, s[0:3], 0 offset:164
	buffer_store_dword v1, off, s[0:3], 0 offset:160
	;; [unrolled: 1-line block ×4, first 2 shown]
.LBB18_67:
	s_or_b32 exec_lo, exec_lo, s8
	v_mov_b32_e32 v4, s16
	v_cmp_lt_u32_e64 s4, 9, v0
	s_clause 0x3
	buffer_load_dword v1, v4, s[0:3], 0 offen
	buffer_load_dword v2, v4, s[0:3], 0 offen offset:4
	buffer_load_dword v3, v4, s[0:3], 0 offen offset:8
	;; [unrolled: 1-line block ×3, first 2 shown]
	s_waitcnt vmcnt(0)
	ds_write_b128 v44, v[1:4]
	s_waitcnt lgkmcnt(0)
	s_waitcnt_vscnt null, 0x0
	s_barrier
	buffer_gl0_inv
	s_and_saveexec_b32 s8, s4
	s_cbranch_execz .LBB18_75
; %bb.68:
	ds_read_b128 v[1:4], v44
	s_andn2_b32 vcc_lo, exec_lo, s25
	s_cbranch_vccnz .LBB18_70
; %bb.69:
	s_clause 0x3
	buffer_load_dword v45, v43, s[0:3], 0 offen offset:8
	buffer_load_dword v46, v43, s[0:3], 0 offen offset:12
	buffer_load_dword v47, v43, s[0:3], 0 offen
	buffer_load_dword v48, v43, s[0:3], 0 offen offset:4
	s_waitcnt vmcnt(2) lgkmcnt(0)
	v_mul_f64 v[50:51], v[3:4], v[45:46]
	v_mul_f64 v[45:46], v[1:2], v[45:46]
	s_waitcnt vmcnt(0)
	v_fma_f64 v[1:2], v[1:2], v[47:48], -v[50:51]
	v_fma_f64 v[3:4], v[3:4], v[47:48], v[45:46]
.LBB18_70:
	s_and_saveexec_b32 s26, s5
	s_cbranch_execz .LBB18_74
; %bb.71:
	v_add_nc_u32_e32 v45, -10, v0
	s_movk_i32 s27, 0x1d0
	s_mov_b32 s5, 0
	s_mov_b32 s28, s15
	.p2align	6
.LBB18_72:                              ; =>This Inner Loop Header: Depth=1
	v_mov_b32_e32 v48, s28
	v_add_nc_u32_e32 v45, -1, v45
	s_add_i32 s28, s28, 16
	s_clause 0x3
	buffer_load_dword v46, v48, s[0:3], 0 offen offset:8
	buffer_load_dword v47, v48, s[0:3], 0 offen offset:12
	buffer_load_dword v54, v48, s[0:3], 0 offen
	buffer_load_dword v55, v48, s[0:3], 0 offen offset:4
	v_mov_b32_e32 v48, s27
	v_cmp_eq_u32_e32 vcc_lo, 0, v45
	s_add_i32 s27, s27, 16
	ds_read_b128 v[50:53], v48
	s_or_b32 s5, vcc_lo, s5
	s_waitcnt vmcnt(2) lgkmcnt(0)
	v_mul_f64 v[56:57], v[52:53], v[46:47]
	v_mul_f64 v[46:47], v[50:51], v[46:47]
	s_waitcnt vmcnt(0)
	v_fma_f64 v[50:51], v[50:51], v[54:55], -v[56:57]
	v_fma_f64 v[46:47], v[52:53], v[54:55], v[46:47]
	v_add_f64 v[1:2], v[1:2], v[50:51]
	v_add_f64 v[3:4], v[3:4], v[46:47]
	s_andn2_b32 exec_lo, exec_lo, s5
	s_cbranch_execnz .LBB18_72
; %bb.73:
	s_or_b32 exec_lo, exec_lo, s5
.LBB18_74:
	s_or_b32 exec_lo, exec_lo, s26
	v_mov_b32_e32 v45, 0
	ds_read_b128 v[45:48], v45 offset:144
	s_waitcnt lgkmcnt(0)
	v_mul_f64 v[50:51], v[3:4], v[47:48]
	v_mul_f64 v[47:48], v[1:2], v[47:48]
	v_fma_f64 v[1:2], v[1:2], v[45:46], -v[50:51]
	v_fma_f64 v[3:4], v[3:4], v[45:46], v[47:48]
	buffer_store_dword v2, off, s[0:3], 0 offset:148
	buffer_store_dword v1, off, s[0:3], 0 offset:144
	;; [unrolled: 1-line block ×4, first 2 shown]
.LBB18_75:
	s_or_b32 exec_lo, exec_lo, s8
	v_mov_b32_e32 v4, s17
	v_cmp_lt_u32_e64 s5, 8, v0
	s_clause 0x3
	buffer_load_dword v1, v4, s[0:3], 0 offen
	buffer_load_dword v2, v4, s[0:3], 0 offen offset:4
	buffer_load_dword v3, v4, s[0:3], 0 offen offset:8
	;; [unrolled: 1-line block ×3, first 2 shown]
	s_waitcnt vmcnt(0)
	ds_write_b128 v44, v[1:4]
	s_waitcnt lgkmcnt(0)
	s_waitcnt_vscnt null, 0x0
	s_barrier
	buffer_gl0_inv
	s_and_saveexec_b32 s8, s5
	s_cbranch_execz .LBB18_83
; %bb.76:
	ds_read_b128 v[1:4], v44
	s_andn2_b32 vcc_lo, exec_lo, s25
	s_cbranch_vccnz .LBB18_78
; %bb.77:
	s_clause 0x3
	buffer_load_dword v45, v43, s[0:3], 0 offen offset:8
	buffer_load_dword v46, v43, s[0:3], 0 offen offset:12
	buffer_load_dword v47, v43, s[0:3], 0 offen
	buffer_load_dword v48, v43, s[0:3], 0 offen offset:4
	s_waitcnt vmcnt(2) lgkmcnt(0)
	v_mul_f64 v[50:51], v[3:4], v[45:46]
	v_mul_f64 v[45:46], v[1:2], v[45:46]
	s_waitcnt vmcnt(0)
	v_fma_f64 v[1:2], v[1:2], v[47:48], -v[50:51]
	v_fma_f64 v[3:4], v[3:4], v[47:48], v[45:46]
.LBB18_78:
	s_and_saveexec_b32 s26, s4
	s_cbranch_execz .LBB18_82
; %bb.79:
	v_add_nc_u32_e32 v45, -9, v0
	s_movk_i32 s27, 0x1c0
	s_mov_b32 s4, 0
	s_mov_b32 s28, s16
	.p2align	6
.LBB18_80:                              ; =>This Inner Loop Header: Depth=1
	v_mov_b32_e32 v48, s28
	v_add_nc_u32_e32 v45, -1, v45
	s_add_i32 s28, s28, 16
	s_clause 0x3
	buffer_load_dword v46, v48, s[0:3], 0 offen offset:8
	buffer_load_dword v47, v48, s[0:3], 0 offen offset:12
	buffer_load_dword v54, v48, s[0:3], 0 offen
	buffer_load_dword v55, v48, s[0:3], 0 offen offset:4
	v_mov_b32_e32 v48, s27
	v_cmp_eq_u32_e32 vcc_lo, 0, v45
	s_add_i32 s27, s27, 16
	ds_read_b128 v[50:53], v48
	s_or_b32 s4, vcc_lo, s4
	s_waitcnt vmcnt(2) lgkmcnt(0)
	v_mul_f64 v[56:57], v[52:53], v[46:47]
	v_mul_f64 v[46:47], v[50:51], v[46:47]
	s_waitcnt vmcnt(0)
	v_fma_f64 v[50:51], v[50:51], v[54:55], -v[56:57]
	v_fma_f64 v[46:47], v[52:53], v[54:55], v[46:47]
	v_add_f64 v[1:2], v[1:2], v[50:51]
	v_add_f64 v[3:4], v[3:4], v[46:47]
	s_andn2_b32 exec_lo, exec_lo, s4
	s_cbranch_execnz .LBB18_80
; %bb.81:
	s_or_b32 exec_lo, exec_lo, s4
.LBB18_82:
	s_or_b32 exec_lo, exec_lo, s26
	v_mov_b32_e32 v45, 0
	ds_read_b128 v[45:48], v45 offset:128
	s_waitcnt lgkmcnt(0)
	v_mul_f64 v[50:51], v[3:4], v[47:48]
	v_mul_f64 v[47:48], v[1:2], v[47:48]
	v_fma_f64 v[1:2], v[1:2], v[45:46], -v[50:51]
	v_fma_f64 v[3:4], v[3:4], v[45:46], v[47:48]
	buffer_store_dword v2, off, s[0:3], 0 offset:132
	buffer_store_dword v1, off, s[0:3], 0 offset:128
	;; [unrolled: 1-line block ×4, first 2 shown]
.LBB18_83:
	s_or_b32 exec_lo, exec_lo, s8
	v_mov_b32_e32 v4, s18
	v_cmp_lt_u32_e64 s4, 7, v0
	s_clause 0x3
	buffer_load_dword v1, v4, s[0:3], 0 offen
	buffer_load_dword v2, v4, s[0:3], 0 offen offset:4
	buffer_load_dword v3, v4, s[0:3], 0 offen offset:8
	;; [unrolled: 1-line block ×3, first 2 shown]
	s_waitcnt vmcnt(0)
	ds_write_b128 v44, v[1:4]
	s_waitcnt lgkmcnt(0)
	s_waitcnt_vscnt null, 0x0
	s_barrier
	buffer_gl0_inv
	s_and_saveexec_b32 s8, s4
	s_cbranch_execz .LBB18_91
; %bb.84:
	ds_read_b128 v[1:4], v44
	s_andn2_b32 vcc_lo, exec_lo, s25
	s_cbranch_vccnz .LBB18_86
; %bb.85:
	s_clause 0x3
	buffer_load_dword v45, v43, s[0:3], 0 offen offset:8
	buffer_load_dword v46, v43, s[0:3], 0 offen offset:12
	buffer_load_dword v47, v43, s[0:3], 0 offen
	buffer_load_dword v48, v43, s[0:3], 0 offen offset:4
	s_waitcnt vmcnt(2) lgkmcnt(0)
	v_mul_f64 v[50:51], v[3:4], v[45:46]
	v_mul_f64 v[45:46], v[1:2], v[45:46]
	s_waitcnt vmcnt(0)
	v_fma_f64 v[1:2], v[1:2], v[47:48], -v[50:51]
	v_fma_f64 v[3:4], v[3:4], v[47:48], v[45:46]
.LBB18_86:
	s_and_saveexec_b32 s26, s5
	s_cbranch_execz .LBB18_90
; %bb.87:
	v_add_nc_u32_e32 v45, -8, v0
	s_movk_i32 s27, 0x1b0
	s_mov_b32 s5, 0
	s_mov_b32 s28, s17
	.p2align	6
.LBB18_88:                              ; =>This Inner Loop Header: Depth=1
	v_mov_b32_e32 v48, s28
	v_add_nc_u32_e32 v45, -1, v45
	s_add_i32 s28, s28, 16
	s_clause 0x3
	buffer_load_dword v46, v48, s[0:3], 0 offen offset:8
	buffer_load_dword v47, v48, s[0:3], 0 offen offset:12
	buffer_load_dword v54, v48, s[0:3], 0 offen
	buffer_load_dword v55, v48, s[0:3], 0 offen offset:4
	v_mov_b32_e32 v48, s27
	v_cmp_eq_u32_e32 vcc_lo, 0, v45
	s_add_i32 s27, s27, 16
	ds_read_b128 v[50:53], v48
	s_or_b32 s5, vcc_lo, s5
	s_waitcnt vmcnt(2) lgkmcnt(0)
	v_mul_f64 v[56:57], v[52:53], v[46:47]
	v_mul_f64 v[46:47], v[50:51], v[46:47]
	s_waitcnt vmcnt(0)
	v_fma_f64 v[50:51], v[50:51], v[54:55], -v[56:57]
	v_fma_f64 v[46:47], v[52:53], v[54:55], v[46:47]
	v_add_f64 v[1:2], v[1:2], v[50:51]
	v_add_f64 v[3:4], v[3:4], v[46:47]
	s_andn2_b32 exec_lo, exec_lo, s5
	s_cbranch_execnz .LBB18_88
; %bb.89:
	s_or_b32 exec_lo, exec_lo, s5
.LBB18_90:
	s_or_b32 exec_lo, exec_lo, s26
	v_mov_b32_e32 v45, 0
	ds_read_b128 v[45:48], v45 offset:112
	s_waitcnt lgkmcnt(0)
	v_mul_f64 v[50:51], v[3:4], v[47:48]
	v_mul_f64 v[47:48], v[1:2], v[47:48]
	v_fma_f64 v[1:2], v[1:2], v[45:46], -v[50:51]
	v_fma_f64 v[3:4], v[3:4], v[45:46], v[47:48]
	buffer_store_dword v2, off, s[0:3], 0 offset:116
	buffer_store_dword v1, off, s[0:3], 0 offset:112
	;; [unrolled: 1-line block ×4, first 2 shown]
.LBB18_91:
	s_or_b32 exec_lo, exec_lo, s8
	v_mov_b32_e32 v4, s19
	v_cmp_lt_u32_e64 s5, 6, v0
	s_clause 0x3
	buffer_load_dword v1, v4, s[0:3], 0 offen
	buffer_load_dword v2, v4, s[0:3], 0 offen offset:4
	buffer_load_dword v3, v4, s[0:3], 0 offen offset:8
	;; [unrolled: 1-line block ×3, first 2 shown]
	s_waitcnt vmcnt(0)
	ds_write_b128 v44, v[1:4]
	s_waitcnt lgkmcnt(0)
	s_waitcnt_vscnt null, 0x0
	s_barrier
	buffer_gl0_inv
	s_and_saveexec_b32 s8, s5
	s_cbranch_execz .LBB18_99
; %bb.92:
	ds_read_b128 v[1:4], v44
	s_andn2_b32 vcc_lo, exec_lo, s25
	s_cbranch_vccnz .LBB18_94
; %bb.93:
	s_clause 0x3
	buffer_load_dword v45, v43, s[0:3], 0 offen offset:8
	buffer_load_dword v46, v43, s[0:3], 0 offen offset:12
	buffer_load_dword v47, v43, s[0:3], 0 offen
	buffer_load_dword v48, v43, s[0:3], 0 offen offset:4
	s_waitcnt vmcnt(2) lgkmcnt(0)
	v_mul_f64 v[50:51], v[3:4], v[45:46]
	v_mul_f64 v[45:46], v[1:2], v[45:46]
	s_waitcnt vmcnt(0)
	v_fma_f64 v[1:2], v[1:2], v[47:48], -v[50:51]
	v_fma_f64 v[3:4], v[3:4], v[47:48], v[45:46]
.LBB18_94:
	s_and_saveexec_b32 s26, s4
	s_cbranch_execz .LBB18_98
; %bb.95:
	v_add_nc_u32_e32 v45, -7, v0
	s_movk_i32 s27, 0x1a0
	s_mov_b32 s4, 0
	s_mov_b32 s28, s18
	.p2align	6
.LBB18_96:                              ; =>This Inner Loop Header: Depth=1
	v_mov_b32_e32 v48, s28
	v_add_nc_u32_e32 v45, -1, v45
	s_add_i32 s28, s28, 16
	s_clause 0x3
	buffer_load_dword v46, v48, s[0:3], 0 offen offset:8
	buffer_load_dword v47, v48, s[0:3], 0 offen offset:12
	buffer_load_dword v54, v48, s[0:3], 0 offen
	buffer_load_dword v55, v48, s[0:3], 0 offen offset:4
	v_mov_b32_e32 v48, s27
	v_cmp_eq_u32_e32 vcc_lo, 0, v45
	s_add_i32 s27, s27, 16
	ds_read_b128 v[50:53], v48
	s_or_b32 s4, vcc_lo, s4
	s_waitcnt vmcnt(2) lgkmcnt(0)
	v_mul_f64 v[56:57], v[52:53], v[46:47]
	v_mul_f64 v[46:47], v[50:51], v[46:47]
	s_waitcnt vmcnt(0)
	v_fma_f64 v[50:51], v[50:51], v[54:55], -v[56:57]
	v_fma_f64 v[46:47], v[52:53], v[54:55], v[46:47]
	v_add_f64 v[1:2], v[1:2], v[50:51]
	v_add_f64 v[3:4], v[3:4], v[46:47]
	s_andn2_b32 exec_lo, exec_lo, s4
	s_cbranch_execnz .LBB18_96
; %bb.97:
	s_or_b32 exec_lo, exec_lo, s4
.LBB18_98:
	s_or_b32 exec_lo, exec_lo, s26
	v_mov_b32_e32 v45, 0
	ds_read_b128 v[45:48], v45 offset:96
	s_waitcnt lgkmcnt(0)
	v_mul_f64 v[50:51], v[3:4], v[47:48]
	v_mul_f64 v[47:48], v[1:2], v[47:48]
	v_fma_f64 v[1:2], v[1:2], v[45:46], -v[50:51]
	v_fma_f64 v[3:4], v[3:4], v[45:46], v[47:48]
	buffer_store_dword v2, off, s[0:3], 0 offset:100
	buffer_store_dword v1, off, s[0:3], 0 offset:96
	;; [unrolled: 1-line block ×4, first 2 shown]
.LBB18_99:
	s_or_b32 exec_lo, exec_lo, s8
	v_mov_b32_e32 v4, s20
	v_cmp_lt_u32_e64 s4, 5, v0
	s_clause 0x3
	buffer_load_dword v1, v4, s[0:3], 0 offen
	buffer_load_dword v2, v4, s[0:3], 0 offen offset:4
	buffer_load_dword v3, v4, s[0:3], 0 offen offset:8
	;; [unrolled: 1-line block ×3, first 2 shown]
	s_waitcnt vmcnt(0)
	ds_write_b128 v44, v[1:4]
	s_waitcnt lgkmcnt(0)
	s_waitcnt_vscnt null, 0x0
	s_barrier
	buffer_gl0_inv
	s_and_saveexec_b32 s8, s4
	s_cbranch_execz .LBB18_107
; %bb.100:
	ds_read_b128 v[1:4], v44
	s_andn2_b32 vcc_lo, exec_lo, s25
	s_cbranch_vccnz .LBB18_102
; %bb.101:
	s_clause 0x3
	buffer_load_dword v45, v43, s[0:3], 0 offen offset:8
	buffer_load_dword v46, v43, s[0:3], 0 offen offset:12
	buffer_load_dword v47, v43, s[0:3], 0 offen
	buffer_load_dword v48, v43, s[0:3], 0 offen offset:4
	s_waitcnt vmcnt(2) lgkmcnt(0)
	v_mul_f64 v[50:51], v[3:4], v[45:46]
	v_mul_f64 v[45:46], v[1:2], v[45:46]
	s_waitcnt vmcnt(0)
	v_fma_f64 v[1:2], v[1:2], v[47:48], -v[50:51]
	v_fma_f64 v[3:4], v[3:4], v[47:48], v[45:46]
.LBB18_102:
	s_and_saveexec_b32 s26, s5
	s_cbranch_execz .LBB18_106
; %bb.103:
	v_add_nc_u32_e32 v45, -6, v0
	s_movk_i32 s27, 0x190
	s_mov_b32 s5, 0
	s_mov_b32 s28, s19
	.p2align	6
.LBB18_104:                             ; =>This Inner Loop Header: Depth=1
	v_mov_b32_e32 v48, s28
	v_add_nc_u32_e32 v45, -1, v45
	s_add_i32 s28, s28, 16
	s_clause 0x3
	buffer_load_dword v46, v48, s[0:3], 0 offen offset:8
	buffer_load_dword v47, v48, s[0:3], 0 offen offset:12
	buffer_load_dword v54, v48, s[0:3], 0 offen
	buffer_load_dword v55, v48, s[0:3], 0 offen offset:4
	v_mov_b32_e32 v48, s27
	v_cmp_eq_u32_e32 vcc_lo, 0, v45
	s_add_i32 s27, s27, 16
	ds_read_b128 v[50:53], v48
	s_or_b32 s5, vcc_lo, s5
	s_waitcnt vmcnt(2) lgkmcnt(0)
	v_mul_f64 v[56:57], v[52:53], v[46:47]
	v_mul_f64 v[46:47], v[50:51], v[46:47]
	s_waitcnt vmcnt(0)
	v_fma_f64 v[50:51], v[50:51], v[54:55], -v[56:57]
	v_fma_f64 v[46:47], v[52:53], v[54:55], v[46:47]
	v_add_f64 v[1:2], v[1:2], v[50:51]
	v_add_f64 v[3:4], v[3:4], v[46:47]
	s_andn2_b32 exec_lo, exec_lo, s5
	s_cbranch_execnz .LBB18_104
; %bb.105:
	s_or_b32 exec_lo, exec_lo, s5
.LBB18_106:
	s_or_b32 exec_lo, exec_lo, s26
	v_mov_b32_e32 v45, 0
	ds_read_b128 v[45:48], v45 offset:80
	s_waitcnt lgkmcnt(0)
	v_mul_f64 v[50:51], v[3:4], v[47:48]
	v_mul_f64 v[47:48], v[1:2], v[47:48]
	v_fma_f64 v[1:2], v[1:2], v[45:46], -v[50:51]
	v_fma_f64 v[3:4], v[3:4], v[45:46], v[47:48]
	buffer_store_dword v2, off, s[0:3], 0 offset:84
	buffer_store_dword v1, off, s[0:3], 0 offset:80
	buffer_store_dword v4, off, s[0:3], 0 offset:92
	buffer_store_dword v3, off, s[0:3], 0 offset:88
.LBB18_107:
	s_or_b32 exec_lo, exec_lo, s8
	v_mov_b32_e32 v4, s21
	v_cmp_lt_u32_e64 s5, 4, v0
	s_clause 0x3
	buffer_load_dword v1, v4, s[0:3], 0 offen
	buffer_load_dword v2, v4, s[0:3], 0 offen offset:4
	buffer_load_dword v3, v4, s[0:3], 0 offen offset:8
	;; [unrolled: 1-line block ×3, first 2 shown]
	s_waitcnt vmcnt(0)
	ds_write_b128 v44, v[1:4]
	s_waitcnt lgkmcnt(0)
	s_waitcnt_vscnt null, 0x0
	s_barrier
	buffer_gl0_inv
	s_and_saveexec_b32 s8, s5
	s_cbranch_execz .LBB18_115
; %bb.108:
	ds_read_b128 v[1:4], v44
	s_andn2_b32 vcc_lo, exec_lo, s25
	s_cbranch_vccnz .LBB18_110
; %bb.109:
	s_clause 0x3
	buffer_load_dword v45, v43, s[0:3], 0 offen offset:8
	buffer_load_dword v46, v43, s[0:3], 0 offen offset:12
	buffer_load_dword v47, v43, s[0:3], 0 offen
	buffer_load_dword v48, v43, s[0:3], 0 offen offset:4
	s_waitcnt vmcnt(2) lgkmcnt(0)
	v_mul_f64 v[50:51], v[3:4], v[45:46]
	v_mul_f64 v[45:46], v[1:2], v[45:46]
	s_waitcnt vmcnt(0)
	v_fma_f64 v[1:2], v[1:2], v[47:48], -v[50:51]
	v_fma_f64 v[3:4], v[3:4], v[47:48], v[45:46]
.LBB18_110:
	s_and_saveexec_b32 s26, s4
	s_cbranch_execz .LBB18_114
; %bb.111:
	v_add_nc_u32_e32 v45, -5, v0
	s_movk_i32 s27, 0x180
	s_mov_b32 s4, 0
	s_mov_b32 s28, s20
	.p2align	6
.LBB18_112:                             ; =>This Inner Loop Header: Depth=1
	v_mov_b32_e32 v48, s28
	v_add_nc_u32_e32 v45, -1, v45
	s_add_i32 s28, s28, 16
	s_clause 0x3
	buffer_load_dword v46, v48, s[0:3], 0 offen offset:8
	buffer_load_dword v47, v48, s[0:3], 0 offen offset:12
	buffer_load_dword v54, v48, s[0:3], 0 offen
	buffer_load_dword v55, v48, s[0:3], 0 offen offset:4
	v_mov_b32_e32 v48, s27
	v_cmp_eq_u32_e32 vcc_lo, 0, v45
	s_add_i32 s27, s27, 16
	ds_read_b128 v[50:53], v48
	s_or_b32 s4, vcc_lo, s4
	s_waitcnt vmcnt(2) lgkmcnt(0)
	v_mul_f64 v[56:57], v[52:53], v[46:47]
	v_mul_f64 v[46:47], v[50:51], v[46:47]
	s_waitcnt vmcnt(0)
	v_fma_f64 v[50:51], v[50:51], v[54:55], -v[56:57]
	v_fma_f64 v[46:47], v[52:53], v[54:55], v[46:47]
	v_add_f64 v[1:2], v[1:2], v[50:51]
	v_add_f64 v[3:4], v[3:4], v[46:47]
	s_andn2_b32 exec_lo, exec_lo, s4
	s_cbranch_execnz .LBB18_112
; %bb.113:
	s_or_b32 exec_lo, exec_lo, s4
.LBB18_114:
	s_or_b32 exec_lo, exec_lo, s26
	v_mov_b32_e32 v45, 0
	ds_read_b128 v[45:48], v45 offset:64
	s_waitcnt lgkmcnt(0)
	v_mul_f64 v[50:51], v[3:4], v[47:48]
	v_mul_f64 v[47:48], v[1:2], v[47:48]
	v_fma_f64 v[1:2], v[1:2], v[45:46], -v[50:51]
	v_fma_f64 v[3:4], v[3:4], v[45:46], v[47:48]
	buffer_store_dword v2, off, s[0:3], 0 offset:68
	buffer_store_dword v1, off, s[0:3], 0 offset:64
	;; [unrolled: 1-line block ×4, first 2 shown]
.LBB18_115:
	s_or_b32 exec_lo, exec_lo, s8
	v_mov_b32_e32 v4, s22
	v_cmp_lt_u32_e64 s4, 3, v0
	s_clause 0x3
	buffer_load_dword v1, v4, s[0:3], 0 offen
	buffer_load_dword v2, v4, s[0:3], 0 offen offset:4
	buffer_load_dword v3, v4, s[0:3], 0 offen offset:8
	buffer_load_dword v4, v4, s[0:3], 0 offen offset:12
	s_waitcnt vmcnt(0)
	ds_write_b128 v44, v[1:4]
	s_waitcnt lgkmcnt(0)
	s_waitcnt_vscnt null, 0x0
	s_barrier
	buffer_gl0_inv
	s_and_saveexec_b32 s8, s4
	s_cbranch_execz .LBB18_123
; %bb.116:
	ds_read_b128 v[1:4], v44
	s_andn2_b32 vcc_lo, exec_lo, s25
	s_cbranch_vccnz .LBB18_118
; %bb.117:
	s_clause 0x3
	buffer_load_dword v45, v43, s[0:3], 0 offen offset:8
	buffer_load_dword v46, v43, s[0:3], 0 offen offset:12
	buffer_load_dword v47, v43, s[0:3], 0 offen
	buffer_load_dword v48, v43, s[0:3], 0 offen offset:4
	s_waitcnt vmcnt(2) lgkmcnt(0)
	v_mul_f64 v[50:51], v[3:4], v[45:46]
	v_mul_f64 v[45:46], v[1:2], v[45:46]
	s_waitcnt vmcnt(0)
	v_fma_f64 v[1:2], v[1:2], v[47:48], -v[50:51]
	v_fma_f64 v[3:4], v[3:4], v[47:48], v[45:46]
.LBB18_118:
	s_and_saveexec_b32 s26, s5
	s_cbranch_execz .LBB18_122
; %bb.119:
	v_add_nc_u32_e32 v45, -4, v0
	s_movk_i32 s27, 0x170
	s_mov_b32 s5, 0
	s_mov_b32 s28, s21
	.p2align	6
.LBB18_120:                             ; =>This Inner Loop Header: Depth=1
	v_mov_b32_e32 v48, s28
	v_add_nc_u32_e32 v45, -1, v45
	s_add_i32 s28, s28, 16
	s_clause 0x3
	buffer_load_dword v46, v48, s[0:3], 0 offen offset:8
	buffer_load_dword v47, v48, s[0:3], 0 offen offset:12
	buffer_load_dword v54, v48, s[0:3], 0 offen
	buffer_load_dword v55, v48, s[0:3], 0 offen offset:4
	v_mov_b32_e32 v48, s27
	v_cmp_eq_u32_e32 vcc_lo, 0, v45
	s_add_i32 s27, s27, 16
	ds_read_b128 v[50:53], v48
	s_or_b32 s5, vcc_lo, s5
	s_waitcnt vmcnt(2) lgkmcnt(0)
	v_mul_f64 v[56:57], v[52:53], v[46:47]
	v_mul_f64 v[46:47], v[50:51], v[46:47]
	s_waitcnt vmcnt(0)
	v_fma_f64 v[50:51], v[50:51], v[54:55], -v[56:57]
	v_fma_f64 v[46:47], v[52:53], v[54:55], v[46:47]
	v_add_f64 v[1:2], v[1:2], v[50:51]
	v_add_f64 v[3:4], v[3:4], v[46:47]
	s_andn2_b32 exec_lo, exec_lo, s5
	s_cbranch_execnz .LBB18_120
; %bb.121:
	s_or_b32 exec_lo, exec_lo, s5
.LBB18_122:
	s_or_b32 exec_lo, exec_lo, s26
	v_mov_b32_e32 v45, 0
	ds_read_b128 v[45:48], v45 offset:48
	s_waitcnt lgkmcnt(0)
	v_mul_f64 v[50:51], v[3:4], v[47:48]
	v_mul_f64 v[47:48], v[1:2], v[47:48]
	v_fma_f64 v[1:2], v[1:2], v[45:46], -v[50:51]
	v_fma_f64 v[3:4], v[3:4], v[45:46], v[47:48]
	buffer_store_dword v2, off, s[0:3], 0 offset:52
	buffer_store_dword v1, off, s[0:3], 0 offset:48
	;; [unrolled: 1-line block ×4, first 2 shown]
.LBB18_123:
	s_or_b32 exec_lo, exec_lo, s8
	v_mov_b32_e32 v4, s23
	v_cmp_lt_u32_e64 s5, 2, v0
	s_clause 0x3
	buffer_load_dword v1, v4, s[0:3], 0 offen
	buffer_load_dword v2, v4, s[0:3], 0 offen offset:4
	buffer_load_dword v3, v4, s[0:3], 0 offen offset:8
	;; [unrolled: 1-line block ×3, first 2 shown]
	s_waitcnt vmcnt(0)
	ds_write_b128 v44, v[1:4]
	s_waitcnt lgkmcnt(0)
	s_waitcnt_vscnt null, 0x0
	s_barrier
	buffer_gl0_inv
	s_and_saveexec_b32 s8, s5
	s_cbranch_execz .LBB18_131
; %bb.124:
	ds_read_b128 v[1:4], v44
	s_andn2_b32 vcc_lo, exec_lo, s25
	s_cbranch_vccnz .LBB18_126
; %bb.125:
	s_clause 0x3
	buffer_load_dword v45, v43, s[0:3], 0 offen offset:8
	buffer_load_dword v46, v43, s[0:3], 0 offen offset:12
	buffer_load_dword v47, v43, s[0:3], 0 offen
	buffer_load_dword v48, v43, s[0:3], 0 offen offset:4
	s_waitcnt vmcnt(2) lgkmcnt(0)
	v_mul_f64 v[50:51], v[3:4], v[45:46]
	v_mul_f64 v[45:46], v[1:2], v[45:46]
	s_waitcnt vmcnt(0)
	v_fma_f64 v[1:2], v[1:2], v[47:48], -v[50:51]
	v_fma_f64 v[3:4], v[3:4], v[47:48], v[45:46]
.LBB18_126:
	s_and_saveexec_b32 s26, s4
	s_cbranch_execz .LBB18_130
; %bb.127:
	v_add_nc_u32_e32 v45, -3, v0
	s_movk_i32 s27, 0x160
	s_mov_b32 s4, 0
	s_mov_b32 s28, s22
	.p2align	6
.LBB18_128:                             ; =>This Inner Loop Header: Depth=1
	v_mov_b32_e32 v48, s28
	v_add_nc_u32_e32 v45, -1, v45
	s_add_i32 s28, s28, 16
	s_clause 0x3
	buffer_load_dword v46, v48, s[0:3], 0 offen offset:8
	buffer_load_dword v47, v48, s[0:3], 0 offen offset:12
	buffer_load_dword v54, v48, s[0:3], 0 offen
	buffer_load_dword v55, v48, s[0:3], 0 offen offset:4
	v_mov_b32_e32 v48, s27
	v_cmp_eq_u32_e32 vcc_lo, 0, v45
	s_add_i32 s27, s27, 16
	ds_read_b128 v[50:53], v48
	s_or_b32 s4, vcc_lo, s4
	s_waitcnt vmcnt(2) lgkmcnt(0)
	v_mul_f64 v[56:57], v[52:53], v[46:47]
	v_mul_f64 v[46:47], v[50:51], v[46:47]
	s_waitcnt vmcnt(0)
	v_fma_f64 v[50:51], v[50:51], v[54:55], -v[56:57]
	v_fma_f64 v[46:47], v[52:53], v[54:55], v[46:47]
	v_add_f64 v[1:2], v[1:2], v[50:51]
	v_add_f64 v[3:4], v[3:4], v[46:47]
	s_andn2_b32 exec_lo, exec_lo, s4
	s_cbranch_execnz .LBB18_128
; %bb.129:
	s_or_b32 exec_lo, exec_lo, s4
.LBB18_130:
	s_or_b32 exec_lo, exec_lo, s26
	v_mov_b32_e32 v45, 0
	ds_read_b128 v[45:48], v45 offset:32
	s_waitcnt lgkmcnt(0)
	v_mul_f64 v[50:51], v[3:4], v[47:48]
	v_mul_f64 v[47:48], v[1:2], v[47:48]
	v_fma_f64 v[1:2], v[1:2], v[45:46], -v[50:51]
	v_fma_f64 v[3:4], v[3:4], v[45:46], v[47:48]
	buffer_store_dword v2, off, s[0:3], 0 offset:36
	buffer_store_dword v1, off, s[0:3], 0 offset:32
	;; [unrolled: 1-line block ×4, first 2 shown]
.LBB18_131:
	s_or_b32 exec_lo, exec_lo, s8
	v_mov_b32_e32 v4, s24
	v_cmp_lt_u32_e64 s4, 1, v0
	s_clause 0x3
	buffer_load_dword v1, v4, s[0:3], 0 offen
	buffer_load_dword v2, v4, s[0:3], 0 offen offset:4
	buffer_load_dword v3, v4, s[0:3], 0 offen offset:8
	buffer_load_dword v4, v4, s[0:3], 0 offen offset:12
	s_waitcnt vmcnt(0)
	ds_write_b128 v44, v[1:4]
	s_waitcnt lgkmcnt(0)
	s_waitcnt_vscnt null, 0x0
	s_barrier
	buffer_gl0_inv
	s_and_saveexec_b32 s8, s4
	s_cbranch_execz .LBB18_139
; %bb.132:
	ds_read_b128 v[1:4], v44
	s_andn2_b32 vcc_lo, exec_lo, s25
	s_cbranch_vccnz .LBB18_134
; %bb.133:
	s_clause 0x3
	buffer_load_dword v45, v43, s[0:3], 0 offen offset:8
	buffer_load_dword v46, v43, s[0:3], 0 offen offset:12
	buffer_load_dword v47, v43, s[0:3], 0 offen
	buffer_load_dword v48, v43, s[0:3], 0 offen offset:4
	s_waitcnt vmcnt(2) lgkmcnt(0)
	v_mul_f64 v[50:51], v[3:4], v[45:46]
	v_mul_f64 v[45:46], v[1:2], v[45:46]
	s_waitcnt vmcnt(0)
	v_fma_f64 v[1:2], v[1:2], v[47:48], -v[50:51]
	v_fma_f64 v[3:4], v[3:4], v[47:48], v[45:46]
.LBB18_134:
	s_and_saveexec_b32 s26, s5
	s_cbranch_execz .LBB18_138
; %bb.135:
	v_add_nc_u32_e32 v45, -2, v0
	s_movk_i32 s27, 0x150
	s_mov_b32 s5, 0
	s_mov_b32 s28, s23
	.p2align	6
.LBB18_136:                             ; =>This Inner Loop Header: Depth=1
	v_mov_b32_e32 v48, s28
	v_add_nc_u32_e32 v45, -1, v45
	s_add_i32 s28, s28, 16
	s_clause 0x3
	buffer_load_dword v46, v48, s[0:3], 0 offen offset:8
	buffer_load_dword v47, v48, s[0:3], 0 offen offset:12
	buffer_load_dword v54, v48, s[0:3], 0 offen
	buffer_load_dword v55, v48, s[0:3], 0 offen offset:4
	v_mov_b32_e32 v48, s27
	v_cmp_eq_u32_e32 vcc_lo, 0, v45
	s_add_i32 s27, s27, 16
	ds_read_b128 v[50:53], v48
	s_or_b32 s5, vcc_lo, s5
	s_waitcnt vmcnt(2) lgkmcnt(0)
	v_mul_f64 v[56:57], v[52:53], v[46:47]
	v_mul_f64 v[46:47], v[50:51], v[46:47]
	s_waitcnt vmcnt(0)
	v_fma_f64 v[50:51], v[50:51], v[54:55], -v[56:57]
	v_fma_f64 v[46:47], v[52:53], v[54:55], v[46:47]
	v_add_f64 v[1:2], v[1:2], v[50:51]
	v_add_f64 v[3:4], v[3:4], v[46:47]
	s_andn2_b32 exec_lo, exec_lo, s5
	s_cbranch_execnz .LBB18_136
; %bb.137:
	s_or_b32 exec_lo, exec_lo, s5
.LBB18_138:
	s_or_b32 exec_lo, exec_lo, s26
	v_mov_b32_e32 v45, 0
	ds_read_b128 v[45:48], v45 offset:16
	s_waitcnt lgkmcnt(0)
	v_mul_f64 v[50:51], v[3:4], v[47:48]
	v_mul_f64 v[47:48], v[1:2], v[47:48]
	v_fma_f64 v[1:2], v[1:2], v[45:46], -v[50:51]
	v_fma_f64 v[3:4], v[3:4], v[45:46], v[47:48]
	buffer_store_dword v2, off, s[0:3], 0 offset:20
	buffer_store_dword v1, off, s[0:3], 0 offset:16
	;; [unrolled: 1-line block ×4, first 2 shown]
.LBB18_139:
	s_or_b32 exec_lo, exec_lo, s8
	s_clause 0x3
	buffer_load_dword v1, off, s[0:3], 0
	buffer_load_dword v2, off, s[0:3], 0 offset:4
	buffer_load_dword v3, off, s[0:3], 0 offset:8
	;; [unrolled: 1-line block ×3, first 2 shown]
	s_mov_b32 s8, 0
	s_mov_b32 s5, 0
	s_mov_b32 s26, exec_lo
                                        ; implicit-def: $sgpr27
	s_waitcnt vmcnt(0)
	ds_write_b128 v44, v[1:4]
	s_waitcnt lgkmcnt(0)
	s_waitcnt_vscnt null, 0x0
	s_barrier
	buffer_gl0_inv
                                        ; implicit-def: $vgpr1_vgpr2
	v_cmpx_ne_u32_e32 0, v0
	s_cbranch_execz .LBB18_147
; %bb.140:
	ds_read_b128 v[1:4], v44
	s_andn2_b32 vcc_lo, exec_lo, s25
	s_cbranch_vccnz .LBB18_142
; %bb.141:
	s_clause 0x3
	buffer_load_dword v45, v43, s[0:3], 0 offen offset:8
	buffer_load_dword v46, v43, s[0:3], 0 offen offset:12
	buffer_load_dword v47, v43, s[0:3], 0 offen
	buffer_load_dword v48, v43, s[0:3], 0 offen offset:4
	s_waitcnt vmcnt(2) lgkmcnt(0)
	v_mul_f64 v[50:51], v[3:4], v[45:46]
	v_mul_f64 v[45:46], v[1:2], v[45:46]
	s_waitcnt vmcnt(0)
	v_fma_f64 v[1:2], v[1:2], v[47:48], -v[50:51]
	v_fma_f64 v[3:4], v[3:4], v[47:48], v[45:46]
.LBB18_142:
	s_and_saveexec_b32 s5, s4
	s_cbranch_execz .LBB18_146
; %bb.143:
	v_add_nc_u32_e32 v45, -1, v0
	s_movk_i32 s27, 0x140
	s_mov_b32 s4, 0
	s_mov_b32 s28, s24
	.p2align	6
.LBB18_144:                             ; =>This Inner Loop Header: Depth=1
	v_mov_b32_e32 v48, s28
	v_add_nc_u32_e32 v45, -1, v45
	s_add_i32 s28, s28, 16
	s_clause 0x3
	buffer_load_dword v46, v48, s[0:3], 0 offen offset:8
	buffer_load_dword v47, v48, s[0:3], 0 offen offset:12
	buffer_load_dword v54, v48, s[0:3], 0 offen
	buffer_load_dword v55, v48, s[0:3], 0 offen offset:4
	v_mov_b32_e32 v48, s27
	v_cmp_eq_u32_e32 vcc_lo, 0, v45
	s_add_i32 s27, s27, 16
	ds_read_b128 v[50:53], v48
	s_or_b32 s4, vcc_lo, s4
	s_waitcnt vmcnt(2) lgkmcnt(0)
	v_mul_f64 v[56:57], v[52:53], v[46:47]
	v_mul_f64 v[46:47], v[50:51], v[46:47]
	s_waitcnt vmcnt(0)
	v_fma_f64 v[50:51], v[50:51], v[54:55], -v[56:57]
	v_fma_f64 v[46:47], v[52:53], v[54:55], v[46:47]
	v_add_f64 v[1:2], v[1:2], v[50:51]
	v_add_f64 v[3:4], v[3:4], v[46:47]
	s_andn2_b32 exec_lo, exec_lo, s4
	s_cbranch_execnz .LBB18_144
; %bb.145:
	s_or_b32 exec_lo, exec_lo, s4
.LBB18_146:
	s_or_b32 exec_lo, exec_lo, s5
	v_mov_b32_e32 v45, 0
	s_mov_b32 s5, exec_lo
	s_or_b32 s27, 0, 8
	ds_read_b128 v[45:48], v45
	s_waitcnt lgkmcnt(0)
	v_mul_f64 v[50:51], v[3:4], v[47:48]
	v_mul_f64 v[47:48], v[1:2], v[47:48]
	v_fma_f64 v[50:51], v[1:2], v[45:46], -v[50:51]
	v_fma_f64 v[1:2], v[3:4], v[45:46], v[47:48]
	buffer_store_dword v51, off, s[0:3], 0 offset:4
	buffer_store_dword v50, off, s[0:3], 0
.LBB18_147:
	s_or_b32 exec_lo, exec_lo, s26
	s_and_b32 vcc_lo, exec_lo, s8
	s_cbranch_vccnz .LBB18_149
	s_branch .LBB18_288
.LBB18_148:
	s_mov_b32 s5, 0
                                        ; implicit-def: $vgpr1_vgpr2
                                        ; implicit-def: $sgpr27
	s_cbranch_execz .LBB18_288
.LBB18_149:
	v_mov_b32_e32 v4, s24
	v_cmp_eq_u32_e64 s4, 0, v0
	v_cndmask_b32_e64 v45, 0, 1, s25
	s_clause 0x3
	buffer_load_dword v1, v4, s[0:3], 0 offen
	buffer_load_dword v2, v4, s[0:3], 0 offen offset:4
	buffer_load_dword v3, v4, s[0:3], 0 offen offset:8
	;; [unrolled: 1-line block ×3, first 2 shown]
	s_waitcnt vmcnt(0)
	ds_write_b128 v44, v[1:4]
	s_waitcnt lgkmcnt(0)
	s_waitcnt_vscnt null, 0x0
	s_barrier
	buffer_gl0_inv
	s_and_saveexec_b32 s8, s4
	s_cbranch_execz .LBB18_153
; %bb.150:
	ds_read_b128 v[1:4], v44
	s_andn2_b32 vcc_lo, exec_lo, s25
	s_cbranch_vccnz .LBB18_152
; %bb.151:
	s_clause 0x3
	buffer_load_dword v46, v43, s[0:3], 0 offen offset:8
	buffer_load_dword v47, v43, s[0:3], 0 offen offset:12
	buffer_load_dword v50, v43, s[0:3], 0 offen
	buffer_load_dword v51, v43, s[0:3], 0 offen offset:4
	s_waitcnt vmcnt(2) lgkmcnt(0)
	v_mul_f64 v[52:53], v[3:4], v[46:47]
	v_mul_f64 v[46:47], v[1:2], v[46:47]
	s_waitcnt vmcnt(0)
	v_fma_f64 v[1:2], v[1:2], v[50:51], -v[52:53]
	v_fma_f64 v[3:4], v[3:4], v[50:51], v[46:47]
.LBB18_152:
	v_mov_b32_e32 v46, 0
	ds_read_b128 v[50:53], v46 offset:16
	s_waitcnt lgkmcnt(0)
	v_mul_f64 v[46:47], v[3:4], v[52:53]
	v_mul_f64 v[52:53], v[1:2], v[52:53]
	v_fma_f64 v[1:2], v[1:2], v[50:51], -v[46:47]
	v_fma_f64 v[3:4], v[3:4], v[50:51], v[52:53]
	buffer_store_dword v2, off, s[0:3], 0 offset:20
	buffer_store_dword v1, off, s[0:3], 0 offset:16
	;; [unrolled: 1-line block ×4, first 2 shown]
.LBB18_153:
	s_or_b32 exec_lo, exec_lo, s8
	v_mov_b32_e32 v4, s23
	s_mov_b32 s8, exec_lo
	s_clause 0x3
	buffer_load_dword v1, v4, s[0:3], 0 offen
	buffer_load_dword v2, v4, s[0:3], 0 offen offset:4
	buffer_load_dword v3, v4, s[0:3], 0 offen offset:8
	;; [unrolled: 1-line block ×3, first 2 shown]
	s_waitcnt vmcnt(0)
	ds_write_b128 v44, v[1:4]
	s_waitcnt lgkmcnt(0)
	s_waitcnt_vscnt null, 0x0
	s_barrier
	buffer_gl0_inv
	v_cmpx_gt_u32_e32 2, v0
	s_cbranch_execz .LBB18_159
; %bb.154:
	ds_read_b128 v[1:4], v44
	v_cmp_ne_u32_e32 vcc_lo, 1, v45
	s_cbranch_vccnz .LBB18_156
; %bb.155:
	s_clause 0x3
	buffer_load_dword v46, v43, s[0:3], 0 offen offset:8
	buffer_load_dword v47, v43, s[0:3], 0 offen offset:12
	buffer_load_dword v50, v43, s[0:3], 0 offen
	buffer_load_dword v51, v43, s[0:3], 0 offen offset:4
	s_waitcnt vmcnt(2) lgkmcnt(0)
	v_mul_f64 v[52:53], v[3:4], v[46:47]
	v_mul_f64 v[46:47], v[1:2], v[46:47]
	s_waitcnt vmcnt(0)
	v_fma_f64 v[1:2], v[1:2], v[50:51], -v[52:53]
	v_fma_f64 v[3:4], v[3:4], v[50:51], v[46:47]
.LBB18_156:
	s_and_saveexec_b32 s25, s4
	s_cbranch_execz .LBB18_158
; %bb.157:
	s_clause 0x3
	buffer_load_dword v46, off, s[0:3], 0 offset:24
	buffer_load_dword v47, off, s[0:3], 0 offset:28
	;; [unrolled: 1-line block ×4, first 2 shown]
	v_mov_b32_e32 v48, 0
	ds_read_b128 v[50:53], v48 offset:320
	s_waitcnt vmcnt(2) lgkmcnt(0)
	v_mul_f64 v[56:57], v[52:53], v[46:47]
	v_mul_f64 v[46:47], v[50:51], v[46:47]
	s_waitcnt vmcnt(0)
	v_fma_f64 v[50:51], v[50:51], v[54:55], -v[56:57]
	v_fma_f64 v[46:47], v[52:53], v[54:55], v[46:47]
	v_add_f64 v[1:2], v[1:2], v[50:51]
	v_add_f64 v[3:4], v[3:4], v[46:47]
.LBB18_158:
	s_or_b32 exec_lo, exec_lo, s25
	v_mov_b32_e32 v46, 0
	ds_read_b128 v[50:53], v46 offset:32
	s_waitcnt lgkmcnt(0)
	v_mul_f64 v[46:47], v[3:4], v[52:53]
	v_mul_f64 v[52:53], v[1:2], v[52:53]
	v_fma_f64 v[1:2], v[1:2], v[50:51], -v[46:47]
	v_fma_f64 v[3:4], v[3:4], v[50:51], v[52:53]
	buffer_store_dword v2, off, s[0:3], 0 offset:36
	buffer_store_dword v1, off, s[0:3], 0 offset:32
	;; [unrolled: 1-line block ×4, first 2 shown]
.LBB18_159:
	s_or_b32 exec_lo, exec_lo, s8
	v_mov_b32_e32 v4, s22
	s_mov_b32 s8, exec_lo
	s_clause 0x3
	buffer_load_dword v1, v4, s[0:3], 0 offen
	buffer_load_dword v2, v4, s[0:3], 0 offen offset:4
	buffer_load_dword v3, v4, s[0:3], 0 offen offset:8
	;; [unrolled: 1-line block ×3, first 2 shown]
	s_waitcnt vmcnt(0)
	ds_write_b128 v44, v[1:4]
	s_waitcnt lgkmcnt(0)
	s_waitcnt_vscnt null, 0x0
	s_barrier
	buffer_gl0_inv
	v_cmpx_gt_u32_e32 3, v0
	s_cbranch_execz .LBB18_167
; %bb.160:
	ds_read_b128 v[1:4], v44
	v_cmp_ne_u32_e32 vcc_lo, 1, v45
	s_cbranch_vccnz .LBB18_162
; %bb.161:
	s_clause 0x3
	buffer_load_dword v46, v43, s[0:3], 0 offen offset:8
	buffer_load_dword v47, v43, s[0:3], 0 offen offset:12
	buffer_load_dword v50, v43, s[0:3], 0 offen
	buffer_load_dword v51, v43, s[0:3], 0 offen offset:4
	s_waitcnt vmcnt(2) lgkmcnt(0)
	v_mul_f64 v[52:53], v[3:4], v[46:47]
	v_mul_f64 v[46:47], v[1:2], v[46:47]
	s_waitcnt vmcnt(0)
	v_fma_f64 v[1:2], v[1:2], v[50:51], -v[52:53]
	v_fma_f64 v[3:4], v[3:4], v[50:51], v[46:47]
.LBB18_162:
	s_mov_b32 s25, exec_lo
	v_cmpx_ne_u32_e32 2, v0
	s_cbranch_execz .LBB18_166
; %bb.163:
	s_clause 0x3
	buffer_load_dword v46, v43, s[0:3], 0 offen offset:24
	buffer_load_dword v47, v43, s[0:3], 0 offen offset:28
	;; [unrolled: 1-line block ×4, first 2 shown]
	ds_read_b128 v[50:53], v44 offset:16
	s_waitcnt vmcnt(2) lgkmcnt(0)
	v_mul_f64 v[56:57], v[52:53], v[46:47]
	v_mul_f64 v[46:47], v[50:51], v[46:47]
	s_waitcnt vmcnt(0)
	v_fma_f64 v[50:51], v[50:51], v[54:55], -v[56:57]
	v_fma_f64 v[46:47], v[52:53], v[54:55], v[46:47]
	v_add_f64 v[1:2], v[1:2], v[50:51]
	v_add_f64 v[3:4], v[3:4], v[46:47]
	s_and_saveexec_b32 s26, s4
	s_cbranch_execz .LBB18_165
; %bb.164:
	s_clause 0x3
	buffer_load_dword v46, off, s[0:3], 0 offset:40
	buffer_load_dword v47, off, s[0:3], 0 offset:44
	;; [unrolled: 1-line block ×4, first 2 shown]
	v_mov_b32_e32 v48, 0
	ds_read_b128 v[50:53], v48 offset:336
	s_waitcnt vmcnt(2) lgkmcnt(0)
	v_mul_f64 v[56:57], v[50:51], v[46:47]
	v_mul_f64 v[46:47], v[52:53], v[46:47]
	s_waitcnt vmcnt(0)
	v_fma_f64 v[52:53], v[52:53], v[54:55], v[56:57]
	v_fma_f64 v[46:47], v[50:51], v[54:55], -v[46:47]
	v_add_f64 v[3:4], v[3:4], v[52:53]
	v_add_f64 v[1:2], v[1:2], v[46:47]
.LBB18_165:
	s_or_b32 exec_lo, exec_lo, s26
.LBB18_166:
	s_or_b32 exec_lo, exec_lo, s25
	v_mov_b32_e32 v46, 0
	ds_read_b128 v[50:53], v46 offset:48
	s_waitcnt lgkmcnt(0)
	v_mul_f64 v[46:47], v[3:4], v[52:53]
	v_mul_f64 v[52:53], v[1:2], v[52:53]
	v_fma_f64 v[1:2], v[1:2], v[50:51], -v[46:47]
	v_fma_f64 v[3:4], v[3:4], v[50:51], v[52:53]
	buffer_store_dword v2, off, s[0:3], 0 offset:52
	buffer_store_dword v1, off, s[0:3], 0 offset:48
	;; [unrolled: 1-line block ×4, first 2 shown]
.LBB18_167:
	s_or_b32 exec_lo, exec_lo, s8
	v_mov_b32_e32 v4, s21
	s_mov_b32 s4, exec_lo
	s_clause 0x3
	buffer_load_dword v1, v4, s[0:3], 0 offen
	buffer_load_dword v2, v4, s[0:3], 0 offen offset:4
	buffer_load_dword v3, v4, s[0:3], 0 offen offset:8
	;; [unrolled: 1-line block ×3, first 2 shown]
	s_waitcnt vmcnt(0)
	ds_write_b128 v44, v[1:4]
	s_waitcnt lgkmcnt(0)
	s_waitcnt_vscnt null, 0x0
	s_barrier
	buffer_gl0_inv
	v_cmpx_gt_u32_e32 4, v0
	s_cbranch_execz .LBB18_175
; %bb.168:
	ds_read_b128 v[1:4], v44
	v_cmp_ne_u32_e32 vcc_lo, 1, v45
	s_cbranch_vccnz .LBB18_170
; %bb.169:
	s_clause 0x3
	buffer_load_dword v46, v43, s[0:3], 0 offen offset:8
	buffer_load_dword v47, v43, s[0:3], 0 offen offset:12
	buffer_load_dword v50, v43, s[0:3], 0 offen
	buffer_load_dword v51, v43, s[0:3], 0 offen offset:4
	s_waitcnt vmcnt(2) lgkmcnt(0)
	v_mul_f64 v[52:53], v[3:4], v[46:47]
	v_mul_f64 v[46:47], v[1:2], v[46:47]
	s_waitcnt vmcnt(0)
	v_fma_f64 v[1:2], v[1:2], v[50:51], -v[52:53]
	v_fma_f64 v[3:4], v[3:4], v[50:51], v[46:47]
.LBB18_170:
	s_mov_b32 s8, exec_lo
	v_cmpx_ne_u32_e32 3, v0
	s_cbranch_execz .LBB18_174
; %bb.171:
	v_add_nc_u32_e32 v46, 0x140, v49
	v_add3_u32 v47, 0, v49, 16
	v_mov_b32_e32 v48, v0
	s_mov_b32 s25, 0
	.p2align	6
.LBB18_172:                             ; =>This Inner Loop Header: Depth=1
	s_clause 0x3
	buffer_load_dword v54, v47, s[0:3], 0 offen offset:8
	buffer_load_dword v55, v47, s[0:3], 0 offen offset:12
	buffer_load_dword v56, v47, s[0:3], 0 offen
	buffer_load_dword v57, v47, s[0:3], 0 offen offset:4
	ds_read_b128 v[50:53], v46
	v_add_nc_u32_e32 v48, 1, v48
	v_add_nc_u32_e32 v46, 16, v46
	;; [unrolled: 1-line block ×3, first 2 shown]
	v_cmp_lt_u32_e32 vcc_lo, 2, v48
	s_or_b32 s25, vcc_lo, s25
	s_waitcnt vmcnt(2) lgkmcnt(0)
	v_mul_f64 v[58:59], v[52:53], v[54:55]
	v_mul_f64 v[54:55], v[50:51], v[54:55]
	s_waitcnt vmcnt(0)
	v_fma_f64 v[50:51], v[50:51], v[56:57], -v[58:59]
	v_fma_f64 v[52:53], v[52:53], v[56:57], v[54:55]
	v_add_f64 v[1:2], v[1:2], v[50:51]
	v_add_f64 v[3:4], v[3:4], v[52:53]
	s_andn2_b32 exec_lo, exec_lo, s25
	s_cbranch_execnz .LBB18_172
; %bb.173:
	s_or_b32 exec_lo, exec_lo, s25
.LBB18_174:
	s_or_b32 exec_lo, exec_lo, s8
	v_mov_b32_e32 v46, 0
	ds_read_b128 v[50:53], v46 offset:64
	s_waitcnt lgkmcnt(0)
	v_mul_f64 v[46:47], v[3:4], v[52:53]
	v_mul_f64 v[52:53], v[1:2], v[52:53]
	v_fma_f64 v[1:2], v[1:2], v[50:51], -v[46:47]
	v_fma_f64 v[3:4], v[3:4], v[50:51], v[52:53]
	buffer_store_dword v2, off, s[0:3], 0 offset:68
	buffer_store_dword v1, off, s[0:3], 0 offset:64
	;; [unrolled: 1-line block ×4, first 2 shown]
.LBB18_175:
	s_or_b32 exec_lo, exec_lo, s4
	v_mov_b32_e32 v4, s20
	s_mov_b32 s4, exec_lo
	s_clause 0x3
	buffer_load_dword v1, v4, s[0:3], 0 offen
	buffer_load_dword v2, v4, s[0:3], 0 offen offset:4
	buffer_load_dword v3, v4, s[0:3], 0 offen offset:8
	;; [unrolled: 1-line block ×3, first 2 shown]
	s_waitcnt vmcnt(0)
	ds_write_b128 v44, v[1:4]
	s_waitcnt lgkmcnt(0)
	s_waitcnt_vscnt null, 0x0
	s_barrier
	buffer_gl0_inv
	v_cmpx_gt_u32_e32 5, v0
	s_cbranch_execz .LBB18_183
; %bb.176:
	ds_read_b128 v[1:4], v44
	v_cmp_ne_u32_e32 vcc_lo, 1, v45
	s_cbranch_vccnz .LBB18_178
; %bb.177:
	s_clause 0x3
	buffer_load_dword v46, v43, s[0:3], 0 offen offset:8
	buffer_load_dword v47, v43, s[0:3], 0 offen offset:12
	buffer_load_dword v50, v43, s[0:3], 0 offen
	buffer_load_dword v51, v43, s[0:3], 0 offen offset:4
	s_waitcnt vmcnt(2) lgkmcnt(0)
	v_mul_f64 v[52:53], v[3:4], v[46:47]
	v_mul_f64 v[46:47], v[1:2], v[46:47]
	s_waitcnt vmcnt(0)
	v_fma_f64 v[1:2], v[1:2], v[50:51], -v[52:53]
	v_fma_f64 v[3:4], v[3:4], v[50:51], v[46:47]
.LBB18_178:
	s_mov_b32 s8, exec_lo
	v_cmpx_ne_u32_e32 4, v0
	s_cbranch_execz .LBB18_182
; %bb.179:
	v_add_nc_u32_e32 v46, 0x140, v49
	v_add3_u32 v47, 0, v49, 16
	v_mov_b32_e32 v48, v0
	s_mov_b32 s25, 0
	.p2align	6
.LBB18_180:                             ; =>This Inner Loop Header: Depth=1
	s_clause 0x3
	buffer_load_dword v54, v47, s[0:3], 0 offen offset:8
	buffer_load_dword v55, v47, s[0:3], 0 offen offset:12
	buffer_load_dword v56, v47, s[0:3], 0 offen
	buffer_load_dword v57, v47, s[0:3], 0 offen offset:4
	ds_read_b128 v[50:53], v46
	v_add_nc_u32_e32 v48, 1, v48
	v_add_nc_u32_e32 v46, 16, v46
	;; [unrolled: 1-line block ×3, first 2 shown]
	v_cmp_lt_u32_e32 vcc_lo, 3, v48
	s_or_b32 s25, vcc_lo, s25
	s_waitcnt vmcnt(2) lgkmcnt(0)
	v_mul_f64 v[58:59], v[52:53], v[54:55]
	v_mul_f64 v[54:55], v[50:51], v[54:55]
	s_waitcnt vmcnt(0)
	v_fma_f64 v[50:51], v[50:51], v[56:57], -v[58:59]
	v_fma_f64 v[52:53], v[52:53], v[56:57], v[54:55]
	v_add_f64 v[1:2], v[1:2], v[50:51]
	v_add_f64 v[3:4], v[3:4], v[52:53]
	s_andn2_b32 exec_lo, exec_lo, s25
	s_cbranch_execnz .LBB18_180
; %bb.181:
	s_or_b32 exec_lo, exec_lo, s25
.LBB18_182:
	s_or_b32 exec_lo, exec_lo, s8
	v_mov_b32_e32 v46, 0
	ds_read_b128 v[50:53], v46 offset:80
	s_waitcnt lgkmcnt(0)
	v_mul_f64 v[46:47], v[3:4], v[52:53]
	v_mul_f64 v[52:53], v[1:2], v[52:53]
	v_fma_f64 v[1:2], v[1:2], v[50:51], -v[46:47]
	v_fma_f64 v[3:4], v[3:4], v[50:51], v[52:53]
	buffer_store_dword v2, off, s[0:3], 0 offset:84
	buffer_store_dword v1, off, s[0:3], 0 offset:80
	;; [unrolled: 1-line block ×4, first 2 shown]
.LBB18_183:
	s_or_b32 exec_lo, exec_lo, s4
	v_mov_b32_e32 v4, s19
	s_mov_b32 s4, exec_lo
	s_clause 0x3
	buffer_load_dword v1, v4, s[0:3], 0 offen
	buffer_load_dword v2, v4, s[0:3], 0 offen offset:4
	buffer_load_dword v3, v4, s[0:3], 0 offen offset:8
	;; [unrolled: 1-line block ×3, first 2 shown]
	s_waitcnt vmcnt(0)
	ds_write_b128 v44, v[1:4]
	s_waitcnt lgkmcnt(0)
	s_waitcnt_vscnt null, 0x0
	s_barrier
	buffer_gl0_inv
	v_cmpx_gt_u32_e32 6, v0
	s_cbranch_execz .LBB18_191
; %bb.184:
	ds_read_b128 v[1:4], v44
	v_cmp_ne_u32_e32 vcc_lo, 1, v45
	s_cbranch_vccnz .LBB18_186
; %bb.185:
	s_clause 0x3
	buffer_load_dword v46, v43, s[0:3], 0 offen offset:8
	buffer_load_dword v47, v43, s[0:3], 0 offen offset:12
	buffer_load_dword v50, v43, s[0:3], 0 offen
	buffer_load_dword v51, v43, s[0:3], 0 offen offset:4
	s_waitcnt vmcnt(2) lgkmcnt(0)
	v_mul_f64 v[52:53], v[3:4], v[46:47]
	v_mul_f64 v[46:47], v[1:2], v[46:47]
	s_waitcnt vmcnt(0)
	v_fma_f64 v[1:2], v[1:2], v[50:51], -v[52:53]
	v_fma_f64 v[3:4], v[3:4], v[50:51], v[46:47]
.LBB18_186:
	s_mov_b32 s8, exec_lo
	v_cmpx_ne_u32_e32 5, v0
	s_cbranch_execz .LBB18_190
; %bb.187:
	v_add_nc_u32_e32 v46, 0x140, v49
	v_add3_u32 v47, 0, v49, 16
	v_mov_b32_e32 v48, v0
	s_mov_b32 s25, 0
	.p2align	6
.LBB18_188:                             ; =>This Inner Loop Header: Depth=1
	s_clause 0x3
	buffer_load_dword v54, v47, s[0:3], 0 offen offset:8
	buffer_load_dword v55, v47, s[0:3], 0 offen offset:12
	buffer_load_dword v56, v47, s[0:3], 0 offen
	buffer_load_dword v57, v47, s[0:3], 0 offen offset:4
	ds_read_b128 v[50:53], v46
	v_add_nc_u32_e32 v48, 1, v48
	v_add_nc_u32_e32 v46, 16, v46
	;; [unrolled: 1-line block ×3, first 2 shown]
	v_cmp_lt_u32_e32 vcc_lo, 4, v48
	s_or_b32 s25, vcc_lo, s25
	s_waitcnt vmcnt(2) lgkmcnt(0)
	v_mul_f64 v[58:59], v[52:53], v[54:55]
	v_mul_f64 v[54:55], v[50:51], v[54:55]
	s_waitcnt vmcnt(0)
	v_fma_f64 v[50:51], v[50:51], v[56:57], -v[58:59]
	v_fma_f64 v[52:53], v[52:53], v[56:57], v[54:55]
	v_add_f64 v[1:2], v[1:2], v[50:51]
	v_add_f64 v[3:4], v[3:4], v[52:53]
	s_andn2_b32 exec_lo, exec_lo, s25
	s_cbranch_execnz .LBB18_188
; %bb.189:
	s_or_b32 exec_lo, exec_lo, s25
.LBB18_190:
	s_or_b32 exec_lo, exec_lo, s8
	v_mov_b32_e32 v46, 0
	ds_read_b128 v[50:53], v46 offset:96
	s_waitcnt lgkmcnt(0)
	v_mul_f64 v[46:47], v[3:4], v[52:53]
	v_mul_f64 v[52:53], v[1:2], v[52:53]
	v_fma_f64 v[1:2], v[1:2], v[50:51], -v[46:47]
	v_fma_f64 v[3:4], v[3:4], v[50:51], v[52:53]
	buffer_store_dword v2, off, s[0:3], 0 offset:100
	buffer_store_dword v1, off, s[0:3], 0 offset:96
	;; [unrolled: 1-line block ×4, first 2 shown]
.LBB18_191:
	s_or_b32 exec_lo, exec_lo, s4
	v_mov_b32_e32 v4, s18
	s_mov_b32 s4, exec_lo
	s_clause 0x3
	buffer_load_dword v1, v4, s[0:3], 0 offen
	buffer_load_dword v2, v4, s[0:3], 0 offen offset:4
	buffer_load_dword v3, v4, s[0:3], 0 offen offset:8
	;; [unrolled: 1-line block ×3, first 2 shown]
	s_waitcnt vmcnt(0)
	ds_write_b128 v44, v[1:4]
	s_waitcnt lgkmcnt(0)
	s_waitcnt_vscnt null, 0x0
	s_barrier
	buffer_gl0_inv
	v_cmpx_gt_u32_e32 7, v0
	s_cbranch_execz .LBB18_199
; %bb.192:
	ds_read_b128 v[1:4], v44
	v_cmp_ne_u32_e32 vcc_lo, 1, v45
	s_cbranch_vccnz .LBB18_194
; %bb.193:
	s_clause 0x3
	buffer_load_dword v46, v43, s[0:3], 0 offen offset:8
	buffer_load_dword v47, v43, s[0:3], 0 offen offset:12
	buffer_load_dword v50, v43, s[0:3], 0 offen
	buffer_load_dword v51, v43, s[0:3], 0 offen offset:4
	s_waitcnt vmcnt(2) lgkmcnt(0)
	v_mul_f64 v[52:53], v[3:4], v[46:47]
	v_mul_f64 v[46:47], v[1:2], v[46:47]
	s_waitcnt vmcnt(0)
	v_fma_f64 v[1:2], v[1:2], v[50:51], -v[52:53]
	v_fma_f64 v[3:4], v[3:4], v[50:51], v[46:47]
.LBB18_194:
	s_mov_b32 s8, exec_lo
	v_cmpx_ne_u32_e32 6, v0
	s_cbranch_execz .LBB18_198
; %bb.195:
	v_add_nc_u32_e32 v46, 0x140, v49
	v_add3_u32 v47, 0, v49, 16
	v_mov_b32_e32 v48, v0
	s_mov_b32 s25, 0
	.p2align	6
.LBB18_196:                             ; =>This Inner Loop Header: Depth=1
	s_clause 0x3
	buffer_load_dword v54, v47, s[0:3], 0 offen offset:8
	buffer_load_dword v55, v47, s[0:3], 0 offen offset:12
	buffer_load_dword v56, v47, s[0:3], 0 offen
	buffer_load_dword v57, v47, s[0:3], 0 offen offset:4
	ds_read_b128 v[50:53], v46
	v_add_nc_u32_e32 v48, 1, v48
	v_add_nc_u32_e32 v46, 16, v46
	;; [unrolled: 1-line block ×3, first 2 shown]
	v_cmp_lt_u32_e32 vcc_lo, 5, v48
	s_or_b32 s25, vcc_lo, s25
	s_waitcnt vmcnt(2) lgkmcnt(0)
	v_mul_f64 v[58:59], v[52:53], v[54:55]
	v_mul_f64 v[54:55], v[50:51], v[54:55]
	s_waitcnt vmcnt(0)
	v_fma_f64 v[50:51], v[50:51], v[56:57], -v[58:59]
	v_fma_f64 v[52:53], v[52:53], v[56:57], v[54:55]
	v_add_f64 v[1:2], v[1:2], v[50:51]
	v_add_f64 v[3:4], v[3:4], v[52:53]
	s_andn2_b32 exec_lo, exec_lo, s25
	s_cbranch_execnz .LBB18_196
; %bb.197:
	s_or_b32 exec_lo, exec_lo, s25
.LBB18_198:
	s_or_b32 exec_lo, exec_lo, s8
	v_mov_b32_e32 v46, 0
	ds_read_b128 v[50:53], v46 offset:112
	s_waitcnt lgkmcnt(0)
	v_mul_f64 v[46:47], v[3:4], v[52:53]
	v_mul_f64 v[52:53], v[1:2], v[52:53]
	v_fma_f64 v[1:2], v[1:2], v[50:51], -v[46:47]
	v_fma_f64 v[3:4], v[3:4], v[50:51], v[52:53]
	buffer_store_dword v2, off, s[0:3], 0 offset:116
	buffer_store_dword v1, off, s[0:3], 0 offset:112
	;; [unrolled: 1-line block ×4, first 2 shown]
.LBB18_199:
	s_or_b32 exec_lo, exec_lo, s4
	v_mov_b32_e32 v4, s17
	s_mov_b32 s4, exec_lo
	s_clause 0x3
	buffer_load_dword v1, v4, s[0:3], 0 offen
	buffer_load_dword v2, v4, s[0:3], 0 offen offset:4
	buffer_load_dword v3, v4, s[0:3], 0 offen offset:8
	;; [unrolled: 1-line block ×3, first 2 shown]
	s_waitcnt vmcnt(0)
	ds_write_b128 v44, v[1:4]
	s_waitcnt lgkmcnt(0)
	s_waitcnt_vscnt null, 0x0
	s_barrier
	buffer_gl0_inv
	v_cmpx_gt_u32_e32 8, v0
	s_cbranch_execz .LBB18_207
; %bb.200:
	ds_read_b128 v[1:4], v44
	v_cmp_ne_u32_e32 vcc_lo, 1, v45
	s_cbranch_vccnz .LBB18_202
; %bb.201:
	s_clause 0x3
	buffer_load_dword v46, v43, s[0:3], 0 offen offset:8
	buffer_load_dword v47, v43, s[0:3], 0 offen offset:12
	buffer_load_dword v50, v43, s[0:3], 0 offen
	buffer_load_dword v51, v43, s[0:3], 0 offen offset:4
	s_waitcnt vmcnt(2) lgkmcnt(0)
	v_mul_f64 v[52:53], v[3:4], v[46:47]
	v_mul_f64 v[46:47], v[1:2], v[46:47]
	s_waitcnt vmcnt(0)
	v_fma_f64 v[1:2], v[1:2], v[50:51], -v[52:53]
	v_fma_f64 v[3:4], v[3:4], v[50:51], v[46:47]
.LBB18_202:
	s_mov_b32 s8, exec_lo
	v_cmpx_ne_u32_e32 7, v0
	s_cbranch_execz .LBB18_206
; %bb.203:
	v_add_nc_u32_e32 v46, 0x140, v49
	v_add3_u32 v47, 0, v49, 16
	v_mov_b32_e32 v48, v0
	s_mov_b32 s25, 0
	.p2align	6
.LBB18_204:                             ; =>This Inner Loop Header: Depth=1
	s_clause 0x3
	buffer_load_dword v54, v47, s[0:3], 0 offen offset:8
	buffer_load_dword v55, v47, s[0:3], 0 offen offset:12
	buffer_load_dword v56, v47, s[0:3], 0 offen
	buffer_load_dword v57, v47, s[0:3], 0 offen offset:4
	ds_read_b128 v[50:53], v46
	v_add_nc_u32_e32 v48, 1, v48
	v_add_nc_u32_e32 v46, 16, v46
	;; [unrolled: 1-line block ×3, first 2 shown]
	v_cmp_lt_u32_e32 vcc_lo, 6, v48
	s_or_b32 s25, vcc_lo, s25
	s_waitcnt vmcnt(2) lgkmcnt(0)
	v_mul_f64 v[58:59], v[52:53], v[54:55]
	v_mul_f64 v[54:55], v[50:51], v[54:55]
	s_waitcnt vmcnt(0)
	v_fma_f64 v[50:51], v[50:51], v[56:57], -v[58:59]
	v_fma_f64 v[52:53], v[52:53], v[56:57], v[54:55]
	v_add_f64 v[1:2], v[1:2], v[50:51]
	v_add_f64 v[3:4], v[3:4], v[52:53]
	s_andn2_b32 exec_lo, exec_lo, s25
	s_cbranch_execnz .LBB18_204
; %bb.205:
	s_or_b32 exec_lo, exec_lo, s25
.LBB18_206:
	s_or_b32 exec_lo, exec_lo, s8
	v_mov_b32_e32 v46, 0
	ds_read_b128 v[50:53], v46 offset:128
	s_waitcnt lgkmcnt(0)
	v_mul_f64 v[46:47], v[3:4], v[52:53]
	v_mul_f64 v[52:53], v[1:2], v[52:53]
	v_fma_f64 v[1:2], v[1:2], v[50:51], -v[46:47]
	v_fma_f64 v[3:4], v[3:4], v[50:51], v[52:53]
	buffer_store_dword v2, off, s[0:3], 0 offset:132
	buffer_store_dword v1, off, s[0:3], 0 offset:128
	;; [unrolled: 1-line block ×4, first 2 shown]
.LBB18_207:
	s_or_b32 exec_lo, exec_lo, s4
	v_mov_b32_e32 v4, s16
	s_mov_b32 s4, exec_lo
	s_clause 0x3
	buffer_load_dword v1, v4, s[0:3], 0 offen
	buffer_load_dword v2, v4, s[0:3], 0 offen offset:4
	buffer_load_dword v3, v4, s[0:3], 0 offen offset:8
	;; [unrolled: 1-line block ×3, first 2 shown]
	s_waitcnt vmcnt(0)
	ds_write_b128 v44, v[1:4]
	s_waitcnt lgkmcnt(0)
	s_waitcnt_vscnt null, 0x0
	s_barrier
	buffer_gl0_inv
	v_cmpx_gt_u32_e32 9, v0
	s_cbranch_execz .LBB18_215
; %bb.208:
	ds_read_b128 v[1:4], v44
	v_cmp_ne_u32_e32 vcc_lo, 1, v45
	s_cbranch_vccnz .LBB18_210
; %bb.209:
	s_clause 0x3
	buffer_load_dword v46, v43, s[0:3], 0 offen offset:8
	buffer_load_dword v47, v43, s[0:3], 0 offen offset:12
	buffer_load_dword v50, v43, s[0:3], 0 offen
	buffer_load_dword v51, v43, s[0:3], 0 offen offset:4
	s_waitcnt vmcnt(2) lgkmcnt(0)
	v_mul_f64 v[52:53], v[3:4], v[46:47]
	v_mul_f64 v[46:47], v[1:2], v[46:47]
	s_waitcnt vmcnt(0)
	v_fma_f64 v[1:2], v[1:2], v[50:51], -v[52:53]
	v_fma_f64 v[3:4], v[3:4], v[50:51], v[46:47]
.LBB18_210:
	s_mov_b32 s8, exec_lo
	v_cmpx_ne_u32_e32 8, v0
	s_cbranch_execz .LBB18_214
; %bb.211:
	v_add_nc_u32_e32 v46, 0x140, v49
	v_add3_u32 v47, 0, v49, 16
	v_mov_b32_e32 v48, v0
	s_mov_b32 s25, 0
	.p2align	6
.LBB18_212:                             ; =>This Inner Loop Header: Depth=1
	s_clause 0x3
	buffer_load_dword v54, v47, s[0:3], 0 offen offset:8
	buffer_load_dword v55, v47, s[0:3], 0 offen offset:12
	buffer_load_dword v56, v47, s[0:3], 0 offen
	buffer_load_dword v57, v47, s[0:3], 0 offen offset:4
	ds_read_b128 v[50:53], v46
	v_add_nc_u32_e32 v48, 1, v48
	v_add_nc_u32_e32 v46, 16, v46
	;; [unrolled: 1-line block ×3, first 2 shown]
	v_cmp_lt_u32_e32 vcc_lo, 7, v48
	s_or_b32 s25, vcc_lo, s25
	s_waitcnt vmcnt(2) lgkmcnt(0)
	v_mul_f64 v[58:59], v[52:53], v[54:55]
	v_mul_f64 v[54:55], v[50:51], v[54:55]
	s_waitcnt vmcnt(0)
	v_fma_f64 v[50:51], v[50:51], v[56:57], -v[58:59]
	v_fma_f64 v[52:53], v[52:53], v[56:57], v[54:55]
	v_add_f64 v[1:2], v[1:2], v[50:51]
	v_add_f64 v[3:4], v[3:4], v[52:53]
	s_andn2_b32 exec_lo, exec_lo, s25
	s_cbranch_execnz .LBB18_212
; %bb.213:
	s_or_b32 exec_lo, exec_lo, s25
.LBB18_214:
	s_or_b32 exec_lo, exec_lo, s8
	v_mov_b32_e32 v46, 0
	ds_read_b128 v[50:53], v46 offset:144
	s_waitcnt lgkmcnt(0)
	v_mul_f64 v[46:47], v[3:4], v[52:53]
	v_mul_f64 v[52:53], v[1:2], v[52:53]
	v_fma_f64 v[1:2], v[1:2], v[50:51], -v[46:47]
	v_fma_f64 v[3:4], v[3:4], v[50:51], v[52:53]
	buffer_store_dword v2, off, s[0:3], 0 offset:148
	buffer_store_dword v1, off, s[0:3], 0 offset:144
	;; [unrolled: 1-line block ×4, first 2 shown]
.LBB18_215:
	s_or_b32 exec_lo, exec_lo, s4
	v_mov_b32_e32 v4, s15
	s_mov_b32 s4, exec_lo
	s_clause 0x3
	buffer_load_dword v1, v4, s[0:3], 0 offen
	buffer_load_dword v2, v4, s[0:3], 0 offen offset:4
	buffer_load_dword v3, v4, s[0:3], 0 offen offset:8
	;; [unrolled: 1-line block ×3, first 2 shown]
	s_waitcnt vmcnt(0)
	ds_write_b128 v44, v[1:4]
	s_waitcnt lgkmcnt(0)
	s_waitcnt_vscnt null, 0x0
	s_barrier
	buffer_gl0_inv
	v_cmpx_gt_u32_e32 10, v0
	s_cbranch_execz .LBB18_223
; %bb.216:
	ds_read_b128 v[1:4], v44
	v_cmp_ne_u32_e32 vcc_lo, 1, v45
	s_cbranch_vccnz .LBB18_218
; %bb.217:
	s_clause 0x3
	buffer_load_dword v46, v43, s[0:3], 0 offen offset:8
	buffer_load_dword v47, v43, s[0:3], 0 offen offset:12
	buffer_load_dword v50, v43, s[0:3], 0 offen
	buffer_load_dword v51, v43, s[0:3], 0 offen offset:4
	s_waitcnt vmcnt(2) lgkmcnt(0)
	v_mul_f64 v[52:53], v[3:4], v[46:47]
	v_mul_f64 v[46:47], v[1:2], v[46:47]
	s_waitcnt vmcnt(0)
	v_fma_f64 v[1:2], v[1:2], v[50:51], -v[52:53]
	v_fma_f64 v[3:4], v[3:4], v[50:51], v[46:47]
.LBB18_218:
	s_mov_b32 s8, exec_lo
	v_cmpx_ne_u32_e32 9, v0
	s_cbranch_execz .LBB18_222
; %bb.219:
	v_add_nc_u32_e32 v46, 0x140, v49
	v_add3_u32 v47, 0, v49, 16
	v_mov_b32_e32 v48, v0
	s_mov_b32 s25, 0
	.p2align	6
.LBB18_220:                             ; =>This Inner Loop Header: Depth=1
	s_clause 0x3
	buffer_load_dword v54, v47, s[0:3], 0 offen offset:8
	buffer_load_dword v55, v47, s[0:3], 0 offen offset:12
	buffer_load_dword v56, v47, s[0:3], 0 offen
	buffer_load_dword v57, v47, s[0:3], 0 offen offset:4
	ds_read_b128 v[50:53], v46
	v_add_nc_u32_e32 v48, 1, v48
	v_add_nc_u32_e32 v46, 16, v46
	;; [unrolled: 1-line block ×3, first 2 shown]
	v_cmp_lt_u32_e32 vcc_lo, 8, v48
	s_or_b32 s25, vcc_lo, s25
	s_waitcnt vmcnt(2) lgkmcnt(0)
	v_mul_f64 v[58:59], v[52:53], v[54:55]
	v_mul_f64 v[54:55], v[50:51], v[54:55]
	s_waitcnt vmcnt(0)
	v_fma_f64 v[50:51], v[50:51], v[56:57], -v[58:59]
	v_fma_f64 v[52:53], v[52:53], v[56:57], v[54:55]
	v_add_f64 v[1:2], v[1:2], v[50:51]
	v_add_f64 v[3:4], v[3:4], v[52:53]
	s_andn2_b32 exec_lo, exec_lo, s25
	s_cbranch_execnz .LBB18_220
; %bb.221:
	s_or_b32 exec_lo, exec_lo, s25
.LBB18_222:
	s_or_b32 exec_lo, exec_lo, s8
	v_mov_b32_e32 v46, 0
	ds_read_b128 v[50:53], v46 offset:160
	s_waitcnt lgkmcnt(0)
	v_mul_f64 v[46:47], v[3:4], v[52:53]
	v_mul_f64 v[52:53], v[1:2], v[52:53]
	v_fma_f64 v[1:2], v[1:2], v[50:51], -v[46:47]
	v_fma_f64 v[3:4], v[3:4], v[50:51], v[52:53]
	buffer_store_dword v2, off, s[0:3], 0 offset:164
	buffer_store_dword v1, off, s[0:3], 0 offset:160
	buffer_store_dword v4, off, s[0:3], 0 offset:172
	buffer_store_dword v3, off, s[0:3], 0 offset:168
.LBB18_223:
	s_or_b32 exec_lo, exec_lo, s4
	v_mov_b32_e32 v4, s14
	s_mov_b32 s4, exec_lo
	s_clause 0x3
	buffer_load_dword v1, v4, s[0:3], 0 offen
	buffer_load_dword v2, v4, s[0:3], 0 offen offset:4
	buffer_load_dword v3, v4, s[0:3], 0 offen offset:8
	;; [unrolled: 1-line block ×3, first 2 shown]
	s_waitcnt vmcnt(0)
	ds_write_b128 v44, v[1:4]
	s_waitcnt lgkmcnt(0)
	s_waitcnt_vscnt null, 0x0
	s_barrier
	buffer_gl0_inv
	v_cmpx_gt_u32_e32 11, v0
	s_cbranch_execz .LBB18_231
; %bb.224:
	ds_read_b128 v[1:4], v44
	v_cmp_ne_u32_e32 vcc_lo, 1, v45
	s_cbranch_vccnz .LBB18_226
; %bb.225:
	s_clause 0x3
	buffer_load_dword v46, v43, s[0:3], 0 offen offset:8
	buffer_load_dword v47, v43, s[0:3], 0 offen offset:12
	buffer_load_dword v50, v43, s[0:3], 0 offen
	buffer_load_dword v51, v43, s[0:3], 0 offen offset:4
	s_waitcnt vmcnt(2) lgkmcnt(0)
	v_mul_f64 v[52:53], v[3:4], v[46:47]
	v_mul_f64 v[46:47], v[1:2], v[46:47]
	s_waitcnt vmcnt(0)
	v_fma_f64 v[1:2], v[1:2], v[50:51], -v[52:53]
	v_fma_f64 v[3:4], v[3:4], v[50:51], v[46:47]
.LBB18_226:
	s_mov_b32 s8, exec_lo
	v_cmpx_ne_u32_e32 10, v0
	s_cbranch_execz .LBB18_230
; %bb.227:
	v_add_nc_u32_e32 v46, 0x140, v49
	v_add3_u32 v47, 0, v49, 16
	v_mov_b32_e32 v48, v0
	s_mov_b32 s25, 0
	.p2align	6
.LBB18_228:                             ; =>This Inner Loop Header: Depth=1
	s_clause 0x3
	buffer_load_dword v54, v47, s[0:3], 0 offen offset:8
	buffer_load_dword v55, v47, s[0:3], 0 offen offset:12
	buffer_load_dword v56, v47, s[0:3], 0 offen
	buffer_load_dword v57, v47, s[0:3], 0 offen offset:4
	ds_read_b128 v[50:53], v46
	v_add_nc_u32_e32 v48, 1, v48
	v_add_nc_u32_e32 v46, 16, v46
	;; [unrolled: 1-line block ×3, first 2 shown]
	v_cmp_lt_u32_e32 vcc_lo, 9, v48
	s_or_b32 s25, vcc_lo, s25
	s_waitcnt vmcnt(2) lgkmcnt(0)
	v_mul_f64 v[58:59], v[52:53], v[54:55]
	v_mul_f64 v[54:55], v[50:51], v[54:55]
	s_waitcnt vmcnt(0)
	v_fma_f64 v[50:51], v[50:51], v[56:57], -v[58:59]
	v_fma_f64 v[52:53], v[52:53], v[56:57], v[54:55]
	v_add_f64 v[1:2], v[1:2], v[50:51]
	v_add_f64 v[3:4], v[3:4], v[52:53]
	s_andn2_b32 exec_lo, exec_lo, s25
	s_cbranch_execnz .LBB18_228
; %bb.229:
	s_or_b32 exec_lo, exec_lo, s25
.LBB18_230:
	s_or_b32 exec_lo, exec_lo, s8
	v_mov_b32_e32 v46, 0
	ds_read_b128 v[50:53], v46 offset:176
	s_waitcnt lgkmcnt(0)
	v_mul_f64 v[46:47], v[3:4], v[52:53]
	v_mul_f64 v[52:53], v[1:2], v[52:53]
	v_fma_f64 v[1:2], v[1:2], v[50:51], -v[46:47]
	v_fma_f64 v[3:4], v[3:4], v[50:51], v[52:53]
	buffer_store_dword v2, off, s[0:3], 0 offset:180
	buffer_store_dword v1, off, s[0:3], 0 offset:176
	;; [unrolled: 1-line block ×4, first 2 shown]
.LBB18_231:
	s_or_b32 exec_lo, exec_lo, s4
	v_mov_b32_e32 v4, s13
	s_mov_b32 s4, exec_lo
	s_clause 0x3
	buffer_load_dword v1, v4, s[0:3], 0 offen
	buffer_load_dword v2, v4, s[0:3], 0 offen offset:4
	buffer_load_dword v3, v4, s[0:3], 0 offen offset:8
	;; [unrolled: 1-line block ×3, first 2 shown]
	s_waitcnt vmcnt(0)
	ds_write_b128 v44, v[1:4]
	s_waitcnt lgkmcnt(0)
	s_waitcnt_vscnt null, 0x0
	s_barrier
	buffer_gl0_inv
	v_cmpx_gt_u32_e32 12, v0
	s_cbranch_execz .LBB18_239
; %bb.232:
	ds_read_b128 v[1:4], v44
	v_cmp_ne_u32_e32 vcc_lo, 1, v45
	s_cbranch_vccnz .LBB18_234
; %bb.233:
	s_clause 0x3
	buffer_load_dword v46, v43, s[0:3], 0 offen offset:8
	buffer_load_dword v47, v43, s[0:3], 0 offen offset:12
	buffer_load_dword v50, v43, s[0:3], 0 offen
	buffer_load_dword v51, v43, s[0:3], 0 offen offset:4
	s_waitcnt vmcnt(2) lgkmcnt(0)
	v_mul_f64 v[52:53], v[3:4], v[46:47]
	v_mul_f64 v[46:47], v[1:2], v[46:47]
	s_waitcnt vmcnt(0)
	v_fma_f64 v[1:2], v[1:2], v[50:51], -v[52:53]
	v_fma_f64 v[3:4], v[3:4], v[50:51], v[46:47]
.LBB18_234:
	s_mov_b32 s8, exec_lo
	v_cmpx_ne_u32_e32 11, v0
	s_cbranch_execz .LBB18_238
; %bb.235:
	v_add_nc_u32_e32 v46, 0x140, v49
	v_add3_u32 v47, 0, v49, 16
	v_mov_b32_e32 v48, v0
	s_mov_b32 s25, 0
	.p2align	6
.LBB18_236:                             ; =>This Inner Loop Header: Depth=1
	s_clause 0x3
	buffer_load_dword v54, v47, s[0:3], 0 offen offset:8
	buffer_load_dword v55, v47, s[0:3], 0 offen offset:12
	buffer_load_dword v56, v47, s[0:3], 0 offen
	buffer_load_dword v57, v47, s[0:3], 0 offen offset:4
	ds_read_b128 v[50:53], v46
	v_add_nc_u32_e32 v48, 1, v48
	v_add_nc_u32_e32 v46, 16, v46
	;; [unrolled: 1-line block ×3, first 2 shown]
	v_cmp_lt_u32_e32 vcc_lo, 10, v48
	s_or_b32 s25, vcc_lo, s25
	s_waitcnt vmcnt(2) lgkmcnt(0)
	v_mul_f64 v[58:59], v[52:53], v[54:55]
	v_mul_f64 v[54:55], v[50:51], v[54:55]
	s_waitcnt vmcnt(0)
	v_fma_f64 v[50:51], v[50:51], v[56:57], -v[58:59]
	v_fma_f64 v[52:53], v[52:53], v[56:57], v[54:55]
	v_add_f64 v[1:2], v[1:2], v[50:51]
	v_add_f64 v[3:4], v[3:4], v[52:53]
	s_andn2_b32 exec_lo, exec_lo, s25
	s_cbranch_execnz .LBB18_236
; %bb.237:
	s_or_b32 exec_lo, exec_lo, s25
.LBB18_238:
	s_or_b32 exec_lo, exec_lo, s8
	v_mov_b32_e32 v46, 0
	ds_read_b128 v[50:53], v46 offset:192
	s_waitcnt lgkmcnt(0)
	v_mul_f64 v[46:47], v[3:4], v[52:53]
	v_mul_f64 v[52:53], v[1:2], v[52:53]
	v_fma_f64 v[1:2], v[1:2], v[50:51], -v[46:47]
	v_fma_f64 v[3:4], v[3:4], v[50:51], v[52:53]
	buffer_store_dword v2, off, s[0:3], 0 offset:196
	buffer_store_dword v1, off, s[0:3], 0 offset:192
	;; [unrolled: 1-line block ×4, first 2 shown]
.LBB18_239:
	s_or_b32 exec_lo, exec_lo, s4
	v_mov_b32_e32 v4, s12
	s_mov_b32 s4, exec_lo
	s_clause 0x3
	buffer_load_dword v1, v4, s[0:3], 0 offen
	buffer_load_dword v2, v4, s[0:3], 0 offen offset:4
	buffer_load_dword v3, v4, s[0:3], 0 offen offset:8
	;; [unrolled: 1-line block ×3, first 2 shown]
	s_waitcnt vmcnt(0)
	ds_write_b128 v44, v[1:4]
	s_waitcnt lgkmcnt(0)
	s_waitcnt_vscnt null, 0x0
	s_barrier
	buffer_gl0_inv
	v_cmpx_gt_u32_e32 13, v0
	s_cbranch_execz .LBB18_247
; %bb.240:
	ds_read_b128 v[1:4], v44
	v_cmp_ne_u32_e32 vcc_lo, 1, v45
	s_cbranch_vccnz .LBB18_242
; %bb.241:
	s_clause 0x3
	buffer_load_dword v46, v43, s[0:3], 0 offen offset:8
	buffer_load_dword v47, v43, s[0:3], 0 offen offset:12
	buffer_load_dword v50, v43, s[0:3], 0 offen
	buffer_load_dword v51, v43, s[0:3], 0 offen offset:4
	s_waitcnt vmcnt(2) lgkmcnt(0)
	v_mul_f64 v[52:53], v[3:4], v[46:47]
	v_mul_f64 v[46:47], v[1:2], v[46:47]
	s_waitcnt vmcnt(0)
	v_fma_f64 v[1:2], v[1:2], v[50:51], -v[52:53]
	v_fma_f64 v[3:4], v[3:4], v[50:51], v[46:47]
.LBB18_242:
	s_mov_b32 s8, exec_lo
	v_cmpx_ne_u32_e32 12, v0
	s_cbranch_execz .LBB18_246
; %bb.243:
	v_add_nc_u32_e32 v46, 0x140, v49
	v_add3_u32 v47, 0, v49, 16
	v_mov_b32_e32 v48, v0
	s_mov_b32 s25, 0
	.p2align	6
.LBB18_244:                             ; =>This Inner Loop Header: Depth=1
	s_clause 0x3
	buffer_load_dword v54, v47, s[0:3], 0 offen offset:8
	buffer_load_dword v55, v47, s[0:3], 0 offen offset:12
	buffer_load_dword v56, v47, s[0:3], 0 offen
	buffer_load_dword v57, v47, s[0:3], 0 offen offset:4
	ds_read_b128 v[50:53], v46
	v_add_nc_u32_e32 v48, 1, v48
	v_add_nc_u32_e32 v46, 16, v46
	;; [unrolled: 1-line block ×3, first 2 shown]
	v_cmp_lt_u32_e32 vcc_lo, 11, v48
	s_or_b32 s25, vcc_lo, s25
	s_waitcnt vmcnt(2) lgkmcnt(0)
	v_mul_f64 v[58:59], v[52:53], v[54:55]
	v_mul_f64 v[54:55], v[50:51], v[54:55]
	s_waitcnt vmcnt(0)
	v_fma_f64 v[50:51], v[50:51], v[56:57], -v[58:59]
	v_fma_f64 v[52:53], v[52:53], v[56:57], v[54:55]
	v_add_f64 v[1:2], v[1:2], v[50:51]
	v_add_f64 v[3:4], v[3:4], v[52:53]
	s_andn2_b32 exec_lo, exec_lo, s25
	s_cbranch_execnz .LBB18_244
; %bb.245:
	s_or_b32 exec_lo, exec_lo, s25
.LBB18_246:
	s_or_b32 exec_lo, exec_lo, s8
	v_mov_b32_e32 v46, 0
	ds_read_b128 v[50:53], v46 offset:208
	s_waitcnt lgkmcnt(0)
	v_mul_f64 v[46:47], v[3:4], v[52:53]
	v_mul_f64 v[52:53], v[1:2], v[52:53]
	v_fma_f64 v[1:2], v[1:2], v[50:51], -v[46:47]
	v_fma_f64 v[3:4], v[3:4], v[50:51], v[52:53]
	buffer_store_dword v2, off, s[0:3], 0 offset:212
	buffer_store_dword v1, off, s[0:3], 0 offset:208
	;; [unrolled: 1-line block ×4, first 2 shown]
.LBB18_247:
	s_or_b32 exec_lo, exec_lo, s4
	v_mov_b32_e32 v4, s11
	s_mov_b32 s4, exec_lo
	s_clause 0x3
	buffer_load_dword v1, v4, s[0:3], 0 offen
	buffer_load_dword v2, v4, s[0:3], 0 offen offset:4
	buffer_load_dword v3, v4, s[0:3], 0 offen offset:8
	;; [unrolled: 1-line block ×3, first 2 shown]
	s_waitcnt vmcnt(0)
	ds_write_b128 v44, v[1:4]
	s_waitcnt lgkmcnt(0)
	s_waitcnt_vscnt null, 0x0
	s_barrier
	buffer_gl0_inv
	v_cmpx_gt_u32_e32 14, v0
	s_cbranch_execz .LBB18_255
; %bb.248:
	ds_read_b128 v[1:4], v44
	v_cmp_ne_u32_e32 vcc_lo, 1, v45
	s_cbranch_vccnz .LBB18_250
; %bb.249:
	s_clause 0x3
	buffer_load_dword v46, v43, s[0:3], 0 offen offset:8
	buffer_load_dword v47, v43, s[0:3], 0 offen offset:12
	buffer_load_dword v50, v43, s[0:3], 0 offen
	buffer_load_dword v51, v43, s[0:3], 0 offen offset:4
	s_waitcnt vmcnt(2) lgkmcnt(0)
	v_mul_f64 v[52:53], v[3:4], v[46:47]
	v_mul_f64 v[46:47], v[1:2], v[46:47]
	s_waitcnt vmcnt(0)
	v_fma_f64 v[1:2], v[1:2], v[50:51], -v[52:53]
	v_fma_f64 v[3:4], v[3:4], v[50:51], v[46:47]
.LBB18_250:
	s_mov_b32 s8, exec_lo
	v_cmpx_ne_u32_e32 13, v0
	s_cbranch_execz .LBB18_254
; %bb.251:
	v_add_nc_u32_e32 v46, 0x140, v49
	v_add3_u32 v47, 0, v49, 16
	v_mov_b32_e32 v48, v0
	s_mov_b32 s25, 0
	.p2align	6
.LBB18_252:                             ; =>This Inner Loop Header: Depth=1
	s_clause 0x3
	buffer_load_dword v54, v47, s[0:3], 0 offen offset:8
	buffer_load_dword v55, v47, s[0:3], 0 offen offset:12
	buffer_load_dword v56, v47, s[0:3], 0 offen
	buffer_load_dword v57, v47, s[0:3], 0 offen offset:4
	ds_read_b128 v[50:53], v46
	v_add_nc_u32_e32 v48, 1, v48
	v_add_nc_u32_e32 v46, 16, v46
	;; [unrolled: 1-line block ×3, first 2 shown]
	v_cmp_lt_u32_e32 vcc_lo, 12, v48
	s_or_b32 s25, vcc_lo, s25
	s_waitcnt vmcnt(2) lgkmcnt(0)
	v_mul_f64 v[58:59], v[52:53], v[54:55]
	v_mul_f64 v[54:55], v[50:51], v[54:55]
	s_waitcnt vmcnt(0)
	v_fma_f64 v[50:51], v[50:51], v[56:57], -v[58:59]
	v_fma_f64 v[52:53], v[52:53], v[56:57], v[54:55]
	v_add_f64 v[1:2], v[1:2], v[50:51]
	v_add_f64 v[3:4], v[3:4], v[52:53]
	s_andn2_b32 exec_lo, exec_lo, s25
	s_cbranch_execnz .LBB18_252
; %bb.253:
	s_or_b32 exec_lo, exec_lo, s25
.LBB18_254:
	s_or_b32 exec_lo, exec_lo, s8
	v_mov_b32_e32 v46, 0
	ds_read_b128 v[50:53], v46 offset:224
	s_waitcnt lgkmcnt(0)
	v_mul_f64 v[46:47], v[3:4], v[52:53]
	v_mul_f64 v[52:53], v[1:2], v[52:53]
	v_fma_f64 v[1:2], v[1:2], v[50:51], -v[46:47]
	v_fma_f64 v[3:4], v[3:4], v[50:51], v[52:53]
	buffer_store_dword v2, off, s[0:3], 0 offset:228
	buffer_store_dword v1, off, s[0:3], 0 offset:224
	;; [unrolled: 1-line block ×4, first 2 shown]
.LBB18_255:
	s_or_b32 exec_lo, exec_lo, s4
	v_mov_b32_e32 v4, s10
	s_mov_b32 s4, exec_lo
	s_clause 0x3
	buffer_load_dword v1, v4, s[0:3], 0 offen
	buffer_load_dword v2, v4, s[0:3], 0 offen offset:4
	buffer_load_dword v3, v4, s[0:3], 0 offen offset:8
	;; [unrolled: 1-line block ×3, first 2 shown]
	s_waitcnt vmcnt(0)
	ds_write_b128 v44, v[1:4]
	s_waitcnt lgkmcnt(0)
	s_waitcnt_vscnt null, 0x0
	s_barrier
	buffer_gl0_inv
	v_cmpx_gt_u32_e32 15, v0
	s_cbranch_execz .LBB18_263
; %bb.256:
	ds_read_b128 v[1:4], v44
	v_cmp_ne_u32_e32 vcc_lo, 1, v45
	s_cbranch_vccnz .LBB18_258
; %bb.257:
	s_clause 0x3
	buffer_load_dword v46, v43, s[0:3], 0 offen offset:8
	buffer_load_dword v47, v43, s[0:3], 0 offen offset:12
	buffer_load_dword v50, v43, s[0:3], 0 offen
	buffer_load_dword v51, v43, s[0:3], 0 offen offset:4
	s_waitcnt vmcnt(2) lgkmcnt(0)
	v_mul_f64 v[52:53], v[3:4], v[46:47]
	v_mul_f64 v[46:47], v[1:2], v[46:47]
	s_waitcnt vmcnt(0)
	v_fma_f64 v[1:2], v[1:2], v[50:51], -v[52:53]
	v_fma_f64 v[3:4], v[3:4], v[50:51], v[46:47]
.LBB18_258:
	s_mov_b32 s8, exec_lo
	v_cmpx_ne_u32_e32 14, v0
	s_cbranch_execz .LBB18_262
; %bb.259:
	v_add_nc_u32_e32 v46, 0x140, v49
	v_add3_u32 v47, 0, v49, 16
	v_mov_b32_e32 v48, v0
	s_mov_b32 s25, 0
	.p2align	6
.LBB18_260:                             ; =>This Inner Loop Header: Depth=1
	s_clause 0x3
	buffer_load_dword v54, v47, s[0:3], 0 offen offset:8
	buffer_load_dword v55, v47, s[0:3], 0 offen offset:12
	buffer_load_dword v56, v47, s[0:3], 0 offen
	buffer_load_dword v57, v47, s[0:3], 0 offen offset:4
	ds_read_b128 v[50:53], v46
	v_add_nc_u32_e32 v48, 1, v48
	v_add_nc_u32_e32 v46, 16, v46
	;; [unrolled: 1-line block ×3, first 2 shown]
	v_cmp_lt_u32_e32 vcc_lo, 13, v48
	s_or_b32 s25, vcc_lo, s25
	s_waitcnt vmcnt(2) lgkmcnt(0)
	v_mul_f64 v[58:59], v[52:53], v[54:55]
	v_mul_f64 v[54:55], v[50:51], v[54:55]
	s_waitcnt vmcnt(0)
	v_fma_f64 v[50:51], v[50:51], v[56:57], -v[58:59]
	v_fma_f64 v[52:53], v[52:53], v[56:57], v[54:55]
	v_add_f64 v[1:2], v[1:2], v[50:51]
	v_add_f64 v[3:4], v[3:4], v[52:53]
	s_andn2_b32 exec_lo, exec_lo, s25
	s_cbranch_execnz .LBB18_260
; %bb.261:
	s_or_b32 exec_lo, exec_lo, s25
.LBB18_262:
	s_or_b32 exec_lo, exec_lo, s8
	v_mov_b32_e32 v46, 0
	ds_read_b128 v[50:53], v46 offset:240
	s_waitcnt lgkmcnt(0)
	v_mul_f64 v[46:47], v[3:4], v[52:53]
	v_mul_f64 v[52:53], v[1:2], v[52:53]
	v_fma_f64 v[1:2], v[1:2], v[50:51], -v[46:47]
	v_fma_f64 v[3:4], v[3:4], v[50:51], v[52:53]
	buffer_store_dword v2, off, s[0:3], 0 offset:244
	buffer_store_dword v1, off, s[0:3], 0 offset:240
	;; [unrolled: 1-line block ×4, first 2 shown]
.LBB18_263:
	s_or_b32 exec_lo, exec_lo, s4
	v_mov_b32_e32 v4, s9
	s_mov_b32 s4, exec_lo
	s_clause 0x3
	buffer_load_dword v1, v4, s[0:3], 0 offen
	buffer_load_dword v2, v4, s[0:3], 0 offen offset:4
	buffer_load_dword v3, v4, s[0:3], 0 offen offset:8
	;; [unrolled: 1-line block ×3, first 2 shown]
	s_waitcnt vmcnt(0)
	ds_write_b128 v44, v[1:4]
	s_waitcnt lgkmcnt(0)
	s_waitcnt_vscnt null, 0x0
	s_barrier
	buffer_gl0_inv
	v_cmpx_gt_u32_e32 16, v0
	s_cbranch_execz .LBB18_271
; %bb.264:
	ds_read_b128 v[1:4], v44
	v_cmp_ne_u32_e32 vcc_lo, 1, v45
	s_cbranch_vccnz .LBB18_266
; %bb.265:
	s_clause 0x3
	buffer_load_dword v46, v43, s[0:3], 0 offen offset:8
	buffer_load_dword v47, v43, s[0:3], 0 offen offset:12
	buffer_load_dword v50, v43, s[0:3], 0 offen
	buffer_load_dword v51, v43, s[0:3], 0 offen offset:4
	s_waitcnt vmcnt(2) lgkmcnt(0)
	v_mul_f64 v[52:53], v[3:4], v[46:47]
	v_mul_f64 v[46:47], v[1:2], v[46:47]
	s_waitcnt vmcnt(0)
	v_fma_f64 v[1:2], v[1:2], v[50:51], -v[52:53]
	v_fma_f64 v[3:4], v[3:4], v[50:51], v[46:47]
.LBB18_266:
	s_mov_b32 s8, exec_lo
	v_cmpx_ne_u32_e32 15, v0
	s_cbranch_execz .LBB18_270
; %bb.267:
	v_add_nc_u32_e32 v46, 0x140, v49
	v_add3_u32 v47, 0, v49, 16
	v_mov_b32_e32 v48, v0
	s_mov_b32 s25, 0
	.p2align	6
.LBB18_268:                             ; =>This Inner Loop Header: Depth=1
	s_clause 0x3
	buffer_load_dword v54, v47, s[0:3], 0 offen offset:8
	buffer_load_dword v55, v47, s[0:3], 0 offen offset:12
	buffer_load_dword v56, v47, s[0:3], 0 offen
	buffer_load_dword v57, v47, s[0:3], 0 offen offset:4
	ds_read_b128 v[50:53], v46
	v_add_nc_u32_e32 v48, 1, v48
	v_add_nc_u32_e32 v46, 16, v46
	;; [unrolled: 1-line block ×3, first 2 shown]
	v_cmp_lt_u32_e32 vcc_lo, 14, v48
	s_or_b32 s25, vcc_lo, s25
	s_waitcnt vmcnt(2) lgkmcnt(0)
	v_mul_f64 v[58:59], v[52:53], v[54:55]
	v_mul_f64 v[54:55], v[50:51], v[54:55]
	s_waitcnt vmcnt(0)
	v_fma_f64 v[50:51], v[50:51], v[56:57], -v[58:59]
	v_fma_f64 v[52:53], v[52:53], v[56:57], v[54:55]
	v_add_f64 v[1:2], v[1:2], v[50:51]
	v_add_f64 v[3:4], v[3:4], v[52:53]
	s_andn2_b32 exec_lo, exec_lo, s25
	s_cbranch_execnz .LBB18_268
; %bb.269:
	s_or_b32 exec_lo, exec_lo, s25
.LBB18_270:
	s_or_b32 exec_lo, exec_lo, s8
	v_mov_b32_e32 v46, 0
	ds_read_b128 v[50:53], v46 offset:256
	s_waitcnt lgkmcnt(0)
	v_mul_f64 v[46:47], v[3:4], v[52:53]
	v_mul_f64 v[52:53], v[1:2], v[52:53]
	v_fma_f64 v[1:2], v[1:2], v[50:51], -v[46:47]
	v_fma_f64 v[3:4], v[3:4], v[50:51], v[52:53]
	buffer_store_dword v2, off, s[0:3], 0 offset:260
	buffer_store_dword v1, off, s[0:3], 0 offset:256
	;; [unrolled: 1-line block ×4, first 2 shown]
.LBB18_271:
	s_or_b32 exec_lo, exec_lo, s4
	v_mov_b32_e32 v4, s7
	v_cmp_gt_u32_e64 s4, 17, v0
	s_clause 0x3
	buffer_load_dword v1, v4, s[0:3], 0 offen
	buffer_load_dword v2, v4, s[0:3], 0 offen offset:4
	buffer_load_dword v3, v4, s[0:3], 0 offen offset:8
	;; [unrolled: 1-line block ×3, first 2 shown]
	s_waitcnt vmcnt(0)
	ds_write_b128 v44, v[1:4]
	s_waitcnt lgkmcnt(0)
	s_waitcnt_vscnt null, 0x0
	s_barrier
	buffer_gl0_inv
	s_and_saveexec_b32 s8, s4
	s_cbranch_execz .LBB18_279
; %bb.272:
	ds_read_b128 v[1:4], v44
	v_cmp_ne_u32_e32 vcc_lo, 1, v45
	s_cbranch_vccnz .LBB18_274
; %bb.273:
	s_clause 0x3
	buffer_load_dword v46, v43, s[0:3], 0 offen offset:8
	buffer_load_dword v47, v43, s[0:3], 0 offen offset:12
	buffer_load_dword v50, v43, s[0:3], 0 offen
	buffer_load_dword v51, v43, s[0:3], 0 offen offset:4
	s_waitcnt vmcnt(2) lgkmcnt(0)
	v_mul_f64 v[52:53], v[3:4], v[46:47]
	v_mul_f64 v[46:47], v[1:2], v[46:47]
	s_waitcnt vmcnt(0)
	v_fma_f64 v[1:2], v[1:2], v[50:51], -v[52:53]
	v_fma_f64 v[3:4], v[3:4], v[50:51], v[46:47]
.LBB18_274:
	s_mov_b32 s25, exec_lo
	v_cmpx_ne_u32_e32 16, v0
	s_cbranch_execz .LBB18_278
; %bb.275:
	v_add_nc_u32_e32 v46, 0x140, v49
	v_add3_u32 v47, 0, v49, 16
	v_mov_b32_e32 v48, v0
	s_mov_b32 s26, 0
	.p2align	6
.LBB18_276:                             ; =>This Inner Loop Header: Depth=1
	s_clause 0x3
	buffer_load_dword v54, v47, s[0:3], 0 offen offset:8
	buffer_load_dword v55, v47, s[0:3], 0 offen offset:12
	buffer_load_dword v56, v47, s[0:3], 0 offen
	buffer_load_dword v57, v47, s[0:3], 0 offen offset:4
	ds_read_b128 v[50:53], v46
	v_add_nc_u32_e32 v48, 1, v48
	v_add_nc_u32_e32 v46, 16, v46
	;; [unrolled: 1-line block ×3, first 2 shown]
	v_cmp_lt_u32_e32 vcc_lo, 15, v48
	s_or_b32 s26, vcc_lo, s26
	s_waitcnt vmcnt(2) lgkmcnt(0)
	v_mul_f64 v[58:59], v[52:53], v[54:55]
	v_mul_f64 v[54:55], v[50:51], v[54:55]
	s_waitcnt vmcnt(0)
	v_fma_f64 v[50:51], v[50:51], v[56:57], -v[58:59]
	v_fma_f64 v[52:53], v[52:53], v[56:57], v[54:55]
	v_add_f64 v[1:2], v[1:2], v[50:51]
	v_add_f64 v[3:4], v[3:4], v[52:53]
	s_andn2_b32 exec_lo, exec_lo, s26
	s_cbranch_execnz .LBB18_276
; %bb.277:
	s_or_b32 exec_lo, exec_lo, s26
.LBB18_278:
	s_or_b32 exec_lo, exec_lo, s25
	v_mov_b32_e32 v46, 0
	ds_read_b128 v[50:53], v46 offset:272
	s_waitcnt lgkmcnt(0)
	v_mul_f64 v[46:47], v[3:4], v[52:53]
	v_mul_f64 v[52:53], v[1:2], v[52:53]
	v_fma_f64 v[1:2], v[1:2], v[50:51], -v[46:47]
	v_fma_f64 v[3:4], v[3:4], v[50:51], v[52:53]
	buffer_store_dword v2, off, s[0:3], 0 offset:276
	buffer_store_dword v1, off, s[0:3], 0 offset:272
	buffer_store_dword v4, off, s[0:3], 0 offset:284
	buffer_store_dword v3, off, s[0:3], 0 offset:280
.LBB18_279:
	s_or_b32 exec_lo, exec_lo, s8
	v_mov_b32_e32 v4, s6
	s_mov_b32 s8, exec_lo
                                        ; implicit-def: $sgpr27
	s_clause 0x3
	buffer_load_dword v1, v4, s[0:3], 0 offen
	buffer_load_dword v2, v4, s[0:3], 0 offen offset:4
	buffer_load_dword v3, v4, s[0:3], 0 offen offset:8
	;; [unrolled: 1-line block ×3, first 2 shown]
	s_waitcnt vmcnt(0)
	ds_write_b128 v44, v[1:4]
	s_waitcnt lgkmcnt(0)
	s_waitcnt_vscnt null, 0x0
	s_barrier
	buffer_gl0_inv
                                        ; implicit-def: $vgpr1_vgpr2
	v_cmpx_ne_u32_e32 18, v0
	s_cbranch_execz .LBB18_287
; %bb.280:
	ds_read_b128 v[1:4], v44
	v_cmp_ne_u32_e32 vcc_lo, 1, v45
	s_cbranch_vccnz .LBB18_282
; %bb.281:
	s_clause 0x3
	buffer_load_dword v44, v43, s[0:3], 0 offen offset:8
	buffer_load_dword v45, v43, s[0:3], 0 offen offset:12
	buffer_load_dword v46, v43, s[0:3], 0 offen
	buffer_load_dword v47, v43, s[0:3], 0 offen offset:4
	s_waitcnt vmcnt(2) lgkmcnt(0)
	v_mul_f64 v[50:51], v[3:4], v[44:45]
	v_mul_f64 v[43:44], v[1:2], v[44:45]
	s_waitcnt vmcnt(0)
	v_fma_f64 v[1:2], v[1:2], v[46:47], -v[50:51]
	v_fma_f64 v[3:4], v[3:4], v[46:47], v[43:44]
.LBB18_282:
	s_and_saveexec_b32 s25, s4
	s_cbranch_execz .LBB18_286
; %bb.283:
	v_add_nc_u32_e32 v43, 0x140, v49
	v_add3_u32 v44, 0, v49, 16
	s_mov_b32 s4, 0
	.p2align	6
.LBB18_284:                             ; =>This Inner Loop Header: Depth=1
	s_clause 0x3
	buffer_load_dword v49, v44, s[0:3], 0 offen offset:8
	buffer_load_dword v50, v44, s[0:3], 0 offen offset:12
	buffer_load_dword v51, v44, s[0:3], 0 offen
	buffer_load_dword v52, v44, s[0:3], 0 offen offset:4
	ds_read_b128 v[45:48], v43
	v_add_nc_u32_e32 v0, 1, v0
	v_add_nc_u32_e32 v43, 16, v43
	;; [unrolled: 1-line block ×3, first 2 shown]
	v_cmp_lt_u32_e32 vcc_lo, 16, v0
	s_or_b32 s4, vcc_lo, s4
	s_waitcnt vmcnt(2) lgkmcnt(0)
	v_mul_f64 v[53:54], v[47:48], v[49:50]
	v_mul_f64 v[49:50], v[45:46], v[49:50]
	s_waitcnt vmcnt(0)
	v_fma_f64 v[45:46], v[45:46], v[51:52], -v[53:54]
	v_fma_f64 v[47:48], v[47:48], v[51:52], v[49:50]
	v_add_f64 v[1:2], v[1:2], v[45:46]
	v_add_f64 v[3:4], v[3:4], v[47:48]
	s_andn2_b32 exec_lo, exec_lo, s4
	s_cbranch_execnz .LBB18_284
; %bb.285:
	s_or_b32 exec_lo, exec_lo, s4
.LBB18_286:
	s_or_b32 exec_lo, exec_lo, s25
	v_mov_b32_e32 v0, 0
	s_movk_i32 s27, 0x128
	s_or_b32 s5, s5, exec_lo
	ds_read_b128 v[43:46], v0 offset:288
	s_waitcnt lgkmcnt(0)
	v_mul_f64 v[47:48], v[3:4], v[45:46]
	v_mul_f64 v[45:46], v[1:2], v[45:46]
	v_fma_f64 v[47:48], v[1:2], v[43:44], -v[47:48]
	v_fma_f64 v[1:2], v[3:4], v[43:44], v[45:46]
	buffer_store_dword v48, off, s[0:3], 0 offset:292
	buffer_store_dword v47, off, s[0:3], 0 offset:288
.LBB18_287:
	s_or_b32 exec_lo, exec_lo, s8
.LBB18_288:
	s_and_saveexec_b32 s4, s5
	s_cbranch_execz .LBB18_290
; %bb.289:
	v_mov_b32_e32 v0, s27
	buffer_store_dword v2, v0, s[0:3], 0 offen offset:4
	buffer_store_dword v1, v0, s[0:3], 0 offen
.LBB18_290:
	s_or_b32 exec_lo, exec_lo, s4
	s_clause 0x3
	buffer_load_dword v0, off, s[0:3], 0
	buffer_load_dword v1, off, s[0:3], 0 offset:4
	buffer_load_dword v2, off, s[0:3], 0 offset:8
	;; [unrolled: 1-line block ×3, first 2 shown]
	v_mov_b32_e32 v4, s24
	v_mov_b32_e32 v58, s21
	;; [unrolled: 1-line block ×4, first 2 shown]
	s_clause 0x3
	buffer_load_dword v43, v4, s[0:3], 0 offen
	buffer_load_dword v44, v4, s[0:3], 0 offen offset:4
	buffer_load_dword v45, v4, s[0:3], 0 offen offset:8
	;; [unrolled: 1-line block ×3, first 2 shown]
	v_mov_b32_e32 v4, s23
	v_mov_b32_e32 v64, s11
	v_mov_b32_e32 v66, s9
	s_clause 0x3
	buffer_load_dword v47, v4, s[0:3], 0 offen
	buffer_load_dword v48, v4, s[0:3], 0 offen offset:4
	buffer_load_dword v49, v4, s[0:3], 0 offen offset:8
	;; [unrolled: 1-line block ×3, first 2 shown]
	v_mov_b32_e32 v4, s22
	v_mov_b32_e32 v65, s10
	s_clause 0x3
	buffer_load_dword v51, v4, s[0:3], 0 offen
	buffer_load_dword v52, v4, s[0:3], 0 offen offset:4
	buffer_load_dword v53, v4, s[0:3], 0 offen offset:8
	;; [unrolled: 1-line block ×3, first 2 shown]
	v_mov_b32_e32 v4, s20
	s_clause 0x3
	buffer_load_dword v55, v58, s[0:3], 0 offen
	buffer_load_dword v56, v58, s[0:3], 0 offen offset:4
	buffer_load_dword v57, v58, s[0:3], 0 offen offset:8
	;; [unrolled: 1-line block ×3, first 2 shown]
	v_mov_b32_e32 v67, s7
	v_mov_b32_e32 v68, s6
	s_waitcnt vmcnt(16)
	global_store_dwordx4 v[23:24], v[0:3], off
	s_clause 0x7
	buffer_load_dword v0, v4, s[0:3], 0 offen
	buffer_load_dword v1, v4, s[0:3], 0 offen offset:4
	buffer_load_dword v2, v4, s[0:3], 0 offen offset:8
	;; [unrolled: 1-line block ×3, first 2 shown]
	buffer_load_dword v59, v62, s[0:3], 0 offen
	buffer_load_dword v60, v62, s[0:3], 0 offen offset:4
	buffer_load_dword v61, v62, s[0:3], 0 offen offset:8
	;; [unrolled: 1-line block ×3, first 2 shown]
	v_mov_b32_e32 v4, s18
	s_waitcnt vmcnt(20)
	global_store_dwordx4 v[21:22], v[43:46], off
	s_clause 0x3
	buffer_load_dword v21, v4, s[0:3], 0 offen
	buffer_load_dword v22, v4, s[0:3], 0 offen offset:4
	buffer_load_dword v23, v4, s[0:3], 0 offen offset:8
	;; [unrolled: 1-line block ×3, first 2 shown]
	v_mov_b32_e32 v4, s17
	s_waitcnt vmcnt(20)
	global_store_dwordx4 v[17:18], v[47:50], off
	s_clause 0x3
	buffer_load_dword v43, v4, s[0:3], 0 offen
	buffer_load_dword v44, v4, s[0:3], 0 offen offset:4
	buffer_load_dword v45, v4, s[0:3], 0 offen offset:8
	;; [unrolled: 1-line block ×3, first 2 shown]
	v_mov_b32_e32 v17, s16
	v_mov_b32_e32 v18, s15
	v_mov_b32_e32 v50, s14
	s_waitcnt vmcnt(20)
	global_store_dwordx4 v[7:8], v[51:54], off
	v_mov_b32_e32 v54, s12
	s_waitcnt vmcnt(16)
	global_store_dwordx4 v[5:6], v[55:58], off
	s_clause 0x3
	buffer_load_dword v4, v17, s[0:3], 0 offen
	buffer_load_dword v5, v17, s[0:3], 0 offen offset:4
	buffer_load_dword v6, v17, s[0:3], 0 offen offset:8
	buffer_load_dword v7, v17, s[0:3], 0 offen offset:12
	s_waitcnt vmcnt(16)
	global_store_dwordx4 v[9:10], v[0:3], off
	s_clause 0x7
	buffer_load_dword v0, v18, s[0:3], 0 offen
	buffer_load_dword v1, v18, s[0:3], 0 offen offset:4
	buffer_load_dword v2, v18, s[0:3], 0 offen offset:8
	buffer_load_dword v3, v18, s[0:3], 0 offen offset:12
	buffer_load_dword v47, v50, s[0:3], 0 offen
	buffer_load_dword v48, v50, s[0:3], 0 offen offset:4
	buffer_load_dword v49, v50, s[0:3], 0 offen offset:8
	buffer_load_dword v50, v50, s[0:3], 0 offen offset:12
	s_waitcnt vmcnt(20)
	global_store_dwordx4 v[11:12], v[59:62], off
	s_clause 0x7
	buffer_load_dword v8, v63, s[0:3], 0 offen
	buffer_load_dword v9, v63, s[0:3], 0 offen offset:4
	buffer_load_dword v10, v63, s[0:3], 0 offen offset:8
	buffer_load_dword v11, v63, s[0:3], 0 offen offset:12
	;; [unrolled: 11-line block ×4, first 2 shown]
	buffer_load_dword v43, v67, s[0:3], 0 offen
	buffer_load_dword v44, v67, s[0:3], 0 offen offset:4
	buffer_load_dword v45, v67, s[0:3], 0 offen offset:8
	;; [unrolled: 1-line block ×3, first 2 shown]
	buffer_load_dword v59, v68, s[0:3], 0 offen
	buffer_load_dword v60, v68, s[0:3], 0 offen offset:4
	buffer_load_dword v61, v68, s[0:3], 0 offen offset:8
	buffer_load_dword v62, v68, s[0:3], 0 offen offset:12
	s_waitcnt vmcnt(36)
	global_store_dwordx4 v[19:20], v[4:7], off
	s_waitcnt vmcnt(32)
	global_store_dwordx4 v[25:26], v[0:3], off
	;; [unrolled: 2-line block ×10, first 2 shown]
.LBB18_291:
	s_endpgm
	.section	.rodata,"a",@progbits
	.p2align	6, 0x0
	.amdhsa_kernel _ZN9rocsolver6v33100L18trti2_kernel_smallILi19E19rocblas_complex_numIdEPS3_EEv13rocblas_fill_17rocblas_diagonal_T1_iil
		.amdhsa_group_segment_fixed_size 608
		.amdhsa_private_segment_fixed_size 320
		.amdhsa_kernarg_size 32
		.amdhsa_user_sgpr_count 6
		.amdhsa_user_sgpr_private_segment_buffer 1
		.amdhsa_user_sgpr_dispatch_ptr 0
		.amdhsa_user_sgpr_queue_ptr 0
		.amdhsa_user_sgpr_kernarg_segment_ptr 1
		.amdhsa_user_sgpr_dispatch_id 0
		.amdhsa_user_sgpr_flat_scratch_init 0
		.amdhsa_user_sgpr_private_segment_size 0
		.amdhsa_wavefront_size32 1
		.amdhsa_uses_dynamic_stack 0
		.amdhsa_system_sgpr_private_segment_wavefront_offset 1
		.amdhsa_system_sgpr_workgroup_id_x 1
		.amdhsa_system_sgpr_workgroup_id_y 0
		.amdhsa_system_sgpr_workgroup_id_z 0
		.amdhsa_system_sgpr_workgroup_info 0
		.amdhsa_system_vgpr_workitem_id 0
		.amdhsa_next_free_vgpr 69
		.amdhsa_next_free_sgpr 32
		.amdhsa_reserve_vcc 1
		.amdhsa_reserve_flat_scratch 0
		.amdhsa_float_round_mode_32 0
		.amdhsa_float_round_mode_16_64 0
		.amdhsa_float_denorm_mode_32 3
		.amdhsa_float_denorm_mode_16_64 3
		.amdhsa_dx10_clamp 1
		.amdhsa_ieee_mode 1
		.amdhsa_fp16_overflow 0
		.amdhsa_workgroup_processor_mode 1
		.amdhsa_memory_ordered 1
		.amdhsa_forward_progress 1
		.amdhsa_shared_vgpr_count 0
		.amdhsa_exception_fp_ieee_invalid_op 0
		.amdhsa_exception_fp_denorm_src 0
		.amdhsa_exception_fp_ieee_div_zero 0
		.amdhsa_exception_fp_ieee_overflow 0
		.amdhsa_exception_fp_ieee_underflow 0
		.amdhsa_exception_fp_ieee_inexact 0
		.amdhsa_exception_int_div_zero 0
	.end_amdhsa_kernel
	.section	.text._ZN9rocsolver6v33100L18trti2_kernel_smallILi19E19rocblas_complex_numIdEPS3_EEv13rocblas_fill_17rocblas_diagonal_T1_iil,"axG",@progbits,_ZN9rocsolver6v33100L18trti2_kernel_smallILi19E19rocblas_complex_numIdEPS3_EEv13rocblas_fill_17rocblas_diagonal_T1_iil,comdat
.Lfunc_end18:
	.size	_ZN9rocsolver6v33100L18trti2_kernel_smallILi19E19rocblas_complex_numIdEPS3_EEv13rocblas_fill_17rocblas_diagonal_T1_iil, .Lfunc_end18-_ZN9rocsolver6v33100L18trti2_kernel_smallILi19E19rocblas_complex_numIdEPS3_EEv13rocblas_fill_17rocblas_diagonal_T1_iil
                                        ; -- End function
	.set _ZN9rocsolver6v33100L18trti2_kernel_smallILi19E19rocblas_complex_numIdEPS3_EEv13rocblas_fill_17rocblas_diagonal_T1_iil.num_vgpr, 69
	.set _ZN9rocsolver6v33100L18trti2_kernel_smallILi19E19rocblas_complex_numIdEPS3_EEv13rocblas_fill_17rocblas_diagonal_T1_iil.num_agpr, 0
	.set _ZN9rocsolver6v33100L18trti2_kernel_smallILi19E19rocblas_complex_numIdEPS3_EEv13rocblas_fill_17rocblas_diagonal_T1_iil.numbered_sgpr, 32
	.set _ZN9rocsolver6v33100L18trti2_kernel_smallILi19E19rocblas_complex_numIdEPS3_EEv13rocblas_fill_17rocblas_diagonal_T1_iil.num_named_barrier, 0
	.set _ZN9rocsolver6v33100L18trti2_kernel_smallILi19E19rocblas_complex_numIdEPS3_EEv13rocblas_fill_17rocblas_diagonal_T1_iil.private_seg_size, 320
	.set _ZN9rocsolver6v33100L18trti2_kernel_smallILi19E19rocblas_complex_numIdEPS3_EEv13rocblas_fill_17rocblas_diagonal_T1_iil.uses_vcc, 1
	.set _ZN9rocsolver6v33100L18trti2_kernel_smallILi19E19rocblas_complex_numIdEPS3_EEv13rocblas_fill_17rocblas_diagonal_T1_iil.uses_flat_scratch, 0
	.set _ZN9rocsolver6v33100L18trti2_kernel_smallILi19E19rocblas_complex_numIdEPS3_EEv13rocblas_fill_17rocblas_diagonal_T1_iil.has_dyn_sized_stack, 0
	.set _ZN9rocsolver6v33100L18trti2_kernel_smallILi19E19rocblas_complex_numIdEPS3_EEv13rocblas_fill_17rocblas_diagonal_T1_iil.has_recursion, 0
	.set _ZN9rocsolver6v33100L18trti2_kernel_smallILi19E19rocblas_complex_numIdEPS3_EEv13rocblas_fill_17rocblas_diagonal_T1_iil.has_indirect_call, 0
	.section	.AMDGPU.csdata,"",@progbits
; Kernel info:
; codeLenInByte = 18936
; TotalNumSgprs: 34
; NumVgprs: 69
; ScratchSize: 320
; MemoryBound: 0
; FloatMode: 240
; IeeeMode: 1
; LDSByteSize: 608 bytes/workgroup (compile time only)
; SGPRBlocks: 0
; VGPRBlocks: 8
; NumSGPRsForWavesPerEU: 34
; NumVGPRsForWavesPerEU: 69
; Occupancy: 12
; WaveLimiterHint : 0
; COMPUTE_PGM_RSRC2:SCRATCH_EN: 1
; COMPUTE_PGM_RSRC2:USER_SGPR: 6
; COMPUTE_PGM_RSRC2:TRAP_HANDLER: 0
; COMPUTE_PGM_RSRC2:TGID_X_EN: 1
; COMPUTE_PGM_RSRC2:TGID_Y_EN: 0
; COMPUTE_PGM_RSRC2:TGID_Z_EN: 0
; COMPUTE_PGM_RSRC2:TIDIG_COMP_CNT: 0
	.section	.text._ZN9rocsolver6v33100L18trti2_kernel_smallILi20E19rocblas_complex_numIdEPS3_EEv13rocblas_fill_17rocblas_diagonal_T1_iil,"axG",@progbits,_ZN9rocsolver6v33100L18trti2_kernel_smallILi20E19rocblas_complex_numIdEPS3_EEv13rocblas_fill_17rocblas_diagonal_T1_iil,comdat
	.globl	_ZN9rocsolver6v33100L18trti2_kernel_smallILi20E19rocblas_complex_numIdEPS3_EEv13rocblas_fill_17rocblas_diagonal_T1_iil ; -- Begin function _ZN9rocsolver6v33100L18trti2_kernel_smallILi20E19rocblas_complex_numIdEPS3_EEv13rocblas_fill_17rocblas_diagonal_T1_iil
	.p2align	8
	.type	_ZN9rocsolver6v33100L18trti2_kernel_smallILi20E19rocblas_complex_numIdEPS3_EEv13rocblas_fill_17rocblas_diagonal_T1_iil,@function
_ZN9rocsolver6v33100L18trti2_kernel_smallILi20E19rocblas_complex_numIdEPS3_EEv13rocblas_fill_17rocblas_diagonal_T1_iil: ; @_ZN9rocsolver6v33100L18trti2_kernel_smallILi20E19rocblas_complex_numIdEPS3_EEv13rocblas_fill_17rocblas_diagonal_T1_iil
; %bb.0:
	s_add_u32 s0, s0, s7
	s_addc_u32 s1, s1, 0
	s_mov_b32 s7, exec_lo
	v_cmpx_gt_u32_e32 20, v0
	s_cbranch_execz .LBB19_307
; %bb.1:
	s_load_dwordx8 s[8:15], s[4:5], 0x0
	s_ashr_i32 s4, s6, 31
	v_lshlrev_b32_e32 v51, 4, v0
	s_movk_i32 s28, 0xe0
	s_movk_i32 s29, 0xf0
	;; [unrolled: 1-line block ×6, first 2 shown]
	s_waitcnt lgkmcnt(0)
	s_mul_hi_u32 s5, s14, s6
	s_mul_i32 s4, s14, s4
	s_mul_i32 s7, s15, s6
	s_add_i32 s5, s5, s4
	s_mul_i32 s4, s14, s6
	s_add_i32 s5, s5, s7
	s_ashr_i32 s7, s12, 31
	s_lshl_b64 s[4:5], s[4:5], 4
	s_mov_b32 s6, s12
	s_add_u32 s10, s10, s4
	s_addc_u32 s11, s11, s5
	s_lshl_b64 s[4:5], s[6:7], 4
	v_add3_u32 v5, s13, s13, v0
	s_add_u32 s4, s10, s4
	s_addc_u32 s5, s11, s5
	v_add_co_u32 v43, s10, s4, v51
	global_load_dwordx4 v[1:4], v51, s[4:5]
	v_add_nc_u32_e32 v11, s13, v5
	v_ashrrev_i32_e32 v6, 31, v5
	s_mov_b32 s6, s13
	s_ashr_i32 s7, s13, 31
	v_add_co_ci_u32_e64 v44, null, s5, 0, s10
	v_add_nc_u32_e32 v15, s13, v11
	v_lshlrev_b64 v[5:6], 4, v[5:6]
	s_lshl_b64 s[6:7], s[6:7], 4
	v_ashrrev_i32_e32 v12, 31, v11
	v_add_co_u32 v41, vcc_lo, v43, s6
	v_add_nc_u32_e32 v17, s13, v15
	v_add_co_ci_u32_e64 v42, null, s7, v44, vcc_lo
	v_add_co_u32 v39, vcc_lo, s4, v5
	v_add_nc_u32_e32 v19, s13, v17
	v_add_co_ci_u32_e64 v40, null, s5, v6, vcc_lo
	v_lshlrev_b64 v[20:21], 4, v[11:12]
	global_load_dwordx4 v[7:10], v[41:42], off
	v_add_nc_u32_e32 v25, s13, v19
	v_ashrrev_i32_e32 v16, 31, v15
	v_ashrrev_i32_e32 v18, 31, v17
	s_cmpk_lg_i32 s9, 0x84
	s_movk_i32 s6, 0x70
	v_add_nc_u32_e32 v27, s13, v25
	v_lshlrev_b64 v[15:16], 4, v[15:16]
	v_lshlrev_b64 v[17:18], 4, v[17:18]
	v_ashrrev_i32_e32 v26, 31, v25
	s_movk_i32 s7, 0x80
	v_add_nc_u32_e32 v29, s13, v27
	v_ashrrev_i32_e32 v28, 31, v27
	s_movk_i32 s10, 0x90
	s_movk_i32 s11, 0xa0
	;; [unrolled: 1-line block ×3, first 2 shown]
	v_add_nc_u32_e32 v33, s13, v29
	v_ashrrev_i32_e32 v30, 31, v29
	s_movk_i32 s14, 0xd0
	s_cselect_b32 s27, -1, 0
	s_cmpk_eq_i32 s9, 0x84
	v_add_nc_u32_e32 v35, s13, v33
	v_ashrrev_i32_e32 v34, 31, v33
	v_add_nc_u32_e32 v49, s13, v35
	v_ashrrev_i32_e32 v36, 31, v35
	;; [unrolled: 2-line block ×9, first 2 shown]
	s_movk_i32 s13, 0xc0
	v_ashrrev_i32_e32 v14, 31, v13
	v_lshlrev_b64 v[5:6], 4, v[13:14]
	global_load_dwordx4 v[11:14], v[39:40], off
	v_add_co_u32 v5, vcc_lo, s4, v5
	v_add_co_ci_u32_e64 v6, null, s5, v6, vcc_lo
	v_add_co_u32 v37, vcc_lo, s4, v20
	v_add_co_ci_u32_e64 v38, null, s5, v21, vcc_lo
	global_load_dwordx4 v[45:48], v[5:6], off
	v_ashrrev_i32_e32 v20, 31, v19
	v_add_co_u32 v31, vcc_lo, s4, v15
	v_add_co_ci_u32_e64 v32, null, s5, v16, vcc_lo
	v_lshlrev_b64 v[19:20], 4, v[19:20]
	v_add_co_u32 v15, vcc_lo, s4, v17
	v_add_co_ci_u32_e64 v16, null, s5, v18, vcc_lo
	v_lshlrev_b64 v[17:18], 4, v[27:28]
	s_waitcnt vmcnt(3)
	buffer_store_dword v4, off, s[0:3], 0 offset:12
	buffer_store_dword v3, off, s[0:3], 0 offset:8
	;; [unrolled: 1-line block ×3, first 2 shown]
	buffer_store_dword v1, off, s[0:3], 0
	global_load_dwordx4 v[1:4], v[37:38], off
	s_waitcnt vmcnt(3)
	buffer_store_dword v10, off, s[0:3], 0 offset:28
	buffer_store_dword v9, off, s[0:3], 0 offset:24
	;; [unrolled: 1-line block ×4, first 2 shown]
	global_load_dwordx4 v[7:10], v[31:32], off
	s_waitcnt vmcnt(3)
	buffer_store_dword v14, off, s[0:3], 0 offset:44
	buffer_store_dword v13, off, s[0:3], 0 offset:40
	buffer_store_dword v12, off, s[0:3], 0 offset:36
	buffer_store_dword v11, off, s[0:3], 0 offset:32
	v_add_co_u32 v11, vcc_lo, s4, v19
	global_load_dwordx4 v[21:24], v[15:16], off
	v_add_co_ci_u32_e64 v12, null, s5, v20, vcc_lo
	v_lshlrev_b64 v[13:14], 4, v[25:26]
	s_waitcnt vmcnt(2)
	buffer_store_dword v4, off, s[0:3], 0 offset:60
	buffer_store_dword v3, off, s[0:3], 0 offset:56
	;; [unrolled: 1-line block ×4, first 2 shown]
	global_load_dwordx4 v[1:4], v[11:12], off
	v_add_co_u32 v19, vcc_lo, s4, v13
	v_add_co_ci_u32_e64 v20, null, s5, v14, vcc_lo
	v_lshlrev_b64 v[13:14], 4, v[29:30]
	v_add_co_u32 v17, vcc_lo, s4, v17
	s_waitcnt vmcnt(2)
	buffer_store_dword v10, off, s[0:3], 0 offset:76
	buffer_store_dword v9, off, s[0:3], 0 offset:72
	;; [unrolled: 1-line block ×4, first 2 shown]
	v_add_co_ci_u32_e64 v18, null, s5, v18, vcc_lo
	global_load_dwordx4 v[25:28], v[19:20], off
	v_add_co_u32 v7, vcc_lo, s4, v13
	v_add_co_ci_u32_e64 v8, null, s5, v14, vcc_lo
	v_lshlrev_b64 v[9:10], 4, v[33:34]
	v_lshlrev_b64 v[13:14], 4, v[35:36]
	v_lshlrev_b64 v[29:30], 4, v[49:50]
	v_lshlrev_b64 v[49:50], 4, v[56:57]
	s_waitcnt vmcnt(2)
	buffer_store_dword v24, off, s[0:3], 0 offset:92
	buffer_store_dword v23, off, s[0:3], 0 offset:88
	;; [unrolled: 1-line block ×4, first 2 shown]
	global_load_dwordx4 v[21:24], v[17:18], off
	v_add_co_u32 v9, vcc_lo, s4, v9
	v_add_co_ci_u32_e64 v10, null, s5, v10, vcc_lo
	v_add_co_u32 v13, vcc_lo, s4, v13
	v_add_co_ci_u32_e64 v14, null, s5, v14, vcc_lo
	s_waitcnt vmcnt(2)
	buffer_store_dword v4, off, s[0:3], 0 offset:108
	buffer_store_dword v3, off, s[0:3], 0 offset:104
	buffer_store_dword v2, off, s[0:3], 0 offset:100
	buffer_store_dword v1, off, s[0:3], 0 offset:96
	global_load_dwordx4 v[1:4], v[7:8], off
	s_waitcnt vmcnt(2)
	buffer_store_dword v28, off, s[0:3], 0 offset:124
	buffer_store_dword v27, off, s[0:3], 0 offset:120
	;; [unrolled: 1-line block ×4, first 2 shown]
	global_load_dwordx4 v[25:28], v[9:10], off
	s_waitcnt vmcnt(2)
	buffer_store_dword v24, off, s[0:3], 0 offset:140
	buffer_store_dword v23, off, s[0:3], 0 offset:136
	;; [unrolled: 1-line block ×4, first 2 shown]
	v_add_co_u32 v21, vcc_lo, s4, v29
	v_add_co_ci_u32_e64 v22, null, s5, v30, vcc_lo
	global_load_dwordx4 v[33:36], v[13:14], off
	v_lshlrev_b64 v[23:24], 4, v[52:53]
	v_lshlrev_b64 v[29:30], 4, v[54:55]
	s_waitcnt vmcnt(2)
	buffer_store_dword v1, off, s[0:3], 0 offset:144
	buffer_store_dword v2, off, s[0:3], 0 offset:148
	;; [unrolled: 1-line block ×4, first 2 shown]
	global_load_dwordx4 v[1:4], v[21:22], off
	v_add_co_u32 v23, vcc_lo, s4, v23
	v_add_co_ci_u32_e64 v24, null, s5, v24, vcc_lo
	s_waitcnt vmcnt(2)
	buffer_store_dword v25, off, s[0:3], 0 offset:160
	buffer_store_dword v26, off, s[0:3], 0 offset:164
	;; [unrolled: 1-line block ×4, first 2 shown]
	v_add_co_u32 v25, vcc_lo, s4, v29
	v_add_co_ci_u32_e64 v26, null, s5, v30, vcc_lo
	global_load_dwordx4 v[52:55], v[23:24], off
	v_add_co_u32 v27, vcc_lo, s4, v49
	v_add_co_ci_u32_e64 v28, null, s5, v50, vcc_lo
	v_lshlrev_b64 v[29:30], 4, v[60:61]
	s_waitcnt vmcnt(2)
	buffer_store_dword v33, off, s[0:3], 0 offset:176
	buffer_store_dword v34, off, s[0:3], 0 offset:180
	;; [unrolled: 1-line block ×4, first 2 shown]
	global_load_dwordx4 v[56:59], v[25:26], off
	v_lshlrev_b64 v[33:34], 4, v[62:63]
	v_add_co_u32 v29, vcc_lo, s4, v29
	v_add_co_ci_u32_e64 v30, null, s5, v30, vcc_lo
	v_lshlrev_b64 v[35:36], 4, v[64:65]
	v_add_co_u32 v33, vcc_lo, s4, v33
	v_add_co_ci_u32_e64 v34, null, s5, v34, vcc_lo
	s_waitcnt vmcnt(2)
	buffer_store_dword v4, off, s[0:3], 0 offset:204
	buffer_store_dword v3, off, s[0:3], 0 offset:200
	buffer_store_dword v2, off, s[0:3], 0 offset:196
	buffer_store_dword v1, off, s[0:3], 0 offset:192
	global_load_dwordx4 v[1:4], v[27:28], off
	v_add_co_u32 v35, vcc_lo, s4, v35
	v_add_co_ci_u32_e64 v36, null, s5, v36, vcc_lo
	s_movk_i32 s4, 0x50
	s_movk_i32 s5, 0x60
	s_waitcnt vmcnt(2)
	buffer_store_dword v55, off, s[0:3], 0 offset:220
	buffer_store_dword v54, off, s[0:3], 0 offset:216
	buffer_store_dword v53, off, s[0:3], 0 offset:212
	buffer_store_dword v52, off, s[0:3], 0 offset:208
	global_load_dwordx4 v[52:55], v[29:30], off
	s_waitcnt vmcnt(2)
	buffer_store_dword v59, off, s[0:3], 0 offset:236
	buffer_store_dword v58, off, s[0:3], 0 offset:232
	buffer_store_dword v57, off, s[0:3], 0 offset:228
	buffer_store_dword v56, off, s[0:3], 0 offset:224
	global_load_dwordx4 v[56:59], v[33:34], off
	;; [unrolled: 6-line block ×3, first 2 shown]
	s_waitcnt vmcnt(2)
	buffer_store_dword v55, off, s[0:3], 0 offset:268
	buffer_store_dword v54, off, s[0:3], 0 offset:264
	buffer_store_dword v53, off, s[0:3], 0 offset:260
	buffer_store_dword v52, off, s[0:3], 0 offset:256
	s_waitcnt vmcnt(1)
	buffer_store_dword v59, off, s[0:3], 0 offset:284
	buffer_store_dword v58, off, s[0:3], 0 offset:280
	buffer_store_dword v57, off, s[0:3], 0 offset:276
	buffer_store_dword v56, off, s[0:3], 0 offset:272
	;; [unrolled: 5-line block ×3, first 2 shown]
	buffer_store_dword v48, off, s[0:3], 0 offset:316
	buffer_store_dword v47, off, s[0:3], 0 offset:312
	;; [unrolled: 1-line block ×4, first 2 shown]
	s_cbranch_scc1 .LBB19_7
; %bb.2:
	v_lshl_add_u32 v52, v0, 4, 0
                                        ; implicit-def: $vgpr47_vgpr48
                                        ; implicit-def: $vgpr3_vgpr4
	s_clause 0x3
	buffer_load_dword v45, v52, s[0:3], 0 offen
	buffer_load_dword v46, v52, s[0:3], 0 offen offset:4
	buffer_load_dword v49, v52, s[0:3], 0 offen offset:8
	buffer_load_dword v50, v52, s[0:3], 0 offen offset:12
	s_waitcnt vmcnt(0)
	v_cmp_ngt_f64_e64 s9, |v[45:46]|, |v[49:50]|
	s_and_saveexec_b32 s15, s9
	s_xor_b32 s9, exec_lo, s15
	s_cbranch_execz .LBB19_4
; %bb.3:
	v_div_scale_f64 v[1:2], null, v[49:50], v[49:50], v[45:46]
	v_div_scale_f64 v[53:54], vcc_lo, v[45:46], v[49:50], v[45:46]
	v_rcp_f64_e32 v[3:4], v[1:2]
	v_fma_f64 v[47:48], -v[1:2], v[3:4], 1.0
	v_fma_f64 v[3:4], v[3:4], v[47:48], v[3:4]
	v_fma_f64 v[47:48], -v[1:2], v[3:4], 1.0
	v_fma_f64 v[3:4], v[3:4], v[47:48], v[3:4]
	v_mul_f64 v[47:48], v[53:54], v[3:4]
	v_fma_f64 v[1:2], -v[1:2], v[47:48], v[53:54]
	v_div_fmas_f64 v[1:2], v[1:2], v[3:4], v[47:48]
	v_div_fixup_f64 v[1:2], v[1:2], v[49:50], v[45:46]
	v_fma_f64 v[3:4], v[45:46], v[1:2], v[49:50]
	v_div_scale_f64 v[45:46], null, v[3:4], v[3:4], 1.0
	v_div_scale_f64 v[53:54], vcc_lo, 1.0, v[3:4], 1.0
	v_rcp_f64_e32 v[47:48], v[45:46]
	v_fma_f64 v[49:50], -v[45:46], v[47:48], 1.0
	v_fma_f64 v[47:48], v[47:48], v[49:50], v[47:48]
	v_fma_f64 v[49:50], -v[45:46], v[47:48], 1.0
	v_fma_f64 v[47:48], v[47:48], v[49:50], v[47:48]
	v_mul_f64 v[49:50], v[53:54], v[47:48]
	v_fma_f64 v[45:46], -v[45:46], v[49:50], v[53:54]
	v_div_fmas_f64 v[45:46], v[45:46], v[47:48], v[49:50]
                                        ; implicit-def: $vgpr49_vgpr50
	v_div_fixup_f64 v[3:4], v[45:46], v[3:4], 1.0
                                        ; implicit-def: $vgpr45_vgpr46
	v_mul_f64 v[47:48], v[1:2], v[3:4]
	v_xor_b32_e32 v4, 0x80000000, v4
	v_xor_b32_e32 v2, 0x80000000, v48
	v_mov_b32_e32 v1, v47
.LBB19_4:
	s_andn2_saveexec_b32 s9, s9
	s_cbranch_execz .LBB19_6
; %bb.5:
	v_div_scale_f64 v[1:2], null, v[45:46], v[45:46], v[49:50]
	v_div_scale_f64 v[53:54], vcc_lo, v[49:50], v[45:46], v[49:50]
	v_rcp_f64_e32 v[3:4], v[1:2]
	v_fma_f64 v[47:48], -v[1:2], v[3:4], 1.0
	v_fma_f64 v[3:4], v[3:4], v[47:48], v[3:4]
	v_fma_f64 v[47:48], -v[1:2], v[3:4], 1.0
	v_fma_f64 v[3:4], v[3:4], v[47:48], v[3:4]
	v_mul_f64 v[47:48], v[53:54], v[3:4]
	v_fma_f64 v[1:2], -v[1:2], v[47:48], v[53:54]
	v_div_fmas_f64 v[1:2], v[1:2], v[3:4], v[47:48]
	v_div_fixup_f64 v[1:2], v[1:2], v[45:46], v[49:50]
	v_fma_f64 v[3:4], v[49:50], v[1:2], v[45:46]
	v_div_scale_f64 v[45:46], null, v[3:4], v[3:4], 1.0
	v_rcp_f64_e32 v[47:48], v[45:46]
	v_fma_f64 v[49:50], -v[45:46], v[47:48], 1.0
	v_fma_f64 v[47:48], v[47:48], v[49:50], v[47:48]
	v_fma_f64 v[49:50], -v[45:46], v[47:48], 1.0
	v_fma_f64 v[47:48], v[47:48], v[49:50], v[47:48]
	v_div_scale_f64 v[49:50], vcc_lo, 1.0, v[3:4], 1.0
	v_mul_f64 v[53:54], v[49:50], v[47:48]
	v_fma_f64 v[45:46], -v[45:46], v[53:54], v[49:50]
	v_div_fmas_f64 v[45:46], v[45:46], v[47:48], v[53:54]
	v_div_fixup_f64 v[47:48], v[45:46], v[3:4], 1.0
	v_mul_f64 v[3:4], v[1:2], -v[47:48]
	v_xor_b32_e32 v2, 0x80000000, v48
	v_mov_b32_e32 v1, v47
.LBB19_6:
	s_or_b32 exec_lo, exec_lo, s9
	buffer_store_dword v4, v52, s[0:3], 0 offen offset:12
	v_xor_b32_e32 v4, 0x80000000, v4
	buffer_store_dword v48, v52, s[0:3], 0 offen offset:4
	buffer_store_dword v47, v52, s[0:3], 0 offen
	buffer_store_dword v3, v52, s[0:3], 0 offen offset:8
	s_branch .LBB19_8
.LBB19_7:
	v_mov_b32_e32 v1, 0
	v_mov_b32_e32 v3, 0
	;; [unrolled: 1-line block ×4, first 2 shown]
.LBB19_8:
	v_add_nc_u32_e32 v46, 0x140, v51
	v_mov_b32_e32 v45, v51
	s_mov_b32 s26, 16
	s_mov_b32 s25, 32
	;; [unrolled: 1-line block ×18, first 2 shown]
	s_cmpk_eq_i32 s8, 0x79
	ds_write_b128 v51, v[1:4]
	s_cbranch_scc1 .LBB19_156
; %bb.9:
	v_mov_b32_e32 v4, s9
	v_cmp_eq_u32_e64 s4, 19, v0
	s_clause 0x3
	buffer_load_dword v1, v4, s[0:3], 0 offen
	buffer_load_dword v2, v4, s[0:3], 0 offen offset:4
	buffer_load_dword v3, v4, s[0:3], 0 offen offset:8
	;; [unrolled: 1-line block ×3, first 2 shown]
	s_waitcnt vmcnt(0)
	ds_write_b128 v46, v[1:4]
	s_waitcnt lgkmcnt(0)
	s_waitcnt_vscnt null, 0x0
	s_barrier
	buffer_gl0_inv
	s_and_saveexec_b32 s5, s4
	s_cbranch_execz .LBB19_13
; %bb.10:
	ds_read_b128 v[1:4], v46
	s_andn2_b32 vcc_lo, exec_lo, s27
	s_cbranch_vccnz .LBB19_12
; %bb.11:
	s_clause 0x3
	buffer_load_dword v47, v45, s[0:3], 0 offen offset:8
	buffer_load_dword v48, v45, s[0:3], 0 offen offset:12
	buffer_load_dword v49, v45, s[0:3], 0 offen
	buffer_load_dword v50, v45, s[0:3], 0 offen offset:4
	s_waitcnt vmcnt(2) lgkmcnt(0)
	v_mul_f64 v[52:53], v[3:4], v[47:48]
	v_mul_f64 v[47:48], v[1:2], v[47:48]
	s_waitcnt vmcnt(0)
	v_fma_f64 v[1:2], v[1:2], v[49:50], -v[52:53]
	v_fma_f64 v[3:4], v[3:4], v[49:50], v[47:48]
.LBB19_12:
	v_mov_b32_e32 v47, 0
	ds_read_b128 v[47:50], v47 offset:288
	s_waitcnt lgkmcnt(0)
	v_mul_f64 v[52:53], v[3:4], v[49:50]
	v_mul_f64 v[49:50], v[1:2], v[49:50]
	v_fma_f64 v[1:2], v[1:2], v[47:48], -v[52:53]
	v_fma_f64 v[3:4], v[3:4], v[47:48], v[49:50]
	buffer_store_dword v2, off, s[0:3], 0 offset:292
	buffer_store_dword v1, off, s[0:3], 0 offset:288
	;; [unrolled: 1-line block ×4, first 2 shown]
.LBB19_13:
	s_or_b32 exec_lo, exec_lo, s5
	v_mov_b32_e32 v4, s10
	v_cmp_lt_u32_e64 s5, 17, v0
	s_clause 0x3
	buffer_load_dword v1, v4, s[0:3], 0 offen
	buffer_load_dword v2, v4, s[0:3], 0 offen offset:4
	buffer_load_dword v3, v4, s[0:3], 0 offen offset:8
	buffer_load_dword v4, v4, s[0:3], 0 offen offset:12
	s_waitcnt vmcnt(0)
	ds_write_b128 v46, v[1:4]
	s_waitcnt lgkmcnt(0)
	s_waitcnt_vscnt null, 0x0
	s_barrier
	buffer_gl0_inv
	s_and_saveexec_b32 s6, s5
	s_cbranch_execz .LBB19_19
; %bb.14:
	ds_read_b128 v[1:4], v46
	s_andn2_b32 vcc_lo, exec_lo, s27
	s_cbranch_vccnz .LBB19_16
; %bb.15:
	s_clause 0x3
	buffer_load_dword v47, v45, s[0:3], 0 offen offset:8
	buffer_load_dword v48, v45, s[0:3], 0 offen offset:12
	buffer_load_dword v49, v45, s[0:3], 0 offen
	buffer_load_dword v50, v45, s[0:3], 0 offen offset:4
	s_waitcnt vmcnt(2) lgkmcnt(0)
	v_mul_f64 v[52:53], v[3:4], v[47:48]
	v_mul_f64 v[47:48], v[1:2], v[47:48]
	s_waitcnt vmcnt(0)
	v_fma_f64 v[1:2], v[1:2], v[49:50], -v[52:53]
	v_fma_f64 v[3:4], v[3:4], v[49:50], v[47:48]
.LBB19_16:
	s_and_saveexec_b32 s8, s4
	s_cbranch_execz .LBB19_18
; %bb.17:
	s_clause 0x3
	buffer_load_dword v52, off, s[0:3], 0 offset:296
	buffer_load_dword v53, off, s[0:3], 0 offset:300
	;; [unrolled: 1-line block ×4, first 2 shown]
	v_mov_b32_e32 v47, 0
	ds_read_b128 v[47:50], v47 offset:608
	s_waitcnt vmcnt(2) lgkmcnt(0)
	v_mul_f64 v[56:57], v[47:48], v[52:53]
	v_mul_f64 v[52:53], v[49:50], v[52:53]
	s_waitcnt vmcnt(0)
	v_fma_f64 v[49:50], v[49:50], v[54:55], v[56:57]
	v_fma_f64 v[47:48], v[47:48], v[54:55], -v[52:53]
	v_add_f64 v[3:4], v[3:4], v[49:50]
	v_add_f64 v[1:2], v[1:2], v[47:48]
.LBB19_18:
	s_or_b32 exec_lo, exec_lo, s8
	v_mov_b32_e32 v47, 0
	ds_read_b128 v[47:50], v47 offset:272
	s_waitcnt lgkmcnt(0)
	v_mul_f64 v[52:53], v[3:4], v[49:50]
	v_mul_f64 v[49:50], v[1:2], v[49:50]
	v_fma_f64 v[1:2], v[1:2], v[47:48], -v[52:53]
	v_fma_f64 v[3:4], v[3:4], v[47:48], v[49:50]
	buffer_store_dword v2, off, s[0:3], 0 offset:276
	buffer_store_dword v1, off, s[0:3], 0 offset:272
	buffer_store_dword v4, off, s[0:3], 0 offset:284
	buffer_store_dword v3, off, s[0:3], 0 offset:280
.LBB19_19:
	s_or_b32 exec_lo, exec_lo, s6
	v_mov_b32_e32 v4, s11
	v_cmp_lt_u32_e64 s4, 16, v0
	s_clause 0x3
	buffer_load_dword v1, v4, s[0:3], 0 offen
	buffer_load_dword v2, v4, s[0:3], 0 offen offset:4
	buffer_load_dword v3, v4, s[0:3], 0 offen offset:8
	;; [unrolled: 1-line block ×3, first 2 shown]
	s_waitcnt vmcnt(0)
	ds_write_b128 v46, v[1:4]
	s_waitcnt lgkmcnt(0)
	s_waitcnt_vscnt null, 0x0
	s_barrier
	buffer_gl0_inv
	s_and_saveexec_b32 s6, s4
	s_cbranch_execz .LBB19_27
; %bb.20:
	ds_read_b128 v[1:4], v46
	s_andn2_b32 vcc_lo, exec_lo, s27
	s_cbranch_vccnz .LBB19_22
; %bb.21:
	s_clause 0x3
	buffer_load_dword v47, v45, s[0:3], 0 offen offset:8
	buffer_load_dword v48, v45, s[0:3], 0 offen offset:12
	buffer_load_dword v49, v45, s[0:3], 0 offen
	buffer_load_dword v50, v45, s[0:3], 0 offen offset:4
	s_waitcnt vmcnt(2) lgkmcnt(0)
	v_mul_f64 v[52:53], v[3:4], v[47:48]
	v_mul_f64 v[47:48], v[1:2], v[47:48]
	s_waitcnt vmcnt(0)
	v_fma_f64 v[1:2], v[1:2], v[49:50], -v[52:53]
	v_fma_f64 v[3:4], v[3:4], v[49:50], v[47:48]
.LBB19_22:
	s_and_saveexec_b32 s8, s5
	s_cbranch_execz .LBB19_26
; %bb.23:
	v_subrev_nc_u32_e32 v47, 17, v0
	s_movk_i32 s28, 0x250
	s_mov_b32 s5, 0
	s_mov_b32 s29, s10
	.p2align	6
.LBB19_24:                              ; =>This Inner Loop Header: Depth=1
	v_mov_b32_e32 v50, s29
	v_add_nc_u32_e32 v47, -1, v47
	s_add_i32 s29, s29, 16
	s_clause 0x3
	buffer_load_dword v48, v50, s[0:3], 0 offen offset:8
	buffer_load_dword v49, v50, s[0:3], 0 offen offset:12
	buffer_load_dword v56, v50, s[0:3], 0 offen
	buffer_load_dword v57, v50, s[0:3], 0 offen offset:4
	v_mov_b32_e32 v50, s28
	v_cmp_eq_u32_e32 vcc_lo, 0, v47
	s_add_i32 s28, s28, 16
	ds_read_b128 v[52:55], v50
	s_or_b32 s5, vcc_lo, s5
	s_waitcnt vmcnt(2) lgkmcnt(0)
	v_mul_f64 v[58:59], v[54:55], v[48:49]
	v_mul_f64 v[48:49], v[52:53], v[48:49]
	s_waitcnt vmcnt(0)
	v_fma_f64 v[52:53], v[52:53], v[56:57], -v[58:59]
	v_fma_f64 v[48:49], v[54:55], v[56:57], v[48:49]
	v_add_f64 v[1:2], v[1:2], v[52:53]
	v_add_f64 v[3:4], v[3:4], v[48:49]
	s_andn2_b32 exec_lo, exec_lo, s5
	s_cbranch_execnz .LBB19_24
; %bb.25:
	s_or_b32 exec_lo, exec_lo, s5
.LBB19_26:
	s_or_b32 exec_lo, exec_lo, s8
	v_mov_b32_e32 v47, 0
	ds_read_b128 v[47:50], v47 offset:256
	s_waitcnt lgkmcnt(0)
	v_mul_f64 v[52:53], v[3:4], v[49:50]
	v_mul_f64 v[49:50], v[1:2], v[49:50]
	v_fma_f64 v[1:2], v[1:2], v[47:48], -v[52:53]
	v_fma_f64 v[3:4], v[3:4], v[47:48], v[49:50]
	buffer_store_dword v2, off, s[0:3], 0 offset:260
	buffer_store_dword v1, off, s[0:3], 0 offset:256
	;; [unrolled: 1-line block ×4, first 2 shown]
.LBB19_27:
	s_or_b32 exec_lo, exec_lo, s6
	v_mov_b32_e32 v4, s12
	v_cmp_lt_u32_e64 s5, 15, v0
	s_clause 0x3
	buffer_load_dword v1, v4, s[0:3], 0 offen
	buffer_load_dword v2, v4, s[0:3], 0 offen offset:4
	buffer_load_dword v3, v4, s[0:3], 0 offen offset:8
	;; [unrolled: 1-line block ×3, first 2 shown]
	s_waitcnt vmcnt(0)
	ds_write_b128 v46, v[1:4]
	s_waitcnt lgkmcnt(0)
	s_waitcnt_vscnt null, 0x0
	s_barrier
	buffer_gl0_inv
	s_and_saveexec_b32 s6, s5
	s_cbranch_execz .LBB19_35
; %bb.28:
	ds_read_b128 v[1:4], v46
	s_andn2_b32 vcc_lo, exec_lo, s27
	s_cbranch_vccnz .LBB19_30
; %bb.29:
	s_clause 0x3
	buffer_load_dword v47, v45, s[0:3], 0 offen offset:8
	buffer_load_dword v48, v45, s[0:3], 0 offen offset:12
	buffer_load_dword v49, v45, s[0:3], 0 offen
	buffer_load_dword v50, v45, s[0:3], 0 offen offset:4
	s_waitcnt vmcnt(2) lgkmcnt(0)
	v_mul_f64 v[52:53], v[3:4], v[47:48]
	v_mul_f64 v[47:48], v[1:2], v[47:48]
	s_waitcnt vmcnt(0)
	v_fma_f64 v[1:2], v[1:2], v[49:50], -v[52:53]
	v_fma_f64 v[3:4], v[3:4], v[49:50], v[47:48]
.LBB19_30:
	s_and_saveexec_b32 s8, s4
	s_cbranch_execz .LBB19_34
; %bb.31:
	v_add_nc_u32_e32 v47, -16, v0
	s_movk_i32 s28, 0x240
	s_mov_b32 s4, 0
	s_mov_b32 s29, s11
	.p2align	6
.LBB19_32:                              ; =>This Inner Loop Header: Depth=1
	v_mov_b32_e32 v50, s29
	v_add_nc_u32_e32 v47, -1, v47
	s_add_i32 s29, s29, 16
	s_clause 0x3
	buffer_load_dword v48, v50, s[0:3], 0 offen offset:8
	buffer_load_dword v49, v50, s[0:3], 0 offen offset:12
	buffer_load_dword v56, v50, s[0:3], 0 offen
	buffer_load_dword v57, v50, s[0:3], 0 offen offset:4
	v_mov_b32_e32 v50, s28
	v_cmp_eq_u32_e32 vcc_lo, 0, v47
	s_add_i32 s28, s28, 16
	ds_read_b128 v[52:55], v50
	s_or_b32 s4, vcc_lo, s4
	s_waitcnt vmcnt(2) lgkmcnt(0)
	v_mul_f64 v[58:59], v[54:55], v[48:49]
	v_mul_f64 v[48:49], v[52:53], v[48:49]
	s_waitcnt vmcnt(0)
	v_fma_f64 v[52:53], v[52:53], v[56:57], -v[58:59]
	v_fma_f64 v[48:49], v[54:55], v[56:57], v[48:49]
	v_add_f64 v[1:2], v[1:2], v[52:53]
	v_add_f64 v[3:4], v[3:4], v[48:49]
	s_andn2_b32 exec_lo, exec_lo, s4
	s_cbranch_execnz .LBB19_32
; %bb.33:
	s_or_b32 exec_lo, exec_lo, s4
.LBB19_34:
	s_or_b32 exec_lo, exec_lo, s8
	v_mov_b32_e32 v47, 0
	ds_read_b128 v[47:50], v47 offset:240
	s_waitcnt lgkmcnt(0)
	v_mul_f64 v[52:53], v[3:4], v[49:50]
	v_mul_f64 v[49:50], v[1:2], v[49:50]
	v_fma_f64 v[1:2], v[1:2], v[47:48], -v[52:53]
	v_fma_f64 v[3:4], v[3:4], v[47:48], v[49:50]
	buffer_store_dword v2, off, s[0:3], 0 offset:244
	buffer_store_dword v1, off, s[0:3], 0 offset:240
	;; [unrolled: 1-line block ×4, first 2 shown]
.LBB19_35:
	s_or_b32 exec_lo, exec_lo, s6
	v_mov_b32_e32 v4, s13
	v_cmp_lt_u32_e64 s4, 14, v0
	s_clause 0x3
	buffer_load_dword v1, v4, s[0:3], 0 offen
	buffer_load_dword v2, v4, s[0:3], 0 offen offset:4
	buffer_load_dword v3, v4, s[0:3], 0 offen offset:8
	;; [unrolled: 1-line block ×3, first 2 shown]
	s_waitcnt vmcnt(0)
	ds_write_b128 v46, v[1:4]
	s_waitcnt lgkmcnt(0)
	s_waitcnt_vscnt null, 0x0
	s_barrier
	buffer_gl0_inv
	s_and_saveexec_b32 s6, s4
	s_cbranch_execz .LBB19_43
; %bb.36:
	ds_read_b128 v[1:4], v46
	s_andn2_b32 vcc_lo, exec_lo, s27
	s_cbranch_vccnz .LBB19_38
; %bb.37:
	s_clause 0x3
	buffer_load_dword v47, v45, s[0:3], 0 offen offset:8
	buffer_load_dword v48, v45, s[0:3], 0 offen offset:12
	buffer_load_dword v49, v45, s[0:3], 0 offen
	buffer_load_dword v50, v45, s[0:3], 0 offen offset:4
	s_waitcnt vmcnt(2) lgkmcnt(0)
	v_mul_f64 v[52:53], v[3:4], v[47:48]
	v_mul_f64 v[47:48], v[1:2], v[47:48]
	s_waitcnt vmcnt(0)
	v_fma_f64 v[1:2], v[1:2], v[49:50], -v[52:53]
	v_fma_f64 v[3:4], v[3:4], v[49:50], v[47:48]
.LBB19_38:
	s_and_saveexec_b32 s8, s5
	s_cbranch_execz .LBB19_42
; %bb.39:
	v_add_nc_u32_e32 v47, -15, v0
	s_movk_i32 s28, 0x230
	s_mov_b32 s5, 0
	s_mov_b32 s29, s12
	.p2align	6
.LBB19_40:                              ; =>This Inner Loop Header: Depth=1
	v_mov_b32_e32 v50, s29
	v_add_nc_u32_e32 v47, -1, v47
	s_add_i32 s29, s29, 16
	s_clause 0x3
	buffer_load_dword v48, v50, s[0:3], 0 offen offset:8
	buffer_load_dword v49, v50, s[0:3], 0 offen offset:12
	buffer_load_dword v56, v50, s[0:3], 0 offen
	buffer_load_dword v57, v50, s[0:3], 0 offen offset:4
	v_mov_b32_e32 v50, s28
	v_cmp_eq_u32_e32 vcc_lo, 0, v47
	s_add_i32 s28, s28, 16
	ds_read_b128 v[52:55], v50
	s_or_b32 s5, vcc_lo, s5
	s_waitcnt vmcnt(2) lgkmcnt(0)
	v_mul_f64 v[58:59], v[54:55], v[48:49]
	v_mul_f64 v[48:49], v[52:53], v[48:49]
	s_waitcnt vmcnt(0)
	v_fma_f64 v[52:53], v[52:53], v[56:57], -v[58:59]
	v_fma_f64 v[48:49], v[54:55], v[56:57], v[48:49]
	v_add_f64 v[1:2], v[1:2], v[52:53]
	v_add_f64 v[3:4], v[3:4], v[48:49]
	s_andn2_b32 exec_lo, exec_lo, s5
	s_cbranch_execnz .LBB19_40
; %bb.41:
	s_or_b32 exec_lo, exec_lo, s5
.LBB19_42:
	s_or_b32 exec_lo, exec_lo, s8
	v_mov_b32_e32 v47, 0
	ds_read_b128 v[47:50], v47 offset:224
	s_waitcnt lgkmcnt(0)
	v_mul_f64 v[52:53], v[3:4], v[49:50]
	v_mul_f64 v[49:50], v[1:2], v[49:50]
	v_fma_f64 v[1:2], v[1:2], v[47:48], -v[52:53]
	v_fma_f64 v[3:4], v[3:4], v[47:48], v[49:50]
	buffer_store_dword v2, off, s[0:3], 0 offset:228
	buffer_store_dword v1, off, s[0:3], 0 offset:224
	;; [unrolled: 1-line block ×4, first 2 shown]
.LBB19_43:
	s_or_b32 exec_lo, exec_lo, s6
	v_mov_b32_e32 v4, s14
	v_cmp_lt_u32_e64 s5, 13, v0
	s_clause 0x3
	buffer_load_dword v1, v4, s[0:3], 0 offen
	buffer_load_dword v2, v4, s[0:3], 0 offen offset:4
	buffer_load_dword v3, v4, s[0:3], 0 offen offset:8
	;; [unrolled: 1-line block ×3, first 2 shown]
	s_waitcnt vmcnt(0)
	ds_write_b128 v46, v[1:4]
	s_waitcnt lgkmcnt(0)
	s_waitcnt_vscnt null, 0x0
	s_barrier
	buffer_gl0_inv
	s_and_saveexec_b32 s6, s5
	s_cbranch_execz .LBB19_51
; %bb.44:
	ds_read_b128 v[1:4], v46
	s_andn2_b32 vcc_lo, exec_lo, s27
	s_cbranch_vccnz .LBB19_46
; %bb.45:
	s_clause 0x3
	buffer_load_dword v47, v45, s[0:3], 0 offen offset:8
	buffer_load_dword v48, v45, s[0:3], 0 offen offset:12
	buffer_load_dword v49, v45, s[0:3], 0 offen
	buffer_load_dword v50, v45, s[0:3], 0 offen offset:4
	s_waitcnt vmcnt(2) lgkmcnt(0)
	v_mul_f64 v[52:53], v[3:4], v[47:48]
	v_mul_f64 v[47:48], v[1:2], v[47:48]
	s_waitcnt vmcnt(0)
	v_fma_f64 v[1:2], v[1:2], v[49:50], -v[52:53]
	v_fma_f64 v[3:4], v[3:4], v[49:50], v[47:48]
.LBB19_46:
	s_and_saveexec_b32 s8, s4
	s_cbranch_execz .LBB19_50
; %bb.47:
	v_add_nc_u32_e32 v47, -14, v0
	s_movk_i32 s28, 0x220
	s_mov_b32 s4, 0
	s_mov_b32 s29, s13
	.p2align	6
.LBB19_48:                              ; =>This Inner Loop Header: Depth=1
	v_mov_b32_e32 v50, s29
	v_add_nc_u32_e32 v47, -1, v47
	s_add_i32 s29, s29, 16
	s_clause 0x3
	buffer_load_dword v48, v50, s[0:3], 0 offen offset:8
	buffer_load_dword v49, v50, s[0:3], 0 offen offset:12
	buffer_load_dword v56, v50, s[0:3], 0 offen
	buffer_load_dword v57, v50, s[0:3], 0 offen offset:4
	v_mov_b32_e32 v50, s28
	v_cmp_eq_u32_e32 vcc_lo, 0, v47
	s_add_i32 s28, s28, 16
	ds_read_b128 v[52:55], v50
	s_or_b32 s4, vcc_lo, s4
	s_waitcnt vmcnt(2) lgkmcnt(0)
	v_mul_f64 v[58:59], v[54:55], v[48:49]
	v_mul_f64 v[48:49], v[52:53], v[48:49]
	s_waitcnt vmcnt(0)
	v_fma_f64 v[52:53], v[52:53], v[56:57], -v[58:59]
	v_fma_f64 v[48:49], v[54:55], v[56:57], v[48:49]
	v_add_f64 v[1:2], v[1:2], v[52:53]
	v_add_f64 v[3:4], v[3:4], v[48:49]
	s_andn2_b32 exec_lo, exec_lo, s4
	s_cbranch_execnz .LBB19_48
; %bb.49:
	s_or_b32 exec_lo, exec_lo, s4
.LBB19_50:
	s_or_b32 exec_lo, exec_lo, s8
	v_mov_b32_e32 v47, 0
	ds_read_b128 v[47:50], v47 offset:208
	s_waitcnt lgkmcnt(0)
	v_mul_f64 v[52:53], v[3:4], v[49:50]
	v_mul_f64 v[49:50], v[1:2], v[49:50]
	v_fma_f64 v[1:2], v[1:2], v[47:48], -v[52:53]
	v_fma_f64 v[3:4], v[3:4], v[47:48], v[49:50]
	buffer_store_dword v2, off, s[0:3], 0 offset:212
	buffer_store_dword v1, off, s[0:3], 0 offset:208
	;; [unrolled: 1-line block ×4, first 2 shown]
.LBB19_51:
	s_or_b32 exec_lo, exec_lo, s6
	v_mov_b32_e32 v4, s15
	v_cmp_lt_u32_e64 s4, 12, v0
	s_clause 0x3
	buffer_load_dword v1, v4, s[0:3], 0 offen
	buffer_load_dword v2, v4, s[0:3], 0 offen offset:4
	buffer_load_dword v3, v4, s[0:3], 0 offen offset:8
	;; [unrolled: 1-line block ×3, first 2 shown]
	s_waitcnt vmcnt(0)
	ds_write_b128 v46, v[1:4]
	s_waitcnt lgkmcnt(0)
	s_waitcnt_vscnt null, 0x0
	s_barrier
	buffer_gl0_inv
	s_and_saveexec_b32 s6, s4
	s_cbranch_execz .LBB19_59
; %bb.52:
	ds_read_b128 v[1:4], v46
	s_andn2_b32 vcc_lo, exec_lo, s27
	s_cbranch_vccnz .LBB19_54
; %bb.53:
	s_clause 0x3
	buffer_load_dword v47, v45, s[0:3], 0 offen offset:8
	buffer_load_dword v48, v45, s[0:3], 0 offen offset:12
	buffer_load_dword v49, v45, s[0:3], 0 offen
	buffer_load_dword v50, v45, s[0:3], 0 offen offset:4
	s_waitcnt vmcnt(2) lgkmcnt(0)
	v_mul_f64 v[52:53], v[3:4], v[47:48]
	v_mul_f64 v[47:48], v[1:2], v[47:48]
	s_waitcnt vmcnt(0)
	v_fma_f64 v[1:2], v[1:2], v[49:50], -v[52:53]
	v_fma_f64 v[3:4], v[3:4], v[49:50], v[47:48]
.LBB19_54:
	s_and_saveexec_b32 s8, s5
	s_cbranch_execz .LBB19_58
; %bb.55:
	v_add_nc_u32_e32 v47, -13, v0
	s_movk_i32 s28, 0x210
	s_mov_b32 s5, 0
	s_mov_b32 s29, s14
	.p2align	6
.LBB19_56:                              ; =>This Inner Loop Header: Depth=1
	v_mov_b32_e32 v50, s29
	v_add_nc_u32_e32 v47, -1, v47
	s_add_i32 s29, s29, 16
	s_clause 0x3
	buffer_load_dword v48, v50, s[0:3], 0 offen offset:8
	buffer_load_dword v49, v50, s[0:3], 0 offen offset:12
	buffer_load_dword v56, v50, s[0:3], 0 offen
	buffer_load_dword v57, v50, s[0:3], 0 offen offset:4
	v_mov_b32_e32 v50, s28
	v_cmp_eq_u32_e32 vcc_lo, 0, v47
	s_add_i32 s28, s28, 16
	ds_read_b128 v[52:55], v50
	s_or_b32 s5, vcc_lo, s5
	s_waitcnt vmcnt(2) lgkmcnt(0)
	v_mul_f64 v[58:59], v[54:55], v[48:49]
	v_mul_f64 v[48:49], v[52:53], v[48:49]
	s_waitcnt vmcnt(0)
	v_fma_f64 v[52:53], v[52:53], v[56:57], -v[58:59]
	v_fma_f64 v[48:49], v[54:55], v[56:57], v[48:49]
	v_add_f64 v[1:2], v[1:2], v[52:53]
	v_add_f64 v[3:4], v[3:4], v[48:49]
	s_andn2_b32 exec_lo, exec_lo, s5
	s_cbranch_execnz .LBB19_56
; %bb.57:
	s_or_b32 exec_lo, exec_lo, s5
.LBB19_58:
	s_or_b32 exec_lo, exec_lo, s8
	v_mov_b32_e32 v47, 0
	ds_read_b128 v[47:50], v47 offset:192
	s_waitcnt lgkmcnt(0)
	v_mul_f64 v[52:53], v[3:4], v[49:50]
	v_mul_f64 v[49:50], v[1:2], v[49:50]
	v_fma_f64 v[1:2], v[1:2], v[47:48], -v[52:53]
	v_fma_f64 v[3:4], v[3:4], v[47:48], v[49:50]
	buffer_store_dword v2, off, s[0:3], 0 offset:196
	buffer_store_dword v1, off, s[0:3], 0 offset:192
	;; [unrolled: 1-line block ×4, first 2 shown]
.LBB19_59:
	s_or_b32 exec_lo, exec_lo, s6
	v_mov_b32_e32 v4, s16
	v_cmp_lt_u32_e64 s5, 11, v0
	s_clause 0x3
	buffer_load_dword v1, v4, s[0:3], 0 offen
	buffer_load_dword v2, v4, s[0:3], 0 offen offset:4
	buffer_load_dword v3, v4, s[0:3], 0 offen offset:8
	;; [unrolled: 1-line block ×3, first 2 shown]
	s_waitcnt vmcnt(0)
	ds_write_b128 v46, v[1:4]
	s_waitcnt lgkmcnt(0)
	s_waitcnt_vscnt null, 0x0
	s_barrier
	buffer_gl0_inv
	s_and_saveexec_b32 s6, s5
	s_cbranch_execz .LBB19_67
; %bb.60:
	ds_read_b128 v[1:4], v46
	s_andn2_b32 vcc_lo, exec_lo, s27
	s_cbranch_vccnz .LBB19_62
; %bb.61:
	s_clause 0x3
	buffer_load_dword v47, v45, s[0:3], 0 offen offset:8
	buffer_load_dword v48, v45, s[0:3], 0 offen offset:12
	buffer_load_dword v49, v45, s[0:3], 0 offen
	buffer_load_dword v50, v45, s[0:3], 0 offen offset:4
	s_waitcnt vmcnt(2) lgkmcnt(0)
	v_mul_f64 v[52:53], v[3:4], v[47:48]
	v_mul_f64 v[47:48], v[1:2], v[47:48]
	s_waitcnt vmcnt(0)
	v_fma_f64 v[1:2], v[1:2], v[49:50], -v[52:53]
	v_fma_f64 v[3:4], v[3:4], v[49:50], v[47:48]
.LBB19_62:
	s_and_saveexec_b32 s8, s4
	s_cbranch_execz .LBB19_66
; %bb.63:
	v_add_nc_u32_e32 v47, -12, v0
	s_movk_i32 s28, 0x200
	s_mov_b32 s4, 0
	s_mov_b32 s29, s15
	.p2align	6
.LBB19_64:                              ; =>This Inner Loop Header: Depth=1
	v_mov_b32_e32 v50, s29
	v_add_nc_u32_e32 v47, -1, v47
	s_add_i32 s29, s29, 16
	s_clause 0x3
	buffer_load_dword v48, v50, s[0:3], 0 offen offset:8
	buffer_load_dword v49, v50, s[0:3], 0 offen offset:12
	buffer_load_dword v56, v50, s[0:3], 0 offen
	buffer_load_dword v57, v50, s[0:3], 0 offen offset:4
	v_mov_b32_e32 v50, s28
	v_cmp_eq_u32_e32 vcc_lo, 0, v47
	s_add_i32 s28, s28, 16
	ds_read_b128 v[52:55], v50
	s_or_b32 s4, vcc_lo, s4
	s_waitcnt vmcnt(2) lgkmcnt(0)
	v_mul_f64 v[58:59], v[54:55], v[48:49]
	v_mul_f64 v[48:49], v[52:53], v[48:49]
	s_waitcnt vmcnt(0)
	v_fma_f64 v[52:53], v[52:53], v[56:57], -v[58:59]
	v_fma_f64 v[48:49], v[54:55], v[56:57], v[48:49]
	v_add_f64 v[1:2], v[1:2], v[52:53]
	v_add_f64 v[3:4], v[3:4], v[48:49]
	s_andn2_b32 exec_lo, exec_lo, s4
	s_cbranch_execnz .LBB19_64
; %bb.65:
	s_or_b32 exec_lo, exec_lo, s4
.LBB19_66:
	s_or_b32 exec_lo, exec_lo, s8
	v_mov_b32_e32 v47, 0
	ds_read_b128 v[47:50], v47 offset:176
	s_waitcnt lgkmcnt(0)
	v_mul_f64 v[52:53], v[3:4], v[49:50]
	v_mul_f64 v[49:50], v[1:2], v[49:50]
	v_fma_f64 v[1:2], v[1:2], v[47:48], -v[52:53]
	v_fma_f64 v[3:4], v[3:4], v[47:48], v[49:50]
	buffer_store_dword v2, off, s[0:3], 0 offset:180
	buffer_store_dword v1, off, s[0:3], 0 offset:176
	;; [unrolled: 1-line block ×4, first 2 shown]
.LBB19_67:
	s_or_b32 exec_lo, exec_lo, s6
	v_mov_b32_e32 v4, s17
	v_cmp_lt_u32_e64 s4, 10, v0
	s_clause 0x3
	buffer_load_dword v1, v4, s[0:3], 0 offen
	buffer_load_dword v2, v4, s[0:3], 0 offen offset:4
	buffer_load_dword v3, v4, s[0:3], 0 offen offset:8
	;; [unrolled: 1-line block ×3, first 2 shown]
	s_waitcnt vmcnt(0)
	ds_write_b128 v46, v[1:4]
	s_waitcnt lgkmcnt(0)
	s_waitcnt_vscnt null, 0x0
	s_barrier
	buffer_gl0_inv
	s_and_saveexec_b32 s6, s4
	s_cbranch_execz .LBB19_75
; %bb.68:
	ds_read_b128 v[1:4], v46
	s_andn2_b32 vcc_lo, exec_lo, s27
	s_cbranch_vccnz .LBB19_70
; %bb.69:
	s_clause 0x3
	buffer_load_dword v47, v45, s[0:3], 0 offen offset:8
	buffer_load_dword v48, v45, s[0:3], 0 offen offset:12
	buffer_load_dword v49, v45, s[0:3], 0 offen
	buffer_load_dword v50, v45, s[0:3], 0 offen offset:4
	s_waitcnt vmcnt(2) lgkmcnt(0)
	v_mul_f64 v[52:53], v[3:4], v[47:48]
	v_mul_f64 v[47:48], v[1:2], v[47:48]
	s_waitcnt vmcnt(0)
	v_fma_f64 v[1:2], v[1:2], v[49:50], -v[52:53]
	v_fma_f64 v[3:4], v[3:4], v[49:50], v[47:48]
.LBB19_70:
	s_and_saveexec_b32 s8, s5
	s_cbranch_execz .LBB19_74
; %bb.71:
	v_add_nc_u32_e32 v47, -11, v0
	s_movk_i32 s28, 0x1f0
	s_mov_b32 s5, 0
	s_mov_b32 s29, s16
	.p2align	6
.LBB19_72:                              ; =>This Inner Loop Header: Depth=1
	v_mov_b32_e32 v50, s29
	v_add_nc_u32_e32 v47, -1, v47
	s_add_i32 s29, s29, 16
	s_clause 0x3
	buffer_load_dword v48, v50, s[0:3], 0 offen offset:8
	buffer_load_dword v49, v50, s[0:3], 0 offen offset:12
	buffer_load_dword v56, v50, s[0:3], 0 offen
	buffer_load_dword v57, v50, s[0:3], 0 offen offset:4
	v_mov_b32_e32 v50, s28
	v_cmp_eq_u32_e32 vcc_lo, 0, v47
	s_add_i32 s28, s28, 16
	ds_read_b128 v[52:55], v50
	s_or_b32 s5, vcc_lo, s5
	s_waitcnt vmcnt(2) lgkmcnt(0)
	v_mul_f64 v[58:59], v[54:55], v[48:49]
	v_mul_f64 v[48:49], v[52:53], v[48:49]
	s_waitcnt vmcnt(0)
	v_fma_f64 v[52:53], v[52:53], v[56:57], -v[58:59]
	v_fma_f64 v[48:49], v[54:55], v[56:57], v[48:49]
	v_add_f64 v[1:2], v[1:2], v[52:53]
	v_add_f64 v[3:4], v[3:4], v[48:49]
	s_andn2_b32 exec_lo, exec_lo, s5
	s_cbranch_execnz .LBB19_72
; %bb.73:
	s_or_b32 exec_lo, exec_lo, s5
.LBB19_74:
	s_or_b32 exec_lo, exec_lo, s8
	v_mov_b32_e32 v47, 0
	ds_read_b128 v[47:50], v47 offset:160
	s_waitcnt lgkmcnt(0)
	v_mul_f64 v[52:53], v[3:4], v[49:50]
	v_mul_f64 v[49:50], v[1:2], v[49:50]
	v_fma_f64 v[1:2], v[1:2], v[47:48], -v[52:53]
	v_fma_f64 v[3:4], v[3:4], v[47:48], v[49:50]
	buffer_store_dword v2, off, s[0:3], 0 offset:164
	buffer_store_dword v1, off, s[0:3], 0 offset:160
	;; [unrolled: 1-line block ×4, first 2 shown]
.LBB19_75:
	s_or_b32 exec_lo, exec_lo, s6
	v_mov_b32_e32 v4, s18
	v_cmp_lt_u32_e64 s5, 9, v0
	s_clause 0x3
	buffer_load_dword v1, v4, s[0:3], 0 offen
	buffer_load_dword v2, v4, s[0:3], 0 offen offset:4
	buffer_load_dword v3, v4, s[0:3], 0 offen offset:8
	;; [unrolled: 1-line block ×3, first 2 shown]
	s_waitcnt vmcnt(0)
	ds_write_b128 v46, v[1:4]
	s_waitcnt lgkmcnt(0)
	s_waitcnt_vscnt null, 0x0
	s_barrier
	buffer_gl0_inv
	s_and_saveexec_b32 s6, s5
	s_cbranch_execz .LBB19_83
; %bb.76:
	ds_read_b128 v[1:4], v46
	s_andn2_b32 vcc_lo, exec_lo, s27
	s_cbranch_vccnz .LBB19_78
; %bb.77:
	s_clause 0x3
	buffer_load_dword v47, v45, s[0:3], 0 offen offset:8
	buffer_load_dword v48, v45, s[0:3], 0 offen offset:12
	buffer_load_dword v49, v45, s[0:3], 0 offen
	buffer_load_dword v50, v45, s[0:3], 0 offen offset:4
	s_waitcnt vmcnt(2) lgkmcnt(0)
	v_mul_f64 v[52:53], v[3:4], v[47:48]
	v_mul_f64 v[47:48], v[1:2], v[47:48]
	s_waitcnt vmcnt(0)
	v_fma_f64 v[1:2], v[1:2], v[49:50], -v[52:53]
	v_fma_f64 v[3:4], v[3:4], v[49:50], v[47:48]
.LBB19_78:
	s_and_saveexec_b32 s8, s4
	s_cbranch_execz .LBB19_82
; %bb.79:
	v_add_nc_u32_e32 v47, -10, v0
	s_movk_i32 s28, 0x1e0
	s_mov_b32 s4, 0
	s_mov_b32 s29, s17
	.p2align	6
.LBB19_80:                              ; =>This Inner Loop Header: Depth=1
	v_mov_b32_e32 v50, s29
	v_add_nc_u32_e32 v47, -1, v47
	s_add_i32 s29, s29, 16
	s_clause 0x3
	buffer_load_dword v48, v50, s[0:3], 0 offen offset:8
	buffer_load_dword v49, v50, s[0:3], 0 offen offset:12
	buffer_load_dword v56, v50, s[0:3], 0 offen
	buffer_load_dword v57, v50, s[0:3], 0 offen offset:4
	v_mov_b32_e32 v50, s28
	v_cmp_eq_u32_e32 vcc_lo, 0, v47
	s_add_i32 s28, s28, 16
	ds_read_b128 v[52:55], v50
	s_or_b32 s4, vcc_lo, s4
	s_waitcnt vmcnt(2) lgkmcnt(0)
	v_mul_f64 v[58:59], v[54:55], v[48:49]
	v_mul_f64 v[48:49], v[52:53], v[48:49]
	s_waitcnt vmcnt(0)
	v_fma_f64 v[52:53], v[52:53], v[56:57], -v[58:59]
	v_fma_f64 v[48:49], v[54:55], v[56:57], v[48:49]
	v_add_f64 v[1:2], v[1:2], v[52:53]
	v_add_f64 v[3:4], v[3:4], v[48:49]
	s_andn2_b32 exec_lo, exec_lo, s4
	s_cbranch_execnz .LBB19_80
; %bb.81:
	s_or_b32 exec_lo, exec_lo, s4
.LBB19_82:
	s_or_b32 exec_lo, exec_lo, s8
	v_mov_b32_e32 v47, 0
	ds_read_b128 v[47:50], v47 offset:144
	s_waitcnt lgkmcnt(0)
	v_mul_f64 v[52:53], v[3:4], v[49:50]
	v_mul_f64 v[49:50], v[1:2], v[49:50]
	v_fma_f64 v[1:2], v[1:2], v[47:48], -v[52:53]
	v_fma_f64 v[3:4], v[3:4], v[47:48], v[49:50]
	buffer_store_dword v2, off, s[0:3], 0 offset:148
	buffer_store_dword v1, off, s[0:3], 0 offset:144
	;; [unrolled: 1-line block ×4, first 2 shown]
.LBB19_83:
	s_or_b32 exec_lo, exec_lo, s6
	v_mov_b32_e32 v4, s19
	v_cmp_lt_u32_e64 s4, 8, v0
	s_clause 0x3
	buffer_load_dword v1, v4, s[0:3], 0 offen
	buffer_load_dword v2, v4, s[0:3], 0 offen offset:4
	buffer_load_dword v3, v4, s[0:3], 0 offen offset:8
	;; [unrolled: 1-line block ×3, first 2 shown]
	s_waitcnt vmcnt(0)
	ds_write_b128 v46, v[1:4]
	s_waitcnt lgkmcnt(0)
	s_waitcnt_vscnt null, 0x0
	s_barrier
	buffer_gl0_inv
	s_and_saveexec_b32 s6, s4
	s_cbranch_execz .LBB19_91
; %bb.84:
	ds_read_b128 v[1:4], v46
	s_andn2_b32 vcc_lo, exec_lo, s27
	s_cbranch_vccnz .LBB19_86
; %bb.85:
	s_clause 0x3
	buffer_load_dword v47, v45, s[0:3], 0 offen offset:8
	buffer_load_dword v48, v45, s[0:3], 0 offen offset:12
	buffer_load_dword v49, v45, s[0:3], 0 offen
	buffer_load_dword v50, v45, s[0:3], 0 offen offset:4
	s_waitcnt vmcnt(2) lgkmcnt(0)
	v_mul_f64 v[52:53], v[3:4], v[47:48]
	v_mul_f64 v[47:48], v[1:2], v[47:48]
	s_waitcnt vmcnt(0)
	v_fma_f64 v[1:2], v[1:2], v[49:50], -v[52:53]
	v_fma_f64 v[3:4], v[3:4], v[49:50], v[47:48]
.LBB19_86:
	s_and_saveexec_b32 s8, s5
	s_cbranch_execz .LBB19_90
; %bb.87:
	v_add_nc_u32_e32 v47, -9, v0
	s_movk_i32 s28, 0x1d0
	s_mov_b32 s5, 0
	s_mov_b32 s29, s18
	.p2align	6
.LBB19_88:                              ; =>This Inner Loop Header: Depth=1
	v_mov_b32_e32 v50, s29
	v_add_nc_u32_e32 v47, -1, v47
	s_add_i32 s29, s29, 16
	s_clause 0x3
	buffer_load_dword v48, v50, s[0:3], 0 offen offset:8
	buffer_load_dword v49, v50, s[0:3], 0 offen offset:12
	buffer_load_dword v56, v50, s[0:3], 0 offen
	buffer_load_dword v57, v50, s[0:3], 0 offen offset:4
	v_mov_b32_e32 v50, s28
	v_cmp_eq_u32_e32 vcc_lo, 0, v47
	s_add_i32 s28, s28, 16
	ds_read_b128 v[52:55], v50
	s_or_b32 s5, vcc_lo, s5
	s_waitcnt vmcnt(2) lgkmcnt(0)
	v_mul_f64 v[58:59], v[54:55], v[48:49]
	v_mul_f64 v[48:49], v[52:53], v[48:49]
	s_waitcnt vmcnt(0)
	v_fma_f64 v[52:53], v[52:53], v[56:57], -v[58:59]
	v_fma_f64 v[48:49], v[54:55], v[56:57], v[48:49]
	v_add_f64 v[1:2], v[1:2], v[52:53]
	v_add_f64 v[3:4], v[3:4], v[48:49]
	s_andn2_b32 exec_lo, exec_lo, s5
	s_cbranch_execnz .LBB19_88
; %bb.89:
	s_or_b32 exec_lo, exec_lo, s5
.LBB19_90:
	s_or_b32 exec_lo, exec_lo, s8
	v_mov_b32_e32 v47, 0
	ds_read_b128 v[47:50], v47 offset:128
	s_waitcnt lgkmcnt(0)
	v_mul_f64 v[52:53], v[3:4], v[49:50]
	v_mul_f64 v[49:50], v[1:2], v[49:50]
	v_fma_f64 v[1:2], v[1:2], v[47:48], -v[52:53]
	v_fma_f64 v[3:4], v[3:4], v[47:48], v[49:50]
	buffer_store_dword v2, off, s[0:3], 0 offset:132
	buffer_store_dword v1, off, s[0:3], 0 offset:128
	;; [unrolled: 1-line block ×4, first 2 shown]
.LBB19_91:
	s_or_b32 exec_lo, exec_lo, s6
	v_mov_b32_e32 v4, s20
	v_cmp_lt_u32_e64 s5, 7, v0
	s_clause 0x3
	buffer_load_dword v1, v4, s[0:3], 0 offen
	buffer_load_dword v2, v4, s[0:3], 0 offen offset:4
	buffer_load_dword v3, v4, s[0:3], 0 offen offset:8
	;; [unrolled: 1-line block ×3, first 2 shown]
	s_waitcnt vmcnt(0)
	ds_write_b128 v46, v[1:4]
	s_waitcnt lgkmcnt(0)
	s_waitcnt_vscnt null, 0x0
	s_barrier
	buffer_gl0_inv
	s_and_saveexec_b32 s6, s5
	s_cbranch_execz .LBB19_99
; %bb.92:
	ds_read_b128 v[1:4], v46
	s_andn2_b32 vcc_lo, exec_lo, s27
	s_cbranch_vccnz .LBB19_94
; %bb.93:
	s_clause 0x3
	buffer_load_dword v47, v45, s[0:3], 0 offen offset:8
	buffer_load_dword v48, v45, s[0:3], 0 offen offset:12
	buffer_load_dword v49, v45, s[0:3], 0 offen
	buffer_load_dword v50, v45, s[0:3], 0 offen offset:4
	s_waitcnt vmcnt(2) lgkmcnt(0)
	v_mul_f64 v[52:53], v[3:4], v[47:48]
	v_mul_f64 v[47:48], v[1:2], v[47:48]
	s_waitcnt vmcnt(0)
	v_fma_f64 v[1:2], v[1:2], v[49:50], -v[52:53]
	v_fma_f64 v[3:4], v[3:4], v[49:50], v[47:48]
.LBB19_94:
	s_and_saveexec_b32 s8, s4
	s_cbranch_execz .LBB19_98
; %bb.95:
	v_add_nc_u32_e32 v47, -8, v0
	s_movk_i32 s28, 0x1c0
	s_mov_b32 s4, 0
	s_mov_b32 s29, s19
	.p2align	6
.LBB19_96:                              ; =>This Inner Loop Header: Depth=1
	v_mov_b32_e32 v50, s29
	v_add_nc_u32_e32 v47, -1, v47
	s_add_i32 s29, s29, 16
	s_clause 0x3
	buffer_load_dword v48, v50, s[0:3], 0 offen offset:8
	buffer_load_dword v49, v50, s[0:3], 0 offen offset:12
	buffer_load_dword v56, v50, s[0:3], 0 offen
	buffer_load_dword v57, v50, s[0:3], 0 offen offset:4
	v_mov_b32_e32 v50, s28
	v_cmp_eq_u32_e32 vcc_lo, 0, v47
	s_add_i32 s28, s28, 16
	ds_read_b128 v[52:55], v50
	s_or_b32 s4, vcc_lo, s4
	s_waitcnt vmcnt(2) lgkmcnt(0)
	v_mul_f64 v[58:59], v[54:55], v[48:49]
	v_mul_f64 v[48:49], v[52:53], v[48:49]
	s_waitcnt vmcnt(0)
	v_fma_f64 v[52:53], v[52:53], v[56:57], -v[58:59]
	v_fma_f64 v[48:49], v[54:55], v[56:57], v[48:49]
	v_add_f64 v[1:2], v[1:2], v[52:53]
	v_add_f64 v[3:4], v[3:4], v[48:49]
	s_andn2_b32 exec_lo, exec_lo, s4
	s_cbranch_execnz .LBB19_96
; %bb.97:
	s_or_b32 exec_lo, exec_lo, s4
.LBB19_98:
	s_or_b32 exec_lo, exec_lo, s8
	v_mov_b32_e32 v47, 0
	ds_read_b128 v[47:50], v47 offset:112
	s_waitcnt lgkmcnt(0)
	v_mul_f64 v[52:53], v[3:4], v[49:50]
	v_mul_f64 v[49:50], v[1:2], v[49:50]
	v_fma_f64 v[1:2], v[1:2], v[47:48], -v[52:53]
	v_fma_f64 v[3:4], v[3:4], v[47:48], v[49:50]
	buffer_store_dword v2, off, s[0:3], 0 offset:116
	buffer_store_dword v1, off, s[0:3], 0 offset:112
	;; [unrolled: 1-line block ×4, first 2 shown]
.LBB19_99:
	s_or_b32 exec_lo, exec_lo, s6
	v_mov_b32_e32 v4, s21
	v_cmp_lt_u32_e64 s4, 6, v0
	s_clause 0x3
	buffer_load_dword v1, v4, s[0:3], 0 offen
	buffer_load_dword v2, v4, s[0:3], 0 offen offset:4
	buffer_load_dword v3, v4, s[0:3], 0 offen offset:8
	;; [unrolled: 1-line block ×3, first 2 shown]
	s_waitcnt vmcnt(0)
	ds_write_b128 v46, v[1:4]
	s_waitcnt lgkmcnt(0)
	s_waitcnt_vscnt null, 0x0
	s_barrier
	buffer_gl0_inv
	s_and_saveexec_b32 s6, s4
	s_cbranch_execz .LBB19_107
; %bb.100:
	ds_read_b128 v[1:4], v46
	s_andn2_b32 vcc_lo, exec_lo, s27
	s_cbranch_vccnz .LBB19_102
; %bb.101:
	s_clause 0x3
	buffer_load_dword v47, v45, s[0:3], 0 offen offset:8
	buffer_load_dword v48, v45, s[0:3], 0 offen offset:12
	buffer_load_dword v49, v45, s[0:3], 0 offen
	buffer_load_dword v50, v45, s[0:3], 0 offen offset:4
	s_waitcnt vmcnt(2) lgkmcnt(0)
	v_mul_f64 v[52:53], v[3:4], v[47:48]
	v_mul_f64 v[47:48], v[1:2], v[47:48]
	s_waitcnt vmcnt(0)
	v_fma_f64 v[1:2], v[1:2], v[49:50], -v[52:53]
	v_fma_f64 v[3:4], v[3:4], v[49:50], v[47:48]
.LBB19_102:
	s_and_saveexec_b32 s8, s5
	s_cbranch_execz .LBB19_106
; %bb.103:
	v_add_nc_u32_e32 v47, -7, v0
	s_movk_i32 s28, 0x1b0
	s_mov_b32 s5, 0
	s_mov_b32 s29, s20
	.p2align	6
.LBB19_104:                             ; =>This Inner Loop Header: Depth=1
	v_mov_b32_e32 v50, s29
	v_add_nc_u32_e32 v47, -1, v47
	s_add_i32 s29, s29, 16
	s_clause 0x3
	buffer_load_dword v48, v50, s[0:3], 0 offen offset:8
	buffer_load_dword v49, v50, s[0:3], 0 offen offset:12
	buffer_load_dword v56, v50, s[0:3], 0 offen
	buffer_load_dword v57, v50, s[0:3], 0 offen offset:4
	v_mov_b32_e32 v50, s28
	v_cmp_eq_u32_e32 vcc_lo, 0, v47
	s_add_i32 s28, s28, 16
	ds_read_b128 v[52:55], v50
	s_or_b32 s5, vcc_lo, s5
	s_waitcnt vmcnt(2) lgkmcnt(0)
	v_mul_f64 v[58:59], v[54:55], v[48:49]
	v_mul_f64 v[48:49], v[52:53], v[48:49]
	s_waitcnt vmcnt(0)
	v_fma_f64 v[52:53], v[52:53], v[56:57], -v[58:59]
	v_fma_f64 v[48:49], v[54:55], v[56:57], v[48:49]
	v_add_f64 v[1:2], v[1:2], v[52:53]
	v_add_f64 v[3:4], v[3:4], v[48:49]
	s_andn2_b32 exec_lo, exec_lo, s5
	s_cbranch_execnz .LBB19_104
; %bb.105:
	s_or_b32 exec_lo, exec_lo, s5
.LBB19_106:
	s_or_b32 exec_lo, exec_lo, s8
	v_mov_b32_e32 v47, 0
	ds_read_b128 v[47:50], v47 offset:96
	s_waitcnt lgkmcnt(0)
	v_mul_f64 v[52:53], v[3:4], v[49:50]
	v_mul_f64 v[49:50], v[1:2], v[49:50]
	v_fma_f64 v[1:2], v[1:2], v[47:48], -v[52:53]
	v_fma_f64 v[3:4], v[3:4], v[47:48], v[49:50]
	buffer_store_dword v2, off, s[0:3], 0 offset:100
	buffer_store_dword v1, off, s[0:3], 0 offset:96
	;; [unrolled: 1-line block ×4, first 2 shown]
.LBB19_107:
	s_or_b32 exec_lo, exec_lo, s6
	v_mov_b32_e32 v4, s22
	v_cmp_lt_u32_e64 s5, 5, v0
	s_clause 0x3
	buffer_load_dword v1, v4, s[0:3], 0 offen
	buffer_load_dword v2, v4, s[0:3], 0 offen offset:4
	buffer_load_dword v3, v4, s[0:3], 0 offen offset:8
	;; [unrolled: 1-line block ×3, first 2 shown]
	s_waitcnt vmcnt(0)
	ds_write_b128 v46, v[1:4]
	s_waitcnt lgkmcnt(0)
	s_waitcnt_vscnt null, 0x0
	s_barrier
	buffer_gl0_inv
	s_and_saveexec_b32 s6, s5
	s_cbranch_execz .LBB19_115
; %bb.108:
	ds_read_b128 v[1:4], v46
	s_andn2_b32 vcc_lo, exec_lo, s27
	s_cbranch_vccnz .LBB19_110
; %bb.109:
	s_clause 0x3
	buffer_load_dword v47, v45, s[0:3], 0 offen offset:8
	buffer_load_dword v48, v45, s[0:3], 0 offen offset:12
	buffer_load_dword v49, v45, s[0:3], 0 offen
	buffer_load_dword v50, v45, s[0:3], 0 offen offset:4
	s_waitcnt vmcnt(2) lgkmcnt(0)
	v_mul_f64 v[52:53], v[3:4], v[47:48]
	v_mul_f64 v[47:48], v[1:2], v[47:48]
	s_waitcnt vmcnt(0)
	v_fma_f64 v[1:2], v[1:2], v[49:50], -v[52:53]
	v_fma_f64 v[3:4], v[3:4], v[49:50], v[47:48]
.LBB19_110:
	s_and_saveexec_b32 s8, s4
	s_cbranch_execz .LBB19_114
; %bb.111:
	v_add_nc_u32_e32 v47, -6, v0
	s_movk_i32 s28, 0x1a0
	s_mov_b32 s4, 0
	s_mov_b32 s29, s21
	.p2align	6
.LBB19_112:                             ; =>This Inner Loop Header: Depth=1
	v_mov_b32_e32 v50, s29
	v_add_nc_u32_e32 v47, -1, v47
	s_add_i32 s29, s29, 16
	s_clause 0x3
	buffer_load_dword v48, v50, s[0:3], 0 offen offset:8
	buffer_load_dword v49, v50, s[0:3], 0 offen offset:12
	buffer_load_dword v56, v50, s[0:3], 0 offen
	buffer_load_dword v57, v50, s[0:3], 0 offen offset:4
	v_mov_b32_e32 v50, s28
	v_cmp_eq_u32_e32 vcc_lo, 0, v47
	s_add_i32 s28, s28, 16
	ds_read_b128 v[52:55], v50
	s_or_b32 s4, vcc_lo, s4
	s_waitcnt vmcnt(2) lgkmcnt(0)
	v_mul_f64 v[58:59], v[54:55], v[48:49]
	v_mul_f64 v[48:49], v[52:53], v[48:49]
	s_waitcnt vmcnt(0)
	v_fma_f64 v[52:53], v[52:53], v[56:57], -v[58:59]
	v_fma_f64 v[48:49], v[54:55], v[56:57], v[48:49]
	v_add_f64 v[1:2], v[1:2], v[52:53]
	v_add_f64 v[3:4], v[3:4], v[48:49]
	s_andn2_b32 exec_lo, exec_lo, s4
	s_cbranch_execnz .LBB19_112
; %bb.113:
	s_or_b32 exec_lo, exec_lo, s4
.LBB19_114:
	s_or_b32 exec_lo, exec_lo, s8
	v_mov_b32_e32 v47, 0
	ds_read_b128 v[47:50], v47 offset:80
	s_waitcnt lgkmcnt(0)
	v_mul_f64 v[52:53], v[3:4], v[49:50]
	v_mul_f64 v[49:50], v[1:2], v[49:50]
	v_fma_f64 v[1:2], v[1:2], v[47:48], -v[52:53]
	v_fma_f64 v[3:4], v[3:4], v[47:48], v[49:50]
	buffer_store_dword v2, off, s[0:3], 0 offset:84
	buffer_store_dword v1, off, s[0:3], 0 offset:80
	;; [unrolled: 1-line block ×4, first 2 shown]
.LBB19_115:
	s_or_b32 exec_lo, exec_lo, s6
	v_mov_b32_e32 v4, s23
	v_cmp_lt_u32_e64 s4, 4, v0
	s_clause 0x3
	buffer_load_dword v1, v4, s[0:3], 0 offen
	buffer_load_dword v2, v4, s[0:3], 0 offen offset:4
	buffer_load_dword v3, v4, s[0:3], 0 offen offset:8
	;; [unrolled: 1-line block ×3, first 2 shown]
	s_waitcnt vmcnt(0)
	ds_write_b128 v46, v[1:4]
	s_waitcnt lgkmcnt(0)
	s_waitcnt_vscnt null, 0x0
	s_barrier
	buffer_gl0_inv
	s_and_saveexec_b32 s6, s4
	s_cbranch_execz .LBB19_123
; %bb.116:
	ds_read_b128 v[1:4], v46
	s_andn2_b32 vcc_lo, exec_lo, s27
	s_cbranch_vccnz .LBB19_118
; %bb.117:
	s_clause 0x3
	buffer_load_dword v47, v45, s[0:3], 0 offen offset:8
	buffer_load_dword v48, v45, s[0:3], 0 offen offset:12
	buffer_load_dword v49, v45, s[0:3], 0 offen
	buffer_load_dword v50, v45, s[0:3], 0 offen offset:4
	s_waitcnt vmcnt(2) lgkmcnt(0)
	v_mul_f64 v[52:53], v[3:4], v[47:48]
	v_mul_f64 v[47:48], v[1:2], v[47:48]
	s_waitcnt vmcnt(0)
	v_fma_f64 v[1:2], v[1:2], v[49:50], -v[52:53]
	v_fma_f64 v[3:4], v[3:4], v[49:50], v[47:48]
.LBB19_118:
	s_and_saveexec_b32 s8, s5
	s_cbranch_execz .LBB19_122
; %bb.119:
	v_add_nc_u32_e32 v47, -5, v0
	s_movk_i32 s28, 0x190
	s_mov_b32 s5, 0
	s_mov_b32 s29, s22
	.p2align	6
.LBB19_120:                             ; =>This Inner Loop Header: Depth=1
	v_mov_b32_e32 v50, s29
	v_add_nc_u32_e32 v47, -1, v47
	s_add_i32 s29, s29, 16
	s_clause 0x3
	buffer_load_dword v48, v50, s[0:3], 0 offen offset:8
	buffer_load_dword v49, v50, s[0:3], 0 offen offset:12
	buffer_load_dword v56, v50, s[0:3], 0 offen
	buffer_load_dword v57, v50, s[0:3], 0 offen offset:4
	v_mov_b32_e32 v50, s28
	v_cmp_eq_u32_e32 vcc_lo, 0, v47
	s_add_i32 s28, s28, 16
	ds_read_b128 v[52:55], v50
	s_or_b32 s5, vcc_lo, s5
	s_waitcnt vmcnt(2) lgkmcnt(0)
	v_mul_f64 v[58:59], v[54:55], v[48:49]
	v_mul_f64 v[48:49], v[52:53], v[48:49]
	s_waitcnt vmcnt(0)
	v_fma_f64 v[52:53], v[52:53], v[56:57], -v[58:59]
	v_fma_f64 v[48:49], v[54:55], v[56:57], v[48:49]
	v_add_f64 v[1:2], v[1:2], v[52:53]
	v_add_f64 v[3:4], v[3:4], v[48:49]
	s_andn2_b32 exec_lo, exec_lo, s5
	s_cbranch_execnz .LBB19_120
; %bb.121:
	s_or_b32 exec_lo, exec_lo, s5
.LBB19_122:
	s_or_b32 exec_lo, exec_lo, s8
	v_mov_b32_e32 v47, 0
	ds_read_b128 v[47:50], v47 offset:64
	s_waitcnt lgkmcnt(0)
	v_mul_f64 v[52:53], v[3:4], v[49:50]
	v_mul_f64 v[49:50], v[1:2], v[49:50]
	v_fma_f64 v[1:2], v[1:2], v[47:48], -v[52:53]
	v_fma_f64 v[3:4], v[3:4], v[47:48], v[49:50]
	buffer_store_dword v2, off, s[0:3], 0 offset:68
	buffer_store_dword v1, off, s[0:3], 0 offset:64
	;; [unrolled: 1-line block ×4, first 2 shown]
.LBB19_123:
	s_or_b32 exec_lo, exec_lo, s6
	v_mov_b32_e32 v4, s24
	v_cmp_lt_u32_e64 s5, 3, v0
	s_clause 0x3
	buffer_load_dword v1, v4, s[0:3], 0 offen
	buffer_load_dword v2, v4, s[0:3], 0 offen offset:4
	buffer_load_dword v3, v4, s[0:3], 0 offen offset:8
	;; [unrolled: 1-line block ×3, first 2 shown]
	s_waitcnt vmcnt(0)
	ds_write_b128 v46, v[1:4]
	s_waitcnt lgkmcnt(0)
	s_waitcnt_vscnt null, 0x0
	s_barrier
	buffer_gl0_inv
	s_and_saveexec_b32 s6, s5
	s_cbranch_execz .LBB19_131
; %bb.124:
	ds_read_b128 v[1:4], v46
	s_andn2_b32 vcc_lo, exec_lo, s27
	s_cbranch_vccnz .LBB19_126
; %bb.125:
	s_clause 0x3
	buffer_load_dword v47, v45, s[0:3], 0 offen offset:8
	buffer_load_dword v48, v45, s[0:3], 0 offen offset:12
	buffer_load_dword v49, v45, s[0:3], 0 offen
	buffer_load_dword v50, v45, s[0:3], 0 offen offset:4
	s_waitcnt vmcnt(2) lgkmcnt(0)
	v_mul_f64 v[52:53], v[3:4], v[47:48]
	v_mul_f64 v[47:48], v[1:2], v[47:48]
	s_waitcnt vmcnt(0)
	v_fma_f64 v[1:2], v[1:2], v[49:50], -v[52:53]
	v_fma_f64 v[3:4], v[3:4], v[49:50], v[47:48]
.LBB19_126:
	s_and_saveexec_b32 s8, s4
	s_cbranch_execz .LBB19_130
; %bb.127:
	v_add_nc_u32_e32 v47, -4, v0
	s_movk_i32 s28, 0x180
	s_mov_b32 s4, 0
	s_mov_b32 s29, s23
	.p2align	6
.LBB19_128:                             ; =>This Inner Loop Header: Depth=1
	v_mov_b32_e32 v50, s29
	v_add_nc_u32_e32 v47, -1, v47
	s_add_i32 s29, s29, 16
	s_clause 0x3
	buffer_load_dword v48, v50, s[0:3], 0 offen offset:8
	buffer_load_dword v49, v50, s[0:3], 0 offen offset:12
	buffer_load_dword v56, v50, s[0:3], 0 offen
	buffer_load_dword v57, v50, s[0:3], 0 offen offset:4
	v_mov_b32_e32 v50, s28
	v_cmp_eq_u32_e32 vcc_lo, 0, v47
	s_add_i32 s28, s28, 16
	ds_read_b128 v[52:55], v50
	s_or_b32 s4, vcc_lo, s4
	s_waitcnt vmcnt(2) lgkmcnt(0)
	v_mul_f64 v[58:59], v[54:55], v[48:49]
	v_mul_f64 v[48:49], v[52:53], v[48:49]
	s_waitcnt vmcnt(0)
	v_fma_f64 v[52:53], v[52:53], v[56:57], -v[58:59]
	v_fma_f64 v[48:49], v[54:55], v[56:57], v[48:49]
	v_add_f64 v[1:2], v[1:2], v[52:53]
	v_add_f64 v[3:4], v[3:4], v[48:49]
	s_andn2_b32 exec_lo, exec_lo, s4
	s_cbranch_execnz .LBB19_128
; %bb.129:
	s_or_b32 exec_lo, exec_lo, s4
.LBB19_130:
	s_or_b32 exec_lo, exec_lo, s8
	v_mov_b32_e32 v47, 0
	ds_read_b128 v[47:50], v47 offset:48
	s_waitcnt lgkmcnt(0)
	v_mul_f64 v[52:53], v[3:4], v[49:50]
	v_mul_f64 v[49:50], v[1:2], v[49:50]
	v_fma_f64 v[1:2], v[1:2], v[47:48], -v[52:53]
	v_fma_f64 v[3:4], v[3:4], v[47:48], v[49:50]
	buffer_store_dword v2, off, s[0:3], 0 offset:52
	buffer_store_dword v1, off, s[0:3], 0 offset:48
	;; [unrolled: 1-line block ×4, first 2 shown]
.LBB19_131:
	s_or_b32 exec_lo, exec_lo, s6
	v_mov_b32_e32 v4, s25
	v_cmp_lt_u32_e64 s6, 2, v0
	s_clause 0x3
	buffer_load_dword v1, v4, s[0:3], 0 offen
	buffer_load_dword v2, v4, s[0:3], 0 offen offset:4
	buffer_load_dword v3, v4, s[0:3], 0 offen offset:8
	;; [unrolled: 1-line block ×3, first 2 shown]
	s_waitcnt vmcnt(0)
	ds_write_b128 v46, v[1:4]
	s_waitcnt lgkmcnt(0)
	s_waitcnt_vscnt null, 0x0
	s_barrier
	buffer_gl0_inv
	s_and_saveexec_b32 s4, s6
	s_cbranch_execz .LBB19_139
; %bb.132:
	ds_read_b128 v[1:4], v46
	s_andn2_b32 vcc_lo, exec_lo, s27
	s_cbranch_vccnz .LBB19_134
; %bb.133:
	s_clause 0x3
	buffer_load_dword v47, v45, s[0:3], 0 offen offset:8
	buffer_load_dword v48, v45, s[0:3], 0 offen offset:12
	buffer_load_dword v49, v45, s[0:3], 0 offen
	buffer_load_dword v50, v45, s[0:3], 0 offen offset:4
	s_waitcnt vmcnt(2) lgkmcnt(0)
	v_mul_f64 v[52:53], v[3:4], v[47:48]
	v_mul_f64 v[47:48], v[1:2], v[47:48]
	s_waitcnt vmcnt(0)
	v_fma_f64 v[1:2], v[1:2], v[49:50], -v[52:53]
	v_fma_f64 v[3:4], v[3:4], v[49:50], v[47:48]
.LBB19_134:
	s_and_saveexec_b32 s8, s5
	s_cbranch_execz .LBB19_138
; %bb.135:
	v_add_nc_u32_e32 v47, -3, v0
	s_movk_i32 s28, 0x170
	s_mov_b32 s5, 0
	s_mov_b32 s29, s24
	.p2align	6
.LBB19_136:                             ; =>This Inner Loop Header: Depth=1
	v_mov_b32_e32 v50, s29
	v_add_nc_u32_e32 v47, -1, v47
	s_add_i32 s29, s29, 16
	s_clause 0x3
	buffer_load_dword v48, v50, s[0:3], 0 offen offset:8
	buffer_load_dword v49, v50, s[0:3], 0 offen offset:12
	buffer_load_dword v56, v50, s[0:3], 0 offen
	buffer_load_dword v57, v50, s[0:3], 0 offen offset:4
	v_mov_b32_e32 v50, s28
	v_cmp_eq_u32_e32 vcc_lo, 0, v47
	s_add_i32 s28, s28, 16
	ds_read_b128 v[52:55], v50
	s_or_b32 s5, vcc_lo, s5
	s_waitcnt vmcnt(2) lgkmcnt(0)
	v_mul_f64 v[58:59], v[54:55], v[48:49]
	v_mul_f64 v[48:49], v[52:53], v[48:49]
	s_waitcnt vmcnt(0)
	v_fma_f64 v[52:53], v[52:53], v[56:57], -v[58:59]
	v_fma_f64 v[48:49], v[54:55], v[56:57], v[48:49]
	v_add_f64 v[1:2], v[1:2], v[52:53]
	v_add_f64 v[3:4], v[3:4], v[48:49]
	s_andn2_b32 exec_lo, exec_lo, s5
	s_cbranch_execnz .LBB19_136
; %bb.137:
	s_or_b32 exec_lo, exec_lo, s5
.LBB19_138:
	s_or_b32 exec_lo, exec_lo, s8
	v_mov_b32_e32 v47, 0
	ds_read_b128 v[47:50], v47 offset:32
	s_waitcnt lgkmcnt(0)
	v_mul_f64 v[52:53], v[3:4], v[49:50]
	v_mul_f64 v[49:50], v[1:2], v[49:50]
	v_fma_f64 v[1:2], v[1:2], v[47:48], -v[52:53]
	v_fma_f64 v[3:4], v[3:4], v[47:48], v[49:50]
	buffer_store_dword v2, off, s[0:3], 0 offset:36
	buffer_store_dword v1, off, s[0:3], 0 offset:32
	;; [unrolled: 1-line block ×4, first 2 shown]
.LBB19_139:
	s_or_b32 exec_lo, exec_lo, s4
	v_mov_b32_e32 v4, s26
	v_cmp_lt_u32_e64 s4, 1, v0
	s_clause 0x3
	buffer_load_dword v1, v4, s[0:3], 0 offen
	buffer_load_dword v2, v4, s[0:3], 0 offen offset:4
	buffer_load_dword v3, v4, s[0:3], 0 offen offset:8
	;; [unrolled: 1-line block ×3, first 2 shown]
	s_waitcnt vmcnt(0)
	ds_write_b128 v46, v[1:4]
	s_waitcnt lgkmcnt(0)
	s_waitcnt_vscnt null, 0x0
	s_barrier
	buffer_gl0_inv
	s_and_saveexec_b32 s5, s4
	s_cbranch_execz .LBB19_147
; %bb.140:
	ds_read_b128 v[1:4], v46
	s_andn2_b32 vcc_lo, exec_lo, s27
	s_cbranch_vccnz .LBB19_142
; %bb.141:
	s_clause 0x3
	buffer_load_dword v47, v45, s[0:3], 0 offen offset:8
	buffer_load_dword v48, v45, s[0:3], 0 offen offset:12
	buffer_load_dword v49, v45, s[0:3], 0 offen
	buffer_load_dword v50, v45, s[0:3], 0 offen offset:4
	s_waitcnt vmcnt(2) lgkmcnt(0)
	v_mul_f64 v[52:53], v[3:4], v[47:48]
	v_mul_f64 v[47:48], v[1:2], v[47:48]
	s_waitcnt vmcnt(0)
	v_fma_f64 v[1:2], v[1:2], v[49:50], -v[52:53]
	v_fma_f64 v[3:4], v[3:4], v[49:50], v[47:48]
.LBB19_142:
	s_and_saveexec_b32 s8, s6
	s_cbranch_execz .LBB19_146
; %bb.143:
	v_add_nc_u32_e32 v47, -2, v0
	s_movk_i32 s28, 0x160
	s_mov_b32 s6, 0
	s_mov_b32 s29, s25
	.p2align	6
.LBB19_144:                             ; =>This Inner Loop Header: Depth=1
	v_mov_b32_e32 v50, s29
	v_add_nc_u32_e32 v47, -1, v47
	s_add_i32 s29, s29, 16
	s_clause 0x3
	buffer_load_dword v48, v50, s[0:3], 0 offen offset:8
	buffer_load_dword v49, v50, s[0:3], 0 offen offset:12
	buffer_load_dword v56, v50, s[0:3], 0 offen
	buffer_load_dword v57, v50, s[0:3], 0 offen offset:4
	v_mov_b32_e32 v50, s28
	v_cmp_eq_u32_e32 vcc_lo, 0, v47
	s_add_i32 s28, s28, 16
	ds_read_b128 v[52:55], v50
	s_or_b32 s6, vcc_lo, s6
	s_waitcnt vmcnt(2) lgkmcnt(0)
	v_mul_f64 v[58:59], v[54:55], v[48:49]
	v_mul_f64 v[48:49], v[52:53], v[48:49]
	s_waitcnt vmcnt(0)
	v_fma_f64 v[52:53], v[52:53], v[56:57], -v[58:59]
	v_fma_f64 v[48:49], v[54:55], v[56:57], v[48:49]
	v_add_f64 v[1:2], v[1:2], v[52:53]
	v_add_f64 v[3:4], v[3:4], v[48:49]
	s_andn2_b32 exec_lo, exec_lo, s6
	s_cbranch_execnz .LBB19_144
; %bb.145:
	s_or_b32 exec_lo, exec_lo, s6
.LBB19_146:
	s_or_b32 exec_lo, exec_lo, s8
	v_mov_b32_e32 v47, 0
	ds_read_b128 v[47:50], v47 offset:16
	s_waitcnt lgkmcnt(0)
	v_mul_f64 v[52:53], v[3:4], v[49:50]
	v_mul_f64 v[49:50], v[1:2], v[49:50]
	v_fma_f64 v[1:2], v[1:2], v[47:48], -v[52:53]
	v_fma_f64 v[3:4], v[3:4], v[47:48], v[49:50]
	buffer_store_dword v2, off, s[0:3], 0 offset:20
	buffer_store_dword v1, off, s[0:3], 0 offset:16
	;; [unrolled: 1-line block ×4, first 2 shown]
.LBB19_147:
	s_or_b32 exec_lo, exec_lo, s5
	s_clause 0x3
	buffer_load_dword v1, off, s[0:3], 0
	buffer_load_dword v2, off, s[0:3], 0 offset:4
	buffer_load_dword v3, off, s[0:3], 0 offset:8
	;; [unrolled: 1-line block ×3, first 2 shown]
	s_mov_b32 s6, 0
	s_mov_b32 s5, 0
	s_mov_b32 s8, exec_lo
                                        ; implicit-def: $sgpr28
	s_waitcnt vmcnt(0)
	ds_write_b128 v46, v[1:4]
	s_waitcnt lgkmcnt(0)
	s_waitcnt_vscnt null, 0x0
	s_barrier
	buffer_gl0_inv
                                        ; implicit-def: $vgpr1_vgpr2
	v_cmpx_ne_u32_e32 0, v0
	s_cbranch_execz .LBB19_155
; %bb.148:
	ds_read_b128 v[1:4], v46
	s_andn2_b32 vcc_lo, exec_lo, s27
	s_cbranch_vccnz .LBB19_150
; %bb.149:
	s_clause 0x3
	buffer_load_dword v47, v45, s[0:3], 0 offen offset:8
	buffer_load_dword v48, v45, s[0:3], 0 offen offset:12
	buffer_load_dword v49, v45, s[0:3], 0 offen
	buffer_load_dword v50, v45, s[0:3], 0 offen offset:4
	s_waitcnt vmcnt(2) lgkmcnt(0)
	v_mul_f64 v[52:53], v[3:4], v[47:48]
	v_mul_f64 v[47:48], v[1:2], v[47:48]
	s_waitcnt vmcnt(0)
	v_fma_f64 v[1:2], v[1:2], v[49:50], -v[52:53]
	v_fma_f64 v[3:4], v[3:4], v[49:50], v[47:48]
.LBB19_150:
	s_and_saveexec_b32 s5, s4
	s_cbranch_execz .LBB19_154
; %bb.151:
	v_add_nc_u32_e32 v47, -1, v0
	s_movk_i32 s28, 0x150
	s_mov_b32 s4, 0
	s_mov_b32 s29, s26
	.p2align	6
.LBB19_152:                             ; =>This Inner Loop Header: Depth=1
	v_mov_b32_e32 v50, s29
	v_add_nc_u32_e32 v47, -1, v47
	s_add_i32 s29, s29, 16
	s_clause 0x3
	buffer_load_dword v48, v50, s[0:3], 0 offen offset:8
	buffer_load_dword v49, v50, s[0:3], 0 offen offset:12
	buffer_load_dword v56, v50, s[0:3], 0 offen
	buffer_load_dword v57, v50, s[0:3], 0 offen offset:4
	v_mov_b32_e32 v50, s28
	v_cmp_eq_u32_e32 vcc_lo, 0, v47
	s_add_i32 s28, s28, 16
	ds_read_b128 v[52:55], v50
	s_or_b32 s4, vcc_lo, s4
	s_waitcnt vmcnt(2) lgkmcnt(0)
	v_mul_f64 v[58:59], v[54:55], v[48:49]
	v_mul_f64 v[48:49], v[52:53], v[48:49]
	s_waitcnt vmcnt(0)
	v_fma_f64 v[52:53], v[52:53], v[56:57], -v[58:59]
	v_fma_f64 v[48:49], v[54:55], v[56:57], v[48:49]
	v_add_f64 v[1:2], v[1:2], v[52:53]
	v_add_f64 v[3:4], v[3:4], v[48:49]
	s_andn2_b32 exec_lo, exec_lo, s4
	s_cbranch_execnz .LBB19_152
; %bb.153:
	s_or_b32 exec_lo, exec_lo, s4
.LBB19_154:
	s_or_b32 exec_lo, exec_lo, s5
	v_mov_b32_e32 v47, 0
	s_mov_b32 s5, exec_lo
	s_or_b32 s28, 0, 8
	ds_read_b128 v[47:50], v47
	s_waitcnt lgkmcnt(0)
	v_mul_f64 v[52:53], v[3:4], v[49:50]
	v_mul_f64 v[49:50], v[1:2], v[49:50]
	v_fma_f64 v[52:53], v[1:2], v[47:48], -v[52:53]
	v_fma_f64 v[1:2], v[3:4], v[47:48], v[49:50]
	buffer_store_dword v53, off, s[0:3], 0 offset:4
	buffer_store_dword v52, off, s[0:3], 0
.LBB19_155:
	s_or_b32 exec_lo, exec_lo, s8
	s_and_b32 vcc_lo, exec_lo, s6
	s_cbranch_vccnz .LBB19_157
	s_branch .LBB19_304
.LBB19_156:
	s_mov_b32 s5, 0
                                        ; implicit-def: $vgpr1_vgpr2
                                        ; implicit-def: $sgpr28
	s_cbranch_execz .LBB19_304
.LBB19_157:
	v_mov_b32_e32 v4, s26
	v_cmp_eq_u32_e64 s4, 0, v0
	v_cndmask_b32_e64 v47, 0, 1, s27
	s_clause 0x3
	buffer_load_dword v1, v4, s[0:3], 0 offen
	buffer_load_dword v2, v4, s[0:3], 0 offen offset:4
	buffer_load_dword v3, v4, s[0:3], 0 offen offset:8
	;; [unrolled: 1-line block ×3, first 2 shown]
	s_waitcnt vmcnt(0)
	ds_write_b128 v46, v[1:4]
	s_waitcnt lgkmcnt(0)
	s_waitcnt_vscnt null, 0x0
	s_barrier
	buffer_gl0_inv
	s_and_saveexec_b32 s6, s4
	s_cbranch_execz .LBB19_161
; %bb.158:
	ds_read_b128 v[1:4], v46
	s_andn2_b32 vcc_lo, exec_lo, s27
	s_cbranch_vccnz .LBB19_160
; %bb.159:
	s_clause 0x3
	buffer_load_dword v48, v45, s[0:3], 0 offen offset:8
	buffer_load_dword v49, v45, s[0:3], 0 offen offset:12
	buffer_load_dword v52, v45, s[0:3], 0 offen
	buffer_load_dword v53, v45, s[0:3], 0 offen offset:4
	s_waitcnt vmcnt(2) lgkmcnt(0)
	v_mul_f64 v[54:55], v[3:4], v[48:49]
	v_mul_f64 v[48:49], v[1:2], v[48:49]
	s_waitcnt vmcnt(0)
	v_fma_f64 v[1:2], v[1:2], v[52:53], -v[54:55]
	v_fma_f64 v[3:4], v[3:4], v[52:53], v[48:49]
.LBB19_160:
	v_mov_b32_e32 v48, 0
	ds_read_b128 v[52:55], v48 offset:16
	s_waitcnt lgkmcnt(0)
	v_mul_f64 v[48:49], v[3:4], v[54:55]
	v_mul_f64 v[54:55], v[1:2], v[54:55]
	v_fma_f64 v[1:2], v[1:2], v[52:53], -v[48:49]
	v_fma_f64 v[3:4], v[3:4], v[52:53], v[54:55]
	buffer_store_dword v2, off, s[0:3], 0 offset:20
	buffer_store_dword v1, off, s[0:3], 0 offset:16
	;; [unrolled: 1-line block ×4, first 2 shown]
.LBB19_161:
	s_or_b32 exec_lo, exec_lo, s6
	v_mov_b32_e32 v4, s25
	s_mov_b32 s6, exec_lo
	s_clause 0x3
	buffer_load_dword v1, v4, s[0:3], 0 offen
	buffer_load_dword v2, v4, s[0:3], 0 offen offset:4
	buffer_load_dword v3, v4, s[0:3], 0 offen offset:8
	;; [unrolled: 1-line block ×3, first 2 shown]
	s_waitcnt vmcnt(0)
	ds_write_b128 v46, v[1:4]
	s_waitcnt lgkmcnt(0)
	s_waitcnt_vscnt null, 0x0
	s_barrier
	buffer_gl0_inv
	v_cmpx_gt_u32_e32 2, v0
	s_cbranch_execz .LBB19_167
; %bb.162:
	ds_read_b128 v[1:4], v46
	v_cmp_ne_u32_e32 vcc_lo, 1, v47
	s_cbranch_vccnz .LBB19_164
; %bb.163:
	s_clause 0x3
	buffer_load_dword v48, v45, s[0:3], 0 offen offset:8
	buffer_load_dword v49, v45, s[0:3], 0 offen offset:12
	buffer_load_dword v52, v45, s[0:3], 0 offen
	buffer_load_dword v53, v45, s[0:3], 0 offen offset:4
	s_waitcnt vmcnt(2) lgkmcnt(0)
	v_mul_f64 v[54:55], v[3:4], v[48:49]
	v_mul_f64 v[48:49], v[1:2], v[48:49]
	s_waitcnt vmcnt(0)
	v_fma_f64 v[1:2], v[1:2], v[52:53], -v[54:55]
	v_fma_f64 v[3:4], v[3:4], v[52:53], v[48:49]
.LBB19_164:
	s_and_saveexec_b32 s8, s4
	s_cbranch_execz .LBB19_166
; %bb.165:
	s_clause 0x3
	buffer_load_dword v48, off, s[0:3], 0 offset:24
	buffer_load_dword v49, off, s[0:3], 0 offset:28
	;; [unrolled: 1-line block ×4, first 2 shown]
	v_mov_b32_e32 v50, 0
	ds_read_b128 v[52:55], v50 offset:336
	s_waitcnt vmcnt(2) lgkmcnt(0)
	v_mul_f64 v[58:59], v[54:55], v[48:49]
	v_mul_f64 v[48:49], v[52:53], v[48:49]
	s_waitcnt vmcnt(0)
	v_fma_f64 v[52:53], v[52:53], v[56:57], -v[58:59]
	v_fma_f64 v[48:49], v[54:55], v[56:57], v[48:49]
	v_add_f64 v[1:2], v[1:2], v[52:53]
	v_add_f64 v[3:4], v[3:4], v[48:49]
.LBB19_166:
	s_or_b32 exec_lo, exec_lo, s8
	v_mov_b32_e32 v48, 0
	ds_read_b128 v[52:55], v48 offset:32
	s_waitcnt lgkmcnt(0)
	v_mul_f64 v[48:49], v[3:4], v[54:55]
	v_mul_f64 v[54:55], v[1:2], v[54:55]
	v_fma_f64 v[1:2], v[1:2], v[52:53], -v[48:49]
	v_fma_f64 v[3:4], v[3:4], v[52:53], v[54:55]
	buffer_store_dword v2, off, s[0:3], 0 offset:36
	buffer_store_dword v1, off, s[0:3], 0 offset:32
	;; [unrolled: 1-line block ×4, first 2 shown]
.LBB19_167:
	s_or_b32 exec_lo, exec_lo, s6
	v_mov_b32_e32 v4, s24
	s_mov_b32 s6, exec_lo
	s_clause 0x3
	buffer_load_dword v1, v4, s[0:3], 0 offen
	buffer_load_dword v2, v4, s[0:3], 0 offen offset:4
	buffer_load_dword v3, v4, s[0:3], 0 offen offset:8
	;; [unrolled: 1-line block ×3, first 2 shown]
	s_waitcnt vmcnt(0)
	ds_write_b128 v46, v[1:4]
	s_waitcnt lgkmcnt(0)
	s_waitcnt_vscnt null, 0x0
	s_barrier
	buffer_gl0_inv
	v_cmpx_gt_u32_e32 3, v0
	s_cbranch_execz .LBB19_175
; %bb.168:
	ds_read_b128 v[1:4], v46
	v_cmp_ne_u32_e32 vcc_lo, 1, v47
	s_cbranch_vccnz .LBB19_170
; %bb.169:
	s_clause 0x3
	buffer_load_dword v48, v45, s[0:3], 0 offen offset:8
	buffer_load_dword v49, v45, s[0:3], 0 offen offset:12
	buffer_load_dword v52, v45, s[0:3], 0 offen
	buffer_load_dword v53, v45, s[0:3], 0 offen offset:4
	s_waitcnt vmcnt(2) lgkmcnt(0)
	v_mul_f64 v[54:55], v[3:4], v[48:49]
	v_mul_f64 v[48:49], v[1:2], v[48:49]
	s_waitcnt vmcnt(0)
	v_fma_f64 v[1:2], v[1:2], v[52:53], -v[54:55]
	v_fma_f64 v[3:4], v[3:4], v[52:53], v[48:49]
.LBB19_170:
	s_mov_b32 s8, exec_lo
	v_cmpx_ne_u32_e32 2, v0
	s_cbranch_execz .LBB19_174
; %bb.171:
	s_clause 0x3
	buffer_load_dword v48, v45, s[0:3], 0 offen offset:24
	buffer_load_dword v49, v45, s[0:3], 0 offen offset:28
	;; [unrolled: 1-line block ×4, first 2 shown]
	ds_read_b128 v[52:55], v46 offset:16
	s_waitcnt vmcnt(2) lgkmcnt(0)
	v_mul_f64 v[58:59], v[54:55], v[48:49]
	v_mul_f64 v[48:49], v[52:53], v[48:49]
	s_waitcnt vmcnt(0)
	v_fma_f64 v[52:53], v[52:53], v[56:57], -v[58:59]
	v_fma_f64 v[48:49], v[54:55], v[56:57], v[48:49]
	v_add_f64 v[1:2], v[1:2], v[52:53]
	v_add_f64 v[3:4], v[3:4], v[48:49]
	s_and_saveexec_b32 s27, s4
	s_cbranch_execz .LBB19_173
; %bb.172:
	s_clause 0x3
	buffer_load_dword v48, off, s[0:3], 0 offset:40
	buffer_load_dword v49, off, s[0:3], 0 offset:44
	;; [unrolled: 1-line block ×4, first 2 shown]
	v_mov_b32_e32 v50, 0
	ds_read_b128 v[52:55], v50 offset:352
	s_waitcnt vmcnt(2) lgkmcnt(0)
	v_mul_f64 v[58:59], v[52:53], v[48:49]
	v_mul_f64 v[48:49], v[54:55], v[48:49]
	s_waitcnt vmcnt(0)
	v_fma_f64 v[54:55], v[54:55], v[56:57], v[58:59]
	v_fma_f64 v[48:49], v[52:53], v[56:57], -v[48:49]
	v_add_f64 v[3:4], v[3:4], v[54:55]
	v_add_f64 v[1:2], v[1:2], v[48:49]
.LBB19_173:
	s_or_b32 exec_lo, exec_lo, s27
.LBB19_174:
	s_or_b32 exec_lo, exec_lo, s8
	v_mov_b32_e32 v48, 0
	ds_read_b128 v[52:55], v48 offset:48
	s_waitcnt lgkmcnt(0)
	v_mul_f64 v[48:49], v[3:4], v[54:55]
	v_mul_f64 v[54:55], v[1:2], v[54:55]
	v_fma_f64 v[1:2], v[1:2], v[52:53], -v[48:49]
	v_fma_f64 v[3:4], v[3:4], v[52:53], v[54:55]
	buffer_store_dword v2, off, s[0:3], 0 offset:52
	buffer_store_dword v1, off, s[0:3], 0 offset:48
	;; [unrolled: 1-line block ×4, first 2 shown]
.LBB19_175:
	s_or_b32 exec_lo, exec_lo, s6
	v_mov_b32_e32 v4, s23
	s_mov_b32 s4, exec_lo
	s_clause 0x3
	buffer_load_dword v1, v4, s[0:3], 0 offen
	buffer_load_dword v2, v4, s[0:3], 0 offen offset:4
	buffer_load_dword v3, v4, s[0:3], 0 offen offset:8
	;; [unrolled: 1-line block ×3, first 2 shown]
	s_waitcnt vmcnt(0)
	ds_write_b128 v46, v[1:4]
	s_waitcnt lgkmcnt(0)
	s_waitcnt_vscnt null, 0x0
	s_barrier
	buffer_gl0_inv
	v_cmpx_gt_u32_e32 4, v0
	s_cbranch_execz .LBB19_183
; %bb.176:
	ds_read_b128 v[1:4], v46
	v_cmp_ne_u32_e32 vcc_lo, 1, v47
	s_cbranch_vccnz .LBB19_178
; %bb.177:
	s_clause 0x3
	buffer_load_dword v48, v45, s[0:3], 0 offen offset:8
	buffer_load_dword v49, v45, s[0:3], 0 offen offset:12
	buffer_load_dword v52, v45, s[0:3], 0 offen
	buffer_load_dword v53, v45, s[0:3], 0 offen offset:4
	s_waitcnt vmcnt(2) lgkmcnt(0)
	v_mul_f64 v[54:55], v[3:4], v[48:49]
	v_mul_f64 v[48:49], v[1:2], v[48:49]
	s_waitcnt vmcnt(0)
	v_fma_f64 v[1:2], v[1:2], v[52:53], -v[54:55]
	v_fma_f64 v[3:4], v[3:4], v[52:53], v[48:49]
.LBB19_178:
	s_mov_b32 s6, exec_lo
	v_cmpx_ne_u32_e32 3, v0
	s_cbranch_execz .LBB19_182
; %bb.179:
	v_add_nc_u32_e32 v48, 0x150, v51
	v_add3_u32 v49, 0, v51, 16
	v_mov_b32_e32 v50, v0
	s_mov_b32 s8, 0
	.p2align	6
.LBB19_180:                             ; =>This Inner Loop Header: Depth=1
	s_clause 0x3
	buffer_load_dword v56, v49, s[0:3], 0 offen offset:8
	buffer_load_dword v57, v49, s[0:3], 0 offen offset:12
	buffer_load_dword v58, v49, s[0:3], 0 offen
	buffer_load_dword v59, v49, s[0:3], 0 offen offset:4
	ds_read_b128 v[52:55], v48
	v_add_nc_u32_e32 v50, 1, v50
	v_add_nc_u32_e32 v48, 16, v48
	;; [unrolled: 1-line block ×3, first 2 shown]
	v_cmp_lt_u32_e32 vcc_lo, 2, v50
	s_or_b32 s8, vcc_lo, s8
	s_waitcnt vmcnt(2) lgkmcnt(0)
	v_mul_f64 v[60:61], v[54:55], v[56:57]
	v_mul_f64 v[56:57], v[52:53], v[56:57]
	s_waitcnt vmcnt(0)
	v_fma_f64 v[52:53], v[52:53], v[58:59], -v[60:61]
	v_fma_f64 v[54:55], v[54:55], v[58:59], v[56:57]
	v_add_f64 v[1:2], v[1:2], v[52:53]
	v_add_f64 v[3:4], v[3:4], v[54:55]
	s_andn2_b32 exec_lo, exec_lo, s8
	s_cbranch_execnz .LBB19_180
; %bb.181:
	s_or_b32 exec_lo, exec_lo, s8
.LBB19_182:
	s_or_b32 exec_lo, exec_lo, s6
	v_mov_b32_e32 v48, 0
	ds_read_b128 v[52:55], v48 offset:64
	s_waitcnt lgkmcnt(0)
	v_mul_f64 v[48:49], v[3:4], v[54:55]
	v_mul_f64 v[54:55], v[1:2], v[54:55]
	v_fma_f64 v[1:2], v[1:2], v[52:53], -v[48:49]
	v_fma_f64 v[3:4], v[3:4], v[52:53], v[54:55]
	buffer_store_dword v2, off, s[0:3], 0 offset:68
	buffer_store_dword v1, off, s[0:3], 0 offset:64
	;; [unrolled: 1-line block ×4, first 2 shown]
.LBB19_183:
	s_or_b32 exec_lo, exec_lo, s4
	v_mov_b32_e32 v4, s22
	s_mov_b32 s4, exec_lo
	s_clause 0x3
	buffer_load_dword v1, v4, s[0:3], 0 offen
	buffer_load_dword v2, v4, s[0:3], 0 offen offset:4
	buffer_load_dword v3, v4, s[0:3], 0 offen offset:8
	;; [unrolled: 1-line block ×3, first 2 shown]
	s_waitcnt vmcnt(0)
	ds_write_b128 v46, v[1:4]
	s_waitcnt lgkmcnt(0)
	s_waitcnt_vscnt null, 0x0
	s_barrier
	buffer_gl0_inv
	v_cmpx_gt_u32_e32 5, v0
	s_cbranch_execz .LBB19_191
; %bb.184:
	ds_read_b128 v[1:4], v46
	v_cmp_ne_u32_e32 vcc_lo, 1, v47
	s_cbranch_vccnz .LBB19_186
; %bb.185:
	s_clause 0x3
	buffer_load_dword v48, v45, s[0:3], 0 offen offset:8
	buffer_load_dword v49, v45, s[0:3], 0 offen offset:12
	buffer_load_dword v52, v45, s[0:3], 0 offen
	buffer_load_dword v53, v45, s[0:3], 0 offen offset:4
	s_waitcnt vmcnt(2) lgkmcnt(0)
	v_mul_f64 v[54:55], v[3:4], v[48:49]
	v_mul_f64 v[48:49], v[1:2], v[48:49]
	s_waitcnt vmcnt(0)
	v_fma_f64 v[1:2], v[1:2], v[52:53], -v[54:55]
	v_fma_f64 v[3:4], v[3:4], v[52:53], v[48:49]
.LBB19_186:
	s_mov_b32 s6, exec_lo
	v_cmpx_ne_u32_e32 4, v0
	s_cbranch_execz .LBB19_190
; %bb.187:
	v_add_nc_u32_e32 v48, 0x150, v51
	v_add3_u32 v49, 0, v51, 16
	v_mov_b32_e32 v50, v0
	s_mov_b32 s8, 0
	.p2align	6
.LBB19_188:                             ; =>This Inner Loop Header: Depth=1
	s_clause 0x3
	buffer_load_dword v56, v49, s[0:3], 0 offen offset:8
	buffer_load_dword v57, v49, s[0:3], 0 offen offset:12
	buffer_load_dword v58, v49, s[0:3], 0 offen
	buffer_load_dword v59, v49, s[0:3], 0 offen offset:4
	ds_read_b128 v[52:55], v48
	v_add_nc_u32_e32 v50, 1, v50
	v_add_nc_u32_e32 v48, 16, v48
	;; [unrolled: 1-line block ×3, first 2 shown]
	v_cmp_lt_u32_e32 vcc_lo, 3, v50
	s_or_b32 s8, vcc_lo, s8
	s_waitcnt vmcnt(2) lgkmcnt(0)
	v_mul_f64 v[60:61], v[54:55], v[56:57]
	v_mul_f64 v[56:57], v[52:53], v[56:57]
	s_waitcnt vmcnt(0)
	v_fma_f64 v[52:53], v[52:53], v[58:59], -v[60:61]
	v_fma_f64 v[54:55], v[54:55], v[58:59], v[56:57]
	v_add_f64 v[1:2], v[1:2], v[52:53]
	v_add_f64 v[3:4], v[3:4], v[54:55]
	s_andn2_b32 exec_lo, exec_lo, s8
	s_cbranch_execnz .LBB19_188
; %bb.189:
	s_or_b32 exec_lo, exec_lo, s8
.LBB19_190:
	s_or_b32 exec_lo, exec_lo, s6
	v_mov_b32_e32 v48, 0
	ds_read_b128 v[52:55], v48 offset:80
	s_waitcnt lgkmcnt(0)
	v_mul_f64 v[48:49], v[3:4], v[54:55]
	v_mul_f64 v[54:55], v[1:2], v[54:55]
	v_fma_f64 v[1:2], v[1:2], v[52:53], -v[48:49]
	v_fma_f64 v[3:4], v[3:4], v[52:53], v[54:55]
	buffer_store_dword v2, off, s[0:3], 0 offset:84
	buffer_store_dword v1, off, s[0:3], 0 offset:80
	;; [unrolled: 1-line block ×4, first 2 shown]
.LBB19_191:
	s_or_b32 exec_lo, exec_lo, s4
	v_mov_b32_e32 v4, s21
	s_mov_b32 s4, exec_lo
	s_clause 0x3
	buffer_load_dword v1, v4, s[0:3], 0 offen
	buffer_load_dword v2, v4, s[0:3], 0 offen offset:4
	buffer_load_dword v3, v4, s[0:3], 0 offen offset:8
	;; [unrolled: 1-line block ×3, first 2 shown]
	s_waitcnt vmcnt(0)
	ds_write_b128 v46, v[1:4]
	s_waitcnt lgkmcnt(0)
	s_waitcnt_vscnt null, 0x0
	s_barrier
	buffer_gl0_inv
	v_cmpx_gt_u32_e32 6, v0
	s_cbranch_execz .LBB19_199
; %bb.192:
	ds_read_b128 v[1:4], v46
	v_cmp_ne_u32_e32 vcc_lo, 1, v47
	s_cbranch_vccnz .LBB19_194
; %bb.193:
	s_clause 0x3
	buffer_load_dword v48, v45, s[0:3], 0 offen offset:8
	buffer_load_dword v49, v45, s[0:3], 0 offen offset:12
	buffer_load_dword v52, v45, s[0:3], 0 offen
	buffer_load_dword v53, v45, s[0:3], 0 offen offset:4
	s_waitcnt vmcnt(2) lgkmcnt(0)
	v_mul_f64 v[54:55], v[3:4], v[48:49]
	v_mul_f64 v[48:49], v[1:2], v[48:49]
	s_waitcnt vmcnt(0)
	v_fma_f64 v[1:2], v[1:2], v[52:53], -v[54:55]
	v_fma_f64 v[3:4], v[3:4], v[52:53], v[48:49]
.LBB19_194:
	s_mov_b32 s6, exec_lo
	v_cmpx_ne_u32_e32 5, v0
	s_cbranch_execz .LBB19_198
; %bb.195:
	v_add_nc_u32_e32 v48, 0x150, v51
	v_add3_u32 v49, 0, v51, 16
	v_mov_b32_e32 v50, v0
	s_mov_b32 s8, 0
	.p2align	6
.LBB19_196:                             ; =>This Inner Loop Header: Depth=1
	s_clause 0x3
	buffer_load_dword v56, v49, s[0:3], 0 offen offset:8
	buffer_load_dword v57, v49, s[0:3], 0 offen offset:12
	buffer_load_dword v58, v49, s[0:3], 0 offen
	buffer_load_dword v59, v49, s[0:3], 0 offen offset:4
	ds_read_b128 v[52:55], v48
	v_add_nc_u32_e32 v50, 1, v50
	v_add_nc_u32_e32 v48, 16, v48
	;; [unrolled: 1-line block ×3, first 2 shown]
	v_cmp_lt_u32_e32 vcc_lo, 4, v50
	s_or_b32 s8, vcc_lo, s8
	s_waitcnt vmcnt(2) lgkmcnt(0)
	v_mul_f64 v[60:61], v[54:55], v[56:57]
	v_mul_f64 v[56:57], v[52:53], v[56:57]
	s_waitcnt vmcnt(0)
	v_fma_f64 v[52:53], v[52:53], v[58:59], -v[60:61]
	v_fma_f64 v[54:55], v[54:55], v[58:59], v[56:57]
	v_add_f64 v[1:2], v[1:2], v[52:53]
	v_add_f64 v[3:4], v[3:4], v[54:55]
	s_andn2_b32 exec_lo, exec_lo, s8
	s_cbranch_execnz .LBB19_196
; %bb.197:
	s_or_b32 exec_lo, exec_lo, s8
.LBB19_198:
	s_or_b32 exec_lo, exec_lo, s6
	v_mov_b32_e32 v48, 0
	ds_read_b128 v[52:55], v48 offset:96
	s_waitcnt lgkmcnt(0)
	v_mul_f64 v[48:49], v[3:4], v[54:55]
	v_mul_f64 v[54:55], v[1:2], v[54:55]
	v_fma_f64 v[1:2], v[1:2], v[52:53], -v[48:49]
	v_fma_f64 v[3:4], v[3:4], v[52:53], v[54:55]
	buffer_store_dword v2, off, s[0:3], 0 offset:100
	buffer_store_dword v1, off, s[0:3], 0 offset:96
	;; [unrolled: 1-line block ×4, first 2 shown]
.LBB19_199:
	s_or_b32 exec_lo, exec_lo, s4
	v_mov_b32_e32 v4, s20
	s_mov_b32 s4, exec_lo
	s_clause 0x3
	buffer_load_dword v1, v4, s[0:3], 0 offen
	buffer_load_dword v2, v4, s[0:3], 0 offen offset:4
	buffer_load_dword v3, v4, s[0:3], 0 offen offset:8
	;; [unrolled: 1-line block ×3, first 2 shown]
	s_waitcnt vmcnt(0)
	ds_write_b128 v46, v[1:4]
	s_waitcnt lgkmcnt(0)
	s_waitcnt_vscnt null, 0x0
	s_barrier
	buffer_gl0_inv
	v_cmpx_gt_u32_e32 7, v0
	s_cbranch_execz .LBB19_207
; %bb.200:
	ds_read_b128 v[1:4], v46
	v_cmp_ne_u32_e32 vcc_lo, 1, v47
	s_cbranch_vccnz .LBB19_202
; %bb.201:
	s_clause 0x3
	buffer_load_dword v48, v45, s[0:3], 0 offen offset:8
	buffer_load_dword v49, v45, s[0:3], 0 offen offset:12
	buffer_load_dword v52, v45, s[0:3], 0 offen
	buffer_load_dword v53, v45, s[0:3], 0 offen offset:4
	s_waitcnt vmcnt(2) lgkmcnt(0)
	v_mul_f64 v[54:55], v[3:4], v[48:49]
	v_mul_f64 v[48:49], v[1:2], v[48:49]
	s_waitcnt vmcnt(0)
	v_fma_f64 v[1:2], v[1:2], v[52:53], -v[54:55]
	v_fma_f64 v[3:4], v[3:4], v[52:53], v[48:49]
.LBB19_202:
	s_mov_b32 s6, exec_lo
	v_cmpx_ne_u32_e32 6, v0
	s_cbranch_execz .LBB19_206
; %bb.203:
	v_add_nc_u32_e32 v48, 0x150, v51
	v_add3_u32 v49, 0, v51, 16
	v_mov_b32_e32 v50, v0
	s_mov_b32 s8, 0
	.p2align	6
.LBB19_204:                             ; =>This Inner Loop Header: Depth=1
	s_clause 0x3
	buffer_load_dword v56, v49, s[0:3], 0 offen offset:8
	buffer_load_dword v57, v49, s[0:3], 0 offen offset:12
	buffer_load_dword v58, v49, s[0:3], 0 offen
	buffer_load_dword v59, v49, s[0:3], 0 offen offset:4
	ds_read_b128 v[52:55], v48
	v_add_nc_u32_e32 v50, 1, v50
	v_add_nc_u32_e32 v48, 16, v48
	;; [unrolled: 1-line block ×3, first 2 shown]
	v_cmp_lt_u32_e32 vcc_lo, 5, v50
	s_or_b32 s8, vcc_lo, s8
	s_waitcnt vmcnt(2) lgkmcnt(0)
	v_mul_f64 v[60:61], v[54:55], v[56:57]
	v_mul_f64 v[56:57], v[52:53], v[56:57]
	s_waitcnt vmcnt(0)
	v_fma_f64 v[52:53], v[52:53], v[58:59], -v[60:61]
	v_fma_f64 v[54:55], v[54:55], v[58:59], v[56:57]
	v_add_f64 v[1:2], v[1:2], v[52:53]
	v_add_f64 v[3:4], v[3:4], v[54:55]
	s_andn2_b32 exec_lo, exec_lo, s8
	s_cbranch_execnz .LBB19_204
; %bb.205:
	s_or_b32 exec_lo, exec_lo, s8
.LBB19_206:
	s_or_b32 exec_lo, exec_lo, s6
	v_mov_b32_e32 v48, 0
	ds_read_b128 v[52:55], v48 offset:112
	s_waitcnt lgkmcnt(0)
	v_mul_f64 v[48:49], v[3:4], v[54:55]
	v_mul_f64 v[54:55], v[1:2], v[54:55]
	v_fma_f64 v[1:2], v[1:2], v[52:53], -v[48:49]
	v_fma_f64 v[3:4], v[3:4], v[52:53], v[54:55]
	buffer_store_dword v2, off, s[0:3], 0 offset:116
	buffer_store_dword v1, off, s[0:3], 0 offset:112
	;; [unrolled: 1-line block ×4, first 2 shown]
.LBB19_207:
	s_or_b32 exec_lo, exec_lo, s4
	v_mov_b32_e32 v4, s19
	s_mov_b32 s4, exec_lo
	s_clause 0x3
	buffer_load_dword v1, v4, s[0:3], 0 offen
	buffer_load_dword v2, v4, s[0:3], 0 offen offset:4
	buffer_load_dword v3, v4, s[0:3], 0 offen offset:8
	;; [unrolled: 1-line block ×3, first 2 shown]
	s_waitcnt vmcnt(0)
	ds_write_b128 v46, v[1:4]
	s_waitcnt lgkmcnt(0)
	s_waitcnt_vscnt null, 0x0
	s_barrier
	buffer_gl0_inv
	v_cmpx_gt_u32_e32 8, v0
	s_cbranch_execz .LBB19_215
; %bb.208:
	ds_read_b128 v[1:4], v46
	v_cmp_ne_u32_e32 vcc_lo, 1, v47
	s_cbranch_vccnz .LBB19_210
; %bb.209:
	s_clause 0x3
	buffer_load_dword v48, v45, s[0:3], 0 offen offset:8
	buffer_load_dword v49, v45, s[0:3], 0 offen offset:12
	buffer_load_dword v52, v45, s[0:3], 0 offen
	buffer_load_dword v53, v45, s[0:3], 0 offen offset:4
	s_waitcnt vmcnt(2) lgkmcnt(0)
	v_mul_f64 v[54:55], v[3:4], v[48:49]
	v_mul_f64 v[48:49], v[1:2], v[48:49]
	s_waitcnt vmcnt(0)
	v_fma_f64 v[1:2], v[1:2], v[52:53], -v[54:55]
	v_fma_f64 v[3:4], v[3:4], v[52:53], v[48:49]
.LBB19_210:
	s_mov_b32 s6, exec_lo
	v_cmpx_ne_u32_e32 7, v0
	s_cbranch_execz .LBB19_214
; %bb.211:
	v_add_nc_u32_e32 v48, 0x150, v51
	v_add3_u32 v49, 0, v51, 16
	v_mov_b32_e32 v50, v0
	s_mov_b32 s8, 0
	.p2align	6
.LBB19_212:                             ; =>This Inner Loop Header: Depth=1
	s_clause 0x3
	buffer_load_dword v56, v49, s[0:3], 0 offen offset:8
	buffer_load_dword v57, v49, s[0:3], 0 offen offset:12
	buffer_load_dword v58, v49, s[0:3], 0 offen
	buffer_load_dword v59, v49, s[0:3], 0 offen offset:4
	ds_read_b128 v[52:55], v48
	v_add_nc_u32_e32 v50, 1, v50
	v_add_nc_u32_e32 v48, 16, v48
	;; [unrolled: 1-line block ×3, first 2 shown]
	v_cmp_lt_u32_e32 vcc_lo, 6, v50
	s_or_b32 s8, vcc_lo, s8
	s_waitcnt vmcnt(2) lgkmcnt(0)
	v_mul_f64 v[60:61], v[54:55], v[56:57]
	v_mul_f64 v[56:57], v[52:53], v[56:57]
	s_waitcnt vmcnt(0)
	v_fma_f64 v[52:53], v[52:53], v[58:59], -v[60:61]
	v_fma_f64 v[54:55], v[54:55], v[58:59], v[56:57]
	v_add_f64 v[1:2], v[1:2], v[52:53]
	v_add_f64 v[3:4], v[3:4], v[54:55]
	s_andn2_b32 exec_lo, exec_lo, s8
	s_cbranch_execnz .LBB19_212
; %bb.213:
	s_or_b32 exec_lo, exec_lo, s8
.LBB19_214:
	s_or_b32 exec_lo, exec_lo, s6
	v_mov_b32_e32 v48, 0
	ds_read_b128 v[52:55], v48 offset:128
	s_waitcnt lgkmcnt(0)
	v_mul_f64 v[48:49], v[3:4], v[54:55]
	v_mul_f64 v[54:55], v[1:2], v[54:55]
	v_fma_f64 v[1:2], v[1:2], v[52:53], -v[48:49]
	v_fma_f64 v[3:4], v[3:4], v[52:53], v[54:55]
	buffer_store_dword v2, off, s[0:3], 0 offset:132
	buffer_store_dword v1, off, s[0:3], 0 offset:128
	buffer_store_dword v4, off, s[0:3], 0 offset:140
	buffer_store_dword v3, off, s[0:3], 0 offset:136
.LBB19_215:
	s_or_b32 exec_lo, exec_lo, s4
	v_mov_b32_e32 v4, s18
	s_mov_b32 s4, exec_lo
	s_clause 0x3
	buffer_load_dword v1, v4, s[0:3], 0 offen
	buffer_load_dword v2, v4, s[0:3], 0 offen offset:4
	buffer_load_dword v3, v4, s[0:3], 0 offen offset:8
	;; [unrolled: 1-line block ×3, first 2 shown]
	s_waitcnt vmcnt(0)
	ds_write_b128 v46, v[1:4]
	s_waitcnt lgkmcnt(0)
	s_waitcnt_vscnt null, 0x0
	s_barrier
	buffer_gl0_inv
	v_cmpx_gt_u32_e32 9, v0
	s_cbranch_execz .LBB19_223
; %bb.216:
	ds_read_b128 v[1:4], v46
	v_cmp_ne_u32_e32 vcc_lo, 1, v47
	s_cbranch_vccnz .LBB19_218
; %bb.217:
	s_clause 0x3
	buffer_load_dword v48, v45, s[0:3], 0 offen offset:8
	buffer_load_dword v49, v45, s[0:3], 0 offen offset:12
	buffer_load_dword v52, v45, s[0:3], 0 offen
	buffer_load_dword v53, v45, s[0:3], 0 offen offset:4
	s_waitcnt vmcnt(2) lgkmcnt(0)
	v_mul_f64 v[54:55], v[3:4], v[48:49]
	v_mul_f64 v[48:49], v[1:2], v[48:49]
	s_waitcnt vmcnt(0)
	v_fma_f64 v[1:2], v[1:2], v[52:53], -v[54:55]
	v_fma_f64 v[3:4], v[3:4], v[52:53], v[48:49]
.LBB19_218:
	s_mov_b32 s6, exec_lo
	v_cmpx_ne_u32_e32 8, v0
	s_cbranch_execz .LBB19_222
; %bb.219:
	v_add_nc_u32_e32 v48, 0x150, v51
	v_add3_u32 v49, 0, v51, 16
	v_mov_b32_e32 v50, v0
	s_mov_b32 s8, 0
	.p2align	6
.LBB19_220:                             ; =>This Inner Loop Header: Depth=1
	s_clause 0x3
	buffer_load_dword v56, v49, s[0:3], 0 offen offset:8
	buffer_load_dword v57, v49, s[0:3], 0 offen offset:12
	buffer_load_dword v58, v49, s[0:3], 0 offen
	buffer_load_dword v59, v49, s[0:3], 0 offen offset:4
	ds_read_b128 v[52:55], v48
	v_add_nc_u32_e32 v50, 1, v50
	v_add_nc_u32_e32 v48, 16, v48
	;; [unrolled: 1-line block ×3, first 2 shown]
	v_cmp_lt_u32_e32 vcc_lo, 7, v50
	s_or_b32 s8, vcc_lo, s8
	s_waitcnt vmcnt(2) lgkmcnt(0)
	v_mul_f64 v[60:61], v[54:55], v[56:57]
	v_mul_f64 v[56:57], v[52:53], v[56:57]
	s_waitcnt vmcnt(0)
	v_fma_f64 v[52:53], v[52:53], v[58:59], -v[60:61]
	v_fma_f64 v[54:55], v[54:55], v[58:59], v[56:57]
	v_add_f64 v[1:2], v[1:2], v[52:53]
	v_add_f64 v[3:4], v[3:4], v[54:55]
	s_andn2_b32 exec_lo, exec_lo, s8
	s_cbranch_execnz .LBB19_220
; %bb.221:
	s_or_b32 exec_lo, exec_lo, s8
.LBB19_222:
	s_or_b32 exec_lo, exec_lo, s6
	v_mov_b32_e32 v48, 0
	ds_read_b128 v[52:55], v48 offset:144
	s_waitcnt lgkmcnt(0)
	v_mul_f64 v[48:49], v[3:4], v[54:55]
	v_mul_f64 v[54:55], v[1:2], v[54:55]
	v_fma_f64 v[1:2], v[1:2], v[52:53], -v[48:49]
	v_fma_f64 v[3:4], v[3:4], v[52:53], v[54:55]
	buffer_store_dword v2, off, s[0:3], 0 offset:148
	buffer_store_dword v1, off, s[0:3], 0 offset:144
	;; [unrolled: 1-line block ×4, first 2 shown]
.LBB19_223:
	s_or_b32 exec_lo, exec_lo, s4
	v_mov_b32_e32 v4, s17
	s_mov_b32 s4, exec_lo
	s_clause 0x3
	buffer_load_dword v1, v4, s[0:3], 0 offen
	buffer_load_dword v2, v4, s[0:3], 0 offen offset:4
	buffer_load_dword v3, v4, s[0:3], 0 offen offset:8
	;; [unrolled: 1-line block ×3, first 2 shown]
	s_waitcnt vmcnt(0)
	ds_write_b128 v46, v[1:4]
	s_waitcnt lgkmcnt(0)
	s_waitcnt_vscnt null, 0x0
	s_barrier
	buffer_gl0_inv
	v_cmpx_gt_u32_e32 10, v0
	s_cbranch_execz .LBB19_231
; %bb.224:
	ds_read_b128 v[1:4], v46
	v_cmp_ne_u32_e32 vcc_lo, 1, v47
	s_cbranch_vccnz .LBB19_226
; %bb.225:
	s_clause 0x3
	buffer_load_dword v48, v45, s[0:3], 0 offen offset:8
	buffer_load_dword v49, v45, s[0:3], 0 offen offset:12
	buffer_load_dword v52, v45, s[0:3], 0 offen
	buffer_load_dword v53, v45, s[0:3], 0 offen offset:4
	s_waitcnt vmcnt(2) lgkmcnt(0)
	v_mul_f64 v[54:55], v[3:4], v[48:49]
	v_mul_f64 v[48:49], v[1:2], v[48:49]
	s_waitcnt vmcnt(0)
	v_fma_f64 v[1:2], v[1:2], v[52:53], -v[54:55]
	v_fma_f64 v[3:4], v[3:4], v[52:53], v[48:49]
.LBB19_226:
	s_mov_b32 s6, exec_lo
	v_cmpx_ne_u32_e32 9, v0
	s_cbranch_execz .LBB19_230
; %bb.227:
	v_add_nc_u32_e32 v48, 0x150, v51
	v_add3_u32 v49, 0, v51, 16
	v_mov_b32_e32 v50, v0
	s_mov_b32 s8, 0
	.p2align	6
.LBB19_228:                             ; =>This Inner Loop Header: Depth=1
	s_clause 0x3
	buffer_load_dword v56, v49, s[0:3], 0 offen offset:8
	buffer_load_dword v57, v49, s[0:3], 0 offen offset:12
	buffer_load_dword v58, v49, s[0:3], 0 offen
	buffer_load_dword v59, v49, s[0:3], 0 offen offset:4
	ds_read_b128 v[52:55], v48
	v_add_nc_u32_e32 v50, 1, v50
	v_add_nc_u32_e32 v48, 16, v48
	;; [unrolled: 1-line block ×3, first 2 shown]
	v_cmp_lt_u32_e32 vcc_lo, 8, v50
	s_or_b32 s8, vcc_lo, s8
	s_waitcnt vmcnt(2) lgkmcnt(0)
	v_mul_f64 v[60:61], v[54:55], v[56:57]
	v_mul_f64 v[56:57], v[52:53], v[56:57]
	s_waitcnt vmcnt(0)
	v_fma_f64 v[52:53], v[52:53], v[58:59], -v[60:61]
	v_fma_f64 v[54:55], v[54:55], v[58:59], v[56:57]
	v_add_f64 v[1:2], v[1:2], v[52:53]
	v_add_f64 v[3:4], v[3:4], v[54:55]
	s_andn2_b32 exec_lo, exec_lo, s8
	s_cbranch_execnz .LBB19_228
; %bb.229:
	s_or_b32 exec_lo, exec_lo, s8
.LBB19_230:
	s_or_b32 exec_lo, exec_lo, s6
	v_mov_b32_e32 v48, 0
	ds_read_b128 v[52:55], v48 offset:160
	s_waitcnt lgkmcnt(0)
	v_mul_f64 v[48:49], v[3:4], v[54:55]
	v_mul_f64 v[54:55], v[1:2], v[54:55]
	v_fma_f64 v[1:2], v[1:2], v[52:53], -v[48:49]
	v_fma_f64 v[3:4], v[3:4], v[52:53], v[54:55]
	buffer_store_dword v2, off, s[0:3], 0 offset:164
	buffer_store_dword v1, off, s[0:3], 0 offset:160
	;; [unrolled: 1-line block ×4, first 2 shown]
.LBB19_231:
	s_or_b32 exec_lo, exec_lo, s4
	v_mov_b32_e32 v4, s16
	s_mov_b32 s4, exec_lo
	s_clause 0x3
	buffer_load_dword v1, v4, s[0:3], 0 offen
	buffer_load_dword v2, v4, s[0:3], 0 offen offset:4
	buffer_load_dword v3, v4, s[0:3], 0 offen offset:8
	;; [unrolled: 1-line block ×3, first 2 shown]
	s_waitcnt vmcnt(0)
	ds_write_b128 v46, v[1:4]
	s_waitcnt lgkmcnt(0)
	s_waitcnt_vscnt null, 0x0
	s_barrier
	buffer_gl0_inv
	v_cmpx_gt_u32_e32 11, v0
	s_cbranch_execz .LBB19_239
; %bb.232:
	ds_read_b128 v[1:4], v46
	v_cmp_ne_u32_e32 vcc_lo, 1, v47
	s_cbranch_vccnz .LBB19_234
; %bb.233:
	s_clause 0x3
	buffer_load_dword v48, v45, s[0:3], 0 offen offset:8
	buffer_load_dword v49, v45, s[0:3], 0 offen offset:12
	buffer_load_dword v52, v45, s[0:3], 0 offen
	buffer_load_dword v53, v45, s[0:3], 0 offen offset:4
	s_waitcnt vmcnt(2) lgkmcnt(0)
	v_mul_f64 v[54:55], v[3:4], v[48:49]
	v_mul_f64 v[48:49], v[1:2], v[48:49]
	s_waitcnt vmcnt(0)
	v_fma_f64 v[1:2], v[1:2], v[52:53], -v[54:55]
	v_fma_f64 v[3:4], v[3:4], v[52:53], v[48:49]
.LBB19_234:
	s_mov_b32 s6, exec_lo
	v_cmpx_ne_u32_e32 10, v0
	s_cbranch_execz .LBB19_238
; %bb.235:
	v_add_nc_u32_e32 v48, 0x150, v51
	v_add3_u32 v49, 0, v51, 16
	v_mov_b32_e32 v50, v0
	s_mov_b32 s8, 0
	.p2align	6
.LBB19_236:                             ; =>This Inner Loop Header: Depth=1
	s_clause 0x3
	buffer_load_dword v56, v49, s[0:3], 0 offen offset:8
	buffer_load_dword v57, v49, s[0:3], 0 offen offset:12
	buffer_load_dword v58, v49, s[0:3], 0 offen
	buffer_load_dword v59, v49, s[0:3], 0 offen offset:4
	ds_read_b128 v[52:55], v48
	v_add_nc_u32_e32 v50, 1, v50
	v_add_nc_u32_e32 v48, 16, v48
	;; [unrolled: 1-line block ×3, first 2 shown]
	v_cmp_lt_u32_e32 vcc_lo, 9, v50
	s_or_b32 s8, vcc_lo, s8
	s_waitcnt vmcnt(2) lgkmcnt(0)
	v_mul_f64 v[60:61], v[54:55], v[56:57]
	v_mul_f64 v[56:57], v[52:53], v[56:57]
	s_waitcnt vmcnt(0)
	v_fma_f64 v[52:53], v[52:53], v[58:59], -v[60:61]
	v_fma_f64 v[54:55], v[54:55], v[58:59], v[56:57]
	v_add_f64 v[1:2], v[1:2], v[52:53]
	v_add_f64 v[3:4], v[3:4], v[54:55]
	s_andn2_b32 exec_lo, exec_lo, s8
	s_cbranch_execnz .LBB19_236
; %bb.237:
	s_or_b32 exec_lo, exec_lo, s8
.LBB19_238:
	s_or_b32 exec_lo, exec_lo, s6
	v_mov_b32_e32 v48, 0
	ds_read_b128 v[52:55], v48 offset:176
	s_waitcnt lgkmcnt(0)
	v_mul_f64 v[48:49], v[3:4], v[54:55]
	v_mul_f64 v[54:55], v[1:2], v[54:55]
	v_fma_f64 v[1:2], v[1:2], v[52:53], -v[48:49]
	v_fma_f64 v[3:4], v[3:4], v[52:53], v[54:55]
	buffer_store_dword v2, off, s[0:3], 0 offset:180
	buffer_store_dword v1, off, s[0:3], 0 offset:176
	;; [unrolled: 1-line block ×4, first 2 shown]
.LBB19_239:
	s_or_b32 exec_lo, exec_lo, s4
	v_mov_b32_e32 v4, s15
	s_mov_b32 s4, exec_lo
	s_clause 0x3
	buffer_load_dword v1, v4, s[0:3], 0 offen
	buffer_load_dword v2, v4, s[0:3], 0 offen offset:4
	buffer_load_dword v3, v4, s[0:3], 0 offen offset:8
	;; [unrolled: 1-line block ×3, first 2 shown]
	s_waitcnt vmcnt(0)
	ds_write_b128 v46, v[1:4]
	s_waitcnt lgkmcnt(0)
	s_waitcnt_vscnt null, 0x0
	s_barrier
	buffer_gl0_inv
	v_cmpx_gt_u32_e32 12, v0
	s_cbranch_execz .LBB19_247
; %bb.240:
	ds_read_b128 v[1:4], v46
	v_cmp_ne_u32_e32 vcc_lo, 1, v47
	s_cbranch_vccnz .LBB19_242
; %bb.241:
	s_clause 0x3
	buffer_load_dword v48, v45, s[0:3], 0 offen offset:8
	buffer_load_dword v49, v45, s[0:3], 0 offen offset:12
	buffer_load_dword v52, v45, s[0:3], 0 offen
	buffer_load_dword v53, v45, s[0:3], 0 offen offset:4
	s_waitcnt vmcnt(2) lgkmcnt(0)
	v_mul_f64 v[54:55], v[3:4], v[48:49]
	v_mul_f64 v[48:49], v[1:2], v[48:49]
	s_waitcnt vmcnt(0)
	v_fma_f64 v[1:2], v[1:2], v[52:53], -v[54:55]
	v_fma_f64 v[3:4], v[3:4], v[52:53], v[48:49]
.LBB19_242:
	s_mov_b32 s6, exec_lo
	v_cmpx_ne_u32_e32 11, v0
	s_cbranch_execz .LBB19_246
; %bb.243:
	v_add_nc_u32_e32 v48, 0x150, v51
	v_add3_u32 v49, 0, v51, 16
	v_mov_b32_e32 v50, v0
	s_mov_b32 s8, 0
	.p2align	6
.LBB19_244:                             ; =>This Inner Loop Header: Depth=1
	s_clause 0x3
	buffer_load_dword v56, v49, s[0:3], 0 offen offset:8
	buffer_load_dword v57, v49, s[0:3], 0 offen offset:12
	buffer_load_dword v58, v49, s[0:3], 0 offen
	buffer_load_dword v59, v49, s[0:3], 0 offen offset:4
	ds_read_b128 v[52:55], v48
	v_add_nc_u32_e32 v50, 1, v50
	v_add_nc_u32_e32 v48, 16, v48
	;; [unrolled: 1-line block ×3, first 2 shown]
	v_cmp_lt_u32_e32 vcc_lo, 10, v50
	s_or_b32 s8, vcc_lo, s8
	s_waitcnt vmcnt(2) lgkmcnt(0)
	v_mul_f64 v[60:61], v[54:55], v[56:57]
	v_mul_f64 v[56:57], v[52:53], v[56:57]
	s_waitcnt vmcnt(0)
	v_fma_f64 v[52:53], v[52:53], v[58:59], -v[60:61]
	v_fma_f64 v[54:55], v[54:55], v[58:59], v[56:57]
	v_add_f64 v[1:2], v[1:2], v[52:53]
	v_add_f64 v[3:4], v[3:4], v[54:55]
	s_andn2_b32 exec_lo, exec_lo, s8
	s_cbranch_execnz .LBB19_244
; %bb.245:
	s_or_b32 exec_lo, exec_lo, s8
.LBB19_246:
	s_or_b32 exec_lo, exec_lo, s6
	v_mov_b32_e32 v48, 0
	ds_read_b128 v[52:55], v48 offset:192
	s_waitcnt lgkmcnt(0)
	v_mul_f64 v[48:49], v[3:4], v[54:55]
	v_mul_f64 v[54:55], v[1:2], v[54:55]
	v_fma_f64 v[1:2], v[1:2], v[52:53], -v[48:49]
	v_fma_f64 v[3:4], v[3:4], v[52:53], v[54:55]
	buffer_store_dword v2, off, s[0:3], 0 offset:196
	buffer_store_dword v1, off, s[0:3], 0 offset:192
	;; [unrolled: 1-line block ×4, first 2 shown]
.LBB19_247:
	s_or_b32 exec_lo, exec_lo, s4
	v_mov_b32_e32 v4, s14
	s_mov_b32 s4, exec_lo
	s_clause 0x3
	buffer_load_dword v1, v4, s[0:3], 0 offen
	buffer_load_dword v2, v4, s[0:3], 0 offen offset:4
	buffer_load_dword v3, v4, s[0:3], 0 offen offset:8
	;; [unrolled: 1-line block ×3, first 2 shown]
	s_waitcnt vmcnt(0)
	ds_write_b128 v46, v[1:4]
	s_waitcnt lgkmcnt(0)
	s_waitcnt_vscnt null, 0x0
	s_barrier
	buffer_gl0_inv
	v_cmpx_gt_u32_e32 13, v0
	s_cbranch_execz .LBB19_255
; %bb.248:
	ds_read_b128 v[1:4], v46
	v_cmp_ne_u32_e32 vcc_lo, 1, v47
	s_cbranch_vccnz .LBB19_250
; %bb.249:
	s_clause 0x3
	buffer_load_dword v48, v45, s[0:3], 0 offen offset:8
	buffer_load_dword v49, v45, s[0:3], 0 offen offset:12
	buffer_load_dword v52, v45, s[0:3], 0 offen
	buffer_load_dword v53, v45, s[0:3], 0 offen offset:4
	s_waitcnt vmcnt(2) lgkmcnt(0)
	v_mul_f64 v[54:55], v[3:4], v[48:49]
	v_mul_f64 v[48:49], v[1:2], v[48:49]
	s_waitcnt vmcnt(0)
	v_fma_f64 v[1:2], v[1:2], v[52:53], -v[54:55]
	v_fma_f64 v[3:4], v[3:4], v[52:53], v[48:49]
.LBB19_250:
	s_mov_b32 s6, exec_lo
	v_cmpx_ne_u32_e32 12, v0
	s_cbranch_execz .LBB19_254
; %bb.251:
	v_add_nc_u32_e32 v48, 0x150, v51
	v_add3_u32 v49, 0, v51, 16
	v_mov_b32_e32 v50, v0
	s_mov_b32 s8, 0
	.p2align	6
.LBB19_252:                             ; =>This Inner Loop Header: Depth=1
	s_clause 0x3
	buffer_load_dword v56, v49, s[0:3], 0 offen offset:8
	buffer_load_dword v57, v49, s[0:3], 0 offen offset:12
	buffer_load_dword v58, v49, s[0:3], 0 offen
	buffer_load_dword v59, v49, s[0:3], 0 offen offset:4
	ds_read_b128 v[52:55], v48
	v_add_nc_u32_e32 v50, 1, v50
	v_add_nc_u32_e32 v48, 16, v48
	;; [unrolled: 1-line block ×3, first 2 shown]
	v_cmp_lt_u32_e32 vcc_lo, 11, v50
	s_or_b32 s8, vcc_lo, s8
	s_waitcnt vmcnt(2) lgkmcnt(0)
	v_mul_f64 v[60:61], v[54:55], v[56:57]
	v_mul_f64 v[56:57], v[52:53], v[56:57]
	s_waitcnt vmcnt(0)
	v_fma_f64 v[52:53], v[52:53], v[58:59], -v[60:61]
	v_fma_f64 v[54:55], v[54:55], v[58:59], v[56:57]
	v_add_f64 v[1:2], v[1:2], v[52:53]
	v_add_f64 v[3:4], v[3:4], v[54:55]
	s_andn2_b32 exec_lo, exec_lo, s8
	s_cbranch_execnz .LBB19_252
; %bb.253:
	s_or_b32 exec_lo, exec_lo, s8
.LBB19_254:
	s_or_b32 exec_lo, exec_lo, s6
	v_mov_b32_e32 v48, 0
	ds_read_b128 v[52:55], v48 offset:208
	s_waitcnt lgkmcnt(0)
	v_mul_f64 v[48:49], v[3:4], v[54:55]
	v_mul_f64 v[54:55], v[1:2], v[54:55]
	v_fma_f64 v[1:2], v[1:2], v[52:53], -v[48:49]
	v_fma_f64 v[3:4], v[3:4], v[52:53], v[54:55]
	buffer_store_dword v2, off, s[0:3], 0 offset:212
	buffer_store_dword v1, off, s[0:3], 0 offset:208
	;; [unrolled: 1-line block ×4, first 2 shown]
.LBB19_255:
	s_or_b32 exec_lo, exec_lo, s4
	v_mov_b32_e32 v4, s13
	s_mov_b32 s4, exec_lo
	s_clause 0x3
	buffer_load_dword v1, v4, s[0:3], 0 offen
	buffer_load_dword v2, v4, s[0:3], 0 offen offset:4
	buffer_load_dword v3, v4, s[0:3], 0 offen offset:8
	;; [unrolled: 1-line block ×3, first 2 shown]
	s_waitcnt vmcnt(0)
	ds_write_b128 v46, v[1:4]
	s_waitcnt lgkmcnt(0)
	s_waitcnt_vscnt null, 0x0
	s_barrier
	buffer_gl0_inv
	v_cmpx_gt_u32_e32 14, v0
	s_cbranch_execz .LBB19_263
; %bb.256:
	ds_read_b128 v[1:4], v46
	v_cmp_ne_u32_e32 vcc_lo, 1, v47
	s_cbranch_vccnz .LBB19_258
; %bb.257:
	s_clause 0x3
	buffer_load_dword v48, v45, s[0:3], 0 offen offset:8
	buffer_load_dword v49, v45, s[0:3], 0 offen offset:12
	buffer_load_dword v52, v45, s[0:3], 0 offen
	buffer_load_dword v53, v45, s[0:3], 0 offen offset:4
	s_waitcnt vmcnt(2) lgkmcnt(0)
	v_mul_f64 v[54:55], v[3:4], v[48:49]
	v_mul_f64 v[48:49], v[1:2], v[48:49]
	s_waitcnt vmcnt(0)
	v_fma_f64 v[1:2], v[1:2], v[52:53], -v[54:55]
	v_fma_f64 v[3:4], v[3:4], v[52:53], v[48:49]
.LBB19_258:
	s_mov_b32 s6, exec_lo
	v_cmpx_ne_u32_e32 13, v0
	s_cbranch_execz .LBB19_262
; %bb.259:
	v_add_nc_u32_e32 v48, 0x150, v51
	v_add3_u32 v49, 0, v51, 16
	v_mov_b32_e32 v50, v0
	s_mov_b32 s8, 0
	.p2align	6
.LBB19_260:                             ; =>This Inner Loop Header: Depth=1
	s_clause 0x3
	buffer_load_dword v56, v49, s[0:3], 0 offen offset:8
	buffer_load_dword v57, v49, s[0:3], 0 offen offset:12
	buffer_load_dword v58, v49, s[0:3], 0 offen
	buffer_load_dword v59, v49, s[0:3], 0 offen offset:4
	ds_read_b128 v[52:55], v48
	v_add_nc_u32_e32 v50, 1, v50
	v_add_nc_u32_e32 v48, 16, v48
	;; [unrolled: 1-line block ×3, first 2 shown]
	v_cmp_lt_u32_e32 vcc_lo, 12, v50
	s_or_b32 s8, vcc_lo, s8
	s_waitcnt vmcnt(2) lgkmcnt(0)
	v_mul_f64 v[60:61], v[54:55], v[56:57]
	v_mul_f64 v[56:57], v[52:53], v[56:57]
	s_waitcnt vmcnt(0)
	v_fma_f64 v[52:53], v[52:53], v[58:59], -v[60:61]
	v_fma_f64 v[54:55], v[54:55], v[58:59], v[56:57]
	v_add_f64 v[1:2], v[1:2], v[52:53]
	v_add_f64 v[3:4], v[3:4], v[54:55]
	s_andn2_b32 exec_lo, exec_lo, s8
	s_cbranch_execnz .LBB19_260
; %bb.261:
	s_or_b32 exec_lo, exec_lo, s8
.LBB19_262:
	s_or_b32 exec_lo, exec_lo, s6
	v_mov_b32_e32 v48, 0
	ds_read_b128 v[52:55], v48 offset:224
	s_waitcnt lgkmcnt(0)
	v_mul_f64 v[48:49], v[3:4], v[54:55]
	v_mul_f64 v[54:55], v[1:2], v[54:55]
	v_fma_f64 v[1:2], v[1:2], v[52:53], -v[48:49]
	v_fma_f64 v[3:4], v[3:4], v[52:53], v[54:55]
	buffer_store_dword v2, off, s[0:3], 0 offset:228
	buffer_store_dword v1, off, s[0:3], 0 offset:224
	;; [unrolled: 1-line block ×4, first 2 shown]
.LBB19_263:
	s_or_b32 exec_lo, exec_lo, s4
	v_mov_b32_e32 v4, s12
	s_mov_b32 s4, exec_lo
	s_clause 0x3
	buffer_load_dword v1, v4, s[0:3], 0 offen
	buffer_load_dword v2, v4, s[0:3], 0 offen offset:4
	buffer_load_dword v3, v4, s[0:3], 0 offen offset:8
	;; [unrolled: 1-line block ×3, first 2 shown]
	s_waitcnt vmcnt(0)
	ds_write_b128 v46, v[1:4]
	s_waitcnt lgkmcnt(0)
	s_waitcnt_vscnt null, 0x0
	s_barrier
	buffer_gl0_inv
	v_cmpx_gt_u32_e32 15, v0
	s_cbranch_execz .LBB19_271
; %bb.264:
	ds_read_b128 v[1:4], v46
	v_cmp_ne_u32_e32 vcc_lo, 1, v47
	s_cbranch_vccnz .LBB19_266
; %bb.265:
	s_clause 0x3
	buffer_load_dword v48, v45, s[0:3], 0 offen offset:8
	buffer_load_dword v49, v45, s[0:3], 0 offen offset:12
	buffer_load_dword v52, v45, s[0:3], 0 offen
	buffer_load_dword v53, v45, s[0:3], 0 offen offset:4
	s_waitcnt vmcnt(2) lgkmcnt(0)
	v_mul_f64 v[54:55], v[3:4], v[48:49]
	v_mul_f64 v[48:49], v[1:2], v[48:49]
	s_waitcnt vmcnt(0)
	v_fma_f64 v[1:2], v[1:2], v[52:53], -v[54:55]
	v_fma_f64 v[3:4], v[3:4], v[52:53], v[48:49]
.LBB19_266:
	s_mov_b32 s6, exec_lo
	v_cmpx_ne_u32_e32 14, v0
	s_cbranch_execz .LBB19_270
; %bb.267:
	v_add_nc_u32_e32 v48, 0x150, v51
	v_add3_u32 v49, 0, v51, 16
	v_mov_b32_e32 v50, v0
	s_mov_b32 s8, 0
	.p2align	6
.LBB19_268:                             ; =>This Inner Loop Header: Depth=1
	s_clause 0x3
	buffer_load_dword v56, v49, s[0:3], 0 offen offset:8
	buffer_load_dword v57, v49, s[0:3], 0 offen offset:12
	buffer_load_dword v58, v49, s[0:3], 0 offen
	buffer_load_dword v59, v49, s[0:3], 0 offen offset:4
	ds_read_b128 v[52:55], v48
	v_add_nc_u32_e32 v50, 1, v50
	v_add_nc_u32_e32 v48, 16, v48
	;; [unrolled: 1-line block ×3, first 2 shown]
	v_cmp_lt_u32_e32 vcc_lo, 13, v50
	s_or_b32 s8, vcc_lo, s8
	s_waitcnt vmcnt(2) lgkmcnt(0)
	v_mul_f64 v[60:61], v[54:55], v[56:57]
	v_mul_f64 v[56:57], v[52:53], v[56:57]
	s_waitcnt vmcnt(0)
	v_fma_f64 v[52:53], v[52:53], v[58:59], -v[60:61]
	v_fma_f64 v[54:55], v[54:55], v[58:59], v[56:57]
	v_add_f64 v[1:2], v[1:2], v[52:53]
	v_add_f64 v[3:4], v[3:4], v[54:55]
	s_andn2_b32 exec_lo, exec_lo, s8
	s_cbranch_execnz .LBB19_268
; %bb.269:
	s_or_b32 exec_lo, exec_lo, s8
.LBB19_270:
	s_or_b32 exec_lo, exec_lo, s6
	v_mov_b32_e32 v48, 0
	ds_read_b128 v[52:55], v48 offset:240
	s_waitcnt lgkmcnt(0)
	v_mul_f64 v[48:49], v[3:4], v[54:55]
	v_mul_f64 v[54:55], v[1:2], v[54:55]
	v_fma_f64 v[1:2], v[1:2], v[52:53], -v[48:49]
	v_fma_f64 v[3:4], v[3:4], v[52:53], v[54:55]
	buffer_store_dword v2, off, s[0:3], 0 offset:244
	buffer_store_dword v1, off, s[0:3], 0 offset:240
	;; [unrolled: 1-line block ×4, first 2 shown]
.LBB19_271:
	s_or_b32 exec_lo, exec_lo, s4
	v_mov_b32_e32 v4, s11
	s_mov_b32 s4, exec_lo
	s_clause 0x3
	buffer_load_dword v1, v4, s[0:3], 0 offen
	buffer_load_dword v2, v4, s[0:3], 0 offen offset:4
	buffer_load_dword v3, v4, s[0:3], 0 offen offset:8
	;; [unrolled: 1-line block ×3, first 2 shown]
	s_waitcnt vmcnt(0)
	ds_write_b128 v46, v[1:4]
	s_waitcnt lgkmcnt(0)
	s_waitcnt_vscnt null, 0x0
	s_barrier
	buffer_gl0_inv
	v_cmpx_gt_u32_e32 16, v0
	s_cbranch_execz .LBB19_279
; %bb.272:
	ds_read_b128 v[1:4], v46
	v_cmp_ne_u32_e32 vcc_lo, 1, v47
	s_cbranch_vccnz .LBB19_274
; %bb.273:
	s_clause 0x3
	buffer_load_dword v48, v45, s[0:3], 0 offen offset:8
	buffer_load_dword v49, v45, s[0:3], 0 offen offset:12
	buffer_load_dword v52, v45, s[0:3], 0 offen
	buffer_load_dword v53, v45, s[0:3], 0 offen offset:4
	s_waitcnt vmcnt(2) lgkmcnt(0)
	v_mul_f64 v[54:55], v[3:4], v[48:49]
	v_mul_f64 v[48:49], v[1:2], v[48:49]
	s_waitcnt vmcnt(0)
	v_fma_f64 v[1:2], v[1:2], v[52:53], -v[54:55]
	v_fma_f64 v[3:4], v[3:4], v[52:53], v[48:49]
.LBB19_274:
	s_mov_b32 s6, exec_lo
	v_cmpx_ne_u32_e32 15, v0
	s_cbranch_execz .LBB19_278
; %bb.275:
	v_add_nc_u32_e32 v48, 0x150, v51
	v_add3_u32 v49, 0, v51, 16
	v_mov_b32_e32 v50, v0
	s_mov_b32 s8, 0
	.p2align	6
.LBB19_276:                             ; =>This Inner Loop Header: Depth=1
	s_clause 0x3
	buffer_load_dword v56, v49, s[0:3], 0 offen offset:8
	buffer_load_dword v57, v49, s[0:3], 0 offen offset:12
	buffer_load_dword v58, v49, s[0:3], 0 offen
	buffer_load_dword v59, v49, s[0:3], 0 offen offset:4
	ds_read_b128 v[52:55], v48
	v_add_nc_u32_e32 v50, 1, v50
	v_add_nc_u32_e32 v48, 16, v48
	;; [unrolled: 1-line block ×3, first 2 shown]
	v_cmp_lt_u32_e32 vcc_lo, 14, v50
	s_or_b32 s8, vcc_lo, s8
	s_waitcnt vmcnt(2) lgkmcnt(0)
	v_mul_f64 v[60:61], v[54:55], v[56:57]
	v_mul_f64 v[56:57], v[52:53], v[56:57]
	s_waitcnt vmcnt(0)
	v_fma_f64 v[52:53], v[52:53], v[58:59], -v[60:61]
	v_fma_f64 v[54:55], v[54:55], v[58:59], v[56:57]
	v_add_f64 v[1:2], v[1:2], v[52:53]
	v_add_f64 v[3:4], v[3:4], v[54:55]
	s_andn2_b32 exec_lo, exec_lo, s8
	s_cbranch_execnz .LBB19_276
; %bb.277:
	s_or_b32 exec_lo, exec_lo, s8
.LBB19_278:
	s_or_b32 exec_lo, exec_lo, s6
	v_mov_b32_e32 v48, 0
	ds_read_b128 v[52:55], v48 offset:256
	s_waitcnt lgkmcnt(0)
	v_mul_f64 v[48:49], v[3:4], v[54:55]
	v_mul_f64 v[54:55], v[1:2], v[54:55]
	v_fma_f64 v[1:2], v[1:2], v[52:53], -v[48:49]
	v_fma_f64 v[3:4], v[3:4], v[52:53], v[54:55]
	buffer_store_dword v2, off, s[0:3], 0 offset:260
	buffer_store_dword v1, off, s[0:3], 0 offset:256
	;; [unrolled: 1-line block ×4, first 2 shown]
.LBB19_279:
	s_or_b32 exec_lo, exec_lo, s4
	v_mov_b32_e32 v4, s10
	s_mov_b32 s4, exec_lo
	s_clause 0x3
	buffer_load_dword v1, v4, s[0:3], 0 offen
	buffer_load_dword v2, v4, s[0:3], 0 offen offset:4
	buffer_load_dword v3, v4, s[0:3], 0 offen offset:8
	;; [unrolled: 1-line block ×3, first 2 shown]
	s_waitcnt vmcnt(0)
	ds_write_b128 v46, v[1:4]
	s_waitcnt lgkmcnt(0)
	s_waitcnt_vscnt null, 0x0
	s_barrier
	buffer_gl0_inv
	v_cmpx_gt_u32_e32 17, v0
	s_cbranch_execz .LBB19_287
; %bb.280:
	ds_read_b128 v[1:4], v46
	v_cmp_ne_u32_e32 vcc_lo, 1, v47
	s_cbranch_vccnz .LBB19_282
; %bb.281:
	s_clause 0x3
	buffer_load_dword v48, v45, s[0:3], 0 offen offset:8
	buffer_load_dword v49, v45, s[0:3], 0 offen offset:12
	buffer_load_dword v52, v45, s[0:3], 0 offen
	buffer_load_dword v53, v45, s[0:3], 0 offen offset:4
	s_waitcnt vmcnt(2) lgkmcnt(0)
	v_mul_f64 v[54:55], v[3:4], v[48:49]
	v_mul_f64 v[48:49], v[1:2], v[48:49]
	s_waitcnt vmcnt(0)
	v_fma_f64 v[1:2], v[1:2], v[52:53], -v[54:55]
	v_fma_f64 v[3:4], v[3:4], v[52:53], v[48:49]
.LBB19_282:
	s_mov_b32 s6, exec_lo
	v_cmpx_ne_u32_e32 16, v0
	s_cbranch_execz .LBB19_286
; %bb.283:
	v_add_nc_u32_e32 v48, 0x150, v51
	v_add3_u32 v49, 0, v51, 16
	v_mov_b32_e32 v50, v0
	s_mov_b32 s8, 0
	.p2align	6
.LBB19_284:                             ; =>This Inner Loop Header: Depth=1
	s_clause 0x3
	buffer_load_dword v56, v49, s[0:3], 0 offen offset:8
	buffer_load_dword v57, v49, s[0:3], 0 offen offset:12
	buffer_load_dword v58, v49, s[0:3], 0 offen
	buffer_load_dword v59, v49, s[0:3], 0 offen offset:4
	ds_read_b128 v[52:55], v48
	v_add_nc_u32_e32 v50, 1, v50
	v_add_nc_u32_e32 v48, 16, v48
	;; [unrolled: 1-line block ×3, first 2 shown]
	v_cmp_lt_u32_e32 vcc_lo, 15, v50
	s_or_b32 s8, vcc_lo, s8
	s_waitcnt vmcnt(2) lgkmcnt(0)
	v_mul_f64 v[60:61], v[54:55], v[56:57]
	v_mul_f64 v[56:57], v[52:53], v[56:57]
	s_waitcnt vmcnt(0)
	v_fma_f64 v[52:53], v[52:53], v[58:59], -v[60:61]
	v_fma_f64 v[54:55], v[54:55], v[58:59], v[56:57]
	v_add_f64 v[1:2], v[1:2], v[52:53]
	v_add_f64 v[3:4], v[3:4], v[54:55]
	s_andn2_b32 exec_lo, exec_lo, s8
	s_cbranch_execnz .LBB19_284
; %bb.285:
	s_or_b32 exec_lo, exec_lo, s8
.LBB19_286:
	s_or_b32 exec_lo, exec_lo, s6
	v_mov_b32_e32 v48, 0
	ds_read_b128 v[52:55], v48 offset:272
	s_waitcnt lgkmcnt(0)
	v_mul_f64 v[48:49], v[3:4], v[54:55]
	v_mul_f64 v[54:55], v[1:2], v[54:55]
	v_fma_f64 v[1:2], v[1:2], v[52:53], -v[48:49]
	v_fma_f64 v[3:4], v[3:4], v[52:53], v[54:55]
	buffer_store_dword v2, off, s[0:3], 0 offset:276
	buffer_store_dword v1, off, s[0:3], 0 offset:272
	;; [unrolled: 1-line block ×4, first 2 shown]
.LBB19_287:
	s_or_b32 exec_lo, exec_lo, s4
	v_mov_b32_e32 v4, s9
	v_cmp_gt_u32_e64 s4, 18, v0
	s_clause 0x3
	buffer_load_dword v1, v4, s[0:3], 0 offen
	buffer_load_dword v2, v4, s[0:3], 0 offen offset:4
	buffer_load_dword v3, v4, s[0:3], 0 offen offset:8
	;; [unrolled: 1-line block ×3, first 2 shown]
	s_waitcnt vmcnt(0)
	ds_write_b128 v46, v[1:4]
	s_waitcnt lgkmcnt(0)
	s_waitcnt_vscnt null, 0x0
	s_barrier
	buffer_gl0_inv
	s_and_saveexec_b32 s6, s4
	s_cbranch_execz .LBB19_295
; %bb.288:
	ds_read_b128 v[1:4], v46
	v_cmp_ne_u32_e32 vcc_lo, 1, v47
	s_cbranch_vccnz .LBB19_290
; %bb.289:
	s_clause 0x3
	buffer_load_dword v48, v45, s[0:3], 0 offen offset:8
	buffer_load_dword v49, v45, s[0:3], 0 offen offset:12
	buffer_load_dword v52, v45, s[0:3], 0 offen
	buffer_load_dword v53, v45, s[0:3], 0 offen offset:4
	s_waitcnt vmcnt(2) lgkmcnt(0)
	v_mul_f64 v[54:55], v[3:4], v[48:49]
	v_mul_f64 v[48:49], v[1:2], v[48:49]
	s_waitcnt vmcnt(0)
	v_fma_f64 v[1:2], v[1:2], v[52:53], -v[54:55]
	v_fma_f64 v[3:4], v[3:4], v[52:53], v[48:49]
.LBB19_290:
	s_mov_b32 s8, exec_lo
	v_cmpx_ne_u32_e32 17, v0
	s_cbranch_execz .LBB19_294
; %bb.291:
	v_add_nc_u32_e32 v48, 0x150, v51
	v_add3_u32 v49, 0, v51, 16
	v_mov_b32_e32 v50, v0
	s_mov_b32 s27, 0
	.p2align	6
.LBB19_292:                             ; =>This Inner Loop Header: Depth=1
	s_clause 0x3
	buffer_load_dword v56, v49, s[0:3], 0 offen offset:8
	buffer_load_dword v57, v49, s[0:3], 0 offen offset:12
	buffer_load_dword v58, v49, s[0:3], 0 offen
	buffer_load_dword v59, v49, s[0:3], 0 offen offset:4
	ds_read_b128 v[52:55], v48
	v_add_nc_u32_e32 v50, 1, v50
	v_add_nc_u32_e32 v48, 16, v48
	;; [unrolled: 1-line block ×3, first 2 shown]
	v_cmp_lt_u32_e32 vcc_lo, 16, v50
	s_or_b32 s27, vcc_lo, s27
	s_waitcnt vmcnt(2) lgkmcnt(0)
	v_mul_f64 v[60:61], v[54:55], v[56:57]
	v_mul_f64 v[56:57], v[52:53], v[56:57]
	s_waitcnt vmcnt(0)
	v_fma_f64 v[52:53], v[52:53], v[58:59], -v[60:61]
	v_fma_f64 v[54:55], v[54:55], v[58:59], v[56:57]
	v_add_f64 v[1:2], v[1:2], v[52:53]
	v_add_f64 v[3:4], v[3:4], v[54:55]
	s_andn2_b32 exec_lo, exec_lo, s27
	s_cbranch_execnz .LBB19_292
; %bb.293:
	s_or_b32 exec_lo, exec_lo, s27
.LBB19_294:
	s_or_b32 exec_lo, exec_lo, s8
	v_mov_b32_e32 v48, 0
	ds_read_b128 v[52:55], v48 offset:288
	s_waitcnt lgkmcnt(0)
	v_mul_f64 v[48:49], v[3:4], v[54:55]
	v_mul_f64 v[54:55], v[1:2], v[54:55]
	v_fma_f64 v[1:2], v[1:2], v[52:53], -v[48:49]
	v_fma_f64 v[3:4], v[3:4], v[52:53], v[54:55]
	buffer_store_dword v2, off, s[0:3], 0 offset:292
	buffer_store_dword v1, off, s[0:3], 0 offset:288
	;; [unrolled: 1-line block ×4, first 2 shown]
.LBB19_295:
	s_or_b32 exec_lo, exec_lo, s6
	v_mov_b32_e32 v4, s7
	s_mov_b32 s6, exec_lo
                                        ; implicit-def: $sgpr28
	s_clause 0x3
	buffer_load_dword v1, v4, s[0:3], 0 offen
	buffer_load_dword v2, v4, s[0:3], 0 offen offset:4
	buffer_load_dword v3, v4, s[0:3], 0 offen offset:8
	buffer_load_dword v4, v4, s[0:3], 0 offen offset:12
	s_waitcnt vmcnt(0)
	ds_write_b128 v46, v[1:4]
	s_waitcnt lgkmcnt(0)
	s_waitcnt_vscnt null, 0x0
	s_barrier
	buffer_gl0_inv
                                        ; implicit-def: $vgpr1_vgpr2
	v_cmpx_ne_u32_e32 19, v0
	s_cbranch_execz .LBB19_303
; %bb.296:
	ds_read_b128 v[1:4], v46
	v_cmp_ne_u32_e32 vcc_lo, 1, v47
	s_cbranch_vccnz .LBB19_298
; %bb.297:
	s_clause 0x3
	buffer_load_dword v46, v45, s[0:3], 0 offen offset:8
	buffer_load_dword v47, v45, s[0:3], 0 offen offset:12
	buffer_load_dword v48, v45, s[0:3], 0 offen
	buffer_load_dword v49, v45, s[0:3], 0 offen offset:4
	s_waitcnt vmcnt(2) lgkmcnt(0)
	v_mul_f64 v[52:53], v[3:4], v[46:47]
	v_mul_f64 v[45:46], v[1:2], v[46:47]
	s_waitcnt vmcnt(0)
	v_fma_f64 v[1:2], v[1:2], v[48:49], -v[52:53]
	v_fma_f64 v[3:4], v[3:4], v[48:49], v[45:46]
.LBB19_298:
	s_and_saveexec_b32 s8, s4
	s_cbranch_execz .LBB19_302
; %bb.299:
	v_add_nc_u32_e32 v45, 0x150, v51
	v_add3_u32 v46, 0, v51, 16
	s_mov_b32 s4, 0
	.p2align	6
.LBB19_300:                             ; =>This Inner Loop Header: Depth=1
	s_clause 0x3
	buffer_load_dword v51, v46, s[0:3], 0 offen offset:8
	buffer_load_dword v52, v46, s[0:3], 0 offen offset:12
	buffer_load_dword v53, v46, s[0:3], 0 offen
	buffer_load_dword v54, v46, s[0:3], 0 offen offset:4
	ds_read_b128 v[47:50], v45
	v_add_nc_u32_e32 v0, 1, v0
	v_add_nc_u32_e32 v45, 16, v45
	;; [unrolled: 1-line block ×3, first 2 shown]
	v_cmp_lt_u32_e32 vcc_lo, 17, v0
	s_or_b32 s4, vcc_lo, s4
	s_waitcnt vmcnt(2) lgkmcnt(0)
	v_mul_f64 v[55:56], v[49:50], v[51:52]
	v_mul_f64 v[51:52], v[47:48], v[51:52]
	s_waitcnt vmcnt(0)
	v_fma_f64 v[47:48], v[47:48], v[53:54], -v[55:56]
	v_fma_f64 v[49:50], v[49:50], v[53:54], v[51:52]
	v_add_f64 v[1:2], v[1:2], v[47:48]
	v_add_f64 v[3:4], v[3:4], v[49:50]
	s_andn2_b32 exec_lo, exec_lo, s4
	s_cbranch_execnz .LBB19_300
; %bb.301:
	s_or_b32 exec_lo, exec_lo, s4
.LBB19_302:
	s_or_b32 exec_lo, exec_lo, s8
	v_mov_b32_e32 v0, 0
	s_movk_i32 s28, 0x138
	s_or_b32 s5, s5, exec_lo
	ds_read_b128 v[45:48], v0 offset:304
	s_waitcnt lgkmcnt(0)
	v_mul_f64 v[49:50], v[3:4], v[47:48]
	v_mul_f64 v[47:48], v[1:2], v[47:48]
	v_fma_f64 v[49:50], v[1:2], v[45:46], -v[49:50]
	v_fma_f64 v[1:2], v[3:4], v[45:46], v[47:48]
	buffer_store_dword v50, off, s[0:3], 0 offset:308
	buffer_store_dword v49, off, s[0:3], 0 offset:304
.LBB19_303:
	s_or_b32 exec_lo, exec_lo, s6
.LBB19_304:
	s_and_saveexec_b32 s4, s5
	s_cbranch_execz .LBB19_306
; %bb.305:
	v_mov_b32_e32 v0, s28
	buffer_store_dword v2, v0, s[0:3], 0 offen offset:4
	buffer_store_dword v1, v0, s[0:3], 0 offen
.LBB19_306:
	s_or_b32 exec_lo, exec_lo, s4
	s_clause 0x3
	buffer_load_dword v0, off, s[0:3], 0
	buffer_load_dword v1, off, s[0:3], 0 offset:4
	buffer_load_dword v2, off, s[0:3], 0 offset:8
	;; [unrolled: 1-line block ×3, first 2 shown]
	v_mov_b32_e32 v4, s26
	v_mov_b32_e32 v60, s22
	v_mov_b32_e32 v61, s20
	v_mov_b32_e32 v65, s11
	s_clause 0x3
	buffer_load_dword v45, v4, s[0:3], 0 offen
	buffer_load_dword v46, v4, s[0:3], 0 offen offset:4
	buffer_load_dword v47, v4, s[0:3], 0 offen offset:8
	;; [unrolled: 1-line block ×3, first 2 shown]
	v_mov_b32_e32 v4, s25
	v_mov_b32_e32 v67, s9
	;; [unrolled: 1-line block ×3, first 2 shown]
	s_clause 0x3
	buffer_load_dword v49, v4, s[0:3], 0 offen
	buffer_load_dword v50, v4, s[0:3], 0 offen offset:4
	buffer_load_dword v51, v4, s[0:3], 0 offen offset:8
	;; [unrolled: 1-line block ×3, first 2 shown]
	v_mov_b32_e32 v4, s24
	v_mov_b32_e32 v66, s10
	s_clause 0x3
	buffer_load_dword v53, v4, s[0:3], 0 offen
	buffer_load_dword v54, v4, s[0:3], 0 offen offset:4
	buffer_load_dword v55, v4, s[0:3], 0 offen offset:8
	;; [unrolled: 1-line block ×3, first 2 shown]
	v_mov_b32_e32 v4, s23
	s_waitcnt vmcnt(12)
	global_store_dwordx4 v[43:44], v[0:3], off
	s_clause 0x7
	buffer_load_dword v0, v4, s[0:3], 0 offen
	buffer_load_dword v1, v4, s[0:3], 0 offen offset:4
	buffer_load_dword v2, v4, s[0:3], 0 offen offset:8
	;; [unrolled: 1-line block ×3, first 2 shown]
	buffer_load_dword v57, v60, s[0:3], 0 offen
	buffer_load_dword v58, v60, s[0:3], 0 offen offset:4
	buffer_load_dword v59, v60, s[0:3], 0 offen offset:8
	;; [unrolled: 1-line block ×3, first 2 shown]
	v_mov_b32_e32 v4, s21
	s_waitcnt vmcnt(16)
	global_store_dwordx4 v[41:42], v[45:48], off
	s_clause 0x7
	buffer_load_dword v41, v4, s[0:3], 0 offen
	buffer_load_dword v42, v4, s[0:3], 0 offen offset:4
	buffer_load_dword v43, v4, s[0:3], 0 offen offset:8
	;; [unrolled: 1-line block ×3, first 2 shown]
	buffer_load_dword v45, v61, s[0:3], 0 offen
	buffer_load_dword v46, v61, s[0:3], 0 offen offset:4
	buffer_load_dword v47, v61, s[0:3], 0 offen offset:8
	buffer_load_dword v48, v61, s[0:3], 0 offen offset:12
	v_mov_b32_e32 v4, s19
	v_mov_b32_e32 v61, s15
	s_waitcnt vmcnt(20)
	global_store_dwordx4 v[39:40], v[49:52], off
	s_clause 0x3
	buffer_load_dword v49, v4, s[0:3], 0 offen
	buffer_load_dword v50, v4, s[0:3], 0 offen offset:4
	buffer_load_dword v51, v4, s[0:3], 0 offen offset:8
	;; [unrolled: 1-line block ×3, first 2 shown]
	v_mov_b32_e32 v4, s18
	s_waitcnt vmcnt(20)
	global_store_dwordx4 v[37:38], v[53:56], off
	s_clause 0x3
	buffer_load_dword v37, v4, s[0:3], 0 offen
	buffer_load_dword v38, v4, s[0:3], 0 offen offset:4
	buffer_load_dword v39, v4, s[0:3], 0 offen offset:8
	;; [unrolled: 1-line block ×3, first 2 shown]
	v_mov_b32_e32 v4, s17
	v_mov_b32_e32 v56, s16
	s_waitcnt vmcnt(20)
	global_store_dwordx4 v[31:32], v[0:3], off
	v_mov_b32_e32 v31, s13
	v_mov_b32_e32 v32, s12
	s_waitcnt vmcnt(16)
	global_store_dwordx4 v[15:16], v[57:60], off
	s_clause 0x7
	buffer_load_dword v0, v4, s[0:3], 0 offen
	buffer_load_dword v1, v4, s[0:3], 0 offen offset:4
	buffer_load_dword v2, v4, s[0:3], 0 offen offset:8
	;; [unrolled: 1-line block ×3, first 2 shown]
	buffer_load_dword v53, v56, s[0:3], 0 offen
	buffer_load_dword v54, v56, s[0:3], 0 offen offset:4
	buffer_load_dword v55, v56, s[0:3], 0 offen offset:8
	;; [unrolled: 1-line block ×3, first 2 shown]
	s_waitcnt vmcnt(20)
	global_store_dwordx4 v[11:12], v[41:44], off
	s_clause 0x7
	buffer_load_dword v41, v61, s[0:3], 0 offen
	buffer_load_dword v42, v61, s[0:3], 0 offen offset:4
	buffer_load_dword v43, v61, s[0:3], 0 offen offset:8
	;; [unrolled: 1-line block ×3, first 2 shown]
	buffer_load_dword v57, v62, s[0:3], 0 offen
	buffer_load_dword v58, v62, s[0:3], 0 offen offset:4
	buffer_load_dword v59, v62, s[0:3], 0 offen offset:8
	;; [unrolled: 1-line block ×3, first 2 shown]
	v_mov_b32_e32 v4, s7
	s_waitcnt vmcnt(24)
	global_store_dwordx4 v[19:20], v[45:48], off
	s_clause 0x7
	buffer_load_dword v45, v31, s[0:3], 0 offen
	buffer_load_dword v46, v31, s[0:3], 0 offen offset:4
	buffer_load_dword v47, v31, s[0:3], 0 offen offset:8
	buffer_load_dword v48, v31, s[0:3], 0 offen offset:12
	buffer_load_dword v61, v32, s[0:3], 0 offen
	buffer_load_dword v62, v32, s[0:3], 0 offen offset:4
	buffer_load_dword v63, v32, s[0:3], 0 offen offset:8
	buffer_load_dword v64, v32, s[0:3], 0 offen offset:12
	s_waitcnt vmcnt(28)
	global_store_dwordx4 v[17:18], v[49:52], off
	s_clause 0x7
	buffer_load_dword v15, v65, s[0:3], 0 offen
	buffer_load_dword v16, v65, s[0:3], 0 offen offset:4
	buffer_load_dword v17, v65, s[0:3], 0 offen offset:8
	buffer_load_dword v18, v65, s[0:3], 0 offen offset:12
	buffer_load_dword v49, v66, s[0:3], 0 offen
	buffer_load_dword v50, v66, s[0:3], 0 offen offset:4
	buffer_load_dword v51, v66, s[0:3], 0 offen offset:8
	buffer_load_dword v52, v66, s[0:3], 0 offen offset:12
	;; [unrolled: 11-line block ×3, first 2 shown]
	s_waitcnt vmcnt(36)
	global_store_dwordx4 v[9:10], v[0:3], off
	s_waitcnt vmcnt(32)
	global_store_dwordx4 v[13:14], v[53:56], off
	;; [unrolled: 2-line block ×10, first 2 shown]
.LBB19_307:
	s_endpgm
	.section	.rodata,"a",@progbits
	.p2align	6, 0x0
	.amdhsa_kernel _ZN9rocsolver6v33100L18trti2_kernel_smallILi20E19rocblas_complex_numIdEPS3_EEv13rocblas_fill_17rocblas_diagonal_T1_iil
		.amdhsa_group_segment_fixed_size 640
		.amdhsa_private_segment_fixed_size 336
		.amdhsa_kernarg_size 32
		.amdhsa_user_sgpr_count 6
		.amdhsa_user_sgpr_private_segment_buffer 1
		.amdhsa_user_sgpr_dispatch_ptr 0
		.amdhsa_user_sgpr_queue_ptr 0
		.amdhsa_user_sgpr_kernarg_segment_ptr 1
		.amdhsa_user_sgpr_dispatch_id 0
		.amdhsa_user_sgpr_flat_scratch_init 0
		.amdhsa_user_sgpr_private_segment_size 0
		.amdhsa_wavefront_size32 1
		.amdhsa_uses_dynamic_stack 0
		.amdhsa_system_sgpr_private_segment_wavefront_offset 1
		.amdhsa_system_sgpr_workgroup_id_x 1
		.amdhsa_system_sgpr_workgroup_id_y 0
		.amdhsa_system_sgpr_workgroup_id_z 0
		.amdhsa_system_sgpr_workgroup_info 0
		.amdhsa_system_vgpr_workitem_id 0
		.amdhsa_next_free_vgpr 69
		.amdhsa_next_free_sgpr 35
		.amdhsa_reserve_vcc 1
		.amdhsa_reserve_flat_scratch 0
		.amdhsa_float_round_mode_32 0
		.amdhsa_float_round_mode_16_64 0
		.amdhsa_float_denorm_mode_32 3
		.amdhsa_float_denorm_mode_16_64 3
		.amdhsa_dx10_clamp 1
		.amdhsa_ieee_mode 1
		.amdhsa_fp16_overflow 0
		.amdhsa_workgroup_processor_mode 1
		.amdhsa_memory_ordered 1
		.amdhsa_forward_progress 1
		.amdhsa_shared_vgpr_count 0
		.amdhsa_exception_fp_ieee_invalid_op 0
		.amdhsa_exception_fp_denorm_src 0
		.amdhsa_exception_fp_ieee_div_zero 0
		.amdhsa_exception_fp_ieee_overflow 0
		.amdhsa_exception_fp_ieee_underflow 0
		.amdhsa_exception_fp_ieee_inexact 0
		.amdhsa_exception_int_div_zero 0
	.end_amdhsa_kernel
	.section	.text._ZN9rocsolver6v33100L18trti2_kernel_smallILi20E19rocblas_complex_numIdEPS3_EEv13rocblas_fill_17rocblas_diagonal_T1_iil,"axG",@progbits,_ZN9rocsolver6v33100L18trti2_kernel_smallILi20E19rocblas_complex_numIdEPS3_EEv13rocblas_fill_17rocblas_diagonal_T1_iil,comdat
.Lfunc_end19:
	.size	_ZN9rocsolver6v33100L18trti2_kernel_smallILi20E19rocblas_complex_numIdEPS3_EEv13rocblas_fill_17rocblas_diagonal_T1_iil, .Lfunc_end19-_ZN9rocsolver6v33100L18trti2_kernel_smallILi20E19rocblas_complex_numIdEPS3_EEv13rocblas_fill_17rocblas_diagonal_T1_iil
                                        ; -- End function
	.set _ZN9rocsolver6v33100L18trti2_kernel_smallILi20E19rocblas_complex_numIdEPS3_EEv13rocblas_fill_17rocblas_diagonal_T1_iil.num_vgpr, 69
	.set _ZN9rocsolver6v33100L18trti2_kernel_smallILi20E19rocblas_complex_numIdEPS3_EEv13rocblas_fill_17rocblas_diagonal_T1_iil.num_agpr, 0
	.set _ZN9rocsolver6v33100L18trti2_kernel_smallILi20E19rocblas_complex_numIdEPS3_EEv13rocblas_fill_17rocblas_diagonal_T1_iil.numbered_sgpr, 35
	.set _ZN9rocsolver6v33100L18trti2_kernel_smallILi20E19rocblas_complex_numIdEPS3_EEv13rocblas_fill_17rocblas_diagonal_T1_iil.num_named_barrier, 0
	.set _ZN9rocsolver6v33100L18trti2_kernel_smallILi20E19rocblas_complex_numIdEPS3_EEv13rocblas_fill_17rocblas_diagonal_T1_iil.private_seg_size, 336
	.set _ZN9rocsolver6v33100L18trti2_kernel_smallILi20E19rocblas_complex_numIdEPS3_EEv13rocblas_fill_17rocblas_diagonal_T1_iil.uses_vcc, 1
	.set _ZN9rocsolver6v33100L18trti2_kernel_smallILi20E19rocblas_complex_numIdEPS3_EEv13rocblas_fill_17rocblas_diagonal_T1_iil.uses_flat_scratch, 0
	.set _ZN9rocsolver6v33100L18trti2_kernel_smallILi20E19rocblas_complex_numIdEPS3_EEv13rocblas_fill_17rocblas_diagonal_T1_iil.has_dyn_sized_stack, 0
	.set _ZN9rocsolver6v33100L18trti2_kernel_smallILi20E19rocblas_complex_numIdEPS3_EEv13rocblas_fill_17rocblas_diagonal_T1_iil.has_recursion, 0
	.set _ZN9rocsolver6v33100L18trti2_kernel_smallILi20E19rocblas_complex_numIdEPS3_EEv13rocblas_fill_17rocblas_diagonal_T1_iil.has_indirect_call, 0
	.section	.AMDGPU.csdata,"",@progbits
; Kernel info:
; codeLenInByte = 19944
; TotalNumSgprs: 37
; NumVgprs: 69
; ScratchSize: 336
; MemoryBound: 0
; FloatMode: 240
; IeeeMode: 1
; LDSByteSize: 640 bytes/workgroup (compile time only)
; SGPRBlocks: 0
; VGPRBlocks: 8
; NumSGPRsForWavesPerEU: 37
; NumVGPRsForWavesPerEU: 69
; Occupancy: 12
; WaveLimiterHint : 0
; COMPUTE_PGM_RSRC2:SCRATCH_EN: 1
; COMPUTE_PGM_RSRC2:USER_SGPR: 6
; COMPUTE_PGM_RSRC2:TRAP_HANDLER: 0
; COMPUTE_PGM_RSRC2:TGID_X_EN: 1
; COMPUTE_PGM_RSRC2:TGID_Y_EN: 0
; COMPUTE_PGM_RSRC2:TGID_Z_EN: 0
; COMPUTE_PGM_RSRC2:TIDIG_COMP_CNT: 0
	.section	.text._ZN9rocsolver6v33100L18trti2_kernel_smallILi21E19rocblas_complex_numIdEPS3_EEv13rocblas_fill_17rocblas_diagonal_T1_iil,"axG",@progbits,_ZN9rocsolver6v33100L18trti2_kernel_smallILi21E19rocblas_complex_numIdEPS3_EEv13rocblas_fill_17rocblas_diagonal_T1_iil,comdat
	.globl	_ZN9rocsolver6v33100L18trti2_kernel_smallILi21E19rocblas_complex_numIdEPS3_EEv13rocblas_fill_17rocblas_diagonal_T1_iil ; -- Begin function _ZN9rocsolver6v33100L18trti2_kernel_smallILi21E19rocblas_complex_numIdEPS3_EEv13rocblas_fill_17rocblas_diagonal_T1_iil
	.p2align	8
	.type	_ZN9rocsolver6v33100L18trti2_kernel_smallILi21E19rocblas_complex_numIdEPS3_EEv13rocblas_fill_17rocblas_diagonal_T1_iil,@function
_ZN9rocsolver6v33100L18trti2_kernel_smallILi21E19rocblas_complex_numIdEPS3_EEv13rocblas_fill_17rocblas_diagonal_T1_iil: ; @_ZN9rocsolver6v33100L18trti2_kernel_smallILi21E19rocblas_complex_numIdEPS3_EEv13rocblas_fill_17rocblas_diagonal_T1_iil
; %bb.0:
	s_add_u32 s0, s0, s7
	s_addc_u32 s1, s1, 0
	s_mov_b32 s7, exec_lo
	v_cmpx_gt_u32_e32 21, v0
	s_cbranch_execz .LBB20_323
; %bb.1:
	s_load_dwordx8 s[8:15], s[4:5], 0x0
	s_ashr_i32 s4, s6, 31
	v_lshlrev_b32_e32 v53, 4, v0
	s_movk_i32 s28, 0xe0
	s_movk_i32 s29, 0xf0
	;; [unrolled: 1-line block ×7, first 2 shown]
	s_waitcnt lgkmcnt(0)
	s_mul_hi_u32 s5, s14, s6
	s_mul_i32 s16, s14, s4
	s_mul_i32 s15, s15, s6
	s_add_i32 s5, s5, s16
	v_add3_u32 v1, s13, s13, v0
	s_mul_i32 s4, s14, s6
	s_add_i32 s5, s5, s15
	s_ashr_i32 s7, s12, 31
	s_lshl_b64 s[4:5], s[4:5], 4
	s_mov_b32 s6, s12
	v_add_nc_u32_e32 v5, s13, v1
	s_add_u32 s10, s10, s4
	v_ashrrev_i32_e32 v2, 31, v1
	s_addc_u32 s11, s11, s5
	s_lshl_b64 s[4:5], s[6:7], 4
	v_add_nc_u32_e32 v15, s13, v5
	s_add_u32 s4, s10, s4
	s_addc_u32 s5, s11, s5
	v_lshlrev_b64 v[7:8], 4, v[1:2]
	global_load_dwordx4 v[1:4], v53, s[4:5]
	v_add_co_u32 v13, s6, s4, v53
	s_mov_b32 s14, s13
	s_ashr_i32 s15, s13, 31
	v_ashrrev_i32_e32 v6, 31, v5
	v_add_co_ci_u32_e64 v14, null, s5, 0, s6
	s_lshl_b64 s[6:7], s[14:15], 4
	v_ashrrev_i32_e32 v16, 31, v15
	v_add_co_u32 v11, vcc_lo, v13, s6
	v_lshlrev_b64 v[5:6], 4, v[5:6]
	v_add_co_ci_u32_e64 v12, null, s7, v14, vcc_lo
	v_add_co_u32 v7, vcc_lo, s4, v7
	v_lshlrev_b64 v[9:10], 4, v[15:16]
	v_add_co_ci_u32_e64 v8, null, s5, v8, vcc_lo
	global_load_dwordx4 v[47:50], v[11:12], off
	v_add_co_u32 v5, vcc_lo, s4, v5
	v_add_co_ci_u32_e64 v6, null, s5, v6, vcc_lo
	v_add_co_u32 v9, vcc_lo, s4, v9
	global_load_dwordx4 v[54:57], v[7:8], off
	v_add_co_ci_u32_e64 v10, null, s5, v10, vcc_lo
	s_clause 0x1
	global_load_dwordx4 v[58:61], v[5:6], off
	global_load_dwordx4 v[62:65], v[9:10], off
	v_add_nc_u32_e32 v15, s13, v15
	s_cmpk_lg_i32 s9, 0x84
	s_movk_i32 s6, 0x70
	s_movk_i32 s7, 0x80
	;; [unrolled: 1-line block ×3, first 2 shown]
	v_add_nc_u32_e32 v17, s13, v15
	v_ashrrev_i32_e32 v16, 31, v15
	s_movk_i32 s11, 0xa0
	s_movk_i32 s12, 0xb0
	;; [unrolled: 1-line block ×3, first 2 shown]
	v_add_nc_u32_e32 v19, s13, v17
	v_lshlrev_b64 v[15:16], 4, v[15:16]
	v_ashrrev_i32_e32 v18, 31, v17
	s_cselect_b32 s27, -1, 0
	s_cmpk_eq_i32 s9, 0x84
	v_add_nc_u32_e32 v21, s13, v19
	v_ashrrev_i32_e32 v20, 31, v19
	v_lshlrev_b64 v[17:18], 4, v[17:18]
	v_add_co_u32 v23, vcc_lo, s4, v15
	v_ashrrev_i32_e32 v22, 31, v21
	v_add_co_ci_u32_e64 v24, null, s5, v16, vcc_lo
	v_lshlrev_b64 v[15:16], 4, v[19:20]
	v_add_nc_u32_e32 v19, s13, v21
	v_add_co_u32 v17, vcc_lo, s4, v17
	v_lshlrev_b64 v[21:22], 4, v[21:22]
	v_add_co_ci_u32_e64 v18, null, s5, v18, vcc_lo
	v_ashrrev_i32_e32 v20, 31, v19
	v_add_co_u32 v15, vcc_lo, s4, v15
	v_add_nc_u32_e32 v25, s13, v19
	v_add_co_ci_u32_e64 v16, null, s5, v16, vcc_lo
	v_lshlrev_b64 v[27:28], 4, v[19:20]
	v_add_co_u32 v19, vcc_lo, s4, v21
	s_clause 0x1
	global_load_dwordx4 v[66:69], v[23:24], off
	global_load_dwordx4 v[70:73], v[17:18], off
	v_add_co_ci_u32_e64 v20, null, s5, v22, vcc_lo
	v_add_nc_u32_e32 v29, s13, v25
	global_load_dwordx4 v[74:77], v[15:16], off
	v_ashrrev_i32_e32 v26, 31, v25
	v_add_co_u32 v21, vcc_lo, s4, v27
	v_add_nc_u32_e32 v31, s13, v29
	v_ashrrev_i32_e32 v30, 31, v29
	v_lshlrev_b64 v[25:26], 4, v[25:26]
	v_add_co_ci_u32_e64 v22, null, s5, v28, vcc_lo
	v_ashrrev_i32_e32 v32, 31, v31
	v_lshlrev_b64 v[27:28], 4, v[29:30]
	v_add_nc_u32_e32 v29, s13, v31
	v_add_co_u32 v25, vcc_lo, s4, v25
	v_add_co_ci_u32_e64 v26, null, s5, v26, vcc_lo
	v_lshlrev_b64 v[31:32], 4, v[31:32]
	v_ashrrev_i32_e32 v30, 31, v29
	v_add_co_u32 v27, vcc_lo, s4, v27
	v_add_co_ci_u32_e64 v28, null, s5, v28, vcc_lo
	v_add_nc_u32_e32 v33, s13, v29
	v_lshlrev_b64 v[35:36], 4, v[29:30]
	v_add_co_u32 v29, vcc_lo, s4, v31
	v_add_co_ci_u32_e64 v30, null, s5, v32, vcc_lo
	v_add_nc_u32_e32 v37, s13, v33
	v_ashrrev_i32_e32 v34, 31, v33
	v_add_co_u32 v31, vcc_lo, s4, v35
	v_add_co_ci_u32_e64 v32, null, s5, v36, vcc_lo
	v_add_nc_u32_e32 v39, s13, v37
	v_ashrrev_i32_e32 v38, 31, v37
	v_lshlrev_b64 v[33:34], 4, v[33:34]
	s_waitcnt vmcnt(7)
	buffer_store_dword v4, off, s[0:3], 0 offset:12
	buffer_store_dword v3, off, s[0:3], 0 offset:8
	;; [unrolled: 1-line block ×3, first 2 shown]
	buffer_store_dword v1, off, s[0:3], 0
	global_load_dwordx4 v[1:4], v[19:20], off
	v_ashrrev_i32_e32 v40, 31, v39
	v_lshlrev_b64 v[35:36], 4, v[37:38]
	v_add_nc_u32_e32 v37, s13, v39
	v_add_co_u32 v33, vcc_lo, s4, v33
	s_waitcnt vmcnt(7)
	buffer_store_dword v50, off, s[0:3], 0 offset:28
	buffer_store_dword v49, off, s[0:3], 0 offset:24
	buffer_store_dword v48, off, s[0:3], 0 offset:20
	buffer_store_dword v47, off, s[0:3], 0 offset:16
	global_load_dwordx4 v[47:50], v[21:22], off
	s_waitcnt vmcnt(7)
	buffer_store_dword v57, off, s[0:3], 0 offset:44
	buffer_store_dword v56, off, s[0:3], 0 offset:40
	buffer_store_dword v55, off, s[0:3], 0 offset:36
	buffer_store_dword v54, off, s[0:3], 0 offset:32
	global_load_dwordx4 v[54:57], v[25:26], off
	;; [unrolled: 6-line block ×4, first 2 shown]
	v_lshlrev_b64 v[39:40], 4, v[39:40]
	v_ashrrev_i32_e32 v38, 31, v37
	v_add_co_ci_u32_e64 v34, null, s5, v34, vcc_lo
	v_add_co_u32 v35, vcc_lo, s4, v35
	v_add_nc_u32_e32 v41, s13, v37
	v_add_co_ci_u32_e64 v36, null, s5, v36, vcc_lo
	v_lshlrev_b64 v[43:44], 4, v[37:38]
	v_add_co_u32 v37, vcc_lo, s4, v39
	v_add_co_ci_u32_e64 v38, null, s5, v40, vcc_lo
	s_waitcnt vmcnt(7)
	buffer_store_dword v69, off, s[0:3], 0 offset:92
	buffer_store_dword v68, off, s[0:3], 0 offset:88
	;; [unrolled: 1-line block ×4, first 2 shown]
	s_waitcnt vmcnt(6)
	buffer_store_dword v73, off, s[0:3], 0 offset:108
	buffer_store_dword v72, off, s[0:3], 0 offset:104
	;; [unrolled: 1-line block ×4, first 2 shown]
	s_clause 0x1
	global_load_dwordx4 v[66:69], v[31:32], off
	global_load_dwordx4 v[70:73], v[33:34], off
	v_add_nc_u32_e32 v45, s13, v41
	v_ashrrev_i32_e32 v42, 31, v41
	v_add_co_u32 v39, vcc_lo, s4, v43
	v_add_co_ci_u32_e64 v40, null, s5, v44, vcc_lo
	v_add_nc_u32_e32 v51, s13, v45
	v_ashrrev_i32_e32 v46, 31, v45
	v_lshlrev_b64 v[41:42], 4, v[41:42]
	s_movk_i32 s13, 0xc0
	s_waitcnt vmcnt(7)
	buffer_store_dword v77, off, s[0:3], 0 offset:124
	buffer_store_dword v76, off, s[0:3], 0 offset:120
	;; [unrolled: 1-line block ×4, first 2 shown]
	s_waitcnt vmcnt(6)
	buffer_store_dword v4, off, s[0:3], 0 offset:140
	buffer_store_dword v3, off, s[0:3], 0 offset:136
	;; [unrolled: 1-line block ×4, first 2 shown]
	s_clause 0x1
	global_load_dwordx4 v[1:4], v[35:36], off
	global_load_dwordx4 v[74:77], v[37:38], off
	v_ashrrev_i32_e32 v52, 31, v51
	v_lshlrev_b64 v[45:46], 4, v[45:46]
	v_add_co_u32 v43, vcc_lo, s4, v41
	v_add_co_ci_u32_e64 v44, null, s5, v42, vcc_lo
	v_lshlrev_b64 v[41:42], 4, v[51:52]
	v_add_co_u32 v45, vcc_lo, s4, v45
	s_waitcnt vmcnt(7)
	buffer_store_dword v47, off, s[0:3], 0 offset:144
	buffer_store_dword v48, off, s[0:3], 0 offset:148
	;; [unrolled: 1-line block ×4, first 2 shown]
	global_load_dwordx4 v[47:50], v[39:40], off
	v_add_co_ci_u32_e64 v46, null, s5, v46, vcc_lo
	s_waitcnt vmcnt(7)
	buffer_store_dword v54, off, s[0:3], 0 offset:160
	buffer_store_dword v55, off, s[0:3], 0 offset:164
	;; [unrolled: 1-line block ×4, first 2 shown]
	global_load_dwordx4 v[54:57], v[43:44], off
	v_add_co_u32 v41, vcc_lo, s4, v41
	v_add_co_ci_u32_e64 v42, null, s5, v42, vcc_lo
	s_waitcnt vmcnt(7)
	buffer_store_dword v58, off, s[0:3], 0 offset:176
	buffer_store_dword v59, off, s[0:3], 0 offset:180
	buffer_store_dword v60, off, s[0:3], 0 offset:184
	buffer_store_dword v61, off, s[0:3], 0 offset:188
	global_load_dwordx4 v[58:61], v[45:46], off
	s_waitcnt vmcnt(7)
	buffer_store_dword v65, off, s[0:3], 0 offset:204
	buffer_store_dword v64, off, s[0:3], 0 offset:200
	;; [unrolled: 1-line block ×4, first 2 shown]
	global_load_dwordx4 v[62:65], v[41:42], off
	s_movk_i32 s4, 0x50
	s_movk_i32 s5, 0x60
	s_waitcnt vmcnt(7)
	buffer_store_dword v69, off, s[0:3], 0 offset:220
	buffer_store_dword v68, off, s[0:3], 0 offset:216
	buffer_store_dword v67, off, s[0:3], 0 offset:212
	buffer_store_dword v66, off, s[0:3], 0 offset:208
	s_waitcnt vmcnt(6)
	buffer_store_dword v73, off, s[0:3], 0 offset:236
	buffer_store_dword v72, off, s[0:3], 0 offset:232
	buffer_store_dword v71, off, s[0:3], 0 offset:228
	buffer_store_dword v70, off, s[0:3], 0 offset:224
	;; [unrolled: 5-line block ×8, first 2 shown]
	s_cbranch_scc1 .LBB20_7
; %bb.2:
	v_lshl_add_u32 v54, v0, 4, 0
                                        ; implicit-def: $vgpr49_vgpr50
                                        ; implicit-def: $vgpr3_vgpr4
	s_clause 0x3
	buffer_load_dword v47, v54, s[0:3], 0 offen
	buffer_load_dword v48, v54, s[0:3], 0 offen offset:4
	buffer_load_dword v51, v54, s[0:3], 0 offen offset:8
	;; [unrolled: 1-line block ×3, first 2 shown]
	s_waitcnt vmcnt(0)
	v_cmp_ngt_f64_e64 s9, |v[47:48]|, |v[51:52]|
	s_and_saveexec_b32 s15, s9
	s_xor_b32 s9, exec_lo, s15
	s_cbranch_execz .LBB20_4
; %bb.3:
	v_div_scale_f64 v[1:2], null, v[51:52], v[51:52], v[47:48]
	v_div_scale_f64 v[55:56], vcc_lo, v[47:48], v[51:52], v[47:48]
	v_rcp_f64_e32 v[3:4], v[1:2]
	v_fma_f64 v[49:50], -v[1:2], v[3:4], 1.0
	v_fma_f64 v[3:4], v[3:4], v[49:50], v[3:4]
	v_fma_f64 v[49:50], -v[1:2], v[3:4], 1.0
	v_fma_f64 v[3:4], v[3:4], v[49:50], v[3:4]
	v_mul_f64 v[49:50], v[55:56], v[3:4]
	v_fma_f64 v[1:2], -v[1:2], v[49:50], v[55:56]
	v_div_fmas_f64 v[1:2], v[1:2], v[3:4], v[49:50]
	v_div_fixup_f64 v[1:2], v[1:2], v[51:52], v[47:48]
	v_fma_f64 v[3:4], v[47:48], v[1:2], v[51:52]
	v_div_scale_f64 v[47:48], null, v[3:4], v[3:4], 1.0
	v_div_scale_f64 v[55:56], vcc_lo, 1.0, v[3:4], 1.0
	v_rcp_f64_e32 v[49:50], v[47:48]
	v_fma_f64 v[51:52], -v[47:48], v[49:50], 1.0
	v_fma_f64 v[49:50], v[49:50], v[51:52], v[49:50]
	v_fma_f64 v[51:52], -v[47:48], v[49:50], 1.0
	v_fma_f64 v[49:50], v[49:50], v[51:52], v[49:50]
	v_mul_f64 v[51:52], v[55:56], v[49:50]
	v_fma_f64 v[47:48], -v[47:48], v[51:52], v[55:56]
	v_div_fmas_f64 v[47:48], v[47:48], v[49:50], v[51:52]
                                        ; implicit-def: $vgpr51_vgpr52
	v_div_fixup_f64 v[3:4], v[47:48], v[3:4], 1.0
                                        ; implicit-def: $vgpr47_vgpr48
	v_mul_f64 v[49:50], v[1:2], v[3:4]
	v_xor_b32_e32 v4, 0x80000000, v4
	v_xor_b32_e32 v2, 0x80000000, v50
	v_mov_b32_e32 v1, v49
.LBB20_4:
	s_andn2_saveexec_b32 s9, s9
	s_cbranch_execz .LBB20_6
; %bb.5:
	v_div_scale_f64 v[1:2], null, v[47:48], v[47:48], v[51:52]
	v_div_scale_f64 v[55:56], vcc_lo, v[51:52], v[47:48], v[51:52]
	v_rcp_f64_e32 v[3:4], v[1:2]
	v_fma_f64 v[49:50], -v[1:2], v[3:4], 1.0
	v_fma_f64 v[3:4], v[3:4], v[49:50], v[3:4]
	v_fma_f64 v[49:50], -v[1:2], v[3:4], 1.0
	v_fma_f64 v[3:4], v[3:4], v[49:50], v[3:4]
	v_mul_f64 v[49:50], v[55:56], v[3:4]
	v_fma_f64 v[1:2], -v[1:2], v[49:50], v[55:56]
	v_div_fmas_f64 v[1:2], v[1:2], v[3:4], v[49:50]
	v_div_fixup_f64 v[1:2], v[1:2], v[47:48], v[51:52]
	v_fma_f64 v[3:4], v[51:52], v[1:2], v[47:48]
	v_div_scale_f64 v[47:48], null, v[3:4], v[3:4], 1.0
	v_rcp_f64_e32 v[49:50], v[47:48]
	v_fma_f64 v[51:52], -v[47:48], v[49:50], 1.0
	v_fma_f64 v[49:50], v[49:50], v[51:52], v[49:50]
	v_fma_f64 v[51:52], -v[47:48], v[49:50], 1.0
	v_fma_f64 v[49:50], v[49:50], v[51:52], v[49:50]
	v_div_scale_f64 v[51:52], vcc_lo, 1.0, v[3:4], 1.0
	v_mul_f64 v[55:56], v[51:52], v[49:50]
	v_fma_f64 v[47:48], -v[47:48], v[55:56], v[51:52]
	v_div_fmas_f64 v[47:48], v[47:48], v[49:50], v[55:56]
	v_div_fixup_f64 v[49:50], v[47:48], v[3:4], 1.0
	v_mul_f64 v[3:4], v[1:2], -v[49:50]
	v_xor_b32_e32 v2, 0x80000000, v50
	v_mov_b32_e32 v1, v49
.LBB20_6:
	s_or_b32 exec_lo, exec_lo, s9
	buffer_store_dword v4, v54, s[0:3], 0 offen offset:12
	v_xor_b32_e32 v4, 0x80000000, v4
	buffer_store_dword v50, v54, s[0:3], 0 offen offset:4
	buffer_store_dword v49, v54, s[0:3], 0 offen
	buffer_store_dword v3, v54, s[0:3], 0 offen offset:8
	s_branch .LBB20_8
.LBB20_7:
	v_mov_b32_e32 v1, 0
	v_mov_b32_e32 v3, 0
	;; [unrolled: 1-line block ×4, first 2 shown]
.LBB20_8:
	v_add_nc_u32_e32 v48, 0x150, v53
	v_mov_b32_e32 v47, v53
	s_mov_b32 s26, 16
	s_mov_b32 s25, 32
	;; [unrolled: 1-line block ×19, first 2 shown]
	s_cmpk_eq_i32 s8, 0x79
	ds_write_b128 v53, v[1:4]
	s_cbranch_scc1 .LBB20_164
; %bb.9:
	v_mov_b32_e32 v4, s7
	v_cmp_eq_u32_e64 s4, 20, v0
	s_clause 0x3
	buffer_load_dword v1, v4, s[0:3], 0 offen
	buffer_load_dword v2, v4, s[0:3], 0 offen offset:4
	buffer_load_dword v3, v4, s[0:3], 0 offen offset:8
	;; [unrolled: 1-line block ×3, first 2 shown]
	s_waitcnt vmcnt(0)
	ds_write_b128 v48, v[1:4]
	s_waitcnt lgkmcnt(0)
	s_waitcnt_vscnt null, 0x0
	s_barrier
	buffer_gl0_inv
	s_and_saveexec_b32 s5, s4
	s_cbranch_execz .LBB20_13
; %bb.10:
	ds_read_b128 v[1:4], v48
	s_andn2_b32 vcc_lo, exec_lo, s27
	s_cbranch_vccnz .LBB20_12
; %bb.11:
	s_clause 0x3
	buffer_load_dword v49, v47, s[0:3], 0 offen offset:8
	buffer_load_dword v50, v47, s[0:3], 0 offen offset:12
	buffer_load_dword v51, v47, s[0:3], 0 offen
	buffer_load_dword v52, v47, s[0:3], 0 offen offset:4
	s_waitcnt vmcnt(2) lgkmcnt(0)
	v_mul_f64 v[54:55], v[3:4], v[49:50]
	v_mul_f64 v[49:50], v[1:2], v[49:50]
	s_waitcnt vmcnt(0)
	v_fma_f64 v[1:2], v[1:2], v[51:52], -v[54:55]
	v_fma_f64 v[3:4], v[3:4], v[51:52], v[49:50]
.LBB20_12:
	v_mov_b32_e32 v49, 0
	ds_read_b128 v[49:52], v49 offset:304
	s_waitcnt lgkmcnt(0)
	v_mul_f64 v[54:55], v[3:4], v[51:52]
	v_mul_f64 v[51:52], v[1:2], v[51:52]
	v_fma_f64 v[1:2], v[1:2], v[49:50], -v[54:55]
	v_fma_f64 v[3:4], v[3:4], v[49:50], v[51:52]
	buffer_store_dword v2, off, s[0:3], 0 offset:308
	buffer_store_dword v1, off, s[0:3], 0 offset:304
	;; [unrolled: 1-line block ×4, first 2 shown]
.LBB20_13:
	s_or_b32 exec_lo, exec_lo, s5
	v_mov_b32_e32 v4, s9
	v_cmp_lt_u32_e64 s5, 18, v0
	s_clause 0x3
	buffer_load_dword v1, v4, s[0:3], 0 offen
	buffer_load_dword v2, v4, s[0:3], 0 offen offset:4
	buffer_load_dword v3, v4, s[0:3], 0 offen offset:8
	;; [unrolled: 1-line block ×3, first 2 shown]
	s_waitcnt vmcnt(0)
	ds_write_b128 v48, v[1:4]
	s_waitcnt lgkmcnt(0)
	s_waitcnt_vscnt null, 0x0
	s_barrier
	buffer_gl0_inv
	s_and_saveexec_b32 s8, s5
	s_cbranch_execz .LBB20_19
; %bb.14:
	ds_read_b128 v[1:4], v48
	s_andn2_b32 vcc_lo, exec_lo, s27
	s_cbranch_vccnz .LBB20_16
; %bb.15:
	s_clause 0x3
	buffer_load_dword v49, v47, s[0:3], 0 offen offset:8
	buffer_load_dword v50, v47, s[0:3], 0 offen offset:12
	buffer_load_dword v51, v47, s[0:3], 0 offen
	buffer_load_dword v52, v47, s[0:3], 0 offen offset:4
	s_waitcnt vmcnt(2) lgkmcnt(0)
	v_mul_f64 v[54:55], v[3:4], v[49:50]
	v_mul_f64 v[49:50], v[1:2], v[49:50]
	s_waitcnt vmcnt(0)
	v_fma_f64 v[1:2], v[1:2], v[51:52], -v[54:55]
	v_fma_f64 v[3:4], v[3:4], v[51:52], v[49:50]
.LBB20_16:
	s_and_saveexec_b32 s28, s4
	s_cbranch_execz .LBB20_18
; %bb.17:
	s_clause 0x3
	buffer_load_dword v54, off, s[0:3], 0 offset:312
	buffer_load_dword v55, off, s[0:3], 0 offset:316
	;; [unrolled: 1-line block ×4, first 2 shown]
	v_mov_b32_e32 v49, 0
	ds_read_b128 v[49:52], v49 offset:640
	s_waitcnt vmcnt(2) lgkmcnt(0)
	v_mul_f64 v[58:59], v[49:50], v[54:55]
	v_mul_f64 v[54:55], v[51:52], v[54:55]
	s_waitcnt vmcnt(0)
	v_fma_f64 v[51:52], v[51:52], v[56:57], v[58:59]
	v_fma_f64 v[49:50], v[49:50], v[56:57], -v[54:55]
	v_add_f64 v[3:4], v[3:4], v[51:52]
	v_add_f64 v[1:2], v[1:2], v[49:50]
.LBB20_18:
	s_or_b32 exec_lo, exec_lo, s28
	v_mov_b32_e32 v49, 0
	ds_read_b128 v[49:52], v49 offset:288
	s_waitcnt lgkmcnt(0)
	v_mul_f64 v[54:55], v[3:4], v[51:52]
	v_mul_f64 v[51:52], v[1:2], v[51:52]
	v_fma_f64 v[1:2], v[1:2], v[49:50], -v[54:55]
	v_fma_f64 v[3:4], v[3:4], v[49:50], v[51:52]
	buffer_store_dword v2, off, s[0:3], 0 offset:292
	buffer_store_dword v1, off, s[0:3], 0 offset:288
	;; [unrolled: 1-line block ×4, first 2 shown]
.LBB20_19:
	s_or_b32 exec_lo, exec_lo, s8
	v_mov_b32_e32 v4, s10
	v_cmp_lt_u32_e64 s4, 17, v0
	s_clause 0x3
	buffer_load_dword v1, v4, s[0:3], 0 offen
	buffer_load_dword v2, v4, s[0:3], 0 offen offset:4
	buffer_load_dword v3, v4, s[0:3], 0 offen offset:8
	;; [unrolled: 1-line block ×3, first 2 shown]
	s_waitcnt vmcnt(0)
	ds_write_b128 v48, v[1:4]
	s_waitcnt lgkmcnt(0)
	s_waitcnt_vscnt null, 0x0
	s_barrier
	buffer_gl0_inv
	s_and_saveexec_b32 s8, s4
	s_cbranch_execz .LBB20_27
; %bb.20:
	ds_read_b128 v[1:4], v48
	s_andn2_b32 vcc_lo, exec_lo, s27
	s_cbranch_vccnz .LBB20_22
; %bb.21:
	s_clause 0x3
	buffer_load_dword v49, v47, s[0:3], 0 offen offset:8
	buffer_load_dword v50, v47, s[0:3], 0 offen offset:12
	buffer_load_dword v51, v47, s[0:3], 0 offen
	buffer_load_dword v52, v47, s[0:3], 0 offen offset:4
	s_waitcnt vmcnt(2) lgkmcnt(0)
	v_mul_f64 v[54:55], v[3:4], v[49:50]
	v_mul_f64 v[49:50], v[1:2], v[49:50]
	s_waitcnt vmcnt(0)
	v_fma_f64 v[1:2], v[1:2], v[51:52], -v[54:55]
	v_fma_f64 v[3:4], v[3:4], v[51:52], v[49:50]
.LBB20_22:
	s_and_saveexec_b32 s28, s5
	s_cbranch_execz .LBB20_26
; %bb.23:
	v_subrev_nc_u32_e32 v49, 18, v0
	s_movk_i32 s29, 0x270
	s_mov_b32 s5, 0
	s_mov_b32 s30, s9
	.p2align	6
.LBB20_24:                              ; =>This Inner Loop Header: Depth=1
	v_mov_b32_e32 v52, s30
	v_add_nc_u32_e32 v49, -1, v49
	s_add_i32 s30, s30, 16
	s_clause 0x3
	buffer_load_dword v50, v52, s[0:3], 0 offen offset:8
	buffer_load_dword v51, v52, s[0:3], 0 offen offset:12
	buffer_load_dword v58, v52, s[0:3], 0 offen
	buffer_load_dword v59, v52, s[0:3], 0 offen offset:4
	v_mov_b32_e32 v52, s29
	v_cmp_eq_u32_e32 vcc_lo, 0, v49
	s_add_i32 s29, s29, 16
	ds_read_b128 v[54:57], v52
	s_or_b32 s5, vcc_lo, s5
	s_waitcnt vmcnt(2) lgkmcnt(0)
	v_mul_f64 v[60:61], v[56:57], v[50:51]
	v_mul_f64 v[50:51], v[54:55], v[50:51]
	s_waitcnt vmcnt(0)
	v_fma_f64 v[54:55], v[54:55], v[58:59], -v[60:61]
	v_fma_f64 v[50:51], v[56:57], v[58:59], v[50:51]
	v_add_f64 v[1:2], v[1:2], v[54:55]
	v_add_f64 v[3:4], v[3:4], v[50:51]
	s_andn2_b32 exec_lo, exec_lo, s5
	s_cbranch_execnz .LBB20_24
; %bb.25:
	s_or_b32 exec_lo, exec_lo, s5
.LBB20_26:
	s_or_b32 exec_lo, exec_lo, s28
	v_mov_b32_e32 v49, 0
	ds_read_b128 v[49:52], v49 offset:272
	s_waitcnt lgkmcnt(0)
	v_mul_f64 v[54:55], v[3:4], v[51:52]
	v_mul_f64 v[51:52], v[1:2], v[51:52]
	v_fma_f64 v[1:2], v[1:2], v[49:50], -v[54:55]
	v_fma_f64 v[3:4], v[3:4], v[49:50], v[51:52]
	buffer_store_dword v2, off, s[0:3], 0 offset:276
	buffer_store_dword v1, off, s[0:3], 0 offset:272
	;; [unrolled: 1-line block ×4, first 2 shown]
.LBB20_27:
	s_or_b32 exec_lo, exec_lo, s8
	v_mov_b32_e32 v4, s11
	v_cmp_lt_u32_e64 s5, 16, v0
	s_clause 0x3
	buffer_load_dword v1, v4, s[0:3], 0 offen
	buffer_load_dword v2, v4, s[0:3], 0 offen offset:4
	buffer_load_dword v3, v4, s[0:3], 0 offen offset:8
	;; [unrolled: 1-line block ×3, first 2 shown]
	s_waitcnt vmcnt(0)
	ds_write_b128 v48, v[1:4]
	s_waitcnt lgkmcnt(0)
	s_waitcnt_vscnt null, 0x0
	s_barrier
	buffer_gl0_inv
	s_and_saveexec_b32 s8, s5
	s_cbranch_execz .LBB20_35
; %bb.28:
	ds_read_b128 v[1:4], v48
	s_andn2_b32 vcc_lo, exec_lo, s27
	s_cbranch_vccnz .LBB20_30
; %bb.29:
	s_clause 0x3
	buffer_load_dword v49, v47, s[0:3], 0 offen offset:8
	buffer_load_dword v50, v47, s[0:3], 0 offen offset:12
	buffer_load_dword v51, v47, s[0:3], 0 offen
	buffer_load_dword v52, v47, s[0:3], 0 offen offset:4
	s_waitcnt vmcnt(2) lgkmcnt(0)
	v_mul_f64 v[54:55], v[3:4], v[49:50]
	v_mul_f64 v[49:50], v[1:2], v[49:50]
	s_waitcnt vmcnt(0)
	v_fma_f64 v[1:2], v[1:2], v[51:52], -v[54:55]
	v_fma_f64 v[3:4], v[3:4], v[51:52], v[49:50]
.LBB20_30:
	s_and_saveexec_b32 s28, s4
	s_cbranch_execz .LBB20_34
; %bb.31:
	v_subrev_nc_u32_e32 v49, 17, v0
	s_movk_i32 s29, 0x260
	s_mov_b32 s4, 0
	s_mov_b32 s30, s10
	.p2align	6
.LBB20_32:                              ; =>This Inner Loop Header: Depth=1
	v_mov_b32_e32 v52, s30
	v_add_nc_u32_e32 v49, -1, v49
	s_add_i32 s30, s30, 16
	s_clause 0x3
	buffer_load_dword v50, v52, s[0:3], 0 offen offset:8
	buffer_load_dword v51, v52, s[0:3], 0 offen offset:12
	buffer_load_dword v58, v52, s[0:3], 0 offen
	buffer_load_dword v59, v52, s[0:3], 0 offen offset:4
	v_mov_b32_e32 v52, s29
	v_cmp_eq_u32_e32 vcc_lo, 0, v49
	s_add_i32 s29, s29, 16
	ds_read_b128 v[54:57], v52
	s_or_b32 s4, vcc_lo, s4
	s_waitcnt vmcnt(2) lgkmcnt(0)
	v_mul_f64 v[60:61], v[56:57], v[50:51]
	v_mul_f64 v[50:51], v[54:55], v[50:51]
	s_waitcnt vmcnt(0)
	v_fma_f64 v[54:55], v[54:55], v[58:59], -v[60:61]
	v_fma_f64 v[50:51], v[56:57], v[58:59], v[50:51]
	v_add_f64 v[1:2], v[1:2], v[54:55]
	v_add_f64 v[3:4], v[3:4], v[50:51]
	s_andn2_b32 exec_lo, exec_lo, s4
	s_cbranch_execnz .LBB20_32
; %bb.33:
	s_or_b32 exec_lo, exec_lo, s4
.LBB20_34:
	s_or_b32 exec_lo, exec_lo, s28
	v_mov_b32_e32 v49, 0
	ds_read_b128 v[49:52], v49 offset:256
	s_waitcnt lgkmcnt(0)
	v_mul_f64 v[54:55], v[3:4], v[51:52]
	v_mul_f64 v[51:52], v[1:2], v[51:52]
	v_fma_f64 v[1:2], v[1:2], v[49:50], -v[54:55]
	v_fma_f64 v[3:4], v[3:4], v[49:50], v[51:52]
	buffer_store_dword v2, off, s[0:3], 0 offset:260
	buffer_store_dword v1, off, s[0:3], 0 offset:256
	;; [unrolled: 1-line block ×4, first 2 shown]
.LBB20_35:
	s_or_b32 exec_lo, exec_lo, s8
	v_mov_b32_e32 v4, s12
	v_cmp_lt_u32_e64 s4, 15, v0
	s_clause 0x3
	buffer_load_dword v1, v4, s[0:3], 0 offen
	buffer_load_dword v2, v4, s[0:3], 0 offen offset:4
	buffer_load_dword v3, v4, s[0:3], 0 offen offset:8
	;; [unrolled: 1-line block ×3, first 2 shown]
	s_waitcnt vmcnt(0)
	ds_write_b128 v48, v[1:4]
	s_waitcnt lgkmcnt(0)
	s_waitcnt_vscnt null, 0x0
	s_barrier
	buffer_gl0_inv
	s_and_saveexec_b32 s8, s4
	s_cbranch_execz .LBB20_43
; %bb.36:
	ds_read_b128 v[1:4], v48
	s_andn2_b32 vcc_lo, exec_lo, s27
	s_cbranch_vccnz .LBB20_38
; %bb.37:
	s_clause 0x3
	buffer_load_dword v49, v47, s[0:3], 0 offen offset:8
	buffer_load_dword v50, v47, s[0:3], 0 offen offset:12
	buffer_load_dword v51, v47, s[0:3], 0 offen
	buffer_load_dword v52, v47, s[0:3], 0 offen offset:4
	s_waitcnt vmcnt(2) lgkmcnt(0)
	v_mul_f64 v[54:55], v[3:4], v[49:50]
	v_mul_f64 v[49:50], v[1:2], v[49:50]
	s_waitcnt vmcnt(0)
	v_fma_f64 v[1:2], v[1:2], v[51:52], -v[54:55]
	v_fma_f64 v[3:4], v[3:4], v[51:52], v[49:50]
.LBB20_38:
	s_and_saveexec_b32 s28, s5
	s_cbranch_execz .LBB20_42
; %bb.39:
	v_add_nc_u32_e32 v49, -16, v0
	s_movk_i32 s29, 0x250
	s_mov_b32 s5, 0
	s_mov_b32 s30, s11
	.p2align	6
.LBB20_40:                              ; =>This Inner Loop Header: Depth=1
	v_mov_b32_e32 v52, s30
	v_add_nc_u32_e32 v49, -1, v49
	s_add_i32 s30, s30, 16
	s_clause 0x3
	buffer_load_dword v50, v52, s[0:3], 0 offen offset:8
	buffer_load_dword v51, v52, s[0:3], 0 offen offset:12
	buffer_load_dword v58, v52, s[0:3], 0 offen
	buffer_load_dword v59, v52, s[0:3], 0 offen offset:4
	v_mov_b32_e32 v52, s29
	v_cmp_eq_u32_e32 vcc_lo, 0, v49
	s_add_i32 s29, s29, 16
	ds_read_b128 v[54:57], v52
	s_or_b32 s5, vcc_lo, s5
	s_waitcnt vmcnt(2) lgkmcnt(0)
	v_mul_f64 v[60:61], v[56:57], v[50:51]
	v_mul_f64 v[50:51], v[54:55], v[50:51]
	s_waitcnt vmcnt(0)
	v_fma_f64 v[54:55], v[54:55], v[58:59], -v[60:61]
	v_fma_f64 v[50:51], v[56:57], v[58:59], v[50:51]
	v_add_f64 v[1:2], v[1:2], v[54:55]
	v_add_f64 v[3:4], v[3:4], v[50:51]
	s_andn2_b32 exec_lo, exec_lo, s5
	s_cbranch_execnz .LBB20_40
; %bb.41:
	s_or_b32 exec_lo, exec_lo, s5
.LBB20_42:
	s_or_b32 exec_lo, exec_lo, s28
	v_mov_b32_e32 v49, 0
	ds_read_b128 v[49:52], v49 offset:240
	s_waitcnt lgkmcnt(0)
	v_mul_f64 v[54:55], v[3:4], v[51:52]
	v_mul_f64 v[51:52], v[1:2], v[51:52]
	v_fma_f64 v[1:2], v[1:2], v[49:50], -v[54:55]
	v_fma_f64 v[3:4], v[3:4], v[49:50], v[51:52]
	buffer_store_dword v2, off, s[0:3], 0 offset:244
	buffer_store_dword v1, off, s[0:3], 0 offset:240
	;; [unrolled: 1-line block ×4, first 2 shown]
.LBB20_43:
	s_or_b32 exec_lo, exec_lo, s8
	v_mov_b32_e32 v4, s13
	v_cmp_lt_u32_e64 s5, 14, v0
	s_clause 0x3
	buffer_load_dword v1, v4, s[0:3], 0 offen
	buffer_load_dword v2, v4, s[0:3], 0 offen offset:4
	buffer_load_dword v3, v4, s[0:3], 0 offen offset:8
	;; [unrolled: 1-line block ×3, first 2 shown]
	s_waitcnt vmcnt(0)
	ds_write_b128 v48, v[1:4]
	s_waitcnt lgkmcnt(0)
	s_waitcnt_vscnt null, 0x0
	s_barrier
	buffer_gl0_inv
	s_and_saveexec_b32 s8, s5
	s_cbranch_execz .LBB20_51
; %bb.44:
	ds_read_b128 v[1:4], v48
	s_andn2_b32 vcc_lo, exec_lo, s27
	s_cbranch_vccnz .LBB20_46
; %bb.45:
	s_clause 0x3
	buffer_load_dword v49, v47, s[0:3], 0 offen offset:8
	buffer_load_dword v50, v47, s[0:3], 0 offen offset:12
	buffer_load_dword v51, v47, s[0:3], 0 offen
	buffer_load_dword v52, v47, s[0:3], 0 offen offset:4
	s_waitcnt vmcnt(2) lgkmcnt(0)
	v_mul_f64 v[54:55], v[3:4], v[49:50]
	v_mul_f64 v[49:50], v[1:2], v[49:50]
	s_waitcnt vmcnt(0)
	v_fma_f64 v[1:2], v[1:2], v[51:52], -v[54:55]
	v_fma_f64 v[3:4], v[3:4], v[51:52], v[49:50]
.LBB20_46:
	s_and_saveexec_b32 s28, s4
	s_cbranch_execz .LBB20_50
; %bb.47:
	v_add_nc_u32_e32 v49, -15, v0
	s_movk_i32 s29, 0x240
	s_mov_b32 s4, 0
	s_mov_b32 s30, s12
	.p2align	6
.LBB20_48:                              ; =>This Inner Loop Header: Depth=1
	v_mov_b32_e32 v52, s30
	v_add_nc_u32_e32 v49, -1, v49
	s_add_i32 s30, s30, 16
	s_clause 0x3
	buffer_load_dword v50, v52, s[0:3], 0 offen offset:8
	buffer_load_dword v51, v52, s[0:3], 0 offen offset:12
	buffer_load_dword v58, v52, s[0:3], 0 offen
	buffer_load_dword v59, v52, s[0:3], 0 offen offset:4
	v_mov_b32_e32 v52, s29
	v_cmp_eq_u32_e32 vcc_lo, 0, v49
	s_add_i32 s29, s29, 16
	ds_read_b128 v[54:57], v52
	s_or_b32 s4, vcc_lo, s4
	s_waitcnt vmcnt(2) lgkmcnt(0)
	v_mul_f64 v[60:61], v[56:57], v[50:51]
	v_mul_f64 v[50:51], v[54:55], v[50:51]
	s_waitcnt vmcnt(0)
	v_fma_f64 v[54:55], v[54:55], v[58:59], -v[60:61]
	v_fma_f64 v[50:51], v[56:57], v[58:59], v[50:51]
	v_add_f64 v[1:2], v[1:2], v[54:55]
	v_add_f64 v[3:4], v[3:4], v[50:51]
	s_andn2_b32 exec_lo, exec_lo, s4
	s_cbranch_execnz .LBB20_48
; %bb.49:
	s_or_b32 exec_lo, exec_lo, s4
.LBB20_50:
	s_or_b32 exec_lo, exec_lo, s28
	v_mov_b32_e32 v49, 0
	ds_read_b128 v[49:52], v49 offset:224
	s_waitcnt lgkmcnt(0)
	v_mul_f64 v[54:55], v[3:4], v[51:52]
	v_mul_f64 v[51:52], v[1:2], v[51:52]
	v_fma_f64 v[1:2], v[1:2], v[49:50], -v[54:55]
	v_fma_f64 v[3:4], v[3:4], v[49:50], v[51:52]
	buffer_store_dword v2, off, s[0:3], 0 offset:228
	buffer_store_dword v1, off, s[0:3], 0 offset:224
	;; [unrolled: 1-line block ×4, first 2 shown]
.LBB20_51:
	s_or_b32 exec_lo, exec_lo, s8
	v_mov_b32_e32 v4, s14
	v_cmp_lt_u32_e64 s4, 13, v0
	s_clause 0x3
	buffer_load_dword v1, v4, s[0:3], 0 offen
	buffer_load_dword v2, v4, s[0:3], 0 offen offset:4
	buffer_load_dword v3, v4, s[0:3], 0 offen offset:8
	;; [unrolled: 1-line block ×3, first 2 shown]
	s_waitcnt vmcnt(0)
	ds_write_b128 v48, v[1:4]
	s_waitcnt lgkmcnt(0)
	s_waitcnt_vscnt null, 0x0
	s_barrier
	buffer_gl0_inv
	s_and_saveexec_b32 s8, s4
	s_cbranch_execz .LBB20_59
; %bb.52:
	ds_read_b128 v[1:4], v48
	s_andn2_b32 vcc_lo, exec_lo, s27
	s_cbranch_vccnz .LBB20_54
; %bb.53:
	s_clause 0x3
	buffer_load_dword v49, v47, s[0:3], 0 offen offset:8
	buffer_load_dword v50, v47, s[0:3], 0 offen offset:12
	buffer_load_dword v51, v47, s[0:3], 0 offen
	buffer_load_dword v52, v47, s[0:3], 0 offen offset:4
	s_waitcnt vmcnt(2) lgkmcnt(0)
	v_mul_f64 v[54:55], v[3:4], v[49:50]
	v_mul_f64 v[49:50], v[1:2], v[49:50]
	s_waitcnt vmcnt(0)
	v_fma_f64 v[1:2], v[1:2], v[51:52], -v[54:55]
	v_fma_f64 v[3:4], v[3:4], v[51:52], v[49:50]
.LBB20_54:
	s_and_saveexec_b32 s28, s5
	s_cbranch_execz .LBB20_58
; %bb.55:
	v_add_nc_u32_e32 v49, -14, v0
	s_movk_i32 s29, 0x230
	s_mov_b32 s5, 0
	s_mov_b32 s30, s13
	.p2align	6
.LBB20_56:                              ; =>This Inner Loop Header: Depth=1
	v_mov_b32_e32 v52, s30
	v_add_nc_u32_e32 v49, -1, v49
	s_add_i32 s30, s30, 16
	s_clause 0x3
	buffer_load_dword v50, v52, s[0:3], 0 offen offset:8
	buffer_load_dword v51, v52, s[0:3], 0 offen offset:12
	buffer_load_dword v58, v52, s[0:3], 0 offen
	buffer_load_dword v59, v52, s[0:3], 0 offen offset:4
	v_mov_b32_e32 v52, s29
	v_cmp_eq_u32_e32 vcc_lo, 0, v49
	s_add_i32 s29, s29, 16
	ds_read_b128 v[54:57], v52
	s_or_b32 s5, vcc_lo, s5
	s_waitcnt vmcnt(2) lgkmcnt(0)
	v_mul_f64 v[60:61], v[56:57], v[50:51]
	v_mul_f64 v[50:51], v[54:55], v[50:51]
	s_waitcnt vmcnt(0)
	v_fma_f64 v[54:55], v[54:55], v[58:59], -v[60:61]
	v_fma_f64 v[50:51], v[56:57], v[58:59], v[50:51]
	v_add_f64 v[1:2], v[1:2], v[54:55]
	v_add_f64 v[3:4], v[3:4], v[50:51]
	s_andn2_b32 exec_lo, exec_lo, s5
	s_cbranch_execnz .LBB20_56
; %bb.57:
	s_or_b32 exec_lo, exec_lo, s5
.LBB20_58:
	s_or_b32 exec_lo, exec_lo, s28
	v_mov_b32_e32 v49, 0
	ds_read_b128 v[49:52], v49 offset:208
	s_waitcnt lgkmcnt(0)
	v_mul_f64 v[54:55], v[3:4], v[51:52]
	v_mul_f64 v[51:52], v[1:2], v[51:52]
	v_fma_f64 v[1:2], v[1:2], v[49:50], -v[54:55]
	v_fma_f64 v[3:4], v[3:4], v[49:50], v[51:52]
	buffer_store_dword v2, off, s[0:3], 0 offset:212
	buffer_store_dword v1, off, s[0:3], 0 offset:208
	;; [unrolled: 1-line block ×4, first 2 shown]
.LBB20_59:
	s_or_b32 exec_lo, exec_lo, s8
	v_mov_b32_e32 v4, s15
	v_cmp_lt_u32_e64 s5, 12, v0
	s_clause 0x3
	buffer_load_dword v1, v4, s[0:3], 0 offen
	buffer_load_dword v2, v4, s[0:3], 0 offen offset:4
	buffer_load_dword v3, v4, s[0:3], 0 offen offset:8
	;; [unrolled: 1-line block ×3, first 2 shown]
	s_waitcnt vmcnt(0)
	ds_write_b128 v48, v[1:4]
	s_waitcnt lgkmcnt(0)
	s_waitcnt_vscnt null, 0x0
	s_barrier
	buffer_gl0_inv
	s_and_saveexec_b32 s8, s5
	s_cbranch_execz .LBB20_67
; %bb.60:
	ds_read_b128 v[1:4], v48
	s_andn2_b32 vcc_lo, exec_lo, s27
	s_cbranch_vccnz .LBB20_62
; %bb.61:
	s_clause 0x3
	buffer_load_dword v49, v47, s[0:3], 0 offen offset:8
	buffer_load_dword v50, v47, s[0:3], 0 offen offset:12
	buffer_load_dword v51, v47, s[0:3], 0 offen
	buffer_load_dword v52, v47, s[0:3], 0 offen offset:4
	s_waitcnt vmcnt(2) lgkmcnt(0)
	v_mul_f64 v[54:55], v[3:4], v[49:50]
	v_mul_f64 v[49:50], v[1:2], v[49:50]
	s_waitcnt vmcnt(0)
	v_fma_f64 v[1:2], v[1:2], v[51:52], -v[54:55]
	v_fma_f64 v[3:4], v[3:4], v[51:52], v[49:50]
.LBB20_62:
	s_and_saveexec_b32 s28, s4
	s_cbranch_execz .LBB20_66
; %bb.63:
	v_add_nc_u32_e32 v49, -13, v0
	s_movk_i32 s29, 0x220
	s_mov_b32 s4, 0
	s_mov_b32 s30, s14
	.p2align	6
.LBB20_64:                              ; =>This Inner Loop Header: Depth=1
	v_mov_b32_e32 v52, s30
	v_add_nc_u32_e32 v49, -1, v49
	s_add_i32 s30, s30, 16
	s_clause 0x3
	buffer_load_dword v50, v52, s[0:3], 0 offen offset:8
	buffer_load_dword v51, v52, s[0:3], 0 offen offset:12
	buffer_load_dword v58, v52, s[0:3], 0 offen
	buffer_load_dword v59, v52, s[0:3], 0 offen offset:4
	v_mov_b32_e32 v52, s29
	v_cmp_eq_u32_e32 vcc_lo, 0, v49
	s_add_i32 s29, s29, 16
	ds_read_b128 v[54:57], v52
	s_or_b32 s4, vcc_lo, s4
	s_waitcnt vmcnt(2) lgkmcnt(0)
	v_mul_f64 v[60:61], v[56:57], v[50:51]
	v_mul_f64 v[50:51], v[54:55], v[50:51]
	s_waitcnt vmcnt(0)
	v_fma_f64 v[54:55], v[54:55], v[58:59], -v[60:61]
	v_fma_f64 v[50:51], v[56:57], v[58:59], v[50:51]
	v_add_f64 v[1:2], v[1:2], v[54:55]
	v_add_f64 v[3:4], v[3:4], v[50:51]
	s_andn2_b32 exec_lo, exec_lo, s4
	s_cbranch_execnz .LBB20_64
; %bb.65:
	s_or_b32 exec_lo, exec_lo, s4
.LBB20_66:
	s_or_b32 exec_lo, exec_lo, s28
	v_mov_b32_e32 v49, 0
	ds_read_b128 v[49:52], v49 offset:192
	s_waitcnt lgkmcnt(0)
	v_mul_f64 v[54:55], v[3:4], v[51:52]
	v_mul_f64 v[51:52], v[1:2], v[51:52]
	v_fma_f64 v[1:2], v[1:2], v[49:50], -v[54:55]
	v_fma_f64 v[3:4], v[3:4], v[49:50], v[51:52]
	buffer_store_dword v2, off, s[0:3], 0 offset:196
	buffer_store_dword v1, off, s[0:3], 0 offset:192
	;; [unrolled: 1-line block ×4, first 2 shown]
.LBB20_67:
	s_or_b32 exec_lo, exec_lo, s8
	v_mov_b32_e32 v4, s16
	v_cmp_lt_u32_e64 s4, 11, v0
	s_clause 0x3
	buffer_load_dword v1, v4, s[0:3], 0 offen
	buffer_load_dword v2, v4, s[0:3], 0 offen offset:4
	buffer_load_dword v3, v4, s[0:3], 0 offen offset:8
	;; [unrolled: 1-line block ×3, first 2 shown]
	s_waitcnt vmcnt(0)
	ds_write_b128 v48, v[1:4]
	s_waitcnt lgkmcnt(0)
	s_waitcnt_vscnt null, 0x0
	s_barrier
	buffer_gl0_inv
	s_and_saveexec_b32 s8, s4
	s_cbranch_execz .LBB20_75
; %bb.68:
	ds_read_b128 v[1:4], v48
	s_andn2_b32 vcc_lo, exec_lo, s27
	s_cbranch_vccnz .LBB20_70
; %bb.69:
	s_clause 0x3
	buffer_load_dword v49, v47, s[0:3], 0 offen offset:8
	buffer_load_dword v50, v47, s[0:3], 0 offen offset:12
	buffer_load_dword v51, v47, s[0:3], 0 offen
	buffer_load_dword v52, v47, s[0:3], 0 offen offset:4
	s_waitcnt vmcnt(2) lgkmcnt(0)
	v_mul_f64 v[54:55], v[3:4], v[49:50]
	v_mul_f64 v[49:50], v[1:2], v[49:50]
	s_waitcnt vmcnt(0)
	v_fma_f64 v[1:2], v[1:2], v[51:52], -v[54:55]
	v_fma_f64 v[3:4], v[3:4], v[51:52], v[49:50]
.LBB20_70:
	s_and_saveexec_b32 s28, s5
	s_cbranch_execz .LBB20_74
; %bb.71:
	v_add_nc_u32_e32 v49, -12, v0
	s_movk_i32 s29, 0x210
	s_mov_b32 s5, 0
	s_mov_b32 s30, s15
	.p2align	6
.LBB20_72:                              ; =>This Inner Loop Header: Depth=1
	v_mov_b32_e32 v52, s30
	v_add_nc_u32_e32 v49, -1, v49
	s_add_i32 s30, s30, 16
	s_clause 0x3
	buffer_load_dword v50, v52, s[0:3], 0 offen offset:8
	buffer_load_dword v51, v52, s[0:3], 0 offen offset:12
	buffer_load_dword v58, v52, s[0:3], 0 offen
	buffer_load_dword v59, v52, s[0:3], 0 offen offset:4
	v_mov_b32_e32 v52, s29
	v_cmp_eq_u32_e32 vcc_lo, 0, v49
	s_add_i32 s29, s29, 16
	ds_read_b128 v[54:57], v52
	s_or_b32 s5, vcc_lo, s5
	s_waitcnt vmcnt(2) lgkmcnt(0)
	v_mul_f64 v[60:61], v[56:57], v[50:51]
	v_mul_f64 v[50:51], v[54:55], v[50:51]
	s_waitcnt vmcnt(0)
	v_fma_f64 v[54:55], v[54:55], v[58:59], -v[60:61]
	v_fma_f64 v[50:51], v[56:57], v[58:59], v[50:51]
	v_add_f64 v[1:2], v[1:2], v[54:55]
	v_add_f64 v[3:4], v[3:4], v[50:51]
	s_andn2_b32 exec_lo, exec_lo, s5
	s_cbranch_execnz .LBB20_72
; %bb.73:
	s_or_b32 exec_lo, exec_lo, s5
.LBB20_74:
	s_or_b32 exec_lo, exec_lo, s28
	v_mov_b32_e32 v49, 0
	ds_read_b128 v[49:52], v49 offset:176
	s_waitcnt lgkmcnt(0)
	v_mul_f64 v[54:55], v[3:4], v[51:52]
	v_mul_f64 v[51:52], v[1:2], v[51:52]
	v_fma_f64 v[1:2], v[1:2], v[49:50], -v[54:55]
	v_fma_f64 v[3:4], v[3:4], v[49:50], v[51:52]
	buffer_store_dword v2, off, s[0:3], 0 offset:180
	buffer_store_dword v1, off, s[0:3], 0 offset:176
	;; [unrolled: 1-line block ×4, first 2 shown]
.LBB20_75:
	s_or_b32 exec_lo, exec_lo, s8
	v_mov_b32_e32 v4, s17
	v_cmp_lt_u32_e64 s5, 10, v0
	s_clause 0x3
	buffer_load_dword v1, v4, s[0:3], 0 offen
	buffer_load_dword v2, v4, s[0:3], 0 offen offset:4
	buffer_load_dword v3, v4, s[0:3], 0 offen offset:8
	;; [unrolled: 1-line block ×3, first 2 shown]
	s_waitcnt vmcnt(0)
	ds_write_b128 v48, v[1:4]
	s_waitcnt lgkmcnt(0)
	s_waitcnt_vscnt null, 0x0
	s_barrier
	buffer_gl0_inv
	s_and_saveexec_b32 s8, s5
	s_cbranch_execz .LBB20_83
; %bb.76:
	ds_read_b128 v[1:4], v48
	s_andn2_b32 vcc_lo, exec_lo, s27
	s_cbranch_vccnz .LBB20_78
; %bb.77:
	s_clause 0x3
	buffer_load_dword v49, v47, s[0:3], 0 offen offset:8
	buffer_load_dword v50, v47, s[0:3], 0 offen offset:12
	buffer_load_dword v51, v47, s[0:3], 0 offen
	buffer_load_dword v52, v47, s[0:3], 0 offen offset:4
	s_waitcnt vmcnt(2) lgkmcnt(0)
	v_mul_f64 v[54:55], v[3:4], v[49:50]
	v_mul_f64 v[49:50], v[1:2], v[49:50]
	s_waitcnt vmcnt(0)
	v_fma_f64 v[1:2], v[1:2], v[51:52], -v[54:55]
	v_fma_f64 v[3:4], v[3:4], v[51:52], v[49:50]
.LBB20_78:
	s_and_saveexec_b32 s28, s4
	s_cbranch_execz .LBB20_82
; %bb.79:
	v_add_nc_u32_e32 v49, -11, v0
	s_movk_i32 s29, 0x200
	s_mov_b32 s4, 0
	s_mov_b32 s30, s16
	.p2align	6
.LBB20_80:                              ; =>This Inner Loop Header: Depth=1
	v_mov_b32_e32 v52, s30
	v_add_nc_u32_e32 v49, -1, v49
	s_add_i32 s30, s30, 16
	s_clause 0x3
	buffer_load_dword v50, v52, s[0:3], 0 offen offset:8
	buffer_load_dword v51, v52, s[0:3], 0 offen offset:12
	buffer_load_dword v58, v52, s[0:3], 0 offen
	buffer_load_dword v59, v52, s[0:3], 0 offen offset:4
	v_mov_b32_e32 v52, s29
	v_cmp_eq_u32_e32 vcc_lo, 0, v49
	s_add_i32 s29, s29, 16
	ds_read_b128 v[54:57], v52
	s_or_b32 s4, vcc_lo, s4
	s_waitcnt vmcnt(2) lgkmcnt(0)
	v_mul_f64 v[60:61], v[56:57], v[50:51]
	v_mul_f64 v[50:51], v[54:55], v[50:51]
	s_waitcnt vmcnt(0)
	v_fma_f64 v[54:55], v[54:55], v[58:59], -v[60:61]
	v_fma_f64 v[50:51], v[56:57], v[58:59], v[50:51]
	v_add_f64 v[1:2], v[1:2], v[54:55]
	v_add_f64 v[3:4], v[3:4], v[50:51]
	s_andn2_b32 exec_lo, exec_lo, s4
	s_cbranch_execnz .LBB20_80
; %bb.81:
	s_or_b32 exec_lo, exec_lo, s4
.LBB20_82:
	s_or_b32 exec_lo, exec_lo, s28
	v_mov_b32_e32 v49, 0
	ds_read_b128 v[49:52], v49 offset:160
	s_waitcnt lgkmcnt(0)
	v_mul_f64 v[54:55], v[3:4], v[51:52]
	v_mul_f64 v[51:52], v[1:2], v[51:52]
	v_fma_f64 v[1:2], v[1:2], v[49:50], -v[54:55]
	v_fma_f64 v[3:4], v[3:4], v[49:50], v[51:52]
	buffer_store_dword v2, off, s[0:3], 0 offset:164
	buffer_store_dword v1, off, s[0:3], 0 offset:160
	;; [unrolled: 1-line block ×4, first 2 shown]
.LBB20_83:
	s_or_b32 exec_lo, exec_lo, s8
	v_mov_b32_e32 v4, s18
	v_cmp_lt_u32_e64 s4, 9, v0
	s_clause 0x3
	buffer_load_dword v1, v4, s[0:3], 0 offen
	buffer_load_dword v2, v4, s[0:3], 0 offen offset:4
	buffer_load_dword v3, v4, s[0:3], 0 offen offset:8
	;; [unrolled: 1-line block ×3, first 2 shown]
	s_waitcnt vmcnt(0)
	ds_write_b128 v48, v[1:4]
	s_waitcnt lgkmcnt(0)
	s_waitcnt_vscnt null, 0x0
	s_barrier
	buffer_gl0_inv
	s_and_saveexec_b32 s8, s4
	s_cbranch_execz .LBB20_91
; %bb.84:
	ds_read_b128 v[1:4], v48
	s_andn2_b32 vcc_lo, exec_lo, s27
	s_cbranch_vccnz .LBB20_86
; %bb.85:
	s_clause 0x3
	buffer_load_dword v49, v47, s[0:3], 0 offen offset:8
	buffer_load_dword v50, v47, s[0:3], 0 offen offset:12
	buffer_load_dword v51, v47, s[0:3], 0 offen
	buffer_load_dword v52, v47, s[0:3], 0 offen offset:4
	s_waitcnt vmcnt(2) lgkmcnt(0)
	v_mul_f64 v[54:55], v[3:4], v[49:50]
	v_mul_f64 v[49:50], v[1:2], v[49:50]
	s_waitcnt vmcnt(0)
	v_fma_f64 v[1:2], v[1:2], v[51:52], -v[54:55]
	v_fma_f64 v[3:4], v[3:4], v[51:52], v[49:50]
.LBB20_86:
	s_and_saveexec_b32 s28, s5
	s_cbranch_execz .LBB20_90
; %bb.87:
	v_add_nc_u32_e32 v49, -10, v0
	s_movk_i32 s29, 0x1f0
	s_mov_b32 s5, 0
	s_mov_b32 s30, s17
	.p2align	6
.LBB20_88:                              ; =>This Inner Loop Header: Depth=1
	v_mov_b32_e32 v52, s30
	v_add_nc_u32_e32 v49, -1, v49
	s_add_i32 s30, s30, 16
	s_clause 0x3
	buffer_load_dword v50, v52, s[0:3], 0 offen offset:8
	buffer_load_dword v51, v52, s[0:3], 0 offen offset:12
	buffer_load_dword v58, v52, s[0:3], 0 offen
	buffer_load_dword v59, v52, s[0:3], 0 offen offset:4
	v_mov_b32_e32 v52, s29
	v_cmp_eq_u32_e32 vcc_lo, 0, v49
	s_add_i32 s29, s29, 16
	ds_read_b128 v[54:57], v52
	s_or_b32 s5, vcc_lo, s5
	s_waitcnt vmcnt(2) lgkmcnt(0)
	v_mul_f64 v[60:61], v[56:57], v[50:51]
	v_mul_f64 v[50:51], v[54:55], v[50:51]
	s_waitcnt vmcnt(0)
	v_fma_f64 v[54:55], v[54:55], v[58:59], -v[60:61]
	v_fma_f64 v[50:51], v[56:57], v[58:59], v[50:51]
	v_add_f64 v[1:2], v[1:2], v[54:55]
	v_add_f64 v[3:4], v[3:4], v[50:51]
	s_andn2_b32 exec_lo, exec_lo, s5
	s_cbranch_execnz .LBB20_88
; %bb.89:
	s_or_b32 exec_lo, exec_lo, s5
.LBB20_90:
	s_or_b32 exec_lo, exec_lo, s28
	v_mov_b32_e32 v49, 0
	ds_read_b128 v[49:52], v49 offset:144
	s_waitcnt lgkmcnt(0)
	v_mul_f64 v[54:55], v[3:4], v[51:52]
	v_mul_f64 v[51:52], v[1:2], v[51:52]
	v_fma_f64 v[1:2], v[1:2], v[49:50], -v[54:55]
	v_fma_f64 v[3:4], v[3:4], v[49:50], v[51:52]
	buffer_store_dword v2, off, s[0:3], 0 offset:148
	buffer_store_dword v1, off, s[0:3], 0 offset:144
	;; [unrolled: 1-line block ×4, first 2 shown]
.LBB20_91:
	s_or_b32 exec_lo, exec_lo, s8
	v_mov_b32_e32 v4, s19
	v_cmp_lt_u32_e64 s5, 8, v0
	s_clause 0x3
	buffer_load_dword v1, v4, s[0:3], 0 offen
	buffer_load_dword v2, v4, s[0:3], 0 offen offset:4
	buffer_load_dword v3, v4, s[0:3], 0 offen offset:8
	;; [unrolled: 1-line block ×3, first 2 shown]
	s_waitcnt vmcnt(0)
	ds_write_b128 v48, v[1:4]
	s_waitcnt lgkmcnt(0)
	s_waitcnt_vscnt null, 0x0
	s_barrier
	buffer_gl0_inv
	s_and_saveexec_b32 s8, s5
	s_cbranch_execz .LBB20_99
; %bb.92:
	ds_read_b128 v[1:4], v48
	s_andn2_b32 vcc_lo, exec_lo, s27
	s_cbranch_vccnz .LBB20_94
; %bb.93:
	s_clause 0x3
	buffer_load_dword v49, v47, s[0:3], 0 offen offset:8
	buffer_load_dword v50, v47, s[0:3], 0 offen offset:12
	buffer_load_dword v51, v47, s[0:3], 0 offen
	buffer_load_dword v52, v47, s[0:3], 0 offen offset:4
	s_waitcnt vmcnt(2) lgkmcnt(0)
	v_mul_f64 v[54:55], v[3:4], v[49:50]
	v_mul_f64 v[49:50], v[1:2], v[49:50]
	s_waitcnt vmcnt(0)
	v_fma_f64 v[1:2], v[1:2], v[51:52], -v[54:55]
	v_fma_f64 v[3:4], v[3:4], v[51:52], v[49:50]
.LBB20_94:
	s_and_saveexec_b32 s28, s4
	s_cbranch_execz .LBB20_98
; %bb.95:
	v_add_nc_u32_e32 v49, -9, v0
	s_movk_i32 s29, 0x1e0
	s_mov_b32 s4, 0
	s_mov_b32 s30, s18
	.p2align	6
.LBB20_96:                              ; =>This Inner Loop Header: Depth=1
	v_mov_b32_e32 v52, s30
	v_add_nc_u32_e32 v49, -1, v49
	s_add_i32 s30, s30, 16
	s_clause 0x3
	buffer_load_dword v50, v52, s[0:3], 0 offen offset:8
	buffer_load_dword v51, v52, s[0:3], 0 offen offset:12
	buffer_load_dword v58, v52, s[0:3], 0 offen
	buffer_load_dword v59, v52, s[0:3], 0 offen offset:4
	v_mov_b32_e32 v52, s29
	v_cmp_eq_u32_e32 vcc_lo, 0, v49
	s_add_i32 s29, s29, 16
	ds_read_b128 v[54:57], v52
	s_or_b32 s4, vcc_lo, s4
	s_waitcnt vmcnt(2) lgkmcnt(0)
	v_mul_f64 v[60:61], v[56:57], v[50:51]
	v_mul_f64 v[50:51], v[54:55], v[50:51]
	s_waitcnt vmcnt(0)
	v_fma_f64 v[54:55], v[54:55], v[58:59], -v[60:61]
	v_fma_f64 v[50:51], v[56:57], v[58:59], v[50:51]
	v_add_f64 v[1:2], v[1:2], v[54:55]
	v_add_f64 v[3:4], v[3:4], v[50:51]
	s_andn2_b32 exec_lo, exec_lo, s4
	s_cbranch_execnz .LBB20_96
; %bb.97:
	s_or_b32 exec_lo, exec_lo, s4
.LBB20_98:
	s_or_b32 exec_lo, exec_lo, s28
	v_mov_b32_e32 v49, 0
	ds_read_b128 v[49:52], v49 offset:128
	s_waitcnt lgkmcnt(0)
	v_mul_f64 v[54:55], v[3:4], v[51:52]
	v_mul_f64 v[51:52], v[1:2], v[51:52]
	v_fma_f64 v[1:2], v[1:2], v[49:50], -v[54:55]
	v_fma_f64 v[3:4], v[3:4], v[49:50], v[51:52]
	buffer_store_dword v2, off, s[0:3], 0 offset:132
	buffer_store_dword v1, off, s[0:3], 0 offset:128
	;; [unrolled: 1-line block ×4, first 2 shown]
.LBB20_99:
	s_or_b32 exec_lo, exec_lo, s8
	v_mov_b32_e32 v4, s20
	v_cmp_lt_u32_e64 s4, 7, v0
	s_clause 0x3
	buffer_load_dword v1, v4, s[0:3], 0 offen
	buffer_load_dword v2, v4, s[0:3], 0 offen offset:4
	buffer_load_dword v3, v4, s[0:3], 0 offen offset:8
	;; [unrolled: 1-line block ×3, first 2 shown]
	s_waitcnt vmcnt(0)
	ds_write_b128 v48, v[1:4]
	s_waitcnt lgkmcnt(0)
	s_waitcnt_vscnt null, 0x0
	s_barrier
	buffer_gl0_inv
	s_and_saveexec_b32 s8, s4
	s_cbranch_execz .LBB20_107
; %bb.100:
	ds_read_b128 v[1:4], v48
	s_andn2_b32 vcc_lo, exec_lo, s27
	s_cbranch_vccnz .LBB20_102
; %bb.101:
	s_clause 0x3
	buffer_load_dword v49, v47, s[0:3], 0 offen offset:8
	buffer_load_dword v50, v47, s[0:3], 0 offen offset:12
	buffer_load_dword v51, v47, s[0:3], 0 offen
	buffer_load_dword v52, v47, s[0:3], 0 offen offset:4
	s_waitcnt vmcnt(2) lgkmcnt(0)
	v_mul_f64 v[54:55], v[3:4], v[49:50]
	v_mul_f64 v[49:50], v[1:2], v[49:50]
	s_waitcnt vmcnt(0)
	v_fma_f64 v[1:2], v[1:2], v[51:52], -v[54:55]
	v_fma_f64 v[3:4], v[3:4], v[51:52], v[49:50]
.LBB20_102:
	s_and_saveexec_b32 s28, s5
	s_cbranch_execz .LBB20_106
; %bb.103:
	v_add_nc_u32_e32 v49, -8, v0
	s_movk_i32 s29, 0x1d0
	s_mov_b32 s5, 0
	s_mov_b32 s30, s19
	.p2align	6
.LBB20_104:                             ; =>This Inner Loop Header: Depth=1
	v_mov_b32_e32 v52, s30
	v_add_nc_u32_e32 v49, -1, v49
	s_add_i32 s30, s30, 16
	s_clause 0x3
	buffer_load_dword v50, v52, s[0:3], 0 offen offset:8
	buffer_load_dword v51, v52, s[0:3], 0 offen offset:12
	buffer_load_dword v58, v52, s[0:3], 0 offen
	buffer_load_dword v59, v52, s[0:3], 0 offen offset:4
	v_mov_b32_e32 v52, s29
	v_cmp_eq_u32_e32 vcc_lo, 0, v49
	s_add_i32 s29, s29, 16
	ds_read_b128 v[54:57], v52
	s_or_b32 s5, vcc_lo, s5
	s_waitcnt vmcnt(2) lgkmcnt(0)
	v_mul_f64 v[60:61], v[56:57], v[50:51]
	v_mul_f64 v[50:51], v[54:55], v[50:51]
	s_waitcnt vmcnt(0)
	v_fma_f64 v[54:55], v[54:55], v[58:59], -v[60:61]
	v_fma_f64 v[50:51], v[56:57], v[58:59], v[50:51]
	v_add_f64 v[1:2], v[1:2], v[54:55]
	v_add_f64 v[3:4], v[3:4], v[50:51]
	s_andn2_b32 exec_lo, exec_lo, s5
	s_cbranch_execnz .LBB20_104
; %bb.105:
	s_or_b32 exec_lo, exec_lo, s5
.LBB20_106:
	s_or_b32 exec_lo, exec_lo, s28
	v_mov_b32_e32 v49, 0
	ds_read_b128 v[49:52], v49 offset:112
	s_waitcnt lgkmcnt(0)
	v_mul_f64 v[54:55], v[3:4], v[51:52]
	v_mul_f64 v[51:52], v[1:2], v[51:52]
	v_fma_f64 v[1:2], v[1:2], v[49:50], -v[54:55]
	v_fma_f64 v[3:4], v[3:4], v[49:50], v[51:52]
	buffer_store_dword v2, off, s[0:3], 0 offset:116
	buffer_store_dword v1, off, s[0:3], 0 offset:112
	;; [unrolled: 1-line block ×4, first 2 shown]
.LBB20_107:
	s_or_b32 exec_lo, exec_lo, s8
	v_mov_b32_e32 v4, s21
	v_cmp_lt_u32_e64 s5, 6, v0
	s_clause 0x3
	buffer_load_dword v1, v4, s[0:3], 0 offen
	buffer_load_dword v2, v4, s[0:3], 0 offen offset:4
	buffer_load_dword v3, v4, s[0:3], 0 offen offset:8
	;; [unrolled: 1-line block ×3, first 2 shown]
	s_waitcnt vmcnt(0)
	ds_write_b128 v48, v[1:4]
	s_waitcnt lgkmcnt(0)
	s_waitcnt_vscnt null, 0x0
	s_barrier
	buffer_gl0_inv
	s_and_saveexec_b32 s8, s5
	s_cbranch_execz .LBB20_115
; %bb.108:
	ds_read_b128 v[1:4], v48
	s_andn2_b32 vcc_lo, exec_lo, s27
	s_cbranch_vccnz .LBB20_110
; %bb.109:
	s_clause 0x3
	buffer_load_dword v49, v47, s[0:3], 0 offen offset:8
	buffer_load_dword v50, v47, s[0:3], 0 offen offset:12
	buffer_load_dword v51, v47, s[0:3], 0 offen
	buffer_load_dword v52, v47, s[0:3], 0 offen offset:4
	s_waitcnt vmcnt(2) lgkmcnt(0)
	v_mul_f64 v[54:55], v[3:4], v[49:50]
	v_mul_f64 v[49:50], v[1:2], v[49:50]
	s_waitcnt vmcnt(0)
	v_fma_f64 v[1:2], v[1:2], v[51:52], -v[54:55]
	v_fma_f64 v[3:4], v[3:4], v[51:52], v[49:50]
.LBB20_110:
	s_and_saveexec_b32 s28, s4
	s_cbranch_execz .LBB20_114
; %bb.111:
	v_add_nc_u32_e32 v49, -7, v0
	s_movk_i32 s29, 0x1c0
	s_mov_b32 s4, 0
	s_mov_b32 s30, s20
	.p2align	6
.LBB20_112:                             ; =>This Inner Loop Header: Depth=1
	v_mov_b32_e32 v52, s30
	v_add_nc_u32_e32 v49, -1, v49
	s_add_i32 s30, s30, 16
	s_clause 0x3
	buffer_load_dword v50, v52, s[0:3], 0 offen offset:8
	buffer_load_dword v51, v52, s[0:3], 0 offen offset:12
	buffer_load_dword v58, v52, s[0:3], 0 offen
	buffer_load_dword v59, v52, s[0:3], 0 offen offset:4
	v_mov_b32_e32 v52, s29
	v_cmp_eq_u32_e32 vcc_lo, 0, v49
	s_add_i32 s29, s29, 16
	ds_read_b128 v[54:57], v52
	s_or_b32 s4, vcc_lo, s4
	s_waitcnt vmcnt(2) lgkmcnt(0)
	v_mul_f64 v[60:61], v[56:57], v[50:51]
	v_mul_f64 v[50:51], v[54:55], v[50:51]
	s_waitcnt vmcnt(0)
	v_fma_f64 v[54:55], v[54:55], v[58:59], -v[60:61]
	v_fma_f64 v[50:51], v[56:57], v[58:59], v[50:51]
	v_add_f64 v[1:2], v[1:2], v[54:55]
	v_add_f64 v[3:4], v[3:4], v[50:51]
	s_andn2_b32 exec_lo, exec_lo, s4
	s_cbranch_execnz .LBB20_112
; %bb.113:
	s_or_b32 exec_lo, exec_lo, s4
.LBB20_114:
	s_or_b32 exec_lo, exec_lo, s28
	v_mov_b32_e32 v49, 0
	ds_read_b128 v[49:52], v49 offset:96
	s_waitcnt lgkmcnt(0)
	v_mul_f64 v[54:55], v[3:4], v[51:52]
	v_mul_f64 v[51:52], v[1:2], v[51:52]
	v_fma_f64 v[1:2], v[1:2], v[49:50], -v[54:55]
	v_fma_f64 v[3:4], v[3:4], v[49:50], v[51:52]
	buffer_store_dword v2, off, s[0:3], 0 offset:100
	buffer_store_dword v1, off, s[0:3], 0 offset:96
	;; [unrolled: 1-line block ×4, first 2 shown]
.LBB20_115:
	s_or_b32 exec_lo, exec_lo, s8
	v_mov_b32_e32 v4, s22
	v_cmp_lt_u32_e64 s4, 5, v0
	s_clause 0x3
	buffer_load_dword v1, v4, s[0:3], 0 offen
	buffer_load_dword v2, v4, s[0:3], 0 offen offset:4
	buffer_load_dword v3, v4, s[0:3], 0 offen offset:8
	;; [unrolled: 1-line block ×3, first 2 shown]
	s_waitcnt vmcnt(0)
	ds_write_b128 v48, v[1:4]
	s_waitcnt lgkmcnt(0)
	s_waitcnt_vscnt null, 0x0
	s_barrier
	buffer_gl0_inv
	s_and_saveexec_b32 s8, s4
	s_cbranch_execz .LBB20_123
; %bb.116:
	ds_read_b128 v[1:4], v48
	s_andn2_b32 vcc_lo, exec_lo, s27
	s_cbranch_vccnz .LBB20_118
; %bb.117:
	s_clause 0x3
	buffer_load_dword v49, v47, s[0:3], 0 offen offset:8
	buffer_load_dword v50, v47, s[0:3], 0 offen offset:12
	buffer_load_dword v51, v47, s[0:3], 0 offen
	buffer_load_dword v52, v47, s[0:3], 0 offen offset:4
	s_waitcnt vmcnt(2) lgkmcnt(0)
	v_mul_f64 v[54:55], v[3:4], v[49:50]
	v_mul_f64 v[49:50], v[1:2], v[49:50]
	s_waitcnt vmcnt(0)
	v_fma_f64 v[1:2], v[1:2], v[51:52], -v[54:55]
	v_fma_f64 v[3:4], v[3:4], v[51:52], v[49:50]
.LBB20_118:
	s_and_saveexec_b32 s28, s5
	s_cbranch_execz .LBB20_122
; %bb.119:
	v_add_nc_u32_e32 v49, -6, v0
	s_movk_i32 s29, 0x1b0
	s_mov_b32 s5, 0
	s_mov_b32 s30, s21
	.p2align	6
.LBB20_120:                             ; =>This Inner Loop Header: Depth=1
	v_mov_b32_e32 v52, s30
	v_add_nc_u32_e32 v49, -1, v49
	s_add_i32 s30, s30, 16
	s_clause 0x3
	buffer_load_dword v50, v52, s[0:3], 0 offen offset:8
	buffer_load_dword v51, v52, s[0:3], 0 offen offset:12
	buffer_load_dword v58, v52, s[0:3], 0 offen
	buffer_load_dword v59, v52, s[0:3], 0 offen offset:4
	v_mov_b32_e32 v52, s29
	v_cmp_eq_u32_e32 vcc_lo, 0, v49
	s_add_i32 s29, s29, 16
	ds_read_b128 v[54:57], v52
	s_or_b32 s5, vcc_lo, s5
	s_waitcnt vmcnt(2) lgkmcnt(0)
	v_mul_f64 v[60:61], v[56:57], v[50:51]
	v_mul_f64 v[50:51], v[54:55], v[50:51]
	s_waitcnt vmcnt(0)
	v_fma_f64 v[54:55], v[54:55], v[58:59], -v[60:61]
	v_fma_f64 v[50:51], v[56:57], v[58:59], v[50:51]
	v_add_f64 v[1:2], v[1:2], v[54:55]
	v_add_f64 v[3:4], v[3:4], v[50:51]
	s_andn2_b32 exec_lo, exec_lo, s5
	s_cbranch_execnz .LBB20_120
; %bb.121:
	s_or_b32 exec_lo, exec_lo, s5
.LBB20_122:
	s_or_b32 exec_lo, exec_lo, s28
	v_mov_b32_e32 v49, 0
	ds_read_b128 v[49:52], v49 offset:80
	s_waitcnt lgkmcnt(0)
	v_mul_f64 v[54:55], v[3:4], v[51:52]
	v_mul_f64 v[51:52], v[1:2], v[51:52]
	v_fma_f64 v[1:2], v[1:2], v[49:50], -v[54:55]
	v_fma_f64 v[3:4], v[3:4], v[49:50], v[51:52]
	buffer_store_dword v2, off, s[0:3], 0 offset:84
	buffer_store_dword v1, off, s[0:3], 0 offset:80
	;; [unrolled: 1-line block ×4, first 2 shown]
.LBB20_123:
	s_or_b32 exec_lo, exec_lo, s8
	v_mov_b32_e32 v4, s23
	v_cmp_lt_u32_e64 s5, 4, v0
	s_clause 0x3
	buffer_load_dword v1, v4, s[0:3], 0 offen
	buffer_load_dword v2, v4, s[0:3], 0 offen offset:4
	buffer_load_dword v3, v4, s[0:3], 0 offen offset:8
	;; [unrolled: 1-line block ×3, first 2 shown]
	s_waitcnt vmcnt(0)
	ds_write_b128 v48, v[1:4]
	s_waitcnt lgkmcnt(0)
	s_waitcnt_vscnt null, 0x0
	s_barrier
	buffer_gl0_inv
	s_and_saveexec_b32 s8, s5
	s_cbranch_execz .LBB20_131
; %bb.124:
	ds_read_b128 v[1:4], v48
	s_andn2_b32 vcc_lo, exec_lo, s27
	s_cbranch_vccnz .LBB20_126
; %bb.125:
	s_clause 0x3
	buffer_load_dword v49, v47, s[0:3], 0 offen offset:8
	buffer_load_dword v50, v47, s[0:3], 0 offen offset:12
	buffer_load_dword v51, v47, s[0:3], 0 offen
	buffer_load_dword v52, v47, s[0:3], 0 offen offset:4
	s_waitcnt vmcnt(2) lgkmcnt(0)
	v_mul_f64 v[54:55], v[3:4], v[49:50]
	v_mul_f64 v[49:50], v[1:2], v[49:50]
	s_waitcnt vmcnt(0)
	v_fma_f64 v[1:2], v[1:2], v[51:52], -v[54:55]
	v_fma_f64 v[3:4], v[3:4], v[51:52], v[49:50]
.LBB20_126:
	s_and_saveexec_b32 s28, s4
	s_cbranch_execz .LBB20_130
; %bb.127:
	v_add_nc_u32_e32 v49, -5, v0
	s_movk_i32 s29, 0x1a0
	s_mov_b32 s4, 0
	s_mov_b32 s30, s22
	.p2align	6
.LBB20_128:                             ; =>This Inner Loop Header: Depth=1
	v_mov_b32_e32 v52, s30
	v_add_nc_u32_e32 v49, -1, v49
	s_add_i32 s30, s30, 16
	s_clause 0x3
	buffer_load_dword v50, v52, s[0:3], 0 offen offset:8
	buffer_load_dword v51, v52, s[0:3], 0 offen offset:12
	buffer_load_dword v58, v52, s[0:3], 0 offen
	buffer_load_dword v59, v52, s[0:3], 0 offen offset:4
	v_mov_b32_e32 v52, s29
	v_cmp_eq_u32_e32 vcc_lo, 0, v49
	s_add_i32 s29, s29, 16
	ds_read_b128 v[54:57], v52
	s_or_b32 s4, vcc_lo, s4
	s_waitcnt vmcnt(2) lgkmcnt(0)
	v_mul_f64 v[60:61], v[56:57], v[50:51]
	v_mul_f64 v[50:51], v[54:55], v[50:51]
	s_waitcnt vmcnt(0)
	v_fma_f64 v[54:55], v[54:55], v[58:59], -v[60:61]
	v_fma_f64 v[50:51], v[56:57], v[58:59], v[50:51]
	v_add_f64 v[1:2], v[1:2], v[54:55]
	v_add_f64 v[3:4], v[3:4], v[50:51]
	s_andn2_b32 exec_lo, exec_lo, s4
	s_cbranch_execnz .LBB20_128
; %bb.129:
	s_or_b32 exec_lo, exec_lo, s4
.LBB20_130:
	s_or_b32 exec_lo, exec_lo, s28
	v_mov_b32_e32 v49, 0
	ds_read_b128 v[49:52], v49 offset:64
	s_waitcnt lgkmcnt(0)
	v_mul_f64 v[54:55], v[3:4], v[51:52]
	v_mul_f64 v[51:52], v[1:2], v[51:52]
	v_fma_f64 v[1:2], v[1:2], v[49:50], -v[54:55]
	v_fma_f64 v[3:4], v[3:4], v[49:50], v[51:52]
	buffer_store_dword v2, off, s[0:3], 0 offset:68
	buffer_store_dword v1, off, s[0:3], 0 offset:64
	buffer_store_dword v4, off, s[0:3], 0 offset:76
	buffer_store_dword v3, off, s[0:3], 0 offset:72
.LBB20_131:
	s_or_b32 exec_lo, exec_lo, s8
	v_mov_b32_e32 v4, s24
	v_cmp_lt_u32_e64 s4, 3, v0
	s_clause 0x3
	buffer_load_dword v1, v4, s[0:3], 0 offen
	buffer_load_dword v2, v4, s[0:3], 0 offen offset:4
	buffer_load_dword v3, v4, s[0:3], 0 offen offset:8
	;; [unrolled: 1-line block ×3, first 2 shown]
	s_waitcnt vmcnt(0)
	ds_write_b128 v48, v[1:4]
	s_waitcnt lgkmcnt(0)
	s_waitcnt_vscnt null, 0x0
	s_barrier
	buffer_gl0_inv
	s_and_saveexec_b32 s8, s4
	s_cbranch_execz .LBB20_139
; %bb.132:
	ds_read_b128 v[1:4], v48
	s_andn2_b32 vcc_lo, exec_lo, s27
	s_cbranch_vccnz .LBB20_134
; %bb.133:
	s_clause 0x3
	buffer_load_dword v49, v47, s[0:3], 0 offen offset:8
	buffer_load_dword v50, v47, s[0:3], 0 offen offset:12
	buffer_load_dword v51, v47, s[0:3], 0 offen
	buffer_load_dword v52, v47, s[0:3], 0 offen offset:4
	s_waitcnt vmcnt(2) lgkmcnt(0)
	v_mul_f64 v[54:55], v[3:4], v[49:50]
	v_mul_f64 v[49:50], v[1:2], v[49:50]
	s_waitcnt vmcnt(0)
	v_fma_f64 v[1:2], v[1:2], v[51:52], -v[54:55]
	v_fma_f64 v[3:4], v[3:4], v[51:52], v[49:50]
.LBB20_134:
	s_and_saveexec_b32 s28, s5
	s_cbranch_execz .LBB20_138
; %bb.135:
	v_add_nc_u32_e32 v49, -4, v0
	s_movk_i32 s29, 0x190
	s_mov_b32 s5, 0
	s_mov_b32 s30, s23
	.p2align	6
.LBB20_136:                             ; =>This Inner Loop Header: Depth=1
	v_mov_b32_e32 v52, s30
	v_add_nc_u32_e32 v49, -1, v49
	s_add_i32 s30, s30, 16
	s_clause 0x3
	buffer_load_dword v50, v52, s[0:3], 0 offen offset:8
	buffer_load_dword v51, v52, s[0:3], 0 offen offset:12
	buffer_load_dword v58, v52, s[0:3], 0 offen
	buffer_load_dword v59, v52, s[0:3], 0 offen offset:4
	v_mov_b32_e32 v52, s29
	v_cmp_eq_u32_e32 vcc_lo, 0, v49
	s_add_i32 s29, s29, 16
	ds_read_b128 v[54:57], v52
	s_or_b32 s5, vcc_lo, s5
	s_waitcnt vmcnt(2) lgkmcnt(0)
	v_mul_f64 v[60:61], v[56:57], v[50:51]
	v_mul_f64 v[50:51], v[54:55], v[50:51]
	s_waitcnt vmcnt(0)
	v_fma_f64 v[54:55], v[54:55], v[58:59], -v[60:61]
	v_fma_f64 v[50:51], v[56:57], v[58:59], v[50:51]
	v_add_f64 v[1:2], v[1:2], v[54:55]
	v_add_f64 v[3:4], v[3:4], v[50:51]
	s_andn2_b32 exec_lo, exec_lo, s5
	s_cbranch_execnz .LBB20_136
; %bb.137:
	s_or_b32 exec_lo, exec_lo, s5
.LBB20_138:
	s_or_b32 exec_lo, exec_lo, s28
	v_mov_b32_e32 v49, 0
	ds_read_b128 v[49:52], v49 offset:48
	s_waitcnt lgkmcnt(0)
	v_mul_f64 v[54:55], v[3:4], v[51:52]
	v_mul_f64 v[51:52], v[1:2], v[51:52]
	v_fma_f64 v[1:2], v[1:2], v[49:50], -v[54:55]
	v_fma_f64 v[3:4], v[3:4], v[49:50], v[51:52]
	buffer_store_dword v2, off, s[0:3], 0 offset:52
	buffer_store_dword v1, off, s[0:3], 0 offset:48
	;; [unrolled: 1-line block ×4, first 2 shown]
.LBB20_139:
	s_or_b32 exec_lo, exec_lo, s8
	v_mov_b32_e32 v4, s25
	v_cmp_lt_u32_e64 s5, 2, v0
	s_clause 0x3
	buffer_load_dword v1, v4, s[0:3], 0 offen
	buffer_load_dword v2, v4, s[0:3], 0 offen offset:4
	buffer_load_dword v3, v4, s[0:3], 0 offen offset:8
	;; [unrolled: 1-line block ×3, first 2 shown]
	s_waitcnt vmcnt(0)
	ds_write_b128 v48, v[1:4]
	s_waitcnt lgkmcnt(0)
	s_waitcnt_vscnt null, 0x0
	s_barrier
	buffer_gl0_inv
	s_and_saveexec_b32 s8, s5
	s_cbranch_execz .LBB20_147
; %bb.140:
	ds_read_b128 v[1:4], v48
	s_andn2_b32 vcc_lo, exec_lo, s27
	s_cbranch_vccnz .LBB20_142
; %bb.141:
	s_clause 0x3
	buffer_load_dword v49, v47, s[0:3], 0 offen offset:8
	buffer_load_dword v50, v47, s[0:3], 0 offen offset:12
	buffer_load_dword v51, v47, s[0:3], 0 offen
	buffer_load_dword v52, v47, s[0:3], 0 offen offset:4
	s_waitcnt vmcnt(2) lgkmcnt(0)
	v_mul_f64 v[54:55], v[3:4], v[49:50]
	v_mul_f64 v[49:50], v[1:2], v[49:50]
	s_waitcnt vmcnt(0)
	v_fma_f64 v[1:2], v[1:2], v[51:52], -v[54:55]
	v_fma_f64 v[3:4], v[3:4], v[51:52], v[49:50]
.LBB20_142:
	s_and_saveexec_b32 s28, s4
	s_cbranch_execz .LBB20_146
; %bb.143:
	v_add_nc_u32_e32 v49, -3, v0
	s_movk_i32 s29, 0x180
	s_mov_b32 s4, 0
	s_mov_b32 s30, s24
	.p2align	6
.LBB20_144:                             ; =>This Inner Loop Header: Depth=1
	v_mov_b32_e32 v52, s30
	v_add_nc_u32_e32 v49, -1, v49
	s_add_i32 s30, s30, 16
	s_clause 0x3
	buffer_load_dword v50, v52, s[0:3], 0 offen offset:8
	buffer_load_dword v51, v52, s[0:3], 0 offen offset:12
	buffer_load_dword v58, v52, s[0:3], 0 offen
	buffer_load_dword v59, v52, s[0:3], 0 offen offset:4
	v_mov_b32_e32 v52, s29
	v_cmp_eq_u32_e32 vcc_lo, 0, v49
	s_add_i32 s29, s29, 16
	ds_read_b128 v[54:57], v52
	s_or_b32 s4, vcc_lo, s4
	s_waitcnt vmcnt(2) lgkmcnt(0)
	v_mul_f64 v[60:61], v[56:57], v[50:51]
	v_mul_f64 v[50:51], v[54:55], v[50:51]
	s_waitcnt vmcnt(0)
	v_fma_f64 v[54:55], v[54:55], v[58:59], -v[60:61]
	v_fma_f64 v[50:51], v[56:57], v[58:59], v[50:51]
	v_add_f64 v[1:2], v[1:2], v[54:55]
	v_add_f64 v[3:4], v[3:4], v[50:51]
	s_andn2_b32 exec_lo, exec_lo, s4
	s_cbranch_execnz .LBB20_144
; %bb.145:
	s_or_b32 exec_lo, exec_lo, s4
.LBB20_146:
	s_or_b32 exec_lo, exec_lo, s28
	v_mov_b32_e32 v49, 0
	ds_read_b128 v[49:52], v49 offset:32
	s_waitcnt lgkmcnt(0)
	v_mul_f64 v[54:55], v[3:4], v[51:52]
	v_mul_f64 v[51:52], v[1:2], v[51:52]
	v_fma_f64 v[1:2], v[1:2], v[49:50], -v[54:55]
	v_fma_f64 v[3:4], v[3:4], v[49:50], v[51:52]
	buffer_store_dword v2, off, s[0:3], 0 offset:36
	buffer_store_dword v1, off, s[0:3], 0 offset:32
	;; [unrolled: 1-line block ×4, first 2 shown]
.LBB20_147:
	s_or_b32 exec_lo, exec_lo, s8
	v_mov_b32_e32 v4, s26
	v_cmp_lt_u32_e64 s4, 1, v0
	s_clause 0x3
	buffer_load_dword v1, v4, s[0:3], 0 offen
	buffer_load_dword v2, v4, s[0:3], 0 offen offset:4
	buffer_load_dword v3, v4, s[0:3], 0 offen offset:8
	buffer_load_dword v4, v4, s[0:3], 0 offen offset:12
	s_waitcnt vmcnt(0)
	ds_write_b128 v48, v[1:4]
	s_waitcnt lgkmcnt(0)
	s_waitcnt_vscnt null, 0x0
	s_barrier
	buffer_gl0_inv
	s_and_saveexec_b32 s8, s4
	s_cbranch_execz .LBB20_155
; %bb.148:
	ds_read_b128 v[1:4], v48
	s_andn2_b32 vcc_lo, exec_lo, s27
	s_cbranch_vccnz .LBB20_150
; %bb.149:
	s_clause 0x3
	buffer_load_dword v49, v47, s[0:3], 0 offen offset:8
	buffer_load_dword v50, v47, s[0:3], 0 offen offset:12
	buffer_load_dword v51, v47, s[0:3], 0 offen
	buffer_load_dword v52, v47, s[0:3], 0 offen offset:4
	s_waitcnt vmcnt(2) lgkmcnt(0)
	v_mul_f64 v[54:55], v[3:4], v[49:50]
	v_mul_f64 v[49:50], v[1:2], v[49:50]
	s_waitcnt vmcnt(0)
	v_fma_f64 v[1:2], v[1:2], v[51:52], -v[54:55]
	v_fma_f64 v[3:4], v[3:4], v[51:52], v[49:50]
.LBB20_150:
	s_and_saveexec_b32 s28, s5
	s_cbranch_execz .LBB20_154
; %bb.151:
	v_add_nc_u32_e32 v49, -2, v0
	s_movk_i32 s29, 0x170
	s_mov_b32 s5, 0
	s_mov_b32 s30, s25
	.p2align	6
.LBB20_152:                             ; =>This Inner Loop Header: Depth=1
	v_mov_b32_e32 v52, s30
	v_add_nc_u32_e32 v49, -1, v49
	s_add_i32 s30, s30, 16
	s_clause 0x3
	buffer_load_dword v50, v52, s[0:3], 0 offen offset:8
	buffer_load_dword v51, v52, s[0:3], 0 offen offset:12
	buffer_load_dword v58, v52, s[0:3], 0 offen
	buffer_load_dword v59, v52, s[0:3], 0 offen offset:4
	v_mov_b32_e32 v52, s29
	v_cmp_eq_u32_e32 vcc_lo, 0, v49
	s_add_i32 s29, s29, 16
	ds_read_b128 v[54:57], v52
	s_or_b32 s5, vcc_lo, s5
	s_waitcnt vmcnt(2) lgkmcnt(0)
	v_mul_f64 v[60:61], v[56:57], v[50:51]
	v_mul_f64 v[50:51], v[54:55], v[50:51]
	s_waitcnt vmcnt(0)
	v_fma_f64 v[54:55], v[54:55], v[58:59], -v[60:61]
	v_fma_f64 v[50:51], v[56:57], v[58:59], v[50:51]
	v_add_f64 v[1:2], v[1:2], v[54:55]
	v_add_f64 v[3:4], v[3:4], v[50:51]
	s_andn2_b32 exec_lo, exec_lo, s5
	s_cbranch_execnz .LBB20_152
; %bb.153:
	s_or_b32 exec_lo, exec_lo, s5
.LBB20_154:
	s_or_b32 exec_lo, exec_lo, s28
	v_mov_b32_e32 v49, 0
	ds_read_b128 v[49:52], v49 offset:16
	s_waitcnt lgkmcnt(0)
	v_mul_f64 v[54:55], v[3:4], v[51:52]
	v_mul_f64 v[51:52], v[1:2], v[51:52]
	v_fma_f64 v[1:2], v[1:2], v[49:50], -v[54:55]
	v_fma_f64 v[3:4], v[3:4], v[49:50], v[51:52]
	buffer_store_dword v2, off, s[0:3], 0 offset:20
	buffer_store_dword v1, off, s[0:3], 0 offset:16
	;; [unrolled: 1-line block ×4, first 2 shown]
.LBB20_155:
	s_or_b32 exec_lo, exec_lo, s8
	s_clause 0x3
	buffer_load_dword v1, off, s[0:3], 0
	buffer_load_dword v2, off, s[0:3], 0 offset:4
	buffer_load_dword v3, off, s[0:3], 0 offset:8
	;; [unrolled: 1-line block ×3, first 2 shown]
	s_mov_b32 s8, 0
	s_mov_b32 s5, 0
	s_mov_b32 s28, exec_lo
                                        ; implicit-def: $sgpr29
	s_waitcnt vmcnt(0)
	ds_write_b128 v48, v[1:4]
	s_waitcnt lgkmcnt(0)
	s_waitcnt_vscnt null, 0x0
	s_barrier
	buffer_gl0_inv
                                        ; implicit-def: $vgpr1_vgpr2
	v_cmpx_ne_u32_e32 0, v0
	s_cbranch_execz .LBB20_163
; %bb.156:
	ds_read_b128 v[1:4], v48
	s_andn2_b32 vcc_lo, exec_lo, s27
	s_cbranch_vccnz .LBB20_158
; %bb.157:
	s_clause 0x3
	buffer_load_dword v49, v47, s[0:3], 0 offen offset:8
	buffer_load_dword v50, v47, s[0:3], 0 offen offset:12
	buffer_load_dword v51, v47, s[0:3], 0 offen
	buffer_load_dword v52, v47, s[0:3], 0 offen offset:4
	s_waitcnt vmcnt(2) lgkmcnt(0)
	v_mul_f64 v[54:55], v[3:4], v[49:50]
	v_mul_f64 v[49:50], v[1:2], v[49:50]
	s_waitcnt vmcnt(0)
	v_fma_f64 v[1:2], v[1:2], v[51:52], -v[54:55]
	v_fma_f64 v[3:4], v[3:4], v[51:52], v[49:50]
.LBB20_158:
	s_and_saveexec_b32 s5, s4
	s_cbranch_execz .LBB20_162
; %bb.159:
	v_add_nc_u32_e32 v49, -1, v0
	s_movk_i32 s29, 0x160
	s_mov_b32 s4, 0
	s_mov_b32 s30, s26
	.p2align	6
.LBB20_160:                             ; =>This Inner Loop Header: Depth=1
	v_mov_b32_e32 v52, s30
	v_add_nc_u32_e32 v49, -1, v49
	s_add_i32 s30, s30, 16
	s_clause 0x3
	buffer_load_dword v50, v52, s[0:3], 0 offen offset:8
	buffer_load_dword v51, v52, s[0:3], 0 offen offset:12
	buffer_load_dword v58, v52, s[0:3], 0 offen
	buffer_load_dword v59, v52, s[0:3], 0 offen offset:4
	v_mov_b32_e32 v52, s29
	v_cmp_eq_u32_e32 vcc_lo, 0, v49
	s_add_i32 s29, s29, 16
	ds_read_b128 v[54:57], v52
	s_or_b32 s4, vcc_lo, s4
	s_waitcnt vmcnt(2) lgkmcnt(0)
	v_mul_f64 v[60:61], v[56:57], v[50:51]
	v_mul_f64 v[50:51], v[54:55], v[50:51]
	s_waitcnt vmcnt(0)
	v_fma_f64 v[54:55], v[54:55], v[58:59], -v[60:61]
	v_fma_f64 v[50:51], v[56:57], v[58:59], v[50:51]
	v_add_f64 v[1:2], v[1:2], v[54:55]
	v_add_f64 v[3:4], v[3:4], v[50:51]
	s_andn2_b32 exec_lo, exec_lo, s4
	s_cbranch_execnz .LBB20_160
; %bb.161:
	s_or_b32 exec_lo, exec_lo, s4
.LBB20_162:
	s_or_b32 exec_lo, exec_lo, s5
	v_mov_b32_e32 v49, 0
	s_mov_b32 s5, exec_lo
	s_or_b32 s29, 0, 8
	ds_read_b128 v[49:52], v49
	s_waitcnt lgkmcnt(0)
	v_mul_f64 v[54:55], v[3:4], v[51:52]
	v_mul_f64 v[51:52], v[1:2], v[51:52]
	v_fma_f64 v[54:55], v[1:2], v[49:50], -v[54:55]
	v_fma_f64 v[1:2], v[3:4], v[49:50], v[51:52]
	buffer_store_dword v55, off, s[0:3], 0 offset:4
	buffer_store_dword v54, off, s[0:3], 0
.LBB20_163:
	s_or_b32 exec_lo, exec_lo, s28
	s_and_b32 vcc_lo, exec_lo, s8
	s_cbranch_vccnz .LBB20_165
	s_branch .LBB20_320
.LBB20_164:
	s_mov_b32 s5, 0
                                        ; implicit-def: $vgpr1_vgpr2
                                        ; implicit-def: $sgpr29
	s_cbranch_execz .LBB20_320
.LBB20_165:
	v_mov_b32_e32 v4, s26
	v_cmp_eq_u32_e64 s4, 0, v0
	v_cndmask_b32_e64 v49, 0, 1, s27
	s_clause 0x3
	buffer_load_dword v1, v4, s[0:3], 0 offen
	buffer_load_dword v2, v4, s[0:3], 0 offen offset:4
	buffer_load_dword v3, v4, s[0:3], 0 offen offset:8
	;; [unrolled: 1-line block ×3, first 2 shown]
	s_waitcnt vmcnt(0)
	ds_write_b128 v48, v[1:4]
	s_waitcnt lgkmcnt(0)
	s_waitcnt_vscnt null, 0x0
	s_barrier
	buffer_gl0_inv
	s_and_saveexec_b32 s8, s4
	s_cbranch_execz .LBB20_169
; %bb.166:
	ds_read_b128 v[1:4], v48
	s_andn2_b32 vcc_lo, exec_lo, s27
	s_cbranch_vccnz .LBB20_168
; %bb.167:
	s_clause 0x3
	buffer_load_dword v50, v47, s[0:3], 0 offen offset:8
	buffer_load_dword v51, v47, s[0:3], 0 offen offset:12
	buffer_load_dword v54, v47, s[0:3], 0 offen
	buffer_load_dword v55, v47, s[0:3], 0 offen offset:4
	s_waitcnt vmcnt(2) lgkmcnt(0)
	v_mul_f64 v[56:57], v[3:4], v[50:51]
	v_mul_f64 v[50:51], v[1:2], v[50:51]
	s_waitcnt vmcnt(0)
	v_fma_f64 v[1:2], v[1:2], v[54:55], -v[56:57]
	v_fma_f64 v[3:4], v[3:4], v[54:55], v[50:51]
.LBB20_168:
	v_mov_b32_e32 v50, 0
	ds_read_b128 v[54:57], v50 offset:16
	s_waitcnt lgkmcnt(0)
	v_mul_f64 v[50:51], v[3:4], v[56:57]
	v_mul_f64 v[56:57], v[1:2], v[56:57]
	v_fma_f64 v[1:2], v[1:2], v[54:55], -v[50:51]
	v_fma_f64 v[3:4], v[3:4], v[54:55], v[56:57]
	buffer_store_dword v2, off, s[0:3], 0 offset:20
	buffer_store_dword v1, off, s[0:3], 0 offset:16
	;; [unrolled: 1-line block ×4, first 2 shown]
.LBB20_169:
	s_or_b32 exec_lo, exec_lo, s8
	v_mov_b32_e32 v4, s25
	s_mov_b32 s8, exec_lo
	s_clause 0x3
	buffer_load_dword v1, v4, s[0:3], 0 offen
	buffer_load_dword v2, v4, s[0:3], 0 offen offset:4
	buffer_load_dword v3, v4, s[0:3], 0 offen offset:8
	;; [unrolled: 1-line block ×3, first 2 shown]
	s_waitcnt vmcnt(0)
	ds_write_b128 v48, v[1:4]
	s_waitcnt lgkmcnt(0)
	s_waitcnt_vscnt null, 0x0
	s_barrier
	buffer_gl0_inv
	v_cmpx_gt_u32_e32 2, v0
	s_cbranch_execz .LBB20_175
; %bb.170:
	ds_read_b128 v[1:4], v48
	v_cmp_ne_u32_e32 vcc_lo, 1, v49
	s_cbranch_vccnz .LBB20_172
; %bb.171:
	s_clause 0x3
	buffer_load_dword v50, v47, s[0:3], 0 offen offset:8
	buffer_load_dword v51, v47, s[0:3], 0 offen offset:12
	buffer_load_dword v54, v47, s[0:3], 0 offen
	buffer_load_dword v55, v47, s[0:3], 0 offen offset:4
	s_waitcnt vmcnt(2) lgkmcnt(0)
	v_mul_f64 v[56:57], v[3:4], v[50:51]
	v_mul_f64 v[50:51], v[1:2], v[50:51]
	s_waitcnt vmcnt(0)
	v_fma_f64 v[1:2], v[1:2], v[54:55], -v[56:57]
	v_fma_f64 v[3:4], v[3:4], v[54:55], v[50:51]
.LBB20_172:
	s_and_saveexec_b32 s27, s4
	s_cbranch_execz .LBB20_174
; %bb.173:
	s_clause 0x3
	buffer_load_dword v50, off, s[0:3], 0 offset:24
	buffer_load_dword v51, off, s[0:3], 0 offset:28
	buffer_load_dword v58, off, s[0:3], 0 offset:16
	buffer_load_dword v59, off, s[0:3], 0 offset:20
	v_mov_b32_e32 v52, 0
	ds_read_b128 v[54:57], v52 offset:352
	s_waitcnt vmcnt(2) lgkmcnt(0)
	v_mul_f64 v[60:61], v[56:57], v[50:51]
	v_mul_f64 v[50:51], v[54:55], v[50:51]
	s_waitcnt vmcnt(0)
	v_fma_f64 v[54:55], v[54:55], v[58:59], -v[60:61]
	v_fma_f64 v[50:51], v[56:57], v[58:59], v[50:51]
	v_add_f64 v[1:2], v[1:2], v[54:55]
	v_add_f64 v[3:4], v[3:4], v[50:51]
.LBB20_174:
	s_or_b32 exec_lo, exec_lo, s27
	v_mov_b32_e32 v50, 0
	ds_read_b128 v[54:57], v50 offset:32
	s_waitcnt lgkmcnt(0)
	v_mul_f64 v[50:51], v[3:4], v[56:57]
	v_mul_f64 v[56:57], v[1:2], v[56:57]
	v_fma_f64 v[1:2], v[1:2], v[54:55], -v[50:51]
	v_fma_f64 v[3:4], v[3:4], v[54:55], v[56:57]
	buffer_store_dword v2, off, s[0:3], 0 offset:36
	buffer_store_dword v1, off, s[0:3], 0 offset:32
	;; [unrolled: 1-line block ×4, first 2 shown]
.LBB20_175:
	s_or_b32 exec_lo, exec_lo, s8
	v_mov_b32_e32 v4, s24
	s_mov_b32 s8, exec_lo
	s_clause 0x3
	buffer_load_dword v1, v4, s[0:3], 0 offen
	buffer_load_dword v2, v4, s[0:3], 0 offen offset:4
	buffer_load_dword v3, v4, s[0:3], 0 offen offset:8
	;; [unrolled: 1-line block ×3, first 2 shown]
	s_waitcnt vmcnt(0)
	ds_write_b128 v48, v[1:4]
	s_waitcnt lgkmcnt(0)
	s_waitcnt_vscnt null, 0x0
	s_barrier
	buffer_gl0_inv
	v_cmpx_gt_u32_e32 3, v0
	s_cbranch_execz .LBB20_183
; %bb.176:
	ds_read_b128 v[1:4], v48
	v_cmp_ne_u32_e32 vcc_lo, 1, v49
	s_cbranch_vccnz .LBB20_178
; %bb.177:
	s_clause 0x3
	buffer_load_dword v50, v47, s[0:3], 0 offen offset:8
	buffer_load_dword v51, v47, s[0:3], 0 offen offset:12
	buffer_load_dword v54, v47, s[0:3], 0 offen
	buffer_load_dword v55, v47, s[0:3], 0 offen offset:4
	s_waitcnt vmcnt(2) lgkmcnt(0)
	v_mul_f64 v[56:57], v[3:4], v[50:51]
	v_mul_f64 v[50:51], v[1:2], v[50:51]
	s_waitcnt vmcnt(0)
	v_fma_f64 v[1:2], v[1:2], v[54:55], -v[56:57]
	v_fma_f64 v[3:4], v[3:4], v[54:55], v[50:51]
.LBB20_178:
	s_mov_b32 s27, exec_lo
	v_cmpx_ne_u32_e32 2, v0
	s_cbranch_execz .LBB20_182
; %bb.179:
	s_clause 0x3
	buffer_load_dword v50, v47, s[0:3], 0 offen offset:24
	buffer_load_dword v51, v47, s[0:3], 0 offen offset:28
	;; [unrolled: 1-line block ×4, first 2 shown]
	ds_read_b128 v[54:57], v48 offset:16
	s_waitcnt vmcnt(2) lgkmcnt(0)
	v_mul_f64 v[60:61], v[56:57], v[50:51]
	v_mul_f64 v[50:51], v[54:55], v[50:51]
	s_waitcnt vmcnt(0)
	v_fma_f64 v[54:55], v[54:55], v[58:59], -v[60:61]
	v_fma_f64 v[50:51], v[56:57], v[58:59], v[50:51]
	v_add_f64 v[1:2], v[1:2], v[54:55]
	v_add_f64 v[3:4], v[3:4], v[50:51]
	s_and_saveexec_b32 s28, s4
	s_cbranch_execz .LBB20_181
; %bb.180:
	s_clause 0x3
	buffer_load_dword v50, off, s[0:3], 0 offset:40
	buffer_load_dword v51, off, s[0:3], 0 offset:44
	;; [unrolled: 1-line block ×4, first 2 shown]
	v_mov_b32_e32 v52, 0
	ds_read_b128 v[54:57], v52 offset:368
	s_waitcnt vmcnt(2) lgkmcnt(0)
	v_mul_f64 v[60:61], v[54:55], v[50:51]
	v_mul_f64 v[50:51], v[56:57], v[50:51]
	s_waitcnt vmcnt(0)
	v_fma_f64 v[56:57], v[56:57], v[58:59], v[60:61]
	v_fma_f64 v[50:51], v[54:55], v[58:59], -v[50:51]
	v_add_f64 v[3:4], v[3:4], v[56:57]
	v_add_f64 v[1:2], v[1:2], v[50:51]
.LBB20_181:
	s_or_b32 exec_lo, exec_lo, s28
.LBB20_182:
	s_or_b32 exec_lo, exec_lo, s27
	v_mov_b32_e32 v50, 0
	ds_read_b128 v[54:57], v50 offset:48
	s_waitcnt lgkmcnt(0)
	v_mul_f64 v[50:51], v[3:4], v[56:57]
	v_mul_f64 v[56:57], v[1:2], v[56:57]
	v_fma_f64 v[1:2], v[1:2], v[54:55], -v[50:51]
	v_fma_f64 v[3:4], v[3:4], v[54:55], v[56:57]
	buffer_store_dword v2, off, s[0:3], 0 offset:52
	buffer_store_dword v1, off, s[0:3], 0 offset:48
	;; [unrolled: 1-line block ×4, first 2 shown]
.LBB20_183:
	s_or_b32 exec_lo, exec_lo, s8
	v_mov_b32_e32 v4, s23
	s_mov_b32 s4, exec_lo
	s_clause 0x3
	buffer_load_dword v1, v4, s[0:3], 0 offen
	buffer_load_dword v2, v4, s[0:3], 0 offen offset:4
	buffer_load_dword v3, v4, s[0:3], 0 offen offset:8
	;; [unrolled: 1-line block ×3, first 2 shown]
	s_waitcnt vmcnt(0)
	ds_write_b128 v48, v[1:4]
	s_waitcnt lgkmcnt(0)
	s_waitcnt_vscnt null, 0x0
	s_barrier
	buffer_gl0_inv
	v_cmpx_gt_u32_e32 4, v0
	s_cbranch_execz .LBB20_191
; %bb.184:
	ds_read_b128 v[1:4], v48
	v_cmp_ne_u32_e32 vcc_lo, 1, v49
	s_cbranch_vccnz .LBB20_186
; %bb.185:
	s_clause 0x3
	buffer_load_dword v50, v47, s[0:3], 0 offen offset:8
	buffer_load_dword v51, v47, s[0:3], 0 offen offset:12
	buffer_load_dword v54, v47, s[0:3], 0 offen
	buffer_load_dword v55, v47, s[0:3], 0 offen offset:4
	s_waitcnt vmcnt(2) lgkmcnt(0)
	v_mul_f64 v[56:57], v[3:4], v[50:51]
	v_mul_f64 v[50:51], v[1:2], v[50:51]
	s_waitcnt vmcnt(0)
	v_fma_f64 v[1:2], v[1:2], v[54:55], -v[56:57]
	v_fma_f64 v[3:4], v[3:4], v[54:55], v[50:51]
.LBB20_186:
	s_mov_b32 s8, exec_lo
	v_cmpx_ne_u32_e32 3, v0
	s_cbranch_execz .LBB20_190
; %bb.187:
	v_add_nc_u32_e32 v50, 0x160, v53
	v_add3_u32 v51, 0, v53, 16
	v_mov_b32_e32 v52, v0
	s_mov_b32 s27, 0
	.p2align	6
.LBB20_188:                             ; =>This Inner Loop Header: Depth=1
	s_clause 0x3
	buffer_load_dword v58, v51, s[0:3], 0 offen offset:8
	buffer_load_dword v59, v51, s[0:3], 0 offen offset:12
	buffer_load_dword v60, v51, s[0:3], 0 offen
	buffer_load_dword v61, v51, s[0:3], 0 offen offset:4
	ds_read_b128 v[54:57], v50
	v_add_nc_u32_e32 v52, 1, v52
	v_add_nc_u32_e32 v50, 16, v50
	;; [unrolled: 1-line block ×3, first 2 shown]
	v_cmp_lt_u32_e32 vcc_lo, 2, v52
	s_or_b32 s27, vcc_lo, s27
	s_waitcnt vmcnt(2) lgkmcnt(0)
	v_mul_f64 v[62:63], v[56:57], v[58:59]
	v_mul_f64 v[58:59], v[54:55], v[58:59]
	s_waitcnt vmcnt(0)
	v_fma_f64 v[54:55], v[54:55], v[60:61], -v[62:63]
	v_fma_f64 v[56:57], v[56:57], v[60:61], v[58:59]
	v_add_f64 v[1:2], v[1:2], v[54:55]
	v_add_f64 v[3:4], v[3:4], v[56:57]
	s_andn2_b32 exec_lo, exec_lo, s27
	s_cbranch_execnz .LBB20_188
; %bb.189:
	s_or_b32 exec_lo, exec_lo, s27
.LBB20_190:
	s_or_b32 exec_lo, exec_lo, s8
	v_mov_b32_e32 v50, 0
	ds_read_b128 v[54:57], v50 offset:64
	s_waitcnt lgkmcnt(0)
	v_mul_f64 v[50:51], v[3:4], v[56:57]
	v_mul_f64 v[56:57], v[1:2], v[56:57]
	v_fma_f64 v[1:2], v[1:2], v[54:55], -v[50:51]
	v_fma_f64 v[3:4], v[3:4], v[54:55], v[56:57]
	buffer_store_dword v2, off, s[0:3], 0 offset:68
	buffer_store_dword v1, off, s[0:3], 0 offset:64
	;; [unrolled: 1-line block ×4, first 2 shown]
.LBB20_191:
	s_or_b32 exec_lo, exec_lo, s4
	v_mov_b32_e32 v4, s22
	s_mov_b32 s4, exec_lo
	s_clause 0x3
	buffer_load_dword v1, v4, s[0:3], 0 offen
	buffer_load_dword v2, v4, s[0:3], 0 offen offset:4
	buffer_load_dword v3, v4, s[0:3], 0 offen offset:8
	;; [unrolled: 1-line block ×3, first 2 shown]
	s_waitcnt vmcnt(0)
	ds_write_b128 v48, v[1:4]
	s_waitcnt lgkmcnt(0)
	s_waitcnt_vscnt null, 0x0
	s_barrier
	buffer_gl0_inv
	v_cmpx_gt_u32_e32 5, v0
	s_cbranch_execz .LBB20_199
; %bb.192:
	ds_read_b128 v[1:4], v48
	v_cmp_ne_u32_e32 vcc_lo, 1, v49
	s_cbranch_vccnz .LBB20_194
; %bb.193:
	s_clause 0x3
	buffer_load_dword v50, v47, s[0:3], 0 offen offset:8
	buffer_load_dword v51, v47, s[0:3], 0 offen offset:12
	buffer_load_dword v54, v47, s[0:3], 0 offen
	buffer_load_dword v55, v47, s[0:3], 0 offen offset:4
	s_waitcnt vmcnt(2) lgkmcnt(0)
	v_mul_f64 v[56:57], v[3:4], v[50:51]
	v_mul_f64 v[50:51], v[1:2], v[50:51]
	s_waitcnt vmcnt(0)
	v_fma_f64 v[1:2], v[1:2], v[54:55], -v[56:57]
	v_fma_f64 v[3:4], v[3:4], v[54:55], v[50:51]
.LBB20_194:
	s_mov_b32 s8, exec_lo
	v_cmpx_ne_u32_e32 4, v0
	s_cbranch_execz .LBB20_198
; %bb.195:
	v_add_nc_u32_e32 v50, 0x160, v53
	v_add3_u32 v51, 0, v53, 16
	v_mov_b32_e32 v52, v0
	s_mov_b32 s27, 0
	.p2align	6
.LBB20_196:                             ; =>This Inner Loop Header: Depth=1
	s_clause 0x3
	buffer_load_dword v58, v51, s[0:3], 0 offen offset:8
	buffer_load_dword v59, v51, s[0:3], 0 offen offset:12
	buffer_load_dword v60, v51, s[0:3], 0 offen
	buffer_load_dword v61, v51, s[0:3], 0 offen offset:4
	ds_read_b128 v[54:57], v50
	v_add_nc_u32_e32 v52, 1, v52
	v_add_nc_u32_e32 v50, 16, v50
	;; [unrolled: 1-line block ×3, first 2 shown]
	v_cmp_lt_u32_e32 vcc_lo, 3, v52
	s_or_b32 s27, vcc_lo, s27
	s_waitcnt vmcnt(2) lgkmcnt(0)
	v_mul_f64 v[62:63], v[56:57], v[58:59]
	v_mul_f64 v[58:59], v[54:55], v[58:59]
	s_waitcnt vmcnt(0)
	v_fma_f64 v[54:55], v[54:55], v[60:61], -v[62:63]
	v_fma_f64 v[56:57], v[56:57], v[60:61], v[58:59]
	v_add_f64 v[1:2], v[1:2], v[54:55]
	v_add_f64 v[3:4], v[3:4], v[56:57]
	s_andn2_b32 exec_lo, exec_lo, s27
	s_cbranch_execnz .LBB20_196
; %bb.197:
	s_or_b32 exec_lo, exec_lo, s27
.LBB20_198:
	s_or_b32 exec_lo, exec_lo, s8
	v_mov_b32_e32 v50, 0
	ds_read_b128 v[54:57], v50 offset:80
	s_waitcnt lgkmcnt(0)
	v_mul_f64 v[50:51], v[3:4], v[56:57]
	v_mul_f64 v[56:57], v[1:2], v[56:57]
	v_fma_f64 v[1:2], v[1:2], v[54:55], -v[50:51]
	v_fma_f64 v[3:4], v[3:4], v[54:55], v[56:57]
	buffer_store_dword v2, off, s[0:3], 0 offset:84
	buffer_store_dword v1, off, s[0:3], 0 offset:80
	;; [unrolled: 1-line block ×4, first 2 shown]
.LBB20_199:
	s_or_b32 exec_lo, exec_lo, s4
	v_mov_b32_e32 v4, s21
	s_mov_b32 s4, exec_lo
	s_clause 0x3
	buffer_load_dword v1, v4, s[0:3], 0 offen
	buffer_load_dword v2, v4, s[0:3], 0 offen offset:4
	buffer_load_dword v3, v4, s[0:3], 0 offen offset:8
	;; [unrolled: 1-line block ×3, first 2 shown]
	s_waitcnt vmcnt(0)
	ds_write_b128 v48, v[1:4]
	s_waitcnt lgkmcnt(0)
	s_waitcnt_vscnt null, 0x0
	s_barrier
	buffer_gl0_inv
	v_cmpx_gt_u32_e32 6, v0
	s_cbranch_execz .LBB20_207
; %bb.200:
	ds_read_b128 v[1:4], v48
	v_cmp_ne_u32_e32 vcc_lo, 1, v49
	s_cbranch_vccnz .LBB20_202
; %bb.201:
	s_clause 0x3
	buffer_load_dword v50, v47, s[0:3], 0 offen offset:8
	buffer_load_dword v51, v47, s[0:3], 0 offen offset:12
	buffer_load_dword v54, v47, s[0:3], 0 offen
	buffer_load_dword v55, v47, s[0:3], 0 offen offset:4
	s_waitcnt vmcnt(2) lgkmcnt(0)
	v_mul_f64 v[56:57], v[3:4], v[50:51]
	v_mul_f64 v[50:51], v[1:2], v[50:51]
	s_waitcnt vmcnt(0)
	v_fma_f64 v[1:2], v[1:2], v[54:55], -v[56:57]
	v_fma_f64 v[3:4], v[3:4], v[54:55], v[50:51]
.LBB20_202:
	s_mov_b32 s8, exec_lo
	v_cmpx_ne_u32_e32 5, v0
	s_cbranch_execz .LBB20_206
; %bb.203:
	v_add_nc_u32_e32 v50, 0x160, v53
	v_add3_u32 v51, 0, v53, 16
	v_mov_b32_e32 v52, v0
	s_mov_b32 s27, 0
	.p2align	6
.LBB20_204:                             ; =>This Inner Loop Header: Depth=1
	s_clause 0x3
	buffer_load_dword v58, v51, s[0:3], 0 offen offset:8
	buffer_load_dword v59, v51, s[0:3], 0 offen offset:12
	buffer_load_dword v60, v51, s[0:3], 0 offen
	buffer_load_dword v61, v51, s[0:3], 0 offen offset:4
	ds_read_b128 v[54:57], v50
	v_add_nc_u32_e32 v52, 1, v52
	v_add_nc_u32_e32 v50, 16, v50
	;; [unrolled: 1-line block ×3, first 2 shown]
	v_cmp_lt_u32_e32 vcc_lo, 4, v52
	s_or_b32 s27, vcc_lo, s27
	s_waitcnt vmcnt(2) lgkmcnt(0)
	v_mul_f64 v[62:63], v[56:57], v[58:59]
	v_mul_f64 v[58:59], v[54:55], v[58:59]
	s_waitcnt vmcnt(0)
	v_fma_f64 v[54:55], v[54:55], v[60:61], -v[62:63]
	v_fma_f64 v[56:57], v[56:57], v[60:61], v[58:59]
	v_add_f64 v[1:2], v[1:2], v[54:55]
	v_add_f64 v[3:4], v[3:4], v[56:57]
	s_andn2_b32 exec_lo, exec_lo, s27
	s_cbranch_execnz .LBB20_204
; %bb.205:
	s_or_b32 exec_lo, exec_lo, s27
.LBB20_206:
	s_or_b32 exec_lo, exec_lo, s8
	v_mov_b32_e32 v50, 0
	ds_read_b128 v[54:57], v50 offset:96
	s_waitcnt lgkmcnt(0)
	v_mul_f64 v[50:51], v[3:4], v[56:57]
	v_mul_f64 v[56:57], v[1:2], v[56:57]
	v_fma_f64 v[1:2], v[1:2], v[54:55], -v[50:51]
	v_fma_f64 v[3:4], v[3:4], v[54:55], v[56:57]
	buffer_store_dword v2, off, s[0:3], 0 offset:100
	buffer_store_dword v1, off, s[0:3], 0 offset:96
	;; [unrolled: 1-line block ×4, first 2 shown]
.LBB20_207:
	s_or_b32 exec_lo, exec_lo, s4
	v_mov_b32_e32 v4, s20
	s_mov_b32 s4, exec_lo
	s_clause 0x3
	buffer_load_dword v1, v4, s[0:3], 0 offen
	buffer_load_dword v2, v4, s[0:3], 0 offen offset:4
	buffer_load_dword v3, v4, s[0:3], 0 offen offset:8
	;; [unrolled: 1-line block ×3, first 2 shown]
	s_waitcnt vmcnt(0)
	ds_write_b128 v48, v[1:4]
	s_waitcnt lgkmcnt(0)
	s_waitcnt_vscnt null, 0x0
	s_barrier
	buffer_gl0_inv
	v_cmpx_gt_u32_e32 7, v0
	s_cbranch_execz .LBB20_215
; %bb.208:
	ds_read_b128 v[1:4], v48
	v_cmp_ne_u32_e32 vcc_lo, 1, v49
	s_cbranch_vccnz .LBB20_210
; %bb.209:
	s_clause 0x3
	buffer_load_dword v50, v47, s[0:3], 0 offen offset:8
	buffer_load_dword v51, v47, s[0:3], 0 offen offset:12
	buffer_load_dword v54, v47, s[0:3], 0 offen
	buffer_load_dword v55, v47, s[0:3], 0 offen offset:4
	s_waitcnt vmcnt(2) lgkmcnt(0)
	v_mul_f64 v[56:57], v[3:4], v[50:51]
	v_mul_f64 v[50:51], v[1:2], v[50:51]
	s_waitcnt vmcnt(0)
	v_fma_f64 v[1:2], v[1:2], v[54:55], -v[56:57]
	v_fma_f64 v[3:4], v[3:4], v[54:55], v[50:51]
.LBB20_210:
	s_mov_b32 s8, exec_lo
	v_cmpx_ne_u32_e32 6, v0
	s_cbranch_execz .LBB20_214
; %bb.211:
	v_add_nc_u32_e32 v50, 0x160, v53
	v_add3_u32 v51, 0, v53, 16
	v_mov_b32_e32 v52, v0
	s_mov_b32 s27, 0
	.p2align	6
.LBB20_212:                             ; =>This Inner Loop Header: Depth=1
	s_clause 0x3
	buffer_load_dword v58, v51, s[0:3], 0 offen offset:8
	buffer_load_dword v59, v51, s[0:3], 0 offen offset:12
	buffer_load_dword v60, v51, s[0:3], 0 offen
	buffer_load_dword v61, v51, s[0:3], 0 offen offset:4
	ds_read_b128 v[54:57], v50
	v_add_nc_u32_e32 v52, 1, v52
	v_add_nc_u32_e32 v50, 16, v50
	;; [unrolled: 1-line block ×3, first 2 shown]
	v_cmp_lt_u32_e32 vcc_lo, 5, v52
	s_or_b32 s27, vcc_lo, s27
	s_waitcnt vmcnt(2) lgkmcnt(0)
	v_mul_f64 v[62:63], v[56:57], v[58:59]
	v_mul_f64 v[58:59], v[54:55], v[58:59]
	s_waitcnt vmcnt(0)
	v_fma_f64 v[54:55], v[54:55], v[60:61], -v[62:63]
	v_fma_f64 v[56:57], v[56:57], v[60:61], v[58:59]
	v_add_f64 v[1:2], v[1:2], v[54:55]
	v_add_f64 v[3:4], v[3:4], v[56:57]
	s_andn2_b32 exec_lo, exec_lo, s27
	s_cbranch_execnz .LBB20_212
; %bb.213:
	s_or_b32 exec_lo, exec_lo, s27
.LBB20_214:
	s_or_b32 exec_lo, exec_lo, s8
	v_mov_b32_e32 v50, 0
	ds_read_b128 v[54:57], v50 offset:112
	s_waitcnt lgkmcnt(0)
	v_mul_f64 v[50:51], v[3:4], v[56:57]
	v_mul_f64 v[56:57], v[1:2], v[56:57]
	v_fma_f64 v[1:2], v[1:2], v[54:55], -v[50:51]
	v_fma_f64 v[3:4], v[3:4], v[54:55], v[56:57]
	buffer_store_dword v2, off, s[0:3], 0 offset:116
	buffer_store_dword v1, off, s[0:3], 0 offset:112
	;; [unrolled: 1-line block ×4, first 2 shown]
.LBB20_215:
	s_or_b32 exec_lo, exec_lo, s4
	v_mov_b32_e32 v4, s19
	s_mov_b32 s4, exec_lo
	s_clause 0x3
	buffer_load_dword v1, v4, s[0:3], 0 offen
	buffer_load_dword v2, v4, s[0:3], 0 offen offset:4
	buffer_load_dword v3, v4, s[0:3], 0 offen offset:8
	;; [unrolled: 1-line block ×3, first 2 shown]
	s_waitcnt vmcnt(0)
	ds_write_b128 v48, v[1:4]
	s_waitcnt lgkmcnt(0)
	s_waitcnt_vscnt null, 0x0
	s_barrier
	buffer_gl0_inv
	v_cmpx_gt_u32_e32 8, v0
	s_cbranch_execz .LBB20_223
; %bb.216:
	ds_read_b128 v[1:4], v48
	v_cmp_ne_u32_e32 vcc_lo, 1, v49
	s_cbranch_vccnz .LBB20_218
; %bb.217:
	s_clause 0x3
	buffer_load_dword v50, v47, s[0:3], 0 offen offset:8
	buffer_load_dword v51, v47, s[0:3], 0 offen offset:12
	buffer_load_dword v54, v47, s[0:3], 0 offen
	buffer_load_dword v55, v47, s[0:3], 0 offen offset:4
	s_waitcnt vmcnt(2) lgkmcnt(0)
	v_mul_f64 v[56:57], v[3:4], v[50:51]
	v_mul_f64 v[50:51], v[1:2], v[50:51]
	s_waitcnt vmcnt(0)
	v_fma_f64 v[1:2], v[1:2], v[54:55], -v[56:57]
	v_fma_f64 v[3:4], v[3:4], v[54:55], v[50:51]
.LBB20_218:
	s_mov_b32 s8, exec_lo
	v_cmpx_ne_u32_e32 7, v0
	s_cbranch_execz .LBB20_222
; %bb.219:
	v_add_nc_u32_e32 v50, 0x160, v53
	v_add3_u32 v51, 0, v53, 16
	v_mov_b32_e32 v52, v0
	s_mov_b32 s27, 0
	.p2align	6
.LBB20_220:                             ; =>This Inner Loop Header: Depth=1
	s_clause 0x3
	buffer_load_dword v58, v51, s[0:3], 0 offen offset:8
	buffer_load_dword v59, v51, s[0:3], 0 offen offset:12
	buffer_load_dword v60, v51, s[0:3], 0 offen
	buffer_load_dword v61, v51, s[0:3], 0 offen offset:4
	ds_read_b128 v[54:57], v50
	v_add_nc_u32_e32 v52, 1, v52
	v_add_nc_u32_e32 v50, 16, v50
	;; [unrolled: 1-line block ×3, first 2 shown]
	v_cmp_lt_u32_e32 vcc_lo, 6, v52
	s_or_b32 s27, vcc_lo, s27
	s_waitcnt vmcnt(2) lgkmcnt(0)
	v_mul_f64 v[62:63], v[56:57], v[58:59]
	v_mul_f64 v[58:59], v[54:55], v[58:59]
	s_waitcnt vmcnt(0)
	v_fma_f64 v[54:55], v[54:55], v[60:61], -v[62:63]
	v_fma_f64 v[56:57], v[56:57], v[60:61], v[58:59]
	v_add_f64 v[1:2], v[1:2], v[54:55]
	v_add_f64 v[3:4], v[3:4], v[56:57]
	s_andn2_b32 exec_lo, exec_lo, s27
	s_cbranch_execnz .LBB20_220
; %bb.221:
	s_or_b32 exec_lo, exec_lo, s27
.LBB20_222:
	s_or_b32 exec_lo, exec_lo, s8
	v_mov_b32_e32 v50, 0
	ds_read_b128 v[54:57], v50 offset:128
	s_waitcnt lgkmcnt(0)
	v_mul_f64 v[50:51], v[3:4], v[56:57]
	v_mul_f64 v[56:57], v[1:2], v[56:57]
	v_fma_f64 v[1:2], v[1:2], v[54:55], -v[50:51]
	v_fma_f64 v[3:4], v[3:4], v[54:55], v[56:57]
	buffer_store_dword v2, off, s[0:3], 0 offset:132
	buffer_store_dword v1, off, s[0:3], 0 offset:128
	;; [unrolled: 1-line block ×4, first 2 shown]
.LBB20_223:
	s_or_b32 exec_lo, exec_lo, s4
	v_mov_b32_e32 v4, s18
	s_mov_b32 s4, exec_lo
	s_clause 0x3
	buffer_load_dword v1, v4, s[0:3], 0 offen
	buffer_load_dword v2, v4, s[0:3], 0 offen offset:4
	buffer_load_dword v3, v4, s[0:3], 0 offen offset:8
	;; [unrolled: 1-line block ×3, first 2 shown]
	s_waitcnt vmcnt(0)
	ds_write_b128 v48, v[1:4]
	s_waitcnt lgkmcnt(0)
	s_waitcnt_vscnt null, 0x0
	s_barrier
	buffer_gl0_inv
	v_cmpx_gt_u32_e32 9, v0
	s_cbranch_execz .LBB20_231
; %bb.224:
	ds_read_b128 v[1:4], v48
	v_cmp_ne_u32_e32 vcc_lo, 1, v49
	s_cbranch_vccnz .LBB20_226
; %bb.225:
	s_clause 0x3
	buffer_load_dword v50, v47, s[0:3], 0 offen offset:8
	buffer_load_dword v51, v47, s[0:3], 0 offen offset:12
	buffer_load_dword v54, v47, s[0:3], 0 offen
	buffer_load_dword v55, v47, s[0:3], 0 offen offset:4
	s_waitcnt vmcnt(2) lgkmcnt(0)
	v_mul_f64 v[56:57], v[3:4], v[50:51]
	v_mul_f64 v[50:51], v[1:2], v[50:51]
	s_waitcnt vmcnt(0)
	v_fma_f64 v[1:2], v[1:2], v[54:55], -v[56:57]
	v_fma_f64 v[3:4], v[3:4], v[54:55], v[50:51]
.LBB20_226:
	s_mov_b32 s8, exec_lo
	v_cmpx_ne_u32_e32 8, v0
	s_cbranch_execz .LBB20_230
; %bb.227:
	v_add_nc_u32_e32 v50, 0x160, v53
	v_add3_u32 v51, 0, v53, 16
	v_mov_b32_e32 v52, v0
	s_mov_b32 s27, 0
	.p2align	6
.LBB20_228:                             ; =>This Inner Loop Header: Depth=1
	s_clause 0x3
	buffer_load_dword v58, v51, s[0:3], 0 offen offset:8
	buffer_load_dword v59, v51, s[0:3], 0 offen offset:12
	buffer_load_dword v60, v51, s[0:3], 0 offen
	buffer_load_dword v61, v51, s[0:3], 0 offen offset:4
	ds_read_b128 v[54:57], v50
	v_add_nc_u32_e32 v52, 1, v52
	v_add_nc_u32_e32 v50, 16, v50
	;; [unrolled: 1-line block ×3, first 2 shown]
	v_cmp_lt_u32_e32 vcc_lo, 7, v52
	s_or_b32 s27, vcc_lo, s27
	s_waitcnt vmcnt(2) lgkmcnt(0)
	v_mul_f64 v[62:63], v[56:57], v[58:59]
	v_mul_f64 v[58:59], v[54:55], v[58:59]
	s_waitcnt vmcnt(0)
	v_fma_f64 v[54:55], v[54:55], v[60:61], -v[62:63]
	v_fma_f64 v[56:57], v[56:57], v[60:61], v[58:59]
	v_add_f64 v[1:2], v[1:2], v[54:55]
	v_add_f64 v[3:4], v[3:4], v[56:57]
	s_andn2_b32 exec_lo, exec_lo, s27
	s_cbranch_execnz .LBB20_228
; %bb.229:
	s_or_b32 exec_lo, exec_lo, s27
.LBB20_230:
	s_or_b32 exec_lo, exec_lo, s8
	v_mov_b32_e32 v50, 0
	ds_read_b128 v[54:57], v50 offset:144
	s_waitcnt lgkmcnt(0)
	v_mul_f64 v[50:51], v[3:4], v[56:57]
	v_mul_f64 v[56:57], v[1:2], v[56:57]
	v_fma_f64 v[1:2], v[1:2], v[54:55], -v[50:51]
	v_fma_f64 v[3:4], v[3:4], v[54:55], v[56:57]
	buffer_store_dword v2, off, s[0:3], 0 offset:148
	buffer_store_dword v1, off, s[0:3], 0 offset:144
	;; [unrolled: 1-line block ×4, first 2 shown]
.LBB20_231:
	s_or_b32 exec_lo, exec_lo, s4
	v_mov_b32_e32 v4, s17
	s_mov_b32 s4, exec_lo
	s_clause 0x3
	buffer_load_dword v1, v4, s[0:3], 0 offen
	buffer_load_dword v2, v4, s[0:3], 0 offen offset:4
	buffer_load_dword v3, v4, s[0:3], 0 offen offset:8
	;; [unrolled: 1-line block ×3, first 2 shown]
	s_waitcnt vmcnt(0)
	ds_write_b128 v48, v[1:4]
	s_waitcnt lgkmcnt(0)
	s_waitcnt_vscnt null, 0x0
	s_barrier
	buffer_gl0_inv
	v_cmpx_gt_u32_e32 10, v0
	s_cbranch_execz .LBB20_239
; %bb.232:
	ds_read_b128 v[1:4], v48
	v_cmp_ne_u32_e32 vcc_lo, 1, v49
	s_cbranch_vccnz .LBB20_234
; %bb.233:
	s_clause 0x3
	buffer_load_dword v50, v47, s[0:3], 0 offen offset:8
	buffer_load_dword v51, v47, s[0:3], 0 offen offset:12
	buffer_load_dword v54, v47, s[0:3], 0 offen
	buffer_load_dword v55, v47, s[0:3], 0 offen offset:4
	s_waitcnt vmcnt(2) lgkmcnt(0)
	v_mul_f64 v[56:57], v[3:4], v[50:51]
	v_mul_f64 v[50:51], v[1:2], v[50:51]
	s_waitcnt vmcnt(0)
	v_fma_f64 v[1:2], v[1:2], v[54:55], -v[56:57]
	v_fma_f64 v[3:4], v[3:4], v[54:55], v[50:51]
.LBB20_234:
	s_mov_b32 s8, exec_lo
	v_cmpx_ne_u32_e32 9, v0
	s_cbranch_execz .LBB20_238
; %bb.235:
	v_add_nc_u32_e32 v50, 0x160, v53
	v_add3_u32 v51, 0, v53, 16
	v_mov_b32_e32 v52, v0
	s_mov_b32 s27, 0
	.p2align	6
.LBB20_236:                             ; =>This Inner Loop Header: Depth=1
	s_clause 0x3
	buffer_load_dword v58, v51, s[0:3], 0 offen offset:8
	buffer_load_dword v59, v51, s[0:3], 0 offen offset:12
	buffer_load_dword v60, v51, s[0:3], 0 offen
	buffer_load_dword v61, v51, s[0:3], 0 offen offset:4
	ds_read_b128 v[54:57], v50
	v_add_nc_u32_e32 v52, 1, v52
	v_add_nc_u32_e32 v50, 16, v50
	;; [unrolled: 1-line block ×3, first 2 shown]
	v_cmp_lt_u32_e32 vcc_lo, 8, v52
	s_or_b32 s27, vcc_lo, s27
	s_waitcnt vmcnt(2) lgkmcnt(0)
	v_mul_f64 v[62:63], v[56:57], v[58:59]
	v_mul_f64 v[58:59], v[54:55], v[58:59]
	s_waitcnt vmcnt(0)
	v_fma_f64 v[54:55], v[54:55], v[60:61], -v[62:63]
	v_fma_f64 v[56:57], v[56:57], v[60:61], v[58:59]
	v_add_f64 v[1:2], v[1:2], v[54:55]
	v_add_f64 v[3:4], v[3:4], v[56:57]
	s_andn2_b32 exec_lo, exec_lo, s27
	s_cbranch_execnz .LBB20_236
; %bb.237:
	s_or_b32 exec_lo, exec_lo, s27
.LBB20_238:
	s_or_b32 exec_lo, exec_lo, s8
	v_mov_b32_e32 v50, 0
	ds_read_b128 v[54:57], v50 offset:160
	s_waitcnt lgkmcnt(0)
	v_mul_f64 v[50:51], v[3:4], v[56:57]
	v_mul_f64 v[56:57], v[1:2], v[56:57]
	v_fma_f64 v[1:2], v[1:2], v[54:55], -v[50:51]
	v_fma_f64 v[3:4], v[3:4], v[54:55], v[56:57]
	buffer_store_dword v2, off, s[0:3], 0 offset:164
	buffer_store_dword v1, off, s[0:3], 0 offset:160
	;; [unrolled: 1-line block ×4, first 2 shown]
.LBB20_239:
	s_or_b32 exec_lo, exec_lo, s4
	v_mov_b32_e32 v4, s16
	s_mov_b32 s4, exec_lo
	s_clause 0x3
	buffer_load_dword v1, v4, s[0:3], 0 offen
	buffer_load_dword v2, v4, s[0:3], 0 offen offset:4
	buffer_load_dword v3, v4, s[0:3], 0 offen offset:8
	;; [unrolled: 1-line block ×3, first 2 shown]
	s_waitcnt vmcnt(0)
	ds_write_b128 v48, v[1:4]
	s_waitcnt lgkmcnt(0)
	s_waitcnt_vscnt null, 0x0
	s_barrier
	buffer_gl0_inv
	v_cmpx_gt_u32_e32 11, v0
	s_cbranch_execz .LBB20_247
; %bb.240:
	ds_read_b128 v[1:4], v48
	v_cmp_ne_u32_e32 vcc_lo, 1, v49
	s_cbranch_vccnz .LBB20_242
; %bb.241:
	s_clause 0x3
	buffer_load_dword v50, v47, s[0:3], 0 offen offset:8
	buffer_load_dword v51, v47, s[0:3], 0 offen offset:12
	buffer_load_dword v54, v47, s[0:3], 0 offen
	buffer_load_dword v55, v47, s[0:3], 0 offen offset:4
	s_waitcnt vmcnt(2) lgkmcnt(0)
	v_mul_f64 v[56:57], v[3:4], v[50:51]
	v_mul_f64 v[50:51], v[1:2], v[50:51]
	s_waitcnt vmcnt(0)
	v_fma_f64 v[1:2], v[1:2], v[54:55], -v[56:57]
	v_fma_f64 v[3:4], v[3:4], v[54:55], v[50:51]
.LBB20_242:
	s_mov_b32 s8, exec_lo
	v_cmpx_ne_u32_e32 10, v0
	s_cbranch_execz .LBB20_246
; %bb.243:
	v_add_nc_u32_e32 v50, 0x160, v53
	v_add3_u32 v51, 0, v53, 16
	v_mov_b32_e32 v52, v0
	s_mov_b32 s27, 0
	.p2align	6
.LBB20_244:                             ; =>This Inner Loop Header: Depth=1
	s_clause 0x3
	buffer_load_dword v58, v51, s[0:3], 0 offen offset:8
	buffer_load_dword v59, v51, s[0:3], 0 offen offset:12
	buffer_load_dword v60, v51, s[0:3], 0 offen
	buffer_load_dword v61, v51, s[0:3], 0 offen offset:4
	ds_read_b128 v[54:57], v50
	v_add_nc_u32_e32 v52, 1, v52
	v_add_nc_u32_e32 v50, 16, v50
	;; [unrolled: 1-line block ×3, first 2 shown]
	v_cmp_lt_u32_e32 vcc_lo, 9, v52
	s_or_b32 s27, vcc_lo, s27
	s_waitcnt vmcnt(2) lgkmcnt(0)
	v_mul_f64 v[62:63], v[56:57], v[58:59]
	v_mul_f64 v[58:59], v[54:55], v[58:59]
	s_waitcnt vmcnt(0)
	v_fma_f64 v[54:55], v[54:55], v[60:61], -v[62:63]
	v_fma_f64 v[56:57], v[56:57], v[60:61], v[58:59]
	v_add_f64 v[1:2], v[1:2], v[54:55]
	v_add_f64 v[3:4], v[3:4], v[56:57]
	s_andn2_b32 exec_lo, exec_lo, s27
	s_cbranch_execnz .LBB20_244
; %bb.245:
	s_or_b32 exec_lo, exec_lo, s27
.LBB20_246:
	s_or_b32 exec_lo, exec_lo, s8
	v_mov_b32_e32 v50, 0
	ds_read_b128 v[54:57], v50 offset:176
	s_waitcnt lgkmcnt(0)
	v_mul_f64 v[50:51], v[3:4], v[56:57]
	v_mul_f64 v[56:57], v[1:2], v[56:57]
	v_fma_f64 v[1:2], v[1:2], v[54:55], -v[50:51]
	v_fma_f64 v[3:4], v[3:4], v[54:55], v[56:57]
	buffer_store_dword v2, off, s[0:3], 0 offset:180
	buffer_store_dword v1, off, s[0:3], 0 offset:176
	;; [unrolled: 1-line block ×4, first 2 shown]
.LBB20_247:
	s_or_b32 exec_lo, exec_lo, s4
	v_mov_b32_e32 v4, s15
	s_mov_b32 s4, exec_lo
	s_clause 0x3
	buffer_load_dword v1, v4, s[0:3], 0 offen
	buffer_load_dword v2, v4, s[0:3], 0 offen offset:4
	buffer_load_dword v3, v4, s[0:3], 0 offen offset:8
	;; [unrolled: 1-line block ×3, first 2 shown]
	s_waitcnt vmcnt(0)
	ds_write_b128 v48, v[1:4]
	s_waitcnt lgkmcnt(0)
	s_waitcnt_vscnt null, 0x0
	s_barrier
	buffer_gl0_inv
	v_cmpx_gt_u32_e32 12, v0
	s_cbranch_execz .LBB20_255
; %bb.248:
	ds_read_b128 v[1:4], v48
	v_cmp_ne_u32_e32 vcc_lo, 1, v49
	s_cbranch_vccnz .LBB20_250
; %bb.249:
	s_clause 0x3
	buffer_load_dword v50, v47, s[0:3], 0 offen offset:8
	buffer_load_dword v51, v47, s[0:3], 0 offen offset:12
	buffer_load_dword v54, v47, s[0:3], 0 offen
	buffer_load_dword v55, v47, s[0:3], 0 offen offset:4
	s_waitcnt vmcnt(2) lgkmcnt(0)
	v_mul_f64 v[56:57], v[3:4], v[50:51]
	v_mul_f64 v[50:51], v[1:2], v[50:51]
	s_waitcnt vmcnt(0)
	v_fma_f64 v[1:2], v[1:2], v[54:55], -v[56:57]
	v_fma_f64 v[3:4], v[3:4], v[54:55], v[50:51]
.LBB20_250:
	s_mov_b32 s8, exec_lo
	v_cmpx_ne_u32_e32 11, v0
	s_cbranch_execz .LBB20_254
; %bb.251:
	v_add_nc_u32_e32 v50, 0x160, v53
	v_add3_u32 v51, 0, v53, 16
	v_mov_b32_e32 v52, v0
	s_mov_b32 s27, 0
	.p2align	6
.LBB20_252:                             ; =>This Inner Loop Header: Depth=1
	s_clause 0x3
	buffer_load_dword v58, v51, s[0:3], 0 offen offset:8
	buffer_load_dword v59, v51, s[0:3], 0 offen offset:12
	buffer_load_dword v60, v51, s[0:3], 0 offen
	buffer_load_dword v61, v51, s[0:3], 0 offen offset:4
	ds_read_b128 v[54:57], v50
	v_add_nc_u32_e32 v52, 1, v52
	v_add_nc_u32_e32 v50, 16, v50
	;; [unrolled: 1-line block ×3, first 2 shown]
	v_cmp_lt_u32_e32 vcc_lo, 10, v52
	s_or_b32 s27, vcc_lo, s27
	s_waitcnt vmcnt(2) lgkmcnt(0)
	v_mul_f64 v[62:63], v[56:57], v[58:59]
	v_mul_f64 v[58:59], v[54:55], v[58:59]
	s_waitcnt vmcnt(0)
	v_fma_f64 v[54:55], v[54:55], v[60:61], -v[62:63]
	v_fma_f64 v[56:57], v[56:57], v[60:61], v[58:59]
	v_add_f64 v[1:2], v[1:2], v[54:55]
	v_add_f64 v[3:4], v[3:4], v[56:57]
	s_andn2_b32 exec_lo, exec_lo, s27
	s_cbranch_execnz .LBB20_252
; %bb.253:
	s_or_b32 exec_lo, exec_lo, s27
.LBB20_254:
	s_or_b32 exec_lo, exec_lo, s8
	v_mov_b32_e32 v50, 0
	ds_read_b128 v[54:57], v50 offset:192
	s_waitcnt lgkmcnt(0)
	v_mul_f64 v[50:51], v[3:4], v[56:57]
	v_mul_f64 v[56:57], v[1:2], v[56:57]
	v_fma_f64 v[1:2], v[1:2], v[54:55], -v[50:51]
	v_fma_f64 v[3:4], v[3:4], v[54:55], v[56:57]
	buffer_store_dword v2, off, s[0:3], 0 offset:196
	buffer_store_dword v1, off, s[0:3], 0 offset:192
	;; [unrolled: 1-line block ×4, first 2 shown]
.LBB20_255:
	s_or_b32 exec_lo, exec_lo, s4
	v_mov_b32_e32 v4, s14
	s_mov_b32 s4, exec_lo
	s_clause 0x3
	buffer_load_dword v1, v4, s[0:3], 0 offen
	buffer_load_dword v2, v4, s[0:3], 0 offen offset:4
	buffer_load_dword v3, v4, s[0:3], 0 offen offset:8
	;; [unrolled: 1-line block ×3, first 2 shown]
	s_waitcnt vmcnt(0)
	ds_write_b128 v48, v[1:4]
	s_waitcnt lgkmcnt(0)
	s_waitcnt_vscnt null, 0x0
	s_barrier
	buffer_gl0_inv
	v_cmpx_gt_u32_e32 13, v0
	s_cbranch_execz .LBB20_263
; %bb.256:
	ds_read_b128 v[1:4], v48
	v_cmp_ne_u32_e32 vcc_lo, 1, v49
	s_cbranch_vccnz .LBB20_258
; %bb.257:
	s_clause 0x3
	buffer_load_dword v50, v47, s[0:3], 0 offen offset:8
	buffer_load_dword v51, v47, s[0:3], 0 offen offset:12
	buffer_load_dword v54, v47, s[0:3], 0 offen
	buffer_load_dword v55, v47, s[0:3], 0 offen offset:4
	s_waitcnt vmcnt(2) lgkmcnt(0)
	v_mul_f64 v[56:57], v[3:4], v[50:51]
	v_mul_f64 v[50:51], v[1:2], v[50:51]
	s_waitcnt vmcnt(0)
	v_fma_f64 v[1:2], v[1:2], v[54:55], -v[56:57]
	v_fma_f64 v[3:4], v[3:4], v[54:55], v[50:51]
.LBB20_258:
	s_mov_b32 s8, exec_lo
	v_cmpx_ne_u32_e32 12, v0
	s_cbranch_execz .LBB20_262
; %bb.259:
	v_add_nc_u32_e32 v50, 0x160, v53
	v_add3_u32 v51, 0, v53, 16
	v_mov_b32_e32 v52, v0
	s_mov_b32 s27, 0
	.p2align	6
.LBB20_260:                             ; =>This Inner Loop Header: Depth=1
	s_clause 0x3
	buffer_load_dword v58, v51, s[0:3], 0 offen offset:8
	buffer_load_dword v59, v51, s[0:3], 0 offen offset:12
	buffer_load_dword v60, v51, s[0:3], 0 offen
	buffer_load_dword v61, v51, s[0:3], 0 offen offset:4
	ds_read_b128 v[54:57], v50
	v_add_nc_u32_e32 v52, 1, v52
	v_add_nc_u32_e32 v50, 16, v50
	;; [unrolled: 1-line block ×3, first 2 shown]
	v_cmp_lt_u32_e32 vcc_lo, 11, v52
	s_or_b32 s27, vcc_lo, s27
	s_waitcnt vmcnt(2) lgkmcnt(0)
	v_mul_f64 v[62:63], v[56:57], v[58:59]
	v_mul_f64 v[58:59], v[54:55], v[58:59]
	s_waitcnt vmcnt(0)
	v_fma_f64 v[54:55], v[54:55], v[60:61], -v[62:63]
	v_fma_f64 v[56:57], v[56:57], v[60:61], v[58:59]
	v_add_f64 v[1:2], v[1:2], v[54:55]
	v_add_f64 v[3:4], v[3:4], v[56:57]
	s_andn2_b32 exec_lo, exec_lo, s27
	s_cbranch_execnz .LBB20_260
; %bb.261:
	s_or_b32 exec_lo, exec_lo, s27
.LBB20_262:
	s_or_b32 exec_lo, exec_lo, s8
	v_mov_b32_e32 v50, 0
	ds_read_b128 v[54:57], v50 offset:208
	s_waitcnt lgkmcnt(0)
	v_mul_f64 v[50:51], v[3:4], v[56:57]
	v_mul_f64 v[56:57], v[1:2], v[56:57]
	v_fma_f64 v[1:2], v[1:2], v[54:55], -v[50:51]
	v_fma_f64 v[3:4], v[3:4], v[54:55], v[56:57]
	buffer_store_dword v2, off, s[0:3], 0 offset:212
	buffer_store_dword v1, off, s[0:3], 0 offset:208
	;; [unrolled: 1-line block ×4, first 2 shown]
.LBB20_263:
	s_or_b32 exec_lo, exec_lo, s4
	v_mov_b32_e32 v4, s13
	s_mov_b32 s4, exec_lo
	s_clause 0x3
	buffer_load_dword v1, v4, s[0:3], 0 offen
	buffer_load_dword v2, v4, s[0:3], 0 offen offset:4
	buffer_load_dword v3, v4, s[0:3], 0 offen offset:8
	;; [unrolled: 1-line block ×3, first 2 shown]
	s_waitcnt vmcnt(0)
	ds_write_b128 v48, v[1:4]
	s_waitcnt lgkmcnt(0)
	s_waitcnt_vscnt null, 0x0
	s_barrier
	buffer_gl0_inv
	v_cmpx_gt_u32_e32 14, v0
	s_cbranch_execz .LBB20_271
; %bb.264:
	ds_read_b128 v[1:4], v48
	v_cmp_ne_u32_e32 vcc_lo, 1, v49
	s_cbranch_vccnz .LBB20_266
; %bb.265:
	s_clause 0x3
	buffer_load_dword v50, v47, s[0:3], 0 offen offset:8
	buffer_load_dword v51, v47, s[0:3], 0 offen offset:12
	buffer_load_dword v54, v47, s[0:3], 0 offen
	buffer_load_dword v55, v47, s[0:3], 0 offen offset:4
	s_waitcnt vmcnt(2) lgkmcnt(0)
	v_mul_f64 v[56:57], v[3:4], v[50:51]
	v_mul_f64 v[50:51], v[1:2], v[50:51]
	s_waitcnt vmcnt(0)
	v_fma_f64 v[1:2], v[1:2], v[54:55], -v[56:57]
	v_fma_f64 v[3:4], v[3:4], v[54:55], v[50:51]
.LBB20_266:
	s_mov_b32 s8, exec_lo
	v_cmpx_ne_u32_e32 13, v0
	s_cbranch_execz .LBB20_270
; %bb.267:
	v_add_nc_u32_e32 v50, 0x160, v53
	v_add3_u32 v51, 0, v53, 16
	v_mov_b32_e32 v52, v0
	s_mov_b32 s27, 0
	.p2align	6
.LBB20_268:                             ; =>This Inner Loop Header: Depth=1
	s_clause 0x3
	buffer_load_dword v58, v51, s[0:3], 0 offen offset:8
	buffer_load_dword v59, v51, s[0:3], 0 offen offset:12
	buffer_load_dword v60, v51, s[0:3], 0 offen
	buffer_load_dword v61, v51, s[0:3], 0 offen offset:4
	ds_read_b128 v[54:57], v50
	v_add_nc_u32_e32 v52, 1, v52
	v_add_nc_u32_e32 v50, 16, v50
	;; [unrolled: 1-line block ×3, first 2 shown]
	v_cmp_lt_u32_e32 vcc_lo, 12, v52
	s_or_b32 s27, vcc_lo, s27
	s_waitcnt vmcnt(2) lgkmcnt(0)
	v_mul_f64 v[62:63], v[56:57], v[58:59]
	v_mul_f64 v[58:59], v[54:55], v[58:59]
	s_waitcnt vmcnt(0)
	v_fma_f64 v[54:55], v[54:55], v[60:61], -v[62:63]
	v_fma_f64 v[56:57], v[56:57], v[60:61], v[58:59]
	v_add_f64 v[1:2], v[1:2], v[54:55]
	v_add_f64 v[3:4], v[3:4], v[56:57]
	s_andn2_b32 exec_lo, exec_lo, s27
	s_cbranch_execnz .LBB20_268
; %bb.269:
	s_or_b32 exec_lo, exec_lo, s27
.LBB20_270:
	s_or_b32 exec_lo, exec_lo, s8
	v_mov_b32_e32 v50, 0
	ds_read_b128 v[54:57], v50 offset:224
	s_waitcnt lgkmcnt(0)
	v_mul_f64 v[50:51], v[3:4], v[56:57]
	v_mul_f64 v[56:57], v[1:2], v[56:57]
	v_fma_f64 v[1:2], v[1:2], v[54:55], -v[50:51]
	v_fma_f64 v[3:4], v[3:4], v[54:55], v[56:57]
	buffer_store_dword v2, off, s[0:3], 0 offset:228
	buffer_store_dword v1, off, s[0:3], 0 offset:224
	;; [unrolled: 1-line block ×4, first 2 shown]
.LBB20_271:
	s_or_b32 exec_lo, exec_lo, s4
	v_mov_b32_e32 v4, s12
	s_mov_b32 s4, exec_lo
	s_clause 0x3
	buffer_load_dword v1, v4, s[0:3], 0 offen
	buffer_load_dword v2, v4, s[0:3], 0 offen offset:4
	buffer_load_dword v3, v4, s[0:3], 0 offen offset:8
	;; [unrolled: 1-line block ×3, first 2 shown]
	s_waitcnt vmcnt(0)
	ds_write_b128 v48, v[1:4]
	s_waitcnt lgkmcnt(0)
	s_waitcnt_vscnt null, 0x0
	s_barrier
	buffer_gl0_inv
	v_cmpx_gt_u32_e32 15, v0
	s_cbranch_execz .LBB20_279
; %bb.272:
	ds_read_b128 v[1:4], v48
	v_cmp_ne_u32_e32 vcc_lo, 1, v49
	s_cbranch_vccnz .LBB20_274
; %bb.273:
	s_clause 0x3
	buffer_load_dword v50, v47, s[0:3], 0 offen offset:8
	buffer_load_dword v51, v47, s[0:3], 0 offen offset:12
	buffer_load_dword v54, v47, s[0:3], 0 offen
	buffer_load_dword v55, v47, s[0:3], 0 offen offset:4
	s_waitcnt vmcnt(2) lgkmcnt(0)
	v_mul_f64 v[56:57], v[3:4], v[50:51]
	v_mul_f64 v[50:51], v[1:2], v[50:51]
	s_waitcnt vmcnt(0)
	v_fma_f64 v[1:2], v[1:2], v[54:55], -v[56:57]
	v_fma_f64 v[3:4], v[3:4], v[54:55], v[50:51]
.LBB20_274:
	s_mov_b32 s8, exec_lo
	v_cmpx_ne_u32_e32 14, v0
	s_cbranch_execz .LBB20_278
; %bb.275:
	v_add_nc_u32_e32 v50, 0x160, v53
	v_add3_u32 v51, 0, v53, 16
	v_mov_b32_e32 v52, v0
	s_mov_b32 s27, 0
	.p2align	6
.LBB20_276:                             ; =>This Inner Loop Header: Depth=1
	s_clause 0x3
	buffer_load_dword v58, v51, s[0:3], 0 offen offset:8
	buffer_load_dword v59, v51, s[0:3], 0 offen offset:12
	buffer_load_dword v60, v51, s[0:3], 0 offen
	buffer_load_dword v61, v51, s[0:3], 0 offen offset:4
	ds_read_b128 v[54:57], v50
	v_add_nc_u32_e32 v52, 1, v52
	v_add_nc_u32_e32 v50, 16, v50
	;; [unrolled: 1-line block ×3, first 2 shown]
	v_cmp_lt_u32_e32 vcc_lo, 13, v52
	s_or_b32 s27, vcc_lo, s27
	s_waitcnt vmcnt(2) lgkmcnt(0)
	v_mul_f64 v[62:63], v[56:57], v[58:59]
	v_mul_f64 v[58:59], v[54:55], v[58:59]
	s_waitcnt vmcnt(0)
	v_fma_f64 v[54:55], v[54:55], v[60:61], -v[62:63]
	v_fma_f64 v[56:57], v[56:57], v[60:61], v[58:59]
	v_add_f64 v[1:2], v[1:2], v[54:55]
	v_add_f64 v[3:4], v[3:4], v[56:57]
	s_andn2_b32 exec_lo, exec_lo, s27
	s_cbranch_execnz .LBB20_276
; %bb.277:
	s_or_b32 exec_lo, exec_lo, s27
.LBB20_278:
	s_or_b32 exec_lo, exec_lo, s8
	v_mov_b32_e32 v50, 0
	ds_read_b128 v[54:57], v50 offset:240
	s_waitcnt lgkmcnt(0)
	v_mul_f64 v[50:51], v[3:4], v[56:57]
	v_mul_f64 v[56:57], v[1:2], v[56:57]
	v_fma_f64 v[1:2], v[1:2], v[54:55], -v[50:51]
	v_fma_f64 v[3:4], v[3:4], v[54:55], v[56:57]
	buffer_store_dword v2, off, s[0:3], 0 offset:244
	buffer_store_dword v1, off, s[0:3], 0 offset:240
	;; [unrolled: 1-line block ×4, first 2 shown]
.LBB20_279:
	s_or_b32 exec_lo, exec_lo, s4
	v_mov_b32_e32 v4, s11
	s_mov_b32 s4, exec_lo
	s_clause 0x3
	buffer_load_dword v1, v4, s[0:3], 0 offen
	buffer_load_dword v2, v4, s[0:3], 0 offen offset:4
	buffer_load_dword v3, v4, s[0:3], 0 offen offset:8
	;; [unrolled: 1-line block ×3, first 2 shown]
	s_waitcnt vmcnt(0)
	ds_write_b128 v48, v[1:4]
	s_waitcnt lgkmcnt(0)
	s_waitcnt_vscnt null, 0x0
	s_barrier
	buffer_gl0_inv
	v_cmpx_gt_u32_e32 16, v0
	s_cbranch_execz .LBB20_287
; %bb.280:
	ds_read_b128 v[1:4], v48
	v_cmp_ne_u32_e32 vcc_lo, 1, v49
	s_cbranch_vccnz .LBB20_282
; %bb.281:
	s_clause 0x3
	buffer_load_dword v50, v47, s[0:3], 0 offen offset:8
	buffer_load_dword v51, v47, s[0:3], 0 offen offset:12
	buffer_load_dword v54, v47, s[0:3], 0 offen
	buffer_load_dword v55, v47, s[0:3], 0 offen offset:4
	s_waitcnt vmcnt(2) lgkmcnt(0)
	v_mul_f64 v[56:57], v[3:4], v[50:51]
	v_mul_f64 v[50:51], v[1:2], v[50:51]
	s_waitcnt vmcnt(0)
	v_fma_f64 v[1:2], v[1:2], v[54:55], -v[56:57]
	v_fma_f64 v[3:4], v[3:4], v[54:55], v[50:51]
.LBB20_282:
	s_mov_b32 s8, exec_lo
	v_cmpx_ne_u32_e32 15, v0
	s_cbranch_execz .LBB20_286
; %bb.283:
	v_add_nc_u32_e32 v50, 0x160, v53
	v_add3_u32 v51, 0, v53, 16
	v_mov_b32_e32 v52, v0
	s_mov_b32 s27, 0
	.p2align	6
.LBB20_284:                             ; =>This Inner Loop Header: Depth=1
	s_clause 0x3
	buffer_load_dword v58, v51, s[0:3], 0 offen offset:8
	buffer_load_dword v59, v51, s[0:3], 0 offen offset:12
	buffer_load_dword v60, v51, s[0:3], 0 offen
	buffer_load_dword v61, v51, s[0:3], 0 offen offset:4
	ds_read_b128 v[54:57], v50
	v_add_nc_u32_e32 v52, 1, v52
	v_add_nc_u32_e32 v50, 16, v50
	;; [unrolled: 1-line block ×3, first 2 shown]
	v_cmp_lt_u32_e32 vcc_lo, 14, v52
	s_or_b32 s27, vcc_lo, s27
	s_waitcnt vmcnt(2) lgkmcnt(0)
	v_mul_f64 v[62:63], v[56:57], v[58:59]
	v_mul_f64 v[58:59], v[54:55], v[58:59]
	s_waitcnt vmcnt(0)
	v_fma_f64 v[54:55], v[54:55], v[60:61], -v[62:63]
	v_fma_f64 v[56:57], v[56:57], v[60:61], v[58:59]
	v_add_f64 v[1:2], v[1:2], v[54:55]
	v_add_f64 v[3:4], v[3:4], v[56:57]
	s_andn2_b32 exec_lo, exec_lo, s27
	s_cbranch_execnz .LBB20_284
; %bb.285:
	s_or_b32 exec_lo, exec_lo, s27
.LBB20_286:
	s_or_b32 exec_lo, exec_lo, s8
	v_mov_b32_e32 v50, 0
	ds_read_b128 v[54:57], v50 offset:256
	s_waitcnt lgkmcnt(0)
	v_mul_f64 v[50:51], v[3:4], v[56:57]
	v_mul_f64 v[56:57], v[1:2], v[56:57]
	v_fma_f64 v[1:2], v[1:2], v[54:55], -v[50:51]
	v_fma_f64 v[3:4], v[3:4], v[54:55], v[56:57]
	buffer_store_dword v2, off, s[0:3], 0 offset:260
	buffer_store_dword v1, off, s[0:3], 0 offset:256
	;; [unrolled: 1-line block ×4, first 2 shown]
.LBB20_287:
	s_or_b32 exec_lo, exec_lo, s4
	v_mov_b32_e32 v4, s10
	s_mov_b32 s4, exec_lo
	s_clause 0x3
	buffer_load_dword v1, v4, s[0:3], 0 offen
	buffer_load_dword v2, v4, s[0:3], 0 offen offset:4
	buffer_load_dword v3, v4, s[0:3], 0 offen offset:8
	;; [unrolled: 1-line block ×3, first 2 shown]
	s_waitcnt vmcnt(0)
	ds_write_b128 v48, v[1:4]
	s_waitcnt lgkmcnt(0)
	s_waitcnt_vscnt null, 0x0
	s_barrier
	buffer_gl0_inv
	v_cmpx_gt_u32_e32 17, v0
	s_cbranch_execz .LBB20_295
; %bb.288:
	ds_read_b128 v[1:4], v48
	v_cmp_ne_u32_e32 vcc_lo, 1, v49
	s_cbranch_vccnz .LBB20_290
; %bb.289:
	s_clause 0x3
	buffer_load_dword v50, v47, s[0:3], 0 offen offset:8
	buffer_load_dword v51, v47, s[0:3], 0 offen offset:12
	buffer_load_dword v54, v47, s[0:3], 0 offen
	buffer_load_dword v55, v47, s[0:3], 0 offen offset:4
	s_waitcnt vmcnt(2) lgkmcnt(0)
	v_mul_f64 v[56:57], v[3:4], v[50:51]
	v_mul_f64 v[50:51], v[1:2], v[50:51]
	s_waitcnt vmcnt(0)
	v_fma_f64 v[1:2], v[1:2], v[54:55], -v[56:57]
	v_fma_f64 v[3:4], v[3:4], v[54:55], v[50:51]
.LBB20_290:
	s_mov_b32 s8, exec_lo
	v_cmpx_ne_u32_e32 16, v0
	s_cbranch_execz .LBB20_294
; %bb.291:
	v_add_nc_u32_e32 v50, 0x160, v53
	v_add3_u32 v51, 0, v53, 16
	v_mov_b32_e32 v52, v0
	s_mov_b32 s27, 0
	.p2align	6
.LBB20_292:                             ; =>This Inner Loop Header: Depth=1
	s_clause 0x3
	buffer_load_dword v58, v51, s[0:3], 0 offen offset:8
	buffer_load_dword v59, v51, s[0:3], 0 offen offset:12
	buffer_load_dword v60, v51, s[0:3], 0 offen
	buffer_load_dword v61, v51, s[0:3], 0 offen offset:4
	ds_read_b128 v[54:57], v50
	v_add_nc_u32_e32 v52, 1, v52
	v_add_nc_u32_e32 v50, 16, v50
	;; [unrolled: 1-line block ×3, first 2 shown]
	v_cmp_lt_u32_e32 vcc_lo, 15, v52
	s_or_b32 s27, vcc_lo, s27
	s_waitcnt vmcnt(2) lgkmcnt(0)
	v_mul_f64 v[62:63], v[56:57], v[58:59]
	v_mul_f64 v[58:59], v[54:55], v[58:59]
	s_waitcnt vmcnt(0)
	v_fma_f64 v[54:55], v[54:55], v[60:61], -v[62:63]
	v_fma_f64 v[56:57], v[56:57], v[60:61], v[58:59]
	v_add_f64 v[1:2], v[1:2], v[54:55]
	v_add_f64 v[3:4], v[3:4], v[56:57]
	s_andn2_b32 exec_lo, exec_lo, s27
	s_cbranch_execnz .LBB20_292
; %bb.293:
	s_or_b32 exec_lo, exec_lo, s27
.LBB20_294:
	s_or_b32 exec_lo, exec_lo, s8
	v_mov_b32_e32 v50, 0
	ds_read_b128 v[54:57], v50 offset:272
	s_waitcnt lgkmcnt(0)
	v_mul_f64 v[50:51], v[3:4], v[56:57]
	v_mul_f64 v[56:57], v[1:2], v[56:57]
	v_fma_f64 v[1:2], v[1:2], v[54:55], -v[50:51]
	v_fma_f64 v[3:4], v[3:4], v[54:55], v[56:57]
	buffer_store_dword v2, off, s[0:3], 0 offset:276
	buffer_store_dword v1, off, s[0:3], 0 offset:272
	;; [unrolled: 1-line block ×4, first 2 shown]
.LBB20_295:
	s_or_b32 exec_lo, exec_lo, s4
	v_mov_b32_e32 v4, s9
	s_mov_b32 s4, exec_lo
	s_clause 0x3
	buffer_load_dword v1, v4, s[0:3], 0 offen
	buffer_load_dword v2, v4, s[0:3], 0 offen offset:4
	buffer_load_dword v3, v4, s[0:3], 0 offen offset:8
	;; [unrolled: 1-line block ×3, first 2 shown]
	s_waitcnt vmcnt(0)
	ds_write_b128 v48, v[1:4]
	s_waitcnt lgkmcnt(0)
	s_waitcnt_vscnt null, 0x0
	s_barrier
	buffer_gl0_inv
	v_cmpx_gt_u32_e32 18, v0
	s_cbranch_execz .LBB20_303
; %bb.296:
	ds_read_b128 v[1:4], v48
	v_cmp_ne_u32_e32 vcc_lo, 1, v49
	s_cbranch_vccnz .LBB20_298
; %bb.297:
	s_clause 0x3
	buffer_load_dword v50, v47, s[0:3], 0 offen offset:8
	buffer_load_dword v51, v47, s[0:3], 0 offen offset:12
	buffer_load_dword v54, v47, s[0:3], 0 offen
	buffer_load_dword v55, v47, s[0:3], 0 offen offset:4
	s_waitcnt vmcnt(2) lgkmcnt(0)
	v_mul_f64 v[56:57], v[3:4], v[50:51]
	v_mul_f64 v[50:51], v[1:2], v[50:51]
	s_waitcnt vmcnt(0)
	v_fma_f64 v[1:2], v[1:2], v[54:55], -v[56:57]
	v_fma_f64 v[3:4], v[3:4], v[54:55], v[50:51]
.LBB20_298:
	s_mov_b32 s8, exec_lo
	v_cmpx_ne_u32_e32 17, v0
	s_cbranch_execz .LBB20_302
; %bb.299:
	v_add_nc_u32_e32 v50, 0x160, v53
	v_add3_u32 v51, 0, v53, 16
	v_mov_b32_e32 v52, v0
	s_mov_b32 s27, 0
	.p2align	6
.LBB20_300:                             ; =>This Inner Loop Header: Depth=1
	s_clause 0x3
	buffer_load_dword v58, v51, s[0:3], 0 offen offset:8
	buffer_load_dword v59, v51, s[0:3], 0 offen offset:12
	buffer_load_dword v60, v51, s[0:3], 0 offen
	buffer_load_dword v61, v51, s[0:3], 0 offen offset:4
	ds_read_b128 v[54:57], v50
	v_add_nc_u32_e32 v52, 1, v52
	v_add_nc_u32_e32 v50, 16, v50
	;; [unrolled: 1-line block ×3, first 2 shown]
	v_cmp_lt_u32_e32 vcc_lo, 16, v52
	s_or_b32 s27, vcc_lo, s27
	s_waitcnt vmcnt(2) lgkmcnt(0)
	v_mul_f64 v[62:63], v[56:57], v[58:59]
	v_mul_f64 v[58:59], v[54:55], v[58:59]
	s_waitcnt vmcnt(0)
	v_fma_f64 v[54:55], v[54:55], v[60:61], -v[62:63]
	v_fma_f64 v[56:57], v[56:57], v[60:61], v[58:59]
	v_add_f64 v[1:2], v[1:2], v[54:55]
	v_add_f64 v[3:4], v[3:4], v[56:57]
	s_andn2_b32 exec_lo, exec_lo, s27
	s_cbranch_execnz .LBB20_300
; %bb.301:
	s_or_b32 exec_lo, exec_lo, s27
.LBB20_302:
	s_or_b32 exec_lo, exec_lo, s8
	v_mov_b32_e32 v50, 0
	ds_read_b128 v[54:57], v50 offset:288
	s_waitcnt lgkmcnt(0)
	v_mul_f64 v[50:51], v[3:4], v[56:57]
	v_mul_f64 v[56:57], v[1:2], v[56:57]
	v_fma_f64 v[1:2], v[1:2], v[54:55], -v[50:51]
	v_fma_f64 v[3:4], v[3:4], v[54:55], v[56:57]
	buffer_store_dword v2, off, s[0:3], 0 offset:292
	buffer_store_dword v1, off, s[0:3], 0 offset:288
	;; [unrolled: 1-line block ×4, first 2 shown]
.LBB20_303:
	s_or_b32 exec_lo, exec_lo, s4
	v_mov_b32_e32 v4, s7
	v_cmp_gt_u32_e64 s4, 19, v0
	s_clause 0x3
	buffer_load_dword v1, v4, s[0:3], 0 offen
	buffer_load_dword v2, v4, s[0:3], 0 offen offset:4
	buffer_load_dword v3, v4, s[0:3], 0 offen offset:8
	;; [unrolled: 1-line block ×3, first 2 shown]
	s_waitcnt vmcnt(0)
	ds_write_b128 v48, v[1:4]
	s_waitcnt lgkmcnt(0)
	s_waitcnt_vscnt null, 0x0
	s_barrier
	buffer_gl0_inv
	s_and_saveexec_b32 s8, s4
	s_cbranch_execz .LBB20_311
; %bb.304:
	ds_read_b128 v[1:4], v48
	v_cmp_ne_u32_e32 vcc_lo, 1, v49
	s_cbranch_vccnz .LBB20_306
; %bb.305:
	s_clause 0x3
	buffer_load_dword v50, v47, s[0:3], 0 offen offset:8
	buffer_load_dword v51, v47, s[0:3], 0 offen offset:12
	buffer_load_dword v54, v47, s[0:3], 0 offen
	buffer_load_dword v55, v47, s[0:3], 0 offen offset:4
	s_waitcnt vmcnt(2) lgkmcnt(0)
	v_mul_f64 v[56:57], v[3:4], v[50:51]
	v_mul_f64 v[50:51], v[1:2], v[50:51]
	s_waitcnt vmcnt(0)
	v_fma_f64 v[1:2], v[1:2], v[54:55], -v[56:57]
	v_fma_f64 v[3:4], v[3:4], v[54:55], v[50:51]
.LBB20_306:
	s_mov_b32 s27, exec_lo
	v_cmpx_ne_u32_e32 18, v0
	s_cbranch_execz .LBB20_310
; %bb.307:
	v_add_nc_u32_e32 v50, 0x160, v53
	v_add3_u32 v51, 0, v53, 16
	v_mov_b32_e32 v52, v0
	s_mov_b32 s28, 0
	.p2align	6
.LBB20_308:                             ; =>This Inner Loop Header: Depth=1
	s_clause 0x3
	buffer_load_dword v58, v51, s[0:3], 0 offen offset:8
	buffer_load_dword v59, v51, s[0:3], 0 offen offset:12
	buffer_load_dword v60, v51, s[0:3], 0 offen
	buffer_load_dword v61, v51, s[0:3], 0 offen offset:4
	ds_read_b128 v[54:57], v50
	v_add_nc_u32_e32 v52, 1, v52
	v_add_nc_u32_e32 v50, 16, v50
	;; [unrolled: 1-line block ×3, first 2 shown]
	v_cmp_lt_u32_e32 vcc_lo, 17, v52
	s_or_b32 s28, vcc_lo, s28
	s_waitcnt vmcnt(2) lgkmcnt(0)
	v_mul_f64 v[62:63], v[56:57], v[58:59]
	v_mul_f64 v[58:59], v[54:55], v[58:59]
	s_waitcnt vmcnt(0)
	v_fma_f64 v[54:55], v[54:55], v[60:61], -v[62:63]
	v_fma_f64 v[56:57], v[56:57], v[60:61], v[58:59]
	v_add_f64 v[1:2], v[1:2], v[54:55]
	v_add_f64 v[3:4], v[3:4], v[56:57]
	s_andn2_b32 exec_lo, exec_lo, s28
	s_cbranch_execnz .LBB20_308
; %bb.309:
	s_or_b32 exec_lo, exec_lo, s28
.LBB20_310:
	s_or_b32 exec_lo, exec_lo, s27
	v_mov_b32_e32 v50, 0
	ds_read_b128 v[54:57], v50 offset:304
	s_waitcnt lgkmcnt(0)
	v_mul_f64 v[50:51], v[3:4], v[56:57]
	v_mul_f64 v[56:57], v[1:2], v[56:57]
	v_fma_f64 v[1:2], v[1:2], v[54:55], -v[50:51]
	v_fma_f64 v[3:4], v[3:4], v[54:55], v[56:57]
	buffer_store_dword v2, off, s[0:3], 0 offset:308
	buffer_store_dword v1, off, s[0:3], 0 offset:304
	;; [unrolled: 1-line block ×4, first 2 shown]
.LBB20_311:
	s_or_b32 exec_lo, exec_lo, s8
	v_mov_b32_e32 v4, s6
	s_mov_b32 s8, exec_lo
                                        ; implicit-def: $sgpr29
	s_clause 0x3
	buffer_load_dword v1, v4, s[0:3], 0 offen
	buffer_load_dword v2, v4, s[0:3], 0 offen offset:4
	buffer_load_dword v3, v4, s[0:3], 0 offen offset:8
	;; [unrolled: 1-line block ×3, first 2 shown]
	s_waitcnt vmcnt(0)
	ds_write_b128 v48, v[1:4]
	s_waitcnt lgkmcnt(0)
	s_waitcnt_vscnt null, 0x0
	s_barrier
	buffer_gl0_inv
                                        ; implicit-def: $vgpr1_vgpr2
	v_cmpx_ne_u32_e32 20, v0
	s_cbranch_execz .LBB20_319
; %bb.312:
	ds_read_b128 v[1:4], v48
	v_cmp_ne_u32_e32 vcc_lo, 1, v49
	s_cbranch_vccnz .LBB20_314
; %bb.313:
	s_clause 0x3
	buffer_load_dword v48, v47, s[0:3], 0 offen offset:8
	buffer_load_dword v49, v47, s[0:3], 0 offen offset:12
	buffer_load_dword v50, v47, s[0:3], 0 offen
	buffer_load_dword v51, v47, s[0:3], 0 offen offset:4
	s_waitcnt vmcnt(2) lgkmcnt(0)
	v_mul_f64 v[54:55], v[3:4], v[48:49]
	v_mul_f64 v[47:48], v[1:2], v[48:49]
	s_waitcnt vmcnt(0)
	v_fma_f64 v[1:2], v[1:2], v[50:51], -v[54:55]
	v_fma_f64 v[3:4], v[3:4], v[50:51], v[47:48]
.LBB20_314:
	s_and_saveexec_b32 s27, s4
	s_cbranch_execz .LBB20_318
; %bb.315:
	v_add_nc_u32_e32 v47, 0x160, v53
	v_add3_u32 v48, 0, v53, 16
	s_mov_b32 s4, 0
	.p2align	6
.LBB20_316:                             ; =>This Inner Loop Header: Depth=1
	s_clause 0x3
	buffer_load_dword v53, v48, s[0:3], 0 offen offset:8
	buffer_load_dword v54, v48, s[0:3], 0 offen offset:12
	buffer_load_dword v55, v48, s[0:3], 0 offen
	buffer_load_dword v56, v48, s[0:3], 0 offen offset:4
	ds_read_b128 v[49:52], v47
	v_add_nc_u32_e32 v0, 1, v0
	v_add_nc_u32_e32 v47, 16, v47
	;; [unrolled: 1-line block ×3, first 2 shown]
	v_cmp_lt_u32_e32 vcc_lo, 18, v0
	s_or_b32 s4, vcc_lo, s4
	s_waitcnt vmcnt(2) lgkmcnt(0)
	v_mul_f64 v[57:58], v[51:52], v[53:54]
	v_mul_f64 v[53:54], v[49:50], v[53:54]
	s_waitcnt vmcnt(0)
	v_fma_f64 v[49:50], v[49:50], v[55:56], -v[57:58]
	v_fma_f64 v[51:52], v[51:52], v[55:56], v[53:54]
	v_add_f64 v[1:2], v[1:2], v[49:50]
	v_add_f64 v[3:4], v[3:4], v[51:52]
	s_andn2_b32 exec_lo, exec_lo, s4
	s_cbranch_execnz .LBB20_316
; %bb.317:
	s_or_b32 exec_lo, exec_lo, s4
.LBB20_318:
	s_or_b32 exec_lo, exec_lo, s27
	v_mov_b32_e32 v0, 0
	s_movk_i32 s29, 0x148
	s_or_b32 s5, s5, exec_lo
	ds_read_b128 v[47:50], v0 offset:320
	s_waitcnt lgkmcnt(0)
	v_mul_f64 v[51:52], v[3:4], v[49:50]
	v_mul_f64 v[49:50], v[1:2], v[49:50]
	v_fma_f64 v[51:52], v[1:2], v[47:48], -v[51:52]
	v_fma_f64 v[1:2], v[3:4], v[47:48], v[49:50]
	buffer_store_dword v52, off, s[0:3], 0 offset:324
	buffer_store_dword v51, off, s[0:3], 0 offset:320
.LBB20_319:
	s_or_b32 exec_lo, exec_lo, s8
.LBB20_320:
	s_and_saveexec_b32 s4, s5
	s_cbranch_execz .LBB20_322
; %bb.321:
	v_mov_b32_e32 v0, s29
	buffer_store_dword v2, v0, s[0:3], 0 offen offset:4
	buffer_store_dword v1, v0, s[0:3], 0 offen
.LBB20_322:
	s_or_b32 exec_lo, exec_lo, s4
	s_clause 0x3
	buffer_load_dword v0, off, s[0:3], 0
	buffer_load_dword v1, off, s[0:3], 0 offset:4
	buffer_load_dword v2, off, s[0:3], 0 offset:8
	;; [unrolled: 1-line block ×3, first 2 shown]
	v_mov_b32_e32 v4, s26
	v_mov_b32_e32 v54, s25
	;; [unrolled: 1-line block ×4, first 2 shown]
	s_clause 0x3
	buffer_load_dword v47, v4, s[0:3], 0 offen
	buffer_load_dword v48, v4, s[0:3], 0 offen offset:4
	buffer_load_dword v49, v4, s[0:3], 0 offen offset:8
	;; [unrolled: 1-line block ×3, first 2 shown]
	v_mov_b32_e32 v4, s24
	s_clause 0x7
	buffer_load_dword v51, v54, s[0:3], 0 offen
	buffer_load_dword v52, v54, s[0:3], 0 offen offset:4
	buffer_load_dword v53, v54, s[0:3], 0 offen offset:8
	buffer_load_dword v54, v54, s[0:3], 0 offen offset:12
	buffer_load_dword v55, v4, s[0:3], 0 offen
	buffer_load_dword v56, v4, s[0:3], 0 offen offset:4
	buffer_load_dword v57, v4, s[0:3], 0 offen offset:8
	;; [unrolled: 1-line block ×3, first 2 shown]
	v_mov_b32_e32 v4, s23
	v_mov_b32_e32 v79, s13
	s_clause 0x3
	buffer_load_dword v59, v4, s[0:3], 0 offen
	buffer_load_dword v60, v4, s[0:3], 0 offen offset:4
	buffer_load_dword v61, v4, s[0:3], 0 offen offset:8
	buffer_load_dword v62, v4, s[0:3], 0 offen offset:12
	v_mov_b32_e32 v4, s22
	s_clause 0x3
	buffer_load_dword v63, v4, s[0:3], 0 offen
	buffer_load_dword v64, v4, s[0:3], 0 offen offset:4
	buffer_load_dword v65, v4, s[0:3], 0 offen offset:8
	buffer_load_dword v66, v4, s[0:3], 0 offen offset:12
	v_mov_b32_e32 v4, s21
	s_clause 0x3
	buffer_load_dword v67, v4, s[0:3], 0 offen
	buffer_load_dword v68, v4, s[0:3], 0 offen offset:4
	buffer_load_dword v69, v4, s[0:3], 0 offen offset:8
	buffer_load_dword v70, v4, s[0:3], 0 offen offset:12
	v_mov_b32_e32 v4, s20
	s_clause 0x3
	buffer_load_dword v71, v4, s[0:3], 0 offen
	buffer_load_dword v72, v4, s[0:3], 0 offen offset:4
	buffer_load_dword v73, v4, s[0:3], 0 offen offset:8
	buffer_load_dword v74, v4, s[0:3], 0 offen offset:12
	v_mov_b32_e32 v4, s19
	v_mov_b32_e32 v81, s11
	;; [unrolled: 1-line block ×8, first 2 shown]
	s_waitcnt vmcnt(28)
	global_store_dwordx4 v[13:14], v[0:3], off
	s_clause 0x3
	buffer_load_dword v0, v4, s[0:3], 0 offen
	buffer_load_dword v1, v4, s[0:3], 0 offen offset:4
	buffer_load_dword v2, v4, s[0:3], 0 offen offset:8
	;; [unrolled: 1-line block ×3, first 2 shown]
	v_mov_b32_e32 v4, s18
	s_waitcnt vmcnt(28)
	global_store_dwordx4 v[11:12], v[47:50], off
	s_waitcnt vmcnt(24)
	global_store_dwordx4 v[7:8], v[51:54], off
	s_clause 0x3
	buffer_load_dword v11, v4, s[0:3], 0 offen
	buffer_load_dword v12, v4, s[0:3], 0 offen offset:4
	buffer_load_dword v13, v4, s[0:3], 0 offen offset:8
	;; [unrolled: 1-line block ×3, first 2 shown]
	s_waitcnt vmcnt(24)
	global_store_dwordx4 v[5:6], v[55:58], off
	s_clause 0x7
	buffer_load_dword v4, v75, s[0:3], 0 offen
	buffer_load_dword v5, v75, s[0:3], 0 offen offset:4
	buffer_load_dword v6, v75, s[0:3], 0 offen offset:8
	;; [unrolled: 1-line block ×3, first 2 shown]
	buffer_load_dword v47, v76, s[0:3], 0 offen
	buffer_load_dword v48, v76, s[0:3], 0 offen offset:4
	buffer_load_dword v49, v76, s[0:3], 0 offen offset:8
	;; [unrolled: 1-line block ×3, first 2 shown]
	v_mov_b32_e32 v8, s7
	s_waitcnt vmcnt(28)
	global_store_dwordx4 v[9:10], v[59:62], off
	s_clause 0x7
	buffer_load_dword v51, v77, s[0:3], 0 offen
	buffer_load_dword v52, v77, s[0:3], 0 offen offset:4
	buffer_load_dword v53, v77, s[0:3], 0 offen offset:8
	buffer_load_dword v54, v77, s[0:3], 0 offen offset:12
	buffer_load_dword v55, v78, s[0:3], 0 offen
	buffer_load_dword v56, v78, s[0:3], 0 offen offset:4
	buffer_load_dword v57, v78, s[0:3], 0 offen offset:8
	buffer_load_dword v58, v78, s[0:3], 0 offen offset:12
	s_waitcnt vmcnt(32)
	global_store_dwordx4 v[23:24], v[63:66], off
	s_clause 0x7
	buffer_load_dword v59, v79, s[0:3], 0 offen
	buffer_load_dword v60, v79, s[0:3], 0 offen offset:4
	buffer_load_dword v61, v79, s[0:3], 0 offen offset:8
	buffer_load_dword v62, v79, s[0:3], 0 offen offset:12
	buffer_load_dword v63, v80, s[0:3], 0 offen
	buffer_load_dword v64, v80, s[0:3], 0 offen offset:4
	buffer_load_dword v65, v80, s[0:3], 0 offen offset:8
	buffer_load_dword v66, v80, s[0:3], 0 offen offset:12
	;; [unrolled: 11-line block ×4, first 2 shown]
	s_waitcnt vmcnt(44)
	global_store_dwordx4 v[19:20], v[0:3], off
	s_clause 0x3
	buffer_load_dword v0, v84, s[0:3], 0 offen
	buffer_load_dword v1, v84, s[0:3], 0 offen offset:4
	buffer_load_dword v2, v84, s[0:3], 0 offen offset:8
	;; [unrolled: 1-line block ×3, first 2 shown]
	s_waitcnt vmcnt(44)
	global_store_dwordx4 v[21:22], v[11:14], off
	s_waitcnt vmcnt(40)
	global_store_dwordx4 v[25:26], v[4:7], off
	;; [unrolled: 2-line block ×12, first 2 shown]
.LBB20_323:
	s_endpgm
	.section	.rodata,"a",@progbits
	.p2align	6, 0x0
	.amdhsa_kernel _ZN9rocsolver6v33100L18trti2_kernel_smallILi21E19rocblas_complex_numIdEPS3_EEv13rocblas_fill_17rocblas_diagonal_T1_iil
		.amdhsa_group_segment_fixed_size 672
		.amdhsa_private_segment_fixed_size 352
		.amdhsa_kernarg_size 32
		.amdhsa_user_sgpr_count 6
		.amdhsa_user_sgpr_private_segment_buffer 1
		.amdhsa_user_sgpr_dispatch_ptr 0
		.amdhsa_user_sgpr_queue_ptr 0
		.amdhsa_user_sgpr_kernarg_segment_ptr 1
		.amdhsa_user_sgpr_dispatch_id 0
		.amdhsa_user_sgpr_flat_scratch_init 0
		.amdhsa_user_sgpr_private_segment_size 0
		.amdhsa_wavefront_size32 1
		.amdhsa_uses_dynamic_stack 0
		.amdhsa_system_sgpr_private_segment_wavefront_offset 1
		.amdhsa_system_sgpr_workgroup_id_x 1
		.amdhsa_system_sgpr_workgroup_id_y 0
		.amdhsa_system_sgpr_workgroup_id_z 0
		.amdhsa_system_sgpr_workgroup_info 0
		.amdhsa_system_vgpr_workitem_id 0
		.amdhsa_next_free_vgpr 85
		.amdhsa_next_free_sgpr 36
		.amdhsa_reserve_vcc 1
		.amdhsa_reserve_flat_scratch 0
		.amdhsa_float_round_mode_32 0
		.amdhsa_float_round_mode_16_64 0
		.amdhsa_float_denorm_mode_32 3
		.amdhsa_float_denorm_mode_16_64 3
		.amdhsa_dx10_clamp 1
		.amdhsa_ieee_mode 1
		.amdhsa_fp16_overflow 0
		.amdhsa_workgroup_processor_mode 1
		.amdhsa_memory_ordered 1
		.amdhsa_forward_progress 1
		.amdhsa_shared_vgpr_count 0
		.amdhsa_exception_fp_ieee_invalid_op 0
		.amdhsa_exception_fp_denorm_src 0
		.amdhsa_exception_fp_ieee_div_zero 0
		.amdhsa_exception_fp_ieee_overflow 0
		.amdhsa_exception_fp_ieee_underflow 0
		.amdhsa_exception_fp_ieee_inexact 0
		.amdhsa_exception_int_div_zero 0
	.end_amdhsa_kernel
	.section	.text._ZN9rocsolver6v33100L18trti2_kernel_smallILi21E19rocblas_complex_numIdEPS3_EEv13rocblas_fill_17rocblas_diagonal_T1_iil,"axG",@progbits,_ZN9rocsolver6v33100L18trti2_kernel_smallILi21E19rocblas_complex_numIdEPS3_EEv13rocblas_fill_17rocblas_diagonal_T1_iil,comdat
.Lfunc_end20:
	.size	_ZN9rocsolver6v33100L18trti2_kernel_smallILi21E19rocblas_complex_numIdEPS3_EEv13rocblas_fill_17rocblas_diagonal_T1_iil, .Lfunc_end20-_ZN9rocsolver6v33100L18trti2_kernel_smallILi21E19rocblas_complex_numIdEPS3_EEv13rocblas_fill_17rocblas_diagonal_T1_iil
                                        ; -- End function
	.set _ZN9rocsolver6v33100L18trti2_kernel_smallILi21E19rocblas_complex_numIdEPS3_EEv13rocblas_fill_17rocblas_diagonal_T1_iil.num_vgpr, 85
	.set _ZN9rocsolver6v33100L18trti2_kernel_smallILi21E19rocblas_complex_numIdEPS3_EEv13rocblas_fill_17rocblas_diagonal_T1_iil.num_agpr, 0
	.set _ZN9rocsolver6v33100L18trti2_kernel_smallILi21E19rocblas_complex_numIdEPS3_EEv13rocblas_fill_17rocblas_diagonal_T1_iil.numbered_sgpr, 36
	.set _ZN9rocsolver6v33100L18trti2_kernel_smallILi21E19rocblas_complex_numIdEPS3_EEv13rocblas_fill_17rocblas_diagonal_T1_iil.num_named_barrier, 0
	.set _ZN9rocsolver6v33100L18trti2_kernel_smallILi21E19rocblas_complex_numIdEPS3_EEv13rocblas_fill_17rocblas_diagonal_T1_iil.private_seg_size, 352
	.set _ZN9rocsolver6v33100L18trti2_kernel_smallILi21E19rocblas_complex_numIdEPS3_EEv13rocblas_fill_17rocblas_diagonal_T1_iil.uses_vcc, 1
	.set _ZN9rocsolver6v33100L18trti2_kernel_smallILi21E19rocblas_complex_numIdEPS3_EEv13rocblas_fill_17rocblas_diagonal_T1_iil.uses_flat_scratch, 0
	.set _ZN9rocsolver6v33100L18trti2_kernel_smallILi21E19rocblas_complex_numIdEPS3_EEv13rocblas_fill_17rocblas_diagonal_T1_iil.has_dyn_sized_stack, 0
	.set _ZN9rocsolver6v33100L18trti2_kernel_smallILi21E19rocblas_complex_numIdEPS3_EEv13rocblas_fill_17rocblas_diagonal_T1_iil.has_recursion, 0
	.set _ZN9rocsolver6v33100L18trti2_kernel_smallILi21E19rocblas_complex_numIdEPS3_EEv13rocblas_fill_17rocblas_diagonal_T1_iil.has_indirect_call, 0
	.section	.AMDGPU.csdata,"",@progbits
; Kernel info:
; codeLenInByte = 21024
; TotalNumSgprs: 38
; NumVgprs: 85
; ScratchSize: 352
; MemoryBound: 0
; FloatMode: 240
; IeeeMode: 1
; LDSByteSize: 672 bytes/workgroup (compile time only)
; SGPRBlocks: 0
; VGPRBlocks: 10
; NumSGPRsForWavesPerEU: 38
; NumVGPRsForWavesPerEU: 85
; Occupancy: 10
; WaveLimiterHint : 0
; COMPUTE_PGM_RSRC2:SCRATCH_EN: 1
; COMPUTE_PGM_RSRC2:USER_SGPR: 6
; COMPUTE_PGM_RSRC2:TRAP_HANDLER: 0
; COMPUTE_PGM_RSRC2:TGID_X_EN: 1
; COMPUTE_PGM_RSRC2:TGID_Y_EN: 0
; COMPUTE_PGM_RSRC2:TGID_Z_EN: 0
; COMPUTE_PGM_RSRC2:TIDIG_COMP_CNT: 0
	.section	.text._ZN9rocsolver6v33100L18trti2_kernel_smallILi22E19rocblas_complex_numIdEPS3_EEv13rocblas_fill_17rocblas_diagonal_T1_iil,"axG",@progbits,_ZN9rocsolver6v33100L18trti2_kernel_smallILi22E19rocblas_complex_numIdEPS3_EEv13rocblas_fill_17rocblas_diagonal_T1_iil,comdat
	.globl	_ZN9rocsolver6v33100L18trti2_kernel_smallILi22E19rocblas_complex_numIdEPS3_EEv13rocblas_fill_17rocblas_diagonal_T1_iil ; -- Begin function _ZN9rocsolver6v33100L18trti2_kernel_smallILi22E19rocblas_complex_numIdEPS3_EEv13rocblas_fill_17rocblas_diagonal_T1_iil
	.p2align	8
	.type	_ZN9rocsolver6v33100L18trti2_kernel_smallILi22E19rocblas_complex_numIdEPS3_EEv13rocblas_fill_17rocblas_diagonal_T1_iil,@function
_ZN9rocsolver6v33100L18trti2_kernel_smallILi22E19rocblas_complex_numIdEPS3_EEv13rocblas_fill_17rocblas_diagonal_T1_iil: ; @_ZN9rocsolver6v33100L18trti2_kernel_smallILi22E19rocblas_complex_numIdEPS3_EEv13rocblas_fill_17rocblas_diagonal_T1_iil
; %bb.0:
	s_add_u32 s0, s0, s7
	s_addc_u32 s1, s1, 0
	s_mov_b32 s7, exec_lo
	v_cmpx_gt_u32_e32 22, v0
	s_cbranch_execz .LBB21_339
; %bb.1:
	s_load_dwordx8 s[8:15], s[4:5], 0x0
	s_ashr_i32 s4, s6, 31
	v_lshlrev_b32_e32 v55, 4, v0
	s_movk_i32 s30, 0xf0
	s_movk_i32 s31, 0x100
	;; [unrolled: 1-line block ×7, first 2 shown]
	s_waitcnt lgkmcnt(0)
	s_mul_hi_u32 s7, s14, s6
	s_mul_i32 s4, s14, s4
	s_mul_i32 s15, s15, s6
	s_add_i32 s7, s7, s4
	s_mul_i32 s6, s14, s6
	s_add_i32 s7, s7, s15
	s_ashr_i32 s5, s12, 31
	s_lshl_b64 s[6:7], s[6:7], 4
	s_mov_b32 s4, s12
	v_add3_u32 v5, s13, s13, v0
	s_add_u32 s6, s10, s6
	s_addc_u32 s7, s11, s7
	s_lshl_b64 s[4:5], s[4:5], 4
	s_mov_b32 s14, s13
	s_add_u32 s4, s6, s4
	v_ashrrev_i32_e32 v6, 31, v5
	s_addc_u32 s5, s7, s5
	v_add_co_u32 v33, s6, s4, v55
	global_load_dwordx4 v[1:4], v55, s[4:5]
	s_ashr_i32 s15, s13, 31
	v_add_co_ci_u32_e64 v34, null, s5, 0, s6
	s_lshl_b64 s[6:7], s[14:15], 4
	v_lshlrev_b64 v[6:7], 4, v[5:6]
	v_add_co_u32 v27, vcc_lo, v33, s6
	v_add_co_ci_u32_e64 v28, null, s7, v34, vcc_lo
	v_add_nc_u32_e32 v5, s13, v5
	v_add_co_u32 v19, vcc_lo, s4, v6
	v_add_co_ci_u32_e64 v20, null, s5, v7, vcc_lo
	global_load_dwordx4 v[21:24], v[27:28], off
	v_add_nc_u32_e32 v7, s13, v5
	v_ashrrev_i32_e32 v6, 31, v5
	global_load_dwordx4 v[29:32], v[19:20], off
	s_cmpk_lg_i32 s9, 0x84
	s_movk_i32 s6, 0x70
	v_add_nc_u32_e32 v11, s13, v7
	v_lshlrev_b64 v[5:6], 4, v[5:6]
	v_ashrrev_i32_e32 v8, 31, v7
	s_movk_i32 s7, 0x80
	s_movk_i32 s10, 0x90
	v_add_nc_u32_e32 v13, s13, v11
	v_ashrrev_i32_e32 v12, 31, v11
	v_add_co_u32 v9, vcc_lo, s4, v5
	v_add_co_ci_u32_e64 v10, null, s5, v6, vcc_lo
	v_add_nc_u32_e32 v15, s13, v13
	v_lshlrev_b64 v[5:6], 4, v[7:8]
	v_ashrrev_i32_e32 v14, 31, v13
	v_lshlrev_b64 v[11:12], 4, v[11:12]
	global_load_dwordx4 v[35:38], v[9:10], off
	v_add_nc_u32_e32 v17, s13, v15
	v_ashrrev_i32_e32 v16, 31, v15
	v_add_co_u32 v7, vcc_lo, s4, v5
	v_add_co_ci_u32_e64 v8, null, s5, v6, vcc_lo
	v_add_nc_u32_e32 v25, s13, v17
	v_lshlrev_b64 v[13:14], 4, v[13:14]
	v_add_co_u32 v11, vcc_lo, s4, v11
	v_add_co_ci_u32_e64 v12, null, s5, v12, vcc_lo
	v_add_nc_u32_e32 v47, s13, v25
	global_load_dwordx4 v[39:42], v[7:8], off
	v_ashrrev_i32_e32 v18, 31, v17
	global_load_dwordx4 v[43:46], v[11:12], off
	v_lshlrev_b64 v[15:16], 4, v[15:16]
	v_add_nc_u32_e32 v53, s13, v47
	v_ashrrev_i32_e32 v26, 31, v25
	v_lshlrev_b64 v[17:18], 4, v[17:18]
	v_ashrrev_i32_e32 v48, 31, v47
	s_movk_i32 s11, 0xa0
	v_add_nc_u32_e32 v68, s13, v53
	v_ashrrev_i32_e32 v54, 31, v53
	s_movk_i32 s12, 0xb0
	s_movk_i32 s14, 0xd0
	;; [unrolled: 1-line block ×3, first 2 shown]
	v_add_nc_u32_e32 v72, s13, v68
	v_ashrrev_i32_e32 v69, 31, v68
	s_cselect_b32 s29, -1, 0
	s_cmpk_eq_i32 s9, 0x84
	v_add_nc_u32_e32 v74, s13, v72
	v_ashrrev_i32_e32 v73, 31, v72
	v_add_nc_u32_e32 v76, s13, v74
	v_ashrrev_i32_e32 v75, 31, v74
	;; [unrolled: 2-line block ×8, first 2 shown]
	s_movk_i32 s13, 0xc0
	v_ashrrev_i32_e32 v6, 31, v5
	v_lshlrev_b64 v[5:6], 4, v[5:6]
	v_add_co_u32 v5, vcc_lo, s4, v5
	v_add_co_ci_u32_e64 v6, null, s5, v6, vcc_lo
	v_add_co_u32 v13, vcc_lo, s4, v13
	v_add_co_ci_u32_e64 v14, null, s5, v14, vcc_lo
	global_load_dwordx4 v[49:52], v[5:6], off
	v_add_co_u32 v15, vcc_lo, s4, v15
	v_add_co_ci_u32_e64 v16, null, s5, v16, vcc_lo
	v_add_co_u32 v17, vcc_lo, s4, v17
	v_add_co_ci_u32_e64 v18, null, s5, v18, vcc_lo
	s_waitcnt vmcnt(6)
	buffer_store_dword v4, off, s[0:3], 0 offset:12
	buffer_store_dword v3, off, s[0:3], 0 offset:8
	;; [unrolled: 1-line block ×3, first 2 shown]
	buffer_store_dword v1, off, s[0:3], 0
	global_load_dwordx4 v[1:4], v[13:14], off
	s_waitcnt vmcnt(6)
	buffer_store_dword v24, off, s[0:3], 0 offset:28
	buffer_store_dword v23, off, s[0:3], 0 offset:24
	;; [unrolled: 1-line block ×4, first 2 shown]
	global_load_dwordx4 v[56:59], v[15:16], off
	s_waitcnt vmcnt(6)
	buffer_store_dword v32, off, s[0:3], 0 offset:44
	buffer_store_dword v31, off, s[0:3], 0 offset:40
	;; [unrolled: 1-line block ×4, first 2 shown]
	global_load_dwordx4 v[60:63], v[17:18], off
	v_lshlrev_b64 v[21:22], 4, v[25:26]
	v_lshlrev_b64 v[23:24], 4, v[47:48]
	v_lshlrev_b64 v[25:26], 4, v[53:54]
	v_lshlrev_b64 v[29:30], 4, v[68:69]
	s_waitcnt vmcnt(6)
	buffer_store_dword v38, off, s[0:3], 0 offset:60
	buffer_store_dword v37, off, s[0:3], 0 offset:56
	;; [unrolled: 1-line block ×4, first 2 shown]
	v_add_co_u32 v21, vcc_lo, s4, v21
	v_add_co_ci_u32_e64 v22, null, s5, v22, vcc_lo
	v_add_co_u32 v23, vcc_lo, s4, v23
	v_add_co_ci_u32_e64 v24, null, s5, v24, vcc_lo
	;; [unrolled: 2-line block ×3, first 2 shown]
	v_add_co_u32 v29, vcc_lo, s4, v29
	global_load_dwordx4 v[64:67], v[21:22], off
	s_waitcnt vmcnt(6)
	buffer_store_dword v42, off, s[0:3], 0 offset:76
	buffer_store_dword v41, off, s[0:3], 0 offset:72
	;; [unrolled: 1-line block ×4, first 2 shown]
	global_load_dwordx4 v[68:71], v[23:24], off
	s_waitcnt vmcnt(6)
	buffer_store_dword v46, off, s[0:3], 0 offset:92
	buffer_store_dword v45, off, s[0:3], 0 offset:88
	;; [unrolled: 1-line block ×4, first 2 shown]
	v_add_co_ci_u32_e64 v30, null, s5, v30, vcc_lo
	global_load_dwordx4 v[45:48], v[25:26], off
	v_lshlrev_b64 v[31:32], 4, v[72:73]
	v_lshlrev_b64 v[35:36], 4, v[74:75]
	;; [unrolled: 1-line block ×6, first 2 shown]
	v_add_co_u32 v31, vcc_lo, s4, v31
	v_add_co_ci_u32_e64 v32, null, s5, v32, vcc_lo
	v_add_co_u32 v35, vcc_lo, s4, v35
	v_add_co_ci_u32_e64 v36, null, s5, v36, vcc_lo
	;; [unrolled: 2-line block ×6, first 2 shown]
	v_lshlrev_b64 v[53:54], 4, v[84:85]
	v_lshlrev_b64 v[76:77], 4, v[86:87]
	s_waitcnt vmcnt(5)
	buffer_store_dword v4, off, s[0:3], 0 offset:108
	buffer_store_dword v3, off, s[0:3], 0 offset:104
	buffer_store_dword v2, off, s[0:3], 0 offset:100
	buffer_store_dword v1, off, s[0:3], 0 offset:96
	global_load_dwordx4 v[1:4], v[29:30], off
	s_waitcnt vmcnt(5)
	buffer_store_dword v59, off, s[0:3], 0 offset:124
	buffer_store_dword v58, off, s[0:3], 0 offset:120
	buffer_store_dword v57, off, s[0:3], 0 offset:116
	buffer_store_dword v56, off, s[0:3], 0 offset:112
	global_load_dwordx4 v[56:59], v[31:32], off
	;; [unrolled: 6-line block ×3, first 2 shown]
	s_waitcnt vmcnt(5)
	buffer_store_dword v64, off, s[0:3], 0 offset:144
	buffer_store_dword v65, off, s[0:3], 0 offset:148
	;; [unrolled: 1-line block ×4, first 2 shown]
	s_waitcnt vmcnt(4)
	buffer_store_dword v68, off, s[0:3], 0 offset:160
	buffer_store_dword v69, off, s[0:3], 0 offset:164
	;; [unrolled: 1-line block ×4, first 2 shown]
	s_clause 0x1
	global_load_dwordx4 v[64:67], v[37:38], off
	global_load_dwordx4 v[68:71], v[39:40], off
	s_waitcnt vmcnt(5)
	buffer_store_dword v45, off, s[0:3], 0 offset:176
	buffer_store_dword v46, off, s[0:3], 0 offset:180
	;; [unrolled: 1-line block ×4, first 2 shown]
	s_waitcnt vmcnt(4)
	buffer_store_dword v4, off, s[0:3], 0 offset:204
	buffer_store_dword v3, off, s[0:3], 0 offset:200
	;; [unrolled: 1-line block ×4, first 2 shown]
	s_clause 0x1
	global_load_dwordx4 v[1:4], v[41:42], off
	global_load_dwordx4 v[72:75], v[43:44], off
	v_add_co_u32 v45, vcc_lo, s4, v53
	v_add_co_ci_u32_e64 v46, null, s5, v54, vcc_lo
	v_add_co_u32 v47, vcc_lo, s4, v76
	v_add_co_ci_u32_e64 v48, null, s5, v77, vcc_lo
	s_waitcnt vmcnt(5)
	buffer_store_dword v59, off, s[0:3], 0 offset:220
	buffer_store_dword v58, off, s[0:3], 0 offset:216
	;; [unrolled: 1-line block ×4, first 2 shown]
	global_load_dwordx4 v[56:59], v[45:46], off
	s_waitcnt vmcnt(5)
	buffer_store_dword v63, off, s[0:3], 0 offset:236
	buffer_store_dword v62, off, s[0:3], 0 offset:232
	;; [unrolled: 1-line block ×4, first 2 shown]
	global_load_dwordx4 v[60:63], v[47:48], off
	s_movk_i32 s4, 0x50
	s_movk_i32 s5, 0x60
	s_waitcnt vmcnt(5)
	buffer_store_dword v67, off, s[0:3], 0 offset:252
	buffer_store_dword v66, off, s[0:3], 0 offset:248
	buffer_store_dword v65, off, s[0:3], 0 offset:244
	buffer_store_dword v64, off, s[0:3], 0 offset:240
	s_waitcnt vmcnt(4)
	buffer_store_dword v71, off, s[0:3], 0 offset:268
	buffer_store_dword v70, off, s[0:3], 0 offset:264
	buffer_store_dword v69, off, s[0:3], 0 offset:260
	buffer_store_dword v68, off, s[0:3], 0 offset:256
	;; [unrolled: 5-line block ×6, first 2 shown]
	buffer_store_dword v52, off, s[0:3], 0 offset:348
	buffer_store_dword v51, off, s[0:3], 0 offset:344
	;; [unrolled: 1-line block ×4, first 2 shown]
	s_cbranch_scc1 .LBB21_7
; %bb.2:
	v_lshl_add_u32 v56, v0, 4, 0
                                        ; implicit-def: $vgpr51_vgpr52
                                        ; implicit-def: $vgpr3_vgpr4
	s_clause 0x3
	buffer_load_dword v49, v56, s[0:3], 0 offen
	buffer_load_dword v50, v56, s[0:3], 0 offen offset:4
	buffer_load_dword v53, v56, s[0:3], 0 offen offset:8
	;; [unrolled: 1-line block ×3, first 2 shown]
	s_waitcnt vmcnt(0)
	v_cmp_ngt_f64_e64 s9, |v[49:50]|, |v[53:54]|
	s_and_saveexec_b32 s16, s9
	s_xor_b32 s9, exec_lo, s16
	s_cbranch_execz .LBB21_4
; %bb.3:
	v_div_scale_f64 v[1:2], null, v[53:54], v[53:54], v[49:50]
	v_div_scale_f64 v[57:58], vcc_lo, v[49:50], v[53:54], v[49:50]
	v_rcp_f64_e32 v[3:4], v[1:2]
	v_fma_f64 v[51:52], -v[1:2], v[3:4], 1.0
	v_fma_f64 v[3:4], v[3:4], v[51:52], v[3:4]
	v_fma_f64 v[51:52], -v[1:2], v[3:4], 1.0
	v_fma_f64 v[3:4], v[3:4], v[51:52], v[3:4]
	v_mul_f64 v[51:52], v[57:58], v[3:4]
	v_fma_f64 v[1:2], -v[1:2], v[51:52], v[57:58]
	v_div_fmas_f64 v[1:2], v[1:2], v[3:4], v[51:52]
	v_div_fixup_f64 v[1:2], v[1:2], v[53:54], v[49:50]
	v_fma_f64 v[3:4], v[49:50], v[1:2], v[53:54]
	v_div_scale_f64 v[49:50], null, v[3:4], v[3:4], 1.0
	v_div_scale_f64 v[57:58], vcc_lo, 1.0, v[3:4], 1.0
	v_rcp_f64_e32 v[51:52], v[49:50]
	v_fma_f64 v[53:54], -v[49:50], v[51:52], 1.0
	v_fma_f64 v[51:52], v[51:52], v[53:54], v[51:52]
	v_fma_f64 v[53:54], -v[49:50], v[51:52], 1.0
	v_fma_f64 v[51:52], v[51:52], v[53:54], v[51:52]
	v_mul_f64 v[53:54], v[57:58], v[51:52]
	v_fma_f64 v[49:50], -v[49:50], v[53:54], v[57:58]
	v_div_fmas_f64 v[49:50], v[49:50], v[51:52], v[53:54]
                                        ; implicit-def: $vgpr53_vgpr54
	v_div_fixup_f64 v[3:4], v[49:50], v[3:4], 1.0
                                        ; implicit-def: $vgpr49_vgpr50
	v_mul_f64 v[51:52], v[1:2], v[3:4]
	v_xor_b32_e32 v4, 0x80000000, v4
	v_xor_b32_e32 v2, 0x80000000, v52
	v_mov_b32_e32 v1, v51
.LBB21_4:
	s_andn2_saveexec_b32 s9, s9
	s_cbranch_execz .LBB21_6
; %bb.5:
	v_div_scale_f64 v[1:2], null, v[49:50], v[49:50], v[53:54]
	v_div_scale_f64 v[57:58], vcc_lo, v[53:54], v[49:50], v[53:54]
	v_rcp_f64_e32 v[3:4], v[1:2]
	v_fma_f64 v[51:52], -v[1:2], v[3:4], 1.0
	v_fma_f64 v[3:4], v[3:4], v[51:52], v[3:4]
	v_fma_f64 v[51:52], -v[1:2], v[3:4], 1.0
	v_fma_f64 v[3:4], v[3:4], v[51:52], v[3:4]
	v_mul_f64 v[51:52], v[57:58], v[3:4]
	v_fma_f64 v[1:2], -v[1:2], v[51:52], v[57:58]
	v_div_fmas_f64 v[1:2], v[1:2], v[3:4], v[51:52]
	v_div_fixup_f64 v[1:2], v[1:2], v[49:50], v[53:54]
	v_fma_f64 v[3:4], v[53:54], v[1:2], v[49:50]
	v_div_scale_f64 v[49:50], null, v[3:4], v[3:4], 1.0
	v_rcp_f64_e32 v[51:52], v[49:50]
	v_fma_f64 v[53:54], -v[49:50], v[51:52], 1.0
	v_fma_f64 v[51:52], v[51:52], v[53:54], v[51:52]
	v_fma_f64 v[53:54], -v[49:50], v[51:52], 1.0
	v_fma_f64 v[51:52], v[51:52], v[53:54], v[51:52]
	v_div_scale_f64 v[53:54], vcc_lo, 1.0, v[3:4], 1.0
	v_mul_f64 v[57:58], v[53:54], v[51:52]
	v_fma_f64 v[49:50], -v[49:50], v[57:58], v[53:54]
	v_div_fmas_f64 v[49:50], v[49:50], v[51:52], v[57:58]
	v_div_fixup_f64 v[51:52], v[49:50], v[3:4], 1.0
	v_mul_f64 v[3:4], v[1:2], -v[51:52]
	v_xor_b32_e32 v2, 0x80000000, v52
	v_mov_b32_e32 v1, v51
.LBB21_6:
	s_or_b32 exec_lo, exec_lo, s9
	buffer_store_dword v4, v56, s[0:3], 0 offen offset:12
	v_xor_b32_e32 v4, 0x80000000, v4
	buffer_store_dword v52, v56, s[0:3], 0 offen offset:4
	buffer_store_dword v51, v56, s[0:3], 0 offen
	buffer_store_dword v3, v56, s[0:3], 0 offen offset:8
	s_branch .LBB21_8
.LBB21_7:
	v_mov_b32_e32 v1, 0
	v_mov_b32_e32 v3, 0
	;; [unrolled: 1-line block ×4, first 2 shown]
.LBB21_8:
	v_add_nc_u32_e32 v50, 0x160, v55
	v_mov_b32_e32 v49, v55
	s_mov_b32 s27, 16
	s_mov_b32 s28, 32
	;; [unrolled: 1-line block ×20, first 2 shown]
	s_cmpk_eq_i32 s8, 0x79
	ds_write_b128 v55, v[1:4]
	s_cbranch_scc1 .LBB21_172
; %bb.9:
	v_mov_b32_e32 v4, s9
	v_cmp_eq_u32_e64 s4, 21, v0
	s_clause 0x3
	buffer_load_dword v1, v4, s[0:3], 0 offen
	buffer_load_dword v2, v4, s[0:3], 0 offen offset:4
	buffer_load_dword v3, v4, s[0:3], 0 offen offset:8
	;; [unrolled: 1-line block ×3, first 2 shown]
	s_waitcnt vmcnt(0)
	ds_write_b128 v50, v[1:4]
	s_waitcnt lgkmcnt(0)
	s_waitcnt_vscnt null, 0x0
	s_barrier
	buffer_gl0_inv
	s_and_saveexec_b32 s5, s4
	s_cbranch_execz .LBB21_13
; %bb.10:
	ds_read_b128 v[1:4], v50
	s_andn2_b32 vcc_lo, exec_lo, s29
	s_cbranch_vccnz .LBB21_12
; %bb.11:
	s_clause 0x3
	buffer_load_dword v51, v49, s[0:3], 0 offen offset:8
	buffer_load_dword v52, v49, s[0:3], 0 offen offset:12
	buffer_load_dword v53, v49, s[0:3], 0 offen
	buffer_load_dword v54, v49, s[0:3], 0 offen offset:4
	s_waitcnt vmcnt(2) lgkmcnt(0)
	v_mul_f64 v[56:57], v[3:4], v[51:52]
	v_mul_f64 v[51:52], v[1:2], v[51:52]
	s_waitcnt vmcnt(0)
	v_fma_f64 v[1:2], v[1:2], v[53:54], -v[56:57]
	v_fma_f64 v[3:4], v[3:4], v[53:54], v[51:52]
.LBB21_12:
	v_mov_b32_e32 v51, 0
	ds_read_b128 v[51:54], v51 offset:320
	s_waitcnt lgkmcnt(0)
	v_mul_f64 v[56:57], v[3:4], v[53:54]
	v_mul_f64 v[53:54], v[1:2], v[53:54]
	v_fma_f64 v[1:2], v[1:2], v[51:52], -v[56:57]
	v_fma_f64 v[3:4], v[3:4], v[51:52], v[53:54]
	buffer_store_dword v2, off, s[0:3], 0 offset:324
	buffer_store_dword v1, off, s[0:3], 0 offset:320
	;; [unrolled: 1-line block ×4, first 2 shown]
.LBB21_13:
	s_or_b32 exec_lo, exec_lo, s5
	v_mov_b32_e32 v4, s10
	v_cmp_lt_u32_e64 s5, 19, v0
	s_clause 0x3
	buffer_load_dword v1, v4, s[0:3], 0 offen
	buffer_load_dword v2, v4, s[0:3], 0 offen offset:4
	buffer_load_dword v3, v4, s[0:3], 0 offen offset:8
	;; [unrolled: 1-line block ×3, first 2 shown]
	s_waitcnt vmcnt(0)
	ds_write_b128 v50, v[1:4]
	s_waitcnt lgkmcnt(0)
	s_waitcnt_vscnt null, 0x0
	s_barrier
	buffer_gl0_inv
	s_and_saveexec_b32 s6, s5
	s_cbranch_execz .LBB21_19
; %bb.14:
	ds_read_b128 v[1:4], v50
	s_andn2_b32 vcc_lo, exec_lo, s29
	s_cbranch_vccnz .LBB21_16
; %bb.15:
	s_clause 0x3
	buffer_load_dword v51, v49, s[0:3], 0 offen offset:8
	buffer_load_dword v52, v49, s[0:3], 0 offen offset:12
	buffer_load_dword v53, v49, s[0:3], 0 offen
	buffer_load_dword v54, v49, s[0:3], 0 offen offset:4
	s_waitcnt vmcnt(2) lgkmcnt(0)
	v_mul_f64 v[56:57], v[3:4], v[51:52]
	v_mul_f64 v[51:52], v[1:2], v[51:52]
	s_waitcnt vmcnt(0)
	v_fma_f64 v[1:2], v[1:2], v[53:54], -v[56:57]
	v_fma_f64 v[3:4], v[3:4], v[53:54], v[51:52]
.LBB21_16:
	s_and_saveexec_b32 s8, s4
	s_cbranch_execz .LBB21_18
; %bb.17:
	s_clause 0x3
	buffer_load_dword v56, off, s[0:3], 0 offset:328
	buffer_load_dword v57, off, s[0:3], 0 offset:332
	;; [unrolled: 1-line block ×4, first 2 shown]
	v_mov_b32_e32 v51, 0
	ds_read_b128 v[51:54], v51 offset:672
	s_waitcnt vmcnt(2) lgkmcnt(0)
	v_mul_f64 v[60:61], v[51:52], v[56:57]
	v_mul_f64 v[56:57], v[53:54], v[56:57]
	s_waitcnt vmcnt(0)
	v_fma_f64 v[53:54], v[53:54], v[58:59], v[60:61]
	v_fma_f64 v[51:52], v[51:52], v[58:59], -v[56:57]
	v_add_f64 v[3:4], v[3:4], v[53:54]
	v_add_f64 v[1:2], v[1:2], v[51:52]
.LBB21_18:
	s_or_b32 exec_lo, exec_lo, s8
	v_mov_b32_e32 v51, 0
	ds_read_b128 v[51:54], v51 offset:304
	s_waitcnt lgkmcnt(0)
	v_mul_f64 v[56:57], v[3:4], v[53:54]
	v_mul_f64 v[53:54], v[1:2], v[53:54]
	v_fma_f64 v[1:2], v[1:2], v[51:52], -v[56:57]
	v_fma_f64 v[3:4], v[3:4], v[51:52], v[53:54]
	buffer_store_dword v2, off, s[0:3], 0 offset:308
	buffer_store_dword v1, off, s[0:3], 0 offset:304
	;; [unrolled: 1-line block ×4, first 2 shown]
.LBB21_19:
	s_or_b32 exec_lo, exec_lo, s6
	v_mov_b32_e32 v4, s11
	v_cmp_lt_u32_e64 s4, 18, v0
	s_clause 0x3
	buffer_load_dword v1, v4, s[0:3], 0 offen
	buffer_load_dword v2, v4, s[0:3], 0 offen offset:4
	buffer_load_dword v3, v4, s[0:3], 0 offen offset:8
	;; [unrolled: 1-line block ×3, first 2 shown]
	s_waitcnt vmcnt(0)
	ds_write_b128 v50, v[1:4]
	s_waitcnt lgkmcnt(0)
	s_waitcnt_vscnt null, 0x0
	s_barrier
	buffer_gl0_inv
	s_and_saveexec_b32 s6, s4
	s_cbranch_execz .LBB21_27
; %bb.20:
	ds_read_b128 v[1:4], v50
	s_andn2_b32 vcc_lo, exec_lo, s29
	s_cbranch_vccnz .LBB21_22
; %bb.21:
	s_clause 0x3
	buffer_load_dword v51, v49, s[0:3], 0 offen offset:8
	buffer_load_dword v52, v49, s[0:3], 0 offen offset:12
	buffer_load_dword v53, v49, s[0:3], 0 offen
	buffer_load_dword v54, v49, s[0:3], 0 offen offset:4
	s_waitcnt vmcnt(2) lgkmcnt(0)
	v_mul_f64 v[56:57], v[3:4], v[51:52]
	v_mul_f64 v[51:52], v[1:2], v[51:52]
	s_waitcnt vmcnt(0)
	v_fma_f64 v[1:2], v[1:2], v[53:54], -v[56:57]
	v_fma_f64 v[3:4], v[3:4], v[53:54], v[51:52]
.LBB21_22:
	s_and_saveexec_b32 s8, s5
	s_cbranch_execz .LBB21_26
; %bb.23:
	v_subrev_nc_u32_e32 v51, 19, v0
	s_movk_i32 s30, 0x290
	s_mov_b32 s5, 0
	s_mov_b32 s31, s10
	.p2align	6
.LBB21_24:                              ; =>This Inner Loop Header: Depth=1
	v_mov_b32_e32 v54, s31
	v_add_nc_u32_e32 v51, -1, v51
	s_add_i32 s31, s31, 16
	s_clause 0x3
	buffer_load_dword v52, v54, s[0:3], 0 offen offset:8
	buffer_load_dword v53, v54, s[0:3], 0 offen offset:12
	buffer_load_dword v60, v54, s[0:3], 0 offen
	buffer_load_dword v61, v54, s[0:3], 0 offen offset:4
	v_mov_b32_e32 v54, s30
	v_cmp_eq_u32_e32 vcc_lo, 0, v51
	s_add_i32 s30, s30, 16
	ds_read_b128 v[56:59], v54
	s_or_b32 s5, vcc_lo, s5
	s_waitcnt vmcnt(2) lgkmcnt(0)
	v_mul_f64 v[62:63], v[58:59], v[52:53]
	v_mul_f64 v[52:53], v[56:57], v[52:53]
	s_waitcnt vmcnt(0)
	v_fma_f64 v[56:57], v[56:57], v[60:61], -v[62:63]
	v_fma_f64 v[52:53], v[58:59], v[60:61], v[52:53]
	v_add_f64 v[1:2], v[1:2], v[56:57]
	v_add_f64 v[3:4], v[3:4], v[52:53]
	s_andn2_b32 exec_lo, exec_lo, s5
	s_cbranch_execnz .LBB21_24
; %bb.25:
	s_or_b32 exec_lo, exec_lo, s5
.LBB21_26:
	s_or_b32 exec_lo, exec_lo, s8
	v_mov_b32_e32 v51, 0
	ds_read_b128 v[51:54], v51 offset:288
	s_waitcnt lgkmcnt(0)
	v_mul_f64 v[56:57], v[3:4], v[53:54]
	v_mul_f64 v[53:54], v[1:2], v[53:54]
	v_fma_f64 v[1:2], v[1:2], v[51:52], -v[56:57]
	v_fma_f64 v[3:4], v[3:4], v[51:52], v[53:54]
	buffer_store_dword v2, off, s[0:3], 0 offset:292
	buffer_store_dword v1, off, s[0:3], 0 offset:288
	;; [unrolled: 1-line block ×4, first 2 shown]
.LBB21_27:
	s_or_b32 exec_lo, exec_lo, s6
	v_mov_b32_e32 v4, s12
	v_cmp_lt_u32_e64 s5, 17, v0
	s_clause 0x3
	buffer_load_dword v1, v4, s[0:3], 0 offen
	buffer_load_dword v2, v4, s[0:3], 0 offen offset:4
	buffer_load_dword v3, v4, s[0:3], 0 offen offset:8
	;; [unrolled: 1-line block ×3, first 2 shown]
	s_waitcnt vmcnt(0)
	ds_write_b128 v50, v[1:4]
	s_waitcnt lgkmcnt(0)
	s_waitcnt_vscnt null, 0x0
	s_barrier
	buffer_gl0_inv
	s_and_saveexec_b32 s6, s5
	s_cbranch_execz .LBB21_35
; %bb.28:
	ds_read_b128 v[1:4], v50
	s_andn2_b32 vcc_lo, exec_lo, s29
	s_cbranch_vccnz .LBB21_30
; %bb.29:
	s_clause 0x3
	buffer_load_dword v51, v49, s[0:3], 0 offen offset:8
	buffer_load_dword v52, v49, s[0:3], 0 offen offset:12
	buffer_load_dword v53, v49, s[0:3], 0 offen
	buffer_load_dword v54, v49, s[0:3], 0 offen offset:4
	s_waitcnt vmcnt(2) lgkmcnt(0)
	v_mul_f64 v[56:57], v[3:4], v[51:52]
	v_mul_f64 v[51:52], v[1:2], v[51:52]
	s_waitcnt vmcnt(0)
	v_fma_f64 v[1:2], v[1:2], v[53:54], -v[56:57]
	v_fma_f64 v[3:4], v[3:4], v[53:54], v[51:52]
.LBB21_30:
	s_and_saveexec_b32 s8, s4
	s_cbranch_execz .LBB21_34
; %bb.31:
	v_subrev_nc_u32_e32 v51, 18, v0
	s_movk_i32 s30, 0x280
	s_mov_b32 s4, 0
	s_mov_b32 s31, s11
	.p2align	6
.LBB21_32:                              ; =>This Inner Loop Header: Depth=1
	v_mov_b32_e32 v54, s31
	v_add_nc_u32_e32 v51, -1, v51
	s_add_i32 s31, s31, 16
	s_clause 0x3
	buffer_load_dword v52, v54, s[0:3], 0 offen offset:8
	buffer_load_dword v53, v54, s[0:3], 0 offen offset:12
	buffer_load_dword v60, v54, s[0:3], 0 offen
	buffer_load_dword v61, v54, s[0:3], 0 offen offset:4
	v_mov_b32_e32 v54, s30
	v_cmp_eq_u32_e32 vcc_lo, 0, v51
	s_add_i32 s30, s30, 16
	ds_read_b128 v[56:59], v54
	s_or_b32 s4, vcc_lo, s4
	s_waitcnt vmcnt(2) lgkmcnt(0)
	v_mul_f64 v[62:63], v[58:59], v[52:53]
	v_mul_f64 v[52:53], v[56:57], v[52:53]
	s_waitcnt vmcnt(0)
	v_fma_f64 v[56:57], v[56:57], v[60:61], -v[62:63]
	v_fma_f64 v[52:53], v[58:59], v[60:61], v[52:53]
	v_add_f64 v[1:2], v[1:2], v[56:57]
	v_add_f64 v[3:4], v[3:4], v[52:53]
	s_andn2_b32 exec_lo, exec_lo, s4
	s_cbranch_execnz .LBB21_32
; %bb.33:
	s_or_b32 exec_lo, exec_lo, s4
.LBB21_34:
	s_or_b32 exec_lo, exec_lo, s8
	v_mov_b32_e32 v51, 0
	ds_read_b128 v[51:54], v51 offset:272
	s_waitcnt lgkmcnt(0)
	v_mul_f64 v[56:57], v[3:4], v[53:54]
	v_mul_f64 v[53:54], v[1:2], v[53:54]
	v_fma_f64 v[1:2], v[1:2], v[51:52], -v[56:57]
	v_fma_f64 v[3:4], v[3:4], v[51:52], v[53:54]
	buffer_store_dword v2, off, s[0:3], 0 offset:276
	buffer_store_dword v1, off, s[0:3], 0 offset:272
	;; [unrolled: 1-line block ×4, first 2 shown]
.LBB21_35:
	s_or_b32 exec_lo, exec_lo, s6
	v_mov_b32_e32 v4, s13
	v_cmp_lt_u32_e64 s4, 16, v0
	s_clause 0x3
	buffer_load_dword v1, v4, s[0:3], 0 offen
	buffer_load_dword v2, v4, s[0:3], 0 offen offset:4
	buffer_load_dword v3, v4, s[0:3], 0 offen offset:8
	;; [unrolled: 1-line block ×3, first 2 shown]
	s_waitcnt vmcnt(0)
	ds_write_b128 v50, v[1:4]
	s_waitcnt lgkmcnt(0)
	s_waitcnt_vscnt null, 0x0
	s_barrier
	buffer_gl0_inv
	s_and_saveexec_b32 s6, s4
	s_cbranch_execz .LBB21_43
; %bb.36:
	ds_read_b128 v[1:4], v50
	s_andn2_b32 vcc_lo, exec_lo, s29
	s_cbranch_vccnz .LBB21_38
; %bb.37:
	s_clause 0x3
	buffer_load_dword v51, v49, s[0:3], 0 offen offset:8
	buffer_load_dword v52, v49, s[0:3], 0 offen offset:12
	buffer_load_dword v53, v49, s[0:3], 0 offen
	buffer_load_dword v54, v49, s[0:3], 0 offen offset:4
	s_waitcnt vmcnt(2) lgkmcnt(0)
	v_mul_f64 v[56:57], v[3:4], v[51:52]
	v_mul_f64 v[51:52], v[1:2], v[51:52]
	s_waitcnt vmcnt(0)
	v_fma_f64 v[1:2], v[1:2], v[53:54], -v[56:57]
	v_fma_f64 v[3:4], v[3:4], v[53:54], v[51:52]
.LBB21_38:
	s_and_saveexec_b32 s8, s5
	s_cbranch_execz .LBB21_42
; %bb.39:
	v_subrev_nc_u32_e32 v51, 17, v0
	s_movk_i32 s30, 0x270
	s_mov_b32 s5, 0
	s_mov_b32 s31, s12
	.p2align	6
.LBB21_40:                              ; =>This Inner Loop Header: Depth=1
	v_mov_b32_e32 v54, s31
	v_add_nc_u32_e32 v51, -1, v51
	s_add_i32 s31, s31, 16
	s_clause 0x3
	buffer_load_dword v52, v54, s[0:3], 0 offen offset:8
	buffer_load_dword v53, v54, s[0:3], 0 offen offset:12
	buffer_load_dword v60, v54, s[0:3], 0 offen
	buffer_load_dword v61, v54, s[0:3], 0 offen offset:4
	v_mov_b32_e32 v54, s30
	v_cmp_eq_u32_e32 vcc_lo, 0, v51
	s_add_i32 s30, s30, 16
	ds_read_b128 v[56:59], v54
	s_or_b32 s5, vcc_lo, s5
	s_waitcnt vmcnt(2) lgkmcnt(0)
	v_mul_f64 v[62:63], v[58:59], v[52:53]
	v_mul_f64 v[52:53], v[56:57], v[52:53]
	s_waitcnt vmcnt(0)
	v_fma_f64 v[56:57], v[56:57], v[60:61], -v[62:63]
	v_fma_f64 v[52:53], v[58:59], v[60:61], v[52:53]
	v_add_f64 v[1:2], v[1:2], v[56:57]
	v_add_f64 v[3:4], v[3:4], v[52:53]
	s_andn2_b32 exec_lo, exec_lo, s5
	s_cbranch_execnz .LBB21_40
; %bb.41:
	s_or_b32 exec_lo, exec_lo, s5
.LBB21_42:
	s_or_b32 exec_lo, exec_lo, s8
	v_mov_b32_e32 v51, 0
	ds_read_b128 v[51:54], v51 offset:256
	s_waitcnt lgkmcnt(0)
	v_mul_f64 v[56:57], v[3:4], v[53:54]
	v_mul_f64 v[53:54], v[1:2], v[53:54]
	v_fma_f64 v[1:2], v[1:2], v[51:52], -v[56:57]
	v_fma_f64 v[3:4], v[3:4], v[51:52], v[53:54]
	buffer_store_dword v2, off, s[0:3], 0 offset:260
	buffer_store_dword v1, off, s[0:3], 0 offset:256
	;; [unrolled: 1-line block ×4, first 2 shown]
.LBB21_43:
	s_or_b32 exec_lo, exec_lo, s6
	v_mov_b32_e32 v4, s14
	v_cmp_lt_u32_e64 s5, 15, v0
	s_clause 0x3
	buffer_load_dword v1, v4, s[0:3], 0 offen
	buffer_load_dword v2, v4, s[0:3], 0 offen offset:4
	buffer_load_dword v3, v4, s[0:3], 0 offen offset:8
	;; [unrolled: 1-line block ×3, first 2 shown]
	s_waitcnt vmcnt(0)
	ds_write_b128 v50, v[1:4]
	s_waitcnt lgkmcnt(0)
	s_waitcnt_vscnt null, 0x0
	s_barrier
	buffer_gl0_inv
	s_and_saveexec_b32 s6, s5
	s_cbranch_execz .LBB21_51
; %bb.44:
	ds_read_b128 v[1:4], v50
	s_andn2_b32 vcc_lo, exec_lo, s29
	s_cbranch_vccnz .LBB21_46
; %bb.45:
	s_clause 0x3
	buffer_load_dword v51, v49, s[0:3], 0 offen offset:8
	buffer_load_dword v52, v49, s[0:3], 0 offen offset:12
	buffer_load_dword v53, v49, s[0:3], 0 offen
	buffer_load_dword v54, v49, s[0:3], 0 offen offset:4
	s_waitcnt vmcnt(2) lgkmcnt(0)
	v_mul_f64 v[56:57], v[3:4], v[51:52]
	v_mul_f64 v[51:52], v[1:2], v[51:52]
	s_waitcnt vmcnt(0)
	v_fma_f64 v[1:2], v[1:2], v[53:54], -v[56:57]
	v_fma_f64 v[3:4], v[3:4], v[53:54], v[51:52]
.LBB21_46:
	s_and_saveexec_b32 s8, s4
	s_cbranch_execz .LBB21_50
; %bb.47:
	v_add_nc_u32_e32 v51, -16, v0
	s_movk_i32 s30, 0x260
	s_mov_b32 s4, 0
	s_mov_b32 s31, s13
	.p2align	6
.LBB21_48:                              ; =>This Inner Loop Header: Depth=1
	v_mov_b32_e32 v54, s31
	v_add_nc_u32_e32 v51, -1, v51
	s_add_i32 s31, s31, 16
	s_clause 0x3
	buffer_load_dword v52, v54, s[0:3], 0 offen offset:8
	buffer_load_dword v53, v54, s[0:3], 0 offen offset:12
	buffer_load_dword v60, v54, s[0:3], 0 offen
	buffer_load_dword v61, v54, s[0:3], 0 offen offset:4
	v_mov_b32_e32 v54, s30
	v_cmp_eq_u32_e32 vcc_lo, 0, v51
	s_add_i32 s30, s30, 16
	ds_read_b128 v[56:59], v54
	s_or_b32 s4, vcc_lo, s4
	s_waitcnt vmcnt(2) lgkmcnt(0)
	v_mul_f64 v[62:63], v[58:59], v[52:53]
	v_mul_f64 v[52:53], v[56:57], v[52:53]
	s_waitcnt vmcnt(0)
	v_fma_f64 v[56:57], v[56:57], v[60:61], -v[62:63]
	v_fma_f64 v[52:53], v[58:59], v[60:61], v[52:53]
	v_add_f64 v[1:2], v[1:2], v[56:57]
	v_add_f64 v[3:4], v[3:4], v[52:53]
	s_andn2_b32 exec_lo, exec_lo, s4
	s_cbranch_execnz .LBB21_48
; %bb.49:
	s_or_b32 exec_lo, exec_lo, s4
.LBB21_50:
	s_or_b32 exec_lo, exec_lo, s8
	v_mov_b32_e32 v51, 0
	ds_read_b128 v[51:54], v51 offset:240
	s_waitcnt lgkmcnt(0)
	v_mul_f64 v[56:57], v[3:4], v[53:54]
	v_mul_f64 v[53:54], v[1:2], v[53:54]
	v_fma_f64 v[1:2], v[1:2], v[51:52], -v[56:57]
	v_fma_f64 v[3:4], v[3:4], v[51:52], v[53:54]
	buffer_store_dword v2, off, s[0:3], 0 offset:244
	buffer_store_dword v1, off, s[0:3], 0 offset:240
	;; [unrolled: 1-line block ×4, first 2 shown]
.LBB21_51:
	s_or_b32 exec_lo, exec_lo, s6
	v_mov_b32_e32 v4, s15
	v_cmp_lt_u32_e64 s4, 14, v0
	s_clause 0x3
	buffer_load_dword v1, v4, s[0:3], 0 offen
	buffer_load_dword v2, v4, s[0:3], 0 offen offset:4
	buffer_load_dword v3, v4, s[0:3], 0 offen offset:8
	;; [unrolled: 1-line block ×3, first 2 shown]
	s_waitcnt vmcnt(0)
	ds_write_b128 v50, v[1:4]
	s_waitcnt lgkmcnt(0)
	s_waitcnt_vscnt null, 0x0
	s_barrier
	buffer_gl0_inv
	s_and_saveexec_b32 s6, s4
	s_cbranch_execz .LBB21_59
; %bb.52:
	ds_read_b128 v[1:4], v50
	s_andn2_b32 vcc_lo, exec_lo, s29
	s_cbranch_vccnz .LBB21_54
; %bb.53:
	s_clause 0x3
	buffer_load_dword v51, v49, s[0:3], 0 offen offset:8
	buffer_load_dword v52, v49, s[0:3], 0 offen offset:12
	buffer_load_dword v53, v49, s[0:3], 0 offen
	buffer_load_dword v54, v49, s[0:3], 0 offen offset:4
	s_waitcnt vmcnt(2) lgkmcnt(0)
	v_mul_f64 v[56:57], v[3:4], v[51:52]
	v_mul_f64 v[51:52], v[1:2], v[51:52]
	s_waitcnt vmcnt(0)
	v_fma_f64 v[1:2], v[1:2], v[53:54], -v[56:57]
	v_fma_f64 v[3:4], v[3:4], v[53:54], v[51:52]
.LBB21_54:
	s_and_saveexec_b32 s8, s5
	s_cbranch_execz .LBB21_58
; %bb.55:
	v_add_nc_u32_e32 v51, -15, v0
	s_movk_i32 s30, 0x250
	s_mov_b32 s5, 0
	s_mov_b32 s31, s14
	.p2align	6
.LBB21_56:                              ; =>This Inner Loop Header: Depth=1
	v_mov_b32_e32 v54, s31
	v_add_nc_u32_e32 v51, -1, v51
	s_add_i32 s31, s31, 16
	s_clause 0x3
	buffer_load_dword v52, v54, s[0:3], 0 offen offset:8
	buffer_load_dword v53, v54, s[0:3], 0 offen offset:12
	buffer_load_dword v60, v54, s[0:3], 0 offen
	buffer_load_dword v61, v54, s[0:3], 0 offen offset:4
	v_mov_b32_e32 v54, s30
	v_cmp_eq_u32_e32 vcc_lo, 0, v51
	s_add_i32 s30, s30, 16
	ds_read_b128 v[56:59], v54
	s_or_b32 s5, vcc_lo, s5
	s_waitcnt vmcnt(2) lgkmcnt(0)
	v_mul_f64 v[62:63], v[58:59], v[52:53]
	v_mul_f64 v[52:53], v[56:57], v[52:53]
	s_waitcnt vmcnt(0)
	v_fma_f64 v[56:57], v[56:57], v[60:61], -v[62:63]
	v_fma_f64 v[52:53], v[58:59], v[60:61], v[52:53]
	v_add_f64 v[1:2], v[1:2], v[56:57]
	v_add_f64 v[3:4], v[3:4], v[52:53]
	s_andn2_b32 exec_lo, exec_lo, s5
	s_cbranch_execnz .LBB21_56
; %bb.57:
	s_or_b32 exec_lo, exec_lo, s5
.LBB21_58:
	s_or_b32 exec_lo, exec_lo, s8
	v_mov_b32_e32 v51, 0
	ds_read_b128 v[51:54], v51 offset:224
	s_waitcnt lgkmcnt(0)
	v_mul_f64 v[56:57], v[3:4], v[53:54]
	v_mul_f64 v[53:54], v[1:2], v[53:54]
	v_fma_f64 v[1:2], v[1:2], v[51:52], -v[56:57]
	v_fma_f64 v[3:4], v[3:4], v[51:52], v[53:54]
	buffer_store_dword v2, off, s[0:3], 0 offset:228
	buffer_store_dword v1, off, s[0:3], 0 offset:224
	;; [unrolled: 1-line block ×4, first 2 shown]
.LBB21_59:
	s_or_b32 exec_lo, exec_lo, s6
	v_mov_b32_e32 v4, s16
	v_cmp_lt_u32_e64 s5, 13, v0
	s_clause 0x3
	buffer_load_dword v1, v4, s[0:3], 0 offen
	buffer_load_dword v2, v4, s[0:3], 0 offen offset:4
	buffer_load_dword v3, v4, s[0:3], 0 offen offset:8
	;; [unrolled: 1-line block ×3, first 2 shown]
	s_waitcnt vmcnt(0)
	ds_write_b128 v50, v[1:4]
	s_waitcnt lgkmcnt(0)
	s_waitcnt_vscnt null, 0x0
	s_barrier
	buffer_gl0_inv
	s_and_saveexec_b32 s6, s5
	s_cbranch_execz .LBB21_67
; %bb.60:
	ds_read_b128 v[1:4], v50
	s_andn2_b32 vcc_lo, exec_lo, s29
	s_cbranch_vccnz .LBB21_62
; %bb.61:
	s_clause 0x3
	buffer_load_dword v51, v49, s[0:3], 0 offen offset:8
	buffer_load_dword v52, v49, s[0:3], 0 offen offset:12
	buffer_load_dword v53, v49, s[0:3], 0 offen
	buffer_load_dword v54, v49, s[0:3], 0 offen offset:4
	s_waitcnt vmcnt(2) lgkmcnt(0)
	v_mul_f64 v[56:57], v[3:4], v[51:52]
	v_mul_f64 v[51:52], v[1:2], v[51:52]
	s_waitcnt vmcnt(0)
	v_fma_f64 v[1:2], v[1:2], v[53:54], -v[56:57]
	v_fma_f64 v[3:4], v[3:4], v[53:54], v[51:52]
.LBB21_62:
	s_and_saveexec_b32 s8, s4
	s_cbranch_execz .LBB21_66
; %bb.63:
	v_add_nc_u32_e32 v51, -14, v0
	s_movk_i32 s30, 0x240
	s_mov_b32 s4, 0
	s_mov_b32 s31, s15
	.p2align	6
.LBB21_64:                              ; =>This Inner Loop Header: Depth=1
	v_mov_b32_e32 v54, s31
	v_add_nc_u32_e32 v51, -1, v51
	s_add_i32 s31, s31, 16
	s_clause 0x3
	buffer_load_dword v52, v54, s[0:3], 0 offen offset:8
	buffer_load_dword v53, v54, s[0:3], 0 offen offset:12
	buffer_load_dword v60, v54, s[0:3], 0 offen
	buffer_load_dword v61, v54, s[0:3], 0 offen offset:4
	v_mov_b32_e32 v54, s30
	v_cmp_eq_u32_e32 vcc_lo, 0, v51
	s_add_i32 s30, s30, 16
	ds_read_b128 v[56:59], v54
	s_or_b32 s4, vcc_lo, s4
	s_waitcnt vmcnt(2) lgkmcnt(0)
	v_mul_f64 v[62:63], v[58:59], v[52:53]
	v_mul_f64 v[52:53], v[56:57], v[52:53]
	s_waitcnt vmcnt(0)
	v_fma_f64 v[56:57], v[56:57], v[60:61], -v[62:63]
	v_fma_f64 v[52:53], v[58:59], v[60:61], v[52:53]
	v_add_f64 v[1:2], v[1:2], v[56:57]
	v_add_f64 v[3:4], v[3:4], v[52:53]
	s_andn2_b32 exec_lo, exec_lo, s4
	s_cbranch_execnz .LBB21_64
; %bb.65:
	s_or_b32 exec_lo, exec_lo, s4
.LBB21_66:
	s_or_b32 exec_lo, exec_lo, s8
	v_mov_b32_e32 v51, 0
	ds_read_b128 v[51:54], v51 offset:208
	s_waitcnt lgkmcnt(0)
	v_mul_f64 v[56:57], v[3:4], v[53:54]
	v_mul_f64 v[53:54], v[1:2], v[53:54]
	v_fma_f64 v[1:2], v[1:2], v[51:52], -v[56:57]
	v_fma_f64 v[3:4], v[3:4], v[51:52], v[53:54]
	buffer_store_dword v2, off, s[0:3], 0 offset:212
	buffer_store_dword v1, off, s[0:3], 0 offset:208
	;; [unrolled: 1-line block ×4, first 2 shown]
.LBB21_67:
	s_or_b32 exec_lo, exec_lo, s6
	v_mov_b32_e32 v4, s17
	v_cmp_lt_u32_e64 s4, 12, v0
	s_clause 0x3
	buffer_load_dword v1, v4, s[0:3], 0 offen
	buffer_load_dword v2, v4, s[0:3], 0 offen offset:4
	buffer_load_dword v3, v4, s[0:3], 0 offen offset:8
	buffer_load_dword v4, v4, s[0:3], 0 offen offset:12
	s_waitcnt vmcnt(0)
	ds_write_b128 v50, v[1:4]
	s_waitcnt lgkmcnt(0)
	s_waitcnt_vscnt null, 0x0
	s_barrier
	buffer_gl0_inv
	s_and_saveexec_b32 s6, s4
	s_cbranch_execz .LBB21_75
; %bb.68:
	ds_read_b128 v[1:4], v50
	s_andn2_b32 vcc_lo, exec_lo, s29
	s_cbranch_vccnz .LBB21_70
; %bb.69:
	s_clause 0x3
	buffer_load_dword v51, v49, s[0:3], 0 offen offset:8
	buffer_load_dword v52, v49, s[0:3], 0 offen offset:12
	buffer_load_dword v53, v49, s[0:3], 0 offen
	buffer_load_dword v54, v49, s[0:3], 0 offen offset:4
	s_waitcnt vmcnt(2) lgkmcnt(0)
	v_mul_f64 v[56:57], v[3:4], v[51:52]
	v_mul_f64 v[51:52], v[1:2], v[51:52]
	s_waitcnt vmcnt(0)
	v_fma_f64 v[1:2], v[1:2], v[53:54], -v[56:57]
	v_fma_f64 v[3:4], v[3:4], v[53:54], v[51:52]
.LBB21_70:
	s_and_saveexec_b32 s8, s5
	s_cbranch_execz .LBB21_74
; %bb.71:
	v_add_nc_u32_e32 v51, -13, v0
	s_movk_i32 s30, 0x230
	s_mov_b32 s5, 0
	s_mov_b32 s31, s16
	.p2align	6
.LBB21_72:                              ; =>This Inner Loop Header: Depth=1
	v_mov_b32_e32 v54, s31
	v_add_nc_u32_e32 v51, -1, v51
	s_add_i32 s31, s31, 16
	s_clause 0x3
	buffer_load_dword v52, v54, s[0:3], 0 offen offset:8
	buffer_load_dword v53, v54, s[0:3], 0 offen offset:12
	buffer_load_dword v60, v54, s[0:3], 0 offen
	buffer_load_dword v61, v54, s[0:3], 0 offen offset:4
	v_mov_b32_e32 v54, s30
	v_cmp_eq_u32_e32 vcc_lo, 0, v51
	s_add_i32 s30, s30, 16
	ds_read_b128 v[56:59], v54
	s_or_b32 s5, vcc_lo, s5
	s_waitcnt vmcnt(2) lgkmcnt(0)
	v_mul_f64 v[62:63], v[58:59], v[52:53]
	v_mul_f64 v[52:53], v[56:57], v[52:53]
	s_waitcnt vmcnt(0)
	v_fma_f64 v[56:57], v[56:57], v[60:61], -v[62:63]
	v_fma_f64 v[52:53], v[58:59], v[60:61], v[52:53]
	v_add_f64 v[1:2], v[1:2], v[56:57]
	v_add_f64 v[3:4], v[3:4], v[52:53]
	s_andn2_b32 exec_lo, exec_lo, s5
	s_cbranch_execnz .LBB21_72
; %bb.73:
	s_or_b32 exec_lo, exec_lo, s5
.LBB21_74:
	s_or_b32 exec_lo, exec_lo, s8
	v_mov_b32_e32 v51, 0
	ds_read_b128 v[51:54], v51 offset:192
	s_waitcnt lgkmcnt(0)
	v_mul_f64 v[56:57], v[3:4], v[53:54]
	v_mul_f64 v[53:54], v[1:2], v[53:54]
	v_fma_f64 v[1:2], v[1:2], v[51:52], -v[56:57]
	v_fma_f64 v[3:4], v[3:4], v[51:52], v[53:54]
	buffer_store_dword v2, off, s[0:3], 0 offset:196
	buffer_store_dword v1, off, s[0:3], 0 offset:192
	;; [unrolled: 1-line block ×4, first 2 shown]
.LBB21_75:
	s_or_b32 exec_lo, exec_lo, s6
	v_mov_b32_e32 v4, s18
	v_cmp_lt_u32_e64 s5, 11, v0
	s_clause 0x3
	buffer_load_dword v1, v4, s[0:3], 0 offen
	buffer_load_dword v2, v4, s[0:3], 0 offen offset:4
	buffer_load_dword v3, v4, s[0:3], 0 offen offset:8
	;; [unrolled: 1-line block ×3, first 2 shown]
	s_waitcnt vmcnt(0)
	ds_write_b128 v50, v[1:4]
	s_waitcnt lgkmcnt(0)
	s_waitcnt_vscnt null, 0x0
	s_barrier
	buffer_gl0_inv
	s_and_saveexec_b32 s6, s5
	s_cbranch_execz .LBB21_83
; %bb.76:
	ds_read_b128 v[1:4], v50
	s_andn2_b32 vcc_lo, exec_lo, s29
	s_cbranch_vccnz .LBB21_78
; %bb.77:
	s_clause 0x3
	buffer_load_dword v51, v49, s[0:3], 0 offen offset:8
	buffer_load_dword v52, v49, s[0:3], 0 offen offset:12
	buffer_load_dword v53, v49, s[0:3], 0 offen
	buffer_load_dword v54, v49, s[0:3], 0 offen offset:4
	s_waitcnt vmcnt(2) lgkmcnt(0)
	v_mul_f64 v[56:57], v[3:4], v[51:52]
	v_mul_f64 v[51:52], v[1:2], v[51:52]
	s_waitcnt vmcnt(0)
	v_fma_f64 v[1:2], v[1:2], v[53:54], -v[56:57]
	v_fma_f64 v[3:4], v[3:4], v[53:54], v[51:52]
.LBB21_78:
	s_and_saveexec_b32 s8, s4
	s_cbranch_execz .LBB21_82
; %bb.79:
	v_add_nc_u32_e32 v51, -12, v0
	s_movk_i32 s30, 0x220
	s_mov_b32 s4, 0
	s_mov_b32 s31, s17
	.p2align	6
.LBB21_80:                              ; =>This Inner Loop Header: Depth=1
	v_mov_b32_e32 v54, s31
	v_add_nc_u32_e32 v51, -1, v51
	s_add_i32 s31, s31, 16
	s_clause 0x3
	buffer_load_dword v52, v54, s[0:3], 0 offen offset:8
	buffer_load_dword v53, v54, s[0:3], 0 offen offset:12
	buffer_load_dword v60, v54, s[0:3], 0 offen
	buffer_load_dword v61, v54, s[0:3], 0 offen offset:4
	v_mov_b32_e32 v54, s30
	v_cmp_eq_u32_e32 vcc_lo, 0, v51
	s_add_i32 s30, s30, 16
	ds_read_b128 v[56:59], v54
	s_or_b32 s4, vcc_lo, s4
	s_waitcnt vmcnt(2) lgkmcnt(0)
	v_mul_f64 v[62:63], v[58:59], v[52:53]
	v_mul_f64 v[52:53], v[56:57], v[52:53]
	s_waitcnt vmcnt(0)
	v_fma_f64 v[56:57], v[56:57], v[60:61], -v[62:63]
	v_fma_f64 v[52:53], v[58:59], v[60:61], v[52:53]
	v_add_f64 v[1:2], v[1:2], v[56:57]
	v_add_f64 v[3:4], v[3:4], v[52:53]
	s_andn2_b32 exec_lo, exec_lo, s4
	s_cbranch_execnz .LBB21_80
; %bb.81:
	s_or_b32 exec_lo, exec_lo, s4
.LBB21_82:
	s_or_b32 exec_lo, exec_lo, s8
	v_mov_b32_e32 v51, 0
	ds_read_b128 v[51:54], v51 offset:176
	s_waitcnt lgkmcnt(0)
	v_mul_f64 v[56:57], v[3:4], v[53:54]
	v_mul_f64 v[53:54], v[1:2], v[53:54]
	v_fma_f64 v[1:2], v[1:2], v[51:52], -v[56:57]
	v_fma_f64 v[3:4], v[3:4], v[51:52], v[53:54]
	buffer_store_dword v2, off, s[0:3], 0 offset:180
	buffer_store_dword v1, off, s[0:3], 0 offset:176
	;; [unrolled: 1-line block ×4, first 2 shown]
.LBB21_83:
	s_or_b32 exec_lo, exec_lo, s6
	v_mov_b32_e32 v4, s19
	v_cmp_lt_u32_e64 s4, 10, v0
	s_clause 0x3
	buffer_load_dword v1, v4, s[0:3], 0 offen
	buffer_load_dword v2, v4, s[0:3], 0 offen offset:4
	buffer_load_dword v3, v4, s[0:3], 0 offen offset:8
	;; [unrolled: 1-line block ×3, first 2 shown]
	s_waitcnt vmcnt(0)
	ds_write_b128 v50, v[1:4]
	s_waitcnt lgkmcnt(0)
	s_waitcnt_vscnt null, 0x0
	s_barrier
	buffer_gl0_inv
	s_and_saveexec_b32 s6, s4
	s_cbranch_execz .LBB21_91
; %bb.84:
	ds_read_b128 v[1:4], v50
	s_andn2_b32 vcc_lo, exec_lo, s29
	s_cbranch_vccnz .LBB21_86
; %bb.85:
	s_clause 0x3
	buffer_load_dword v51, v49, s[0:3], 0 offen offset:8
	buffer_load_dword v52, v49, s[0:3], 0 offen offset:12
	buffer_load_dword v53, v49, s[0:3], 0 offen
	buffer_load_dword v54, v49, s[0:3], 0 offen offset:4
	s_waitcnt vmcnt(2) lgkmcnt(0)
	v_mul_f64 v[56:57], v[3:4], v[51:52]
	v_mul_f64 v[51:52], v[1:2], v[51:52]
	s_waitcnt vmcnt(0)
	v_fma_f64 v[1:2], v[1:2], v[53:54], -v[56:57]
	v_fma_f64 v[3:4], v[3:4], v[53:54], v[51:52]
.LBB21_86:
	s_and_saveexec_b32 s8, s5
	s_cbranch_execz .LBB21_90
; %bb.87:
	v_add_nc_u32_e32 v51, -11, v0
	s_movk_i32 s30, 0x210
	s_mov_b32 s5, 0
	s_mov_b32 s31, s18
	.p2align	6
.LBB21_88:                              ; =>This Inner Loop Header: Depth=1
	v_mov_b32_e32 v54, s31
	v_add_nc_u32_e32 v51, -1, v51
	s_add_i32 s31, s31, 16
	s_clause 0x3
	buffer_load_dword v52, v54, s[0:3], 0 offen offset:8
	buffer_load_dword v53, v54, s[0:3], 0 offen offset:12
	buffer_load_dword v60, v54, s[0:3], 0 offen
	buffer_load_dword v61, v54, s[0:3], 0 offen offset:4
	v_mov_b32_e32 v54, s30
	v_cmp_eq_u32_e32 vcc_lo, 0, v51
	s_add_i32 s30, s30, 16
	ds_read_b128 v[56:59], v54
	s_or_b32 s5, vcc_lo, s5
	s_waitcnt vmcnt(2) lgkmcnt(0)
	v_mul_f64 v[62:63], v[58:59], v[52:53]
	v_mul_f64 v[52:53], v[56:57], v[52:53]
	s_waitcnt vmcnt(0)
	v_fma_f64 v[56:57], v[56:57], v[60:61], -v[62:63]
	v_fma_f64 v[52:53], v[58:59], v[60:61], v[52:53]
	v_add_f64 v[1:2], v[1:2], v[56:57]
	v_add_f64 v[3:4], v[3:4], v[52:53]
	s_andn2_b32 exec_lo, exec_lo, s5
	s_cbranch_execnz .LBB21_88
; %bb.89:
	s_or_b32 exec_lo, exec_lo, s5
.LBB21_90:
	s_or_b32 exec_lo, exec_lo, s8
	v_mov_b32_e32 v51, 0
	ds_read_b128 v[51:54], v51 offset:160
	s_waitcnt lgkmcnt(0)
	v_mul_f64 v[56:57], v[3:4], v[53:54]
	v_mul_f64 v[53:54], v[1:2], v[53:54]
	v_fma_f64 v[1:2], v[1:2], v[51:52], -v[56:57]
	v_fma_f64 v[3:4], v[3:4], v[51:52], v[53:54]
	buffer_store_dword v2, off, s[0:3], 0 offset:164
	buffer_store_dword v1, off, s[0:3], 0 offset:160
	;; [unrolled: 1-line block ×4, first 2 shown]
.LBB21_91:
	s_or_b32 exec_lo, exec_lo, s6
	v_mov_b32_e32 v4, s20
	v_cmp_lt_u32_e64 s5, 9, v0
	s_clause 0x3
	buffer_load_dword v1, v4, s[0:3], 0 offen
	buffer_load_dword v2, v4, s[0:3], 0 offen offset:4
	buffer_load_dword v3, v4, s[0:3], 0 offen offset:8
	;; [unrolled: 1-line block ×3, first 2 shown]
	s_waitcnt vmcnt(0)
	ds_write_b128 v50, v[1:4]
	s_waitcnt lgkmcnt(0)
	s_waitcnt_vscnt null, 0x0
	s_barrier
	buffer_gl0_inv
	s_and_saveexec_b32 s6, s5
	s_cbranch_execz .LBB21_99
; %bb.92:
	ds_read_b128 v[1:4], v50
	s_andn2_b32 vcc_lo, exec_lo, s29
	s_cbranch_vccnz .LBB21_94
; %bb.93:
	s_clause 0x3
	buffer_load_dword v51, v49, s[0:3], 0 offen offset:8
	buffer_load_dword v52, v49, s[0:3], 0 offen offset:12
	buffer_load_dword v53, v49, s[0:3], 0 offen
	buffer_load_dword v54, v49, s[0:3], 0 offen offset:4
	s_waitcnt vmcnt(2) lgkmcnt(0)
	v_mul_f64 v[56:57], v[3:4], v[51:52]
	v_mul_f64 v[51:52], v[1:2], v[51:52]
	s_waitcnt vmcnt(0)
	v_fma_f64 v[1:2], v[1:2], v[53:54], -v[56:57]
	v_fma_f64 v[3:4], v[3:4], v[53:54], v[51:52]
.LBB21_94:
	s_and_saveexec_b32 s8, s4
	s_cbranch_execz .LBB21_98
; %bb.95:
	v_add_nc_u32_e32 v51, -10, v0
	s_movk_i32 s30, 0x200
	s_mov_b32 s4, 0
	s_mov_b32 s31, s19
	.p2align	6
.LBB21_96:                              ; =>This Inner Loop Header: Depth=1
	v_mov_b32_e32 v54, s31
	v_add_nc_u32_e32 v51, -1, v51
	s_add_i32 s31, s31, 16
	s_clause 0x3
	buffer_load_dword v52, v54, s[0:3], 0 offen offset:8
	buffer_load_dword v53, v54, s[0:3], 0 offen offset:12
	buffer_load_dword v60, v54, s[0:3], 0 offen
	buffer_load_dword v61, v54, s[0:3], 0 offen offset:4
	v_mov_b32_e32 v54, s30
	v_cmp_eq_u32_e32 vcc_lo, 0, v51
	s_add_i32 s30, s30, 16
	ds_read_b128 v[56:59], v54
	s_or_b32 s4, vcc_lo, s4
	s_waitcnt vmcnt(2) lgkmcnt(0)
	v_mul_f64 v[62:63], v[58:59], v[52:53]
	v_mul_f64 v[52:53], v[56:57], v[52:53]
	s_waitcnt vmcnt(0)
	v_fma_f64 v[56:57], v[56:57], v[60:61], -v[62:63]
	v_fma_f64 v[52:53], v[58:59], v[60:61], v[52:53]
	v_add_f64 v[1:2], v[1:2], v[56:57]
	v_add_f64 v[3:4], v[3:4], v[52:53]
	s_andn2_b32 exec_lo, exec_lo, s4
	s_cbranch_execnz .LBB21_96
; %bb.97:
	s_or_b32 exec_lo, exec_lo, s4
.LBB21_98:
	s_or_b32 exec_lo, exec_lo, s8
	v_mov_b32_e32 v51, 0
	ds_read_b128 v[51:54], v51 offset:144
	s_waitcnt lgkmcnt(0)
	v_mul_f64 v[56:57], v[3:4], v[53:54]
	v_mul_f64 v[53:54], v[1:2], v[53:54]
	v_fma_f64 v[1:2], v[1:2], v[51:52], -v[56:57]
	v_fma_f64 v[3:4], v[3:4], v[51:52], v[53:54]
	buffer_store_dword v2, off, s[0:3], 0 offset:148
	buffer_store_dword v1, off, s[0:3], 0 offset:144
	;; [unrolled: 1-line block ×4, first 2 shown]
.LBB21_99:
	s_or_b32 exec_lo, exec_lo, s6
	v_mov_b32_e32 v4, s21
	v_cmp_lt_u32_e64 s4, 8, v0
	s_clause 0x3
	buffer_load_dword v1, v4, s[0:3], 0 offen
	buffer_load_dword v2, v4, s[0:3], 0 offen offset:4
	buffer_load_dword v3, v4, s[0:3], 0 offen offset:8
	;; [unrolled: 1-line block ×3, first 2 shown]
	s_waitcnt vmcnt(0)
	ds_write_b128 v50, v[1:4]
	s_waitcnt lgkmcnt(0)
	s_waitcnt_vscnt null, 0x0
	s_barrier
	buffer_gl0_inv
	s_and_saveexec_b32 s6, s4
	s_cbranch_execz .LBB21_107
; %bb.100:
	ds_read_b128 v[1:4], v50
	s_andn2_b32 vcc_lo, exec_lo, s29
	s_cbranch_vccnz .LBB21_102
; %bb.101:
	s_clause 0x3
	buffer_load_dword v51, v49, s[0:3], 0 offen offset:8
	buffer_load_dword v52, v49, s[0:3], 0 offen offset:12
	buffer_load_dword v53, v49, s[0:3], 0 offen
	buffer_load_dword v54, v49, s[0:3], 0 offen offset:4
	s_waitcnt vmcnt(2) lgkmcnt(0)
	v_mul_f64 v[56:57], v[3:4], v[51:52]
	v_mul_f64 v[51:52], v[1:2], v[51:52]
	s_waitcnt vmcnt(0)
	v_fma_f64 v[1:2], v[1:2], v[53:54], -v[56:57]
	v_fma_f64 v[3:4], v[3:4], v[53:54], v[51:52]
.LBB21_102:
	s_and_saveexec_b32 s8, s5
	s_cbranch_execz .LBB21_106
; %bb.103:
	v_add_nc_u32_e32 v51, -9, v0
	s_movk_i32 s30, 0x1f0
	s_mov_b32 s5, 0
	s_mov_b32 s31, s20
	.p2align	6
.LBB21_104:                             ; =>This Inner Loop Header: Depth=1
	v_mov_b32_e32 v54, s31
	v_add_nc_u32_e32 v51, -1, v51
	s_add_i32 s31, s31, 16
	s_clause 0x3
	buffer_load_dword v52, v54, s[0:3], 0 offen offset:8
	buffer_load_dword v53, v54, s[0:3], 0 offen offset:12
	buffer_load_dword v60, v54, s[0:3], 0 offen
	buffer_load_dword v61, v54, s[0:3], 0 offen offset:4
	v_mov_b32_e32 v54, s30
	v_cmp_eq_u32_e32 vcc_lo, 0, v51
	s_add_i32 s30, s30, 16
	ds_read_b128 v[56:59], v54
	s_or_b32 s5, vcc_lo, s5
	s_waitcnt vmcnt(2) lgkmcnt(0)
	v_mul_f64 v[62:63], v[58:59], v[52:53]
	v_mul_f64 v[52:53], v[56:57], v[52:53]
	s_waitcnt vmcnt(0)
	v_fma_f64 v[56:57], v[56:57], v[60:61], -v[62:63]
	v_fma_f64 v[52:53], v[58:59], v[60:61], v[52:53]
	v_add_f64 v[1:2], v[1:2], v[56:57]
	v_add_f64 v[3:4], v[3:4], v[52:53]
	s_andn2_b32 exec_lo, exec_lo, s5
	s_cbranch_execnz .LBB21_104
; %bb.105:
	s_or_b32 exec_lo, exec_lo, s5
.LBB21_106:
	s_or_b32 exec_lo, exec_lo, s8
	v_mov_b32_e32 v51, 0
	ds_read_b128 v[51:54], v51 offset:128
	s_waitcnt lgkmcnt(0)
	v_mul_f64 v[56:57], v[3:4], v[53:54]
	v_mul_f64 v[53:54], v[1:2], v[53:54]
	v_fma_f64 v[1:2], v[1:2], v[51:52], -v[56:57]
	v_fma_f64 v[3:4], v[3:4], v[51:52], v[53:54]
	buffer_store_dword v2, off, s[0:3], 0 offset:132
	buffer_store_dword v1, off, s[0:3], 0 offset:128
	;; [unrolled: 1-line block ×4, first 2 shown]
.LBB21_107:
	s_or_b32 exec_lo, exec_lo, s6
	v_mov_b32_e32 v4, s22
	v_cmp_lt_u32_e64 s5, 7, v0
	s_clause 0x3
	buffer_load_dword v1, v4, s[0:3], 0 offen
	buffer_load_dword v2, v4, s[0:3], 0 offen offset:4
	buffer_load_dword v3, v4, s[0:3], 0 offen offset:8
	;; [unrolled: 1-line block ×3, first 2 shown]
	s_waitcnt vmcnt(0)
	ds_write_b128 v50, v[1:4]
	s_waitcnt lgkmcnt(0)
	s_waitcnt_vscnt null, 0x0
	s_barrier
	buffer_gl0_inv
	s_and_saveexec_b32 s6, s5
	s_cbranch_execz .LBB21_115
; %bb.108:
	ds_read_b128 v[1:4], v50
	s_andn2_b32 vcc_lo, exec_lo, s29
	s_cbranch_vccnz .LBB21_110
; %bb.109:
	s_clause 0x3
	buffer_load_dword v51, v49, s[0:3], 0 offen offset:8
	buffer_load_dword v52, v49, s[0:3], 0 offen offset:12
	buffer_load_dword v53, v49, s[0:3], 0 offen
	buffer_load_dword v54, v49, s[0:3], 0 offen offset:4
	s_waitcnt vmcnt(2) lgkmcnt(0)
	v_mul_f64 v[56:57], v[3:4], v[51:52]
	v_mul_f64 v[51:52], v[1:2], v[51:52]
	s_waitcnt vmcnt(0)
	v_fma_f64 v[1:2], v[1:2], v[53:54], -v[56:57]
	v_fma_f64 v[3:4], v[3:4], v[53:54], v[51:52]
.LBB21_110:
	s_and_saveexec_b32 s8, s4
	s_cbranch_execz .LBB21_114
; %bb.111:
	v_add_nc_u32_e32 v51, -8, v0
	s_movk_i32 s30, 0x1e0
	s_mov_b32 s4, 0
	s_mov_b32 s31, s21
	.p2align	6
.LBB21_112:                             ; =>This Inner Loop Header: Depth=1
	v_mov_b32_e32 v54, s31
	v_add_nc_u32_e32 v51, -1, v51
	s_add_i32 s31, s31, 16
	s_clause 0x3
	buffer_load_dword v52, v54, s[0:3], 0 offen offset:8
	buffer_load_dword v53, v54, s[0:3], 0 offen offset:12
	buffer_load_dword v60, v54, s[0:3], 0 offen
	buffer_load_dword v61, v54, s[0:3], 0 offen offset:4
	v_mov_b32_e32 v54, s30
	v_cmp_eq_u32_e32 vcc_lo, 0, v51
	s_add_i32 s30, s30, 16
	ds_read_b128 v[56:59], v54
	s_or_b32 s4, vcc_lo, s4
	s_waitcnt vmcnt(2) lgkmcnt(0)
	v_mul_f64 v[62:63], v[58:59], v[52:53]
	v_mul_f64 v[52:53], v[56:57], v[52:53]
	s_waitcnt vmcnt(0)
	v_fma_f64 v[56:57], v[56:57], v[60:61], -v[62:63]
	v_fma_f64 v[52:53], v[58:59], v[60:61], v[52:53]
	v_add_f64 v[1:2], v[1:2], v[56:57]
	v_add_f64 v[3:4], v[3:4], v[52:53]
	s_andn2_b32 exec_lo, exec_lo, s4
	s_cbranch_execnz .LBB21_112
; %bb.113:
	s_or_b32 exec_lo, exec_lo, s4
.LBB21_114:
	s_or_b32 exec_lo, exec_lo, s8
	v_mov_b32_e32 v51, 0
	ds_read_b128 v[51:54], v51 offset:112
	s_waitcnt lgkmcnt(0)
	v_mul_f64 v[56:57], v[3:4], v[53:54]
	v_mul_f64 v[53:54], v[1:2], v[53:54]
	v_fma_f64 v[1:2], v[1:2], v[51:52], -v[56:57]
	v_fma_f64 v[3:4], v[3:4], v[51:52], v[53:54]
	buffer_store_dword v2, off, s[0:3], 0 offset:116
	buffer_store_dword v1, off, s[0:3], 0 offset:112
	;; [unrolled: 1-line block ×4, first 2 shown]
.LBB21_115:
	s_or_b32 exec_lo, exec_lo, s6
	v_mov_b32_e32 v4, s23
	v_cmp_lt_u32_e64 s4, 6, v0
	s_clause 0x3
	buffer_load_dword v1, v4, s[0:3], 0 offen
	buffer_load_dword v2, v4, s[0:3], 0 offen offset:4
	buffer_load_dword v3, v4, s[0:3], 0 offen offset:8
	;; [unrolled: 1-line block ×3, first 2 shown]
	s_waitcnt vmcnt(0)
	ds_write_b128 v50, v[1:4]
	s_waitcnt lgkmcnt(0)
	s_waitcnt_vscnt null, 0x0
	s_barrier
	buffer_gl0_inv
	s_and_saveexec_b32 s6, s4
	s_cbranch_execz .LBB21_123
; %bb.116:
	ds_read_b128 v[1:4], v50
	s_andn2_b32 vcc_lo, exec_lo, s29
	s_cbranch_vccnz .LBB21_118
; %bb.117:
	s_clause 0x3
	buffer_load_dword v51, v49, s[0:3], 0 offen offset:8
	buffer_load_dword v52, v49, s[0:3], 0 offen offset:12
	buffer_load_dword v53, v49, s[0:3], 0 offen
	buffer_load_dword v54, v49, s[0:3], 0 offen offset:4
	s_waitcnt vmcnt(2) lgkmcnt(0)
	v_mul_f64 v[56:57], v[3:4], v[51:52]
	v_mul_f64 v[51:52], v[1:2], v[51:52]
	s_waitcnt vmcnt(0)
	v_fma_f64 v[1:2], v[1:2], v[53:54], -v[56:57]
	v_fma_f64 v[3:4], v[3:4], v[53:54], v[51:52]
.LBB21_118:
	s_and_saveexec_b32 s8, s5
	s_cbranch_execz .LBB21_122
; %bb.119:
	v_add_nc_u32_e32 v51, -7, v0
	s_movk_i32 s30, 0x1d0
	s_mov_b32 s5, 0
	s_mov_b32 s31, s22
	.p2align	6
.LBB21_120:                             ; =>This Inner Loop Header: Depth=1
	v_mov_b32_e32 v54, s31
	v_add_nc_u32_e32 v51, -1, v51
	s_add_i32 s31, s31, 16
	s_clause 0x3
	buffer_load_dword v52, v54, s[0:3], 0 offen offset:8
	buffer_load_dword v53, v54, s[0:3], 0 offen offset:12
	buffer_load_dword v60, v54, s[0:3], 0 offen
	buffer_load_dword v61, v54, s[0:3], 0 offen offset:4
	v_mov_b32_e32 v54, s30
	v_cmp_eq_u32_e32 vcc_lo, 0, v51
	s_add_i32 s30, s30, 16
	ds_read_b128 v[56:59], v54
	s_or_b32 s5, vcc_lo, s5
	s_waitcnt vmcnt(2) lgkmcnt(0)
	v_mul_f64 v[62:63], v[58:59], v[52:53]
	v_mul_f64 v[52:53], v[56:57], v[52:53]
	s_waitcnt vmcnt(0)
	v_fma_f64 v[56:57], v[56:57], v[60:61], -v[62:63]
	v_fma_f64 v[52:53], v[58:59], v[60:61], v[52:53]
	v_add_f64 v[1:2], v[1:2], v[56:57]
	v_add_f64 v[3:4], v[3:4], v[52:53]
	s_andn2_b32 exec_lo, exec_lo, s5
	s_cbranch_execnz .LBB21_120
; %bb.121:
	s_or_b32 exec_lo, exec_lo, s5
.LBB21_122:
	s_or_b32 exec_lo, exec_lo, s8
	v_mov_b32_e32 v51, 0
	ds_read_b128 v[51:54], v51 offset:96
	s_waitcnt lgkmcnt(0)
	v_mul_f64 v[56:57], v[3:4], v[53:54]
	v_mul_f64 v[53:54], v[1:2], v[53:54]
	v_fma_f64 v[1:2], v[1:2], v[51:52], -v[56:57]
	v_fma_f64 v[3:4], v[3:4], v[51:52], v[53:54]
	buffer_store_dword v2, off, s[0:3], 0 offset:100
	buffer_store_dword v1, off, s[0:3], 0 offset:96
	;; [unrolled: 1-line block ×4, first 2 shown]
.LBB21_123:
	s_or_b32 exec_lo, exec_lo, s6
	v_mov_b32_e32 v4, s24
	v_cmp_lt_u32_e64 s5, 5, v0
	s_clause 0x3
	buffer_load_dword v1, v4, s[0:3], 0 offen
	buffer_load_dword v2, v4, s[0:3], 0 offen offset:4
	buffer_load_dword v3, v4, s[0:3], 0 offen offset:8
	buffer_load_dword v4, v4, s[0:3], 0 offen offset:12
	s_waitcnt vmcnt(0)
	ds_write_b128 v50, v[1:4]
	s_waitcnt lgkmcnt(0)
	s_waitcnt_vscnt null, 0x0
	s_barrier
	buffer_gl0_inv
	s_and_saveexec_b32 s6, s5
	s_cbranch_execz .LBB21_131
; %bb.124:
	ds_read_b128 v[1:4], v50
	s_andn2_b32 vcc_lo, exec_lo, s29
	s_cbranch_vccnz .LBB21_126
; %bb.125:
	s_clause 0x3
	buffer_load_dword v51, v49, s[0:3], 0 offen offset:8
	buffer_load_dword v52, v49, s[0:3], 0 offen offset:12
	buffer_load_dword v53, v49, s[0:3], 0 offen
	buffer_load_dword v54, v49, s[0:3], 0 offen offset:4
	s_waitcnt vmcnt(2) lgkmcnt(0)
	v_mul_f64 v[56:57], v[3:4], v[51:52]
	v_mul_f64 v[51:52], v[1:2], v[51:52]
	s_waitcnt vmcnt(0)
	v_fma_f64 v[1:2], v[1:2], v[53:54], -v[56:57]
	v_fma_f64 v[3:4], v[3:4], v[53:54], v[51:52]
.LBB21_126:
	s_and_saveexec_b32 s8, s4
	s_cbranch_execz .LBB21_130
; %bb.127:
	v_add_nc_u32_e32 v51, -6, v0
	s_movk_i32 s30, 0x1c0
	s_mov_b32 s4, 0
	s_mov_b32 s31, s23
	.p2align	6
.LBB21_128:                             ; =>This Inner Loop Header: Depth=1
	v_mov_b32_e32 v54, s31
	v_add_nc_u32_e32 v51, -1, v51
	s_add_i32 s31, s31, 16
	s_clause 0x3
	buffer_load_dword v52, v54, s[0:3], 0 offen offset:8
	buffer_load_dword v53, v54, s[0:3], 0 offen offset:12
	buffer_load_dword v60, v54, s[0:3], 0 offen
	buffer_load_dword v61, v54, s[0:3], 0 offen offset:4
	v_mov_b32_e32 v54, s30
	v_cmp_eq_u32_e32 vcc_lo, 0, v51
	s_add_i32 s30, s30, 16
	ds_read_b128 v[56:59], v54
	s_or_b32 s4, vcc_lo, s4
	s_waitcnt vmcnt(2) lgkmcnt(0)
	v_mul_f64 v[62:63], v[58:59], v[52:53]
	v_mul_f64 v[52:53], v[56:57], v[52:53]
	s_waitcnt vmcnt(0)
	v_fma_f64 v[56:57], v[56:57], v[60:61], -v[62:63]
	v_fma_f64 v[52:53], v[58:59], v[60:61], v[52:53]
	v_add_f64 v[1:2], v[1:2], v[56:57]
	v_add_f64 v[3:4], v[3:4], v[52:53]
	s_andn2_b32 exec_lo, exec_lo, s4
	s_cbranch_execnz .LBB21_128
; %bb.129:
	s_or_b32 exec_lo, exec_lo, s4
.LBB21_130:
	s_or_b32 exec_lo, exec_lo, s8
	v_mov_b32_e32 v51, 0
	ds_read_b128 v[51:54], v51 offset:80
	s_waitcnt lgkmcnt(0)
	v_mul_f64 v[56:57], v[3:4], v[53:54]
	v_mul_f64 v[53:54], v[1:2], v[53:54]
	v_fma_f64 v[1:2], v[1:2], v[51:52], -v[56:57]
	v_fma_f64 v[3:4], v[3:4], v[51:52], v[53:54]
	buffer_store_dword v2, off, s[0:3], 0 offset:84
	buffer_store_dword v1, off, s[0:3], 0 offset:80
	;; [unrolled: 1-line block ×4, first 2 shown]
.LBB21_131:
	s_or_b32 exec_lo, exec_lo, s6
	v_mov_b32_e32 v4, s25
	v_cmp_lt_u32_e64 s4, 4, v0
	s_clause 0x3
	buffer_load_dword v1, v4, s[0:3], 0 offen
	buffer_load_dword v2, v4, s[0:3], 0 offen offset:4
	buffer_load_dword v3, v4, s[0:3], 0 offen offset:8
	;; [unrolled: 1-line block ×3, first 2 shown]
	s_waitcnt vmcnt(0)
	ds_write_b128 v50, v[1:4]
	s_waitcnt lgkmcnt(0)
	s_waitcnt_vscnt null, 0x0
	s_barrier
	buffer_gl0_inv
	s_and_saveexec_b32 s6, s4
	s_cbranch_execz .LBB21_139
; %bb.132:
	ds_read_b128 v[1:4], v50
	s_andn2_b32 vcc_lo, exec_lo, s29
	s_cbranch_vccnz .LBB21_134
; %bb.133:
	s_clause 0x3
	buffer_load_dword v51, v49, s[0:3], 0 offen offset:8
	buffer_load_dword v52, v49, s[0:3], 0 offen offset:12
	buffer_load_dword v53, v49, s[0:3], 0 offen
	buffer_load_dword v54, v49, s[0:3], 0 offen offset:4
	s_waitcnt vmcnt(2) lgkmcnt(0)
	v_mul_f64 v[56:57], v[3:4], v[51:52]
	v_mul_f64 v[51:52], v[1:2], v[51:52]
	s_waitcnt vmcnt(0)
	v_fma_f64 v[1:2], v[1:2], v[53:54], -v[56:57]
	v_fma_f64 v[3:4], v[3:4], v[53:54], v[51:52]
.LBB21_134:
	s_and_saveexec_b32 s8, s5
	s_cbranch_execz .LBB21_138
; %bb.135:
	v_add_nc_u32_e32 v51, -5, v0
	s_movk_i32 s30, 0x1b0
	s_mov_b32 s5, 0
	s_mov_b32 s31, s24
	.p2align	6
.LBB21_136:                             ; =>This Inner Loop Header: Depth=1
	v_mov_b32_e32 v54, s31
	v_add_nc_u32_e32 v51, -1, v51
	s_add_i32 s31, s31, 16
	s_clause 0x3
	buffer_load_dword v52, v54, s[0:3], 0 offen offset:8
	buffer_load_dword v53, v54, s[0:3], 0 offen offset:12
	buffer_load_dword v60, v54, s[0:3], 0 offen
	buffer_load_dword v61, v54, s[0:3], 0 offen offset:4
	v_mov_b32_e32 v54, s30
	v_cmp_eq_u32_e32 vcc_lo, 0, v51
	s_add_i32 s30, s30, 16
	ds_read_b128 v[56:59], v54
	s_or_b32 s5, vcc_lo, s5
	s_waitcnt vmcnt(2) lgkmcnt(0)
	v_mul_f64 v[62:63], v[58:59], v[52:53]
	v_mul_f64 v[52:53], v[56:57], v[52:53]
	s_waitcnt vmcnt(0)
	v_fma_f64 v[56:57], v[56:57], v[60:61], -v[62:63]
	v_fma_f64 v[52:53], v[58:59], v[60:61], v[52:53]
	v_add_f64 v[1:2], v[1:2], v[56:57]
	v_add_f64 v[3:4], v[3:4], v[52:53]
	s_andn2_b32 exec_lo, exec_lo, s5
	s_cbranch_execnz .LBB21_136
; %bb.137:
	s_or_b32 exec_lo, exec_lo, s5
.LBB21_138:
	s_or_b32 exec_lo, exec_lo, s8
	v_mov_b32_e32 v51, 0
	ds_read_b128 v[51:54], v51 offset:64
	s_waitcnt lgkmcnt(0)
	v_mul_f64 v[56:57], v[3:4], v[53:54]
	v_mul_f64 v[53:54], v[1:2], v[53:54]
	v_fma_f64 v[1:2], v[1:2], v[51:52], -v[56:57]
	v_fma_f64 v[3:4], v[3:4], v[51:52], v[53:54]
	buffer_store_dword v2, off, s[0:3], 0 offset:68
	buffer_store_dword v1, off, s[0:3], 0 offset:64
	;; [unrolled: 1-line block ×4, first 2 shown]
.LBB21_139:
	s_or_b32 exec_lo, exec_lo, s6
	v_mov_b32_e32 v4, s26
	v_cmp_lt_u32_e64 s5, 3, v0
	s_clause 0x3
	buffer_load_dword v1, v4, s[0:3], 0 offen
	buffer_load_dword v2, v4, s[0:3], 0 offen offset:4
	buffer_load_dword v3, v4, s[0:3], 0 offen offset:8
	;; [unrolled: 1-line block ×3, first 2 shown]
	s_waitcnt vmcnt(0)
	ds_write_b128 v50, v[1:4]
	s_waitcnt lgkmcnt(0)
	s_waitcnt_vscnt null, 0x0
	s_barrier
	buffer_gl0_inv
	s_and_saveexec_b32 s6, s5
	s_cbranch_execz .LBB21_147
; %bb.140:
	ds_read_b128 v[1:4], v50
	s_andn2_b32 vcc_lo, exec_lo, s29
	s_cbranch_vccnz .LBB21_142
; %bb.141:
	s_clause 0x3
	buffer_load_dword v51, v49, s[0:3], 0 offen offset:8
	buffer_load_dword v52, v49, s[0:3], 0 offen offset:12
	buffer_load_dword v53, v49, s[0:3], 0 offen
	buffer_load_dword v54, v49, s[0:3], 0 offen offset:4
	s_waitcnt vmcnt(2) lgkmcnt(0)
	v_mul_f64 v[56:57], v[3:4], v[51:52]
	v_mul_f64 v[51:52], v[1:2], v[51:52]
	s_waitcnt vmcnt(0)
	v_fma_f64 v[1:2], v[1:2], v[53:54], -v[56:57]
	v_fma_f64 v[3:4], v[3:4], v[53:54], v[51:52]
.LBB21_142:
	s_and_saveexec_b32 s8, s4
	s_cbranch_execz .LBB21_146
; %bb.143:
	v_add_nc_u32_e32 v51, -4, v0
	s_movk_i32 s30, 0x1a0
	s_mov_b32 s4, 0
	s_mov_b32 s31, s25
	.p2align	6
.LBB21_144:                             ; =>This Inner Loop Header: Depth=1
	v_mov_b32_e32 v54, s31
	v_add_nc_u32_e32 v51, -1, v51
	s_add_i32 s31, s31, 16
	s_clause 0x3
	buffer_load_dword v52, v54, s[0:3], 0 offen offset:8
	buffer_load_dword v53, v54, s[0:3], 0 offen offset:12
	buffer_load_dword v60, v54, s[0:3], 0 offen
	buffer_load_dword v61, v54, s[0:3], 0 offen offset:4
	v_mov_b32_e32 v54, s30
	v_cmp_eq_u32_e32 vcc_lo, 0, v51
	s_add_i32 s30, s30, 16
	ds_read_b128 v[56:59], v54
	s_or_b32 s4, vcc_lo, s4
	s_waitcnt vmcnt(2) lgkmcnt(0)
	v_mul_f64 v[62:63], v[58:59], v[52:53]
	v_mul_f64 v[52:53], v[56:57], v[52:53]
	s_waitcnt vmcnt(0)
	v_fma_f64 v[56:57], v[56:57], v[60:61], -v[62:63]
	v_fma_f64 v[52:53], v[58:59], v[60:61], v[52:53]
	v_add_f64 v[1:2], v[1:2], v[56:57]
	v_add_f64 v[3:4], v[3:4], v[52:53]
	s_andn2_b32 exec_lo, exec_lo, s4
	s_cbranch_execnz .LBB21_144
; %bb.145:
	s_or_b32 exec_lo, exec_lo, s4
.LBB21_146:
	s_or_b32 exec_lo, exec_lo, s8
	v_mov_b32_e32 v51, 0
	ds_read_b128 v[51:54], v51 offset:48
	s_waitcnt lgkmcnt(0)
	v_mul_f64 v[56:57], v[3:4], v[53:54]
	v_mul_f64 v[53:54], v[1:2], v[53:54]
	v_fma_f64 v[1:2], v[1:2], v[51:52], -v[56:57]
	v_fma_f64 v[3:4], v[3:4], v[51:52], v[53:54]
	buffer_store_dword v2, off, s[0:3], 0 offset:52
	buffer_store_dword v1, off, s[0:3], 0 offset:48
	;; [unrolled: 1-line block ×4, first 2 shown]
.LBB21_147:
	s_or_b32 exec_lo, exec_lo, s6
	v_mov_b32_e32 v4, s28
	v_cmp_lt_u32_e64 s6, 2, v0
	s_clause 0x3
	buffer_load_dword v1, v4, s[0:3], 0 offen
	buffer_load_dword v2, v4, s[0:3], 0 offen offset:4
	buffer_load_dword v3, v4, s[0:3], 0 offen offset:8
	;; [unrolled: 1-line block ×3, first 2 shown]
	s_waitcnt vmcnt(0)
	ds_write_b128 v50, v[1:4]
	s_waitcnt lgkmcnt(0)
	s_waitcnt_vscnt null, 0x0
	s_barrier
	buffer_gl0_inv
	s_and_saveexec_b32 s4, s6
	s_cbranch_execz .LBB21_155
; %bb.148:
	ds_read_b128 v[1:4], v50
	s_andn2_b32 vcc_lo, exec_lo, s29
	s_cbranch_vccnz .LBB21_150
; %bb.149:
	s_clause 0x3
	buffer_load_dword v51, v49, s[0:3], 0 offen offset:8
	buffer_load_dword v52, v49, s[0:3], 0 offen offset:12
	buffer_load_dword v53, v49, s[0:3], 0 offen
	buffer_load_dword v54, v49, s[0:3], 0 offen offset:4
	s_waitcnt vmcnt(2) lgkmcnt(0)
	v_mul_f64 v[56:57], v[3:4], v[51:52]
	v_mul_f64 v[51:52], v[1:2], v[51:52]
	s_waitcnt vmcnt(0)
	v_fma_f64 v[1:2], v[1:2], v[53:54], -v[56:57]
	v_fma_f64 v[3:4], v[3:4], v[53:54], v[51:52]
.LBB21_150:
	s_and_saveexec_b32 s8, s5
	s_cbranch_execz .LBB21_154
; %bb.151:
	v_add_nc_u32_e32 v51, -3, v0
	s_movk_i32 s30, 0x190
	s_mov_b32 s5, 0
	s_mov_b32 s31, s26
	.p2align	6
.LBB21_152:                             ; =>This Inner Loop Header: Depth=1
	v_mov_b32_e32 v54, s31
	v_add_nc_u32_e32 v51, -1, v51
	s_add_i32 s31, s31, 16
	s_clause 0x3
	buffer_load_dword v52, v54, s[0:3], 0 offen offset:8
	buffer_load_dword v53, v54, s[0:3], 0 offen offset:12
	buffer_load_dword v60, v54, s[0:3], 0 offen
	buffer_load_dword v61, v54, s[0:3], 0 offen offset:4
	v_mov_b32_e32 v54, s30
	v_cmp_eq_u32_e32 vcc_lo, 0, v51
	s_add_i32 s30, s30, 16
	ds_read_b128 v[56:59], v54
	s_or_b32 s5, vcc_lo, s5
	s_waitcnt vmcnt(2) lgkmcnt(0)
	v_mul_f64 v[62:63], v[58:59], v[52:53]
	v_mul_f64 v[52:53], v[56:57], v[52:53]
	s_waitcnt vmcnt(0)
	v_fma_f64 v[56:57], v[56:57], v[60:61], -v[62:63]
	v_fma_f64 v[52:53], v[58:59], v[60:61], v[52:53]
	v_add_f64 v[1:2], v[1:2], v[56:57]
	v_add_f64 v[3:4], v[3:4], v[52:53]
	s_andn2_b32 exec_lo, exec_lo, s5
	s_cbranch_execnz .LBB21_152
; %bb.153:
	s_or_b32 exec_lo, exec_lo, s5
.LBB21_154:
	s_or_b32 exec_lo, exec_lo, s8
	v_mov_b32_e32 v51, 0
	ds_read_b128 v[51:54], v51 offset:32
	s_waitcnt lgkmcnt(0)
	v_mul_f64 v[56:57], v[3:4], v[53:54]
	v_mul_f64 v[53:54], v[1:2], v[53:54]
	v_fma_f64 v[1:2], v[1:2], v[51:52], -v[56:57]
	v_fma_f64 v[3:4], v[3:4], v[51:52], v[53:54]
	buffer_store_dword v2, off, s[0:3], 0 offset:36
	buffer_store_dword v1, off, s[0:3], 0 offset:32
	;; [unrolled: 1-line block ×4, first 2 shown]
.LBB21_155:
	s_or_b32 exec_lo, exec_lo, s4
	v_mov_b32_e32 v4, s27
	v_cmp_lt_u32_e64 s4, 1, v0
	s_clause 0x3
	buffer_load_dword v1, v4, s[0:3], 0 offen
	buffer_load_dword v2, v4, s[0:3], 0 offen offset:4
	buffer_load_dword v3, v4, s[0:3], 0 offen offset:8
	;; [unrolled: 1-line block ×3, first 2 shown]
	s_waitcnt vmcnt(0)
	ds_write_b128 v50, v[1:4]
	s_waitcnt lgkmcnt(0)
	s_waitcnt_vscnt null, 0x0
	s_barrier
	buffer_gl0_inv
	s_and_saveexec_b32 s5, s4
	s_cbranch_execz .LBB21_163
; %bb.156:
	ds_read_b128 v[1:4], v50
	s_andn2_b32 vcc_lo, exec_lo, s29
	s_cbranch_vccnz .LBB21_158
; %bb.157:
	s_clause 0x3
	buffer_load_dword v51, v49, s[0:3], 0 offen offset:8
	buffer_load_dword v52, v49, s[0:3], 0 offen offset:12
	buffer_load_dword v53, v49, s[0:3], 0 offen
	buffer_load_dword v54, v49, s[0:3], 0 offen offset:4
	s_waitcnt vmcnt(2) lgkmcnt(0)
	v_mul_f64 v[56:57], v[3:4], v[51:52]
	v_mul_f64 v[51:52], v[1:2], v[51:52]
	s_waitcnt vmcnt(0)
	v_fma_f64 v[1:2], v[1:2], v[53:54], -v[56:57]
	v_fma_f64 v[3:4], v[3:4], v[53:54], v[51:52]
.LBB21_158:
	s_and_saveexec_b32 s8, s6
	s_cbranch_execz .LBB21_162
; %bb.159:
	v_add_nc_u32_e32 v51, -2, v0
	s_movk_i32 s30, 0x180
	s_mov_b32 s6, 0
	s_mov_b32 s31, s28
	.p2align	6
.LBB21_160:                             ; =>This Inner Loop Header: Depth=1
	v_mov_b32_e32 v54, s31
	v_add_nc_u32_e32 v51, -1, v51
	s_add_i32 s31, s31, 16
	s_clause 0x3
	buffer_load_dword v52, v54, s[0:3], 0 offen offset:8
	buffer_load_dword v53, v54, s[0:3], 0 offen offset:12
	buffer_load_dword v60, v54, s[0:3], 0 offen
	buffer_load_dword v61, v54, s[0:3], 0 offen offset:4
	v_mov_b32_e32 v54, s30
	v_cmp_eq_u32_e32 vcc_lo, 0, v51
	s_add_i32 s30, s30, 16
	ds_read_b128 v[56:59], v54
	s_or_b32 s6, vcc_lo, s6
	s_waitcnt vmcnt(2) lgkmcnt(0)
	v_mul_f64 v[62:63], v[58:59], v[52:53]
	v_mul_f64 v[52:53], v[56:57], v[52:53]
	s_waitcnt vmcnt(0)
	v_fma_f64 v[56:57], v[56:57], v[60:61], -v[62:63]
	v_fma_f64 v[52:53], v[58:59], v[60:61], v[52:53]
	v_add_f64 v[1:2], v[1:2], v[56:57]
	v_add_f64 v[3:4], v[3:4], v[52:53]
	s_andn2_b32 exec_lo, exec_lo, s6
	s_cbranch_execnz .LBB21_160
; %bb.161:
	s_or_b32 exec_lo, exec_lo, s6
.LBB21_162:
	s_or_b32 exec_lo, exec_lo, s8
	v_mov_b32_e32 v51, 0
	ds_read_b128 v[51:54], v51 offset:16
	s_waitcnt lgkmcnt(0)
	v_mul_f64 v[56:57], v[3:4], v[53:54]
	v_mul_f64 v[53:54], v[1:2], v[53:54]
	v_fma_f64 v[1:2], v[1:2], v[51:52], -v[56:57]
	v_fma_f64 v[3:4], v[3:4], v[51:52], v[53:54]
	buffer_store_dword v2, off, s[0:3], 0 offset:20
	buffer_store_dword v1, off, s[0:3], 0 offset:16
	buffer_store_dword v4, off, s[0:3], 0 offset:28
	buffer_store_dword v3, off, s[0:3], 0 offset:24
.LBB21_163:
	s_or_b32 exec_lo, exec_lo, s5
	s_clause 0x3
	buffer_load_dword v1, off, s[0:3], 0
	buffer_load_dword v2, off, s[0:3], 0 offset:4
	buffer_load_dword v3, off, s[0:3], 0 offset:8
	;; [unrolled: 1-line block ×3, first 2 shown]
	s_mov_b32 s6, 0
	s_mov_b32 s5, 0
	s_mov_b32 s8, exec_lo
                                        ; implicit-def: $sgpr30
	s_waitcnt vmcnt(0)
	ds_write_b128 v50, v[1:4]
	s_waitcnt lgkmcnt(0)
	s_waitcnt_vscnt null, 0x0
	s_barrier
	buffer_gl0_inv
                                        ; implicit-def: $vgpr1_vgpr2
	v_cmpx_ne_u32_e32 0, v0
	s_cbranch_execz .LBB21_171
; %bb.164:
	ds_read_b128 v[1:4], v50
	s_andn2_b32 vcc_lo, exec_lo, s29
	s_cbranch_vccnz .LBB21_166
; %bb.165:
	s_clause 0x3
	buffer_load_dword v51, v49, s[0:3], 0 offen offset:8
	buffer_load_dword v52, v49, s[0:3], 0 offen offset:12
	buffer_load_dword v53, v49, s[0:3], 0 offen
	buffer_load_dword v54, v49, s[0:3], 0 offen offset:4
	s_waitcnt vmcnt(2) lgkmcnt(0)
	v_mul_f64 v[56:57], v[3:4], v[51:52]
	v_mul_f64 v[51:52], v[1:2], v[51:52]
	s_waitcnt vmcnt(0)
	v_fma_f64 v[1:2], v[1:2], v[53:54], -v[56:57]
	v_fma_f64 v[3:4], v[3:4], v[53:54], v[51:52]
.LBB21_166:
	s_and_saveexec_b32 s5, s4
	s_cbranch_execz .LBB21_170
; %bb.167:
	v_add_nc_u32_e32 v51, -1, v0
	s_movk_i32 s30, 0x170
	s_mov_b32 s4, 0
	s_mov_b32 s31, s27
	.p2align	6
.LBB21_168:                             ; =>This Inner Loop Header: Depth=1
	v_mov_b32_e32 v54, s31
	v_add_nc_u32_e32 v51, -1, v51
	s_add_i32 s31, s31, 16
	s_clause 0x3
	buffer_load_dword v52, v54, s[0:3], 0 offen offset:8
	buffer_load_dword v53, v54, s[0:3], 0 offen offset:12
	buffer_load_dword v60, v54, s[0:3], 0 offen
	buffer_load_dword v61, v54, s[0:3], 0 offen offset:4
	v_mov_b32_e32 v54, s30
	v_cmp_eq_u32_e32 vcc_lo, 0, v51
	s_add_i32 s30, s30, 16
	ds_read_b128 v[56:59], v54
	s_or_b32 s4, vcc_lo, s4
	s_waitcnt vmcnt(2) lgkmcnt(0)
	v_mul_f64 v[62:63], v[58:59], v[52:53]
	v_mul_f64 v[52:53], v[56:57], v[52:53]
	s_waitcnt vmcnt(0)
	v_fma_f64 v[56:57], v[56:57], v[60:61], -v[62:63]
	v_fma_f64 v[52:53], v[58:59], v[60:61], v[52:53]
	v_add_f64 v[1:2], v[1:2], v[56:57]
	v_add_f64 v[3:4], v[3:4], v[52:53]
	s_andn2_b32 exec_lo, exec_lo, s4
	s_cbranch_execnz .LBB21_168
; %bb.169:
	s_or_b32 exec_lo, exec_lo, s4
.LBB21_170:
	s_or_b32 exec_lo, exec_lo, s5
	v_mov_b32_e32 v51, 0
	s_mov_b32 s5, exec_lo
	s_or_b32 s30, 0, 8
	ds_read_b128 v[51:54], v51
	s_waitcnt lgkmcnt(0)
	v_mul_f64 v[56:57], v[3:4], v[53:54]
	v_mul_f64 v[53:54], v[1:2], v[53:54]
	v_fma_f64 v[56:57], v[1:2], v[51:52], -v[56:57]
	v_fma_f64 v[1:2], v[3:4], v[51:52], v[53:54]
	buffer_store_dword v57, off, s[0:3], 0 offset:4
	buffer_store_dword v56, off, s[0:3], 0
.LBB21_171:
	s_or_b32 exec_lo, exec_lo, s8
	s_and_b32 vcc_lo, exec_lo, s6
	s_cbranch_vccnz .LBB21_173
	s_branch .LBB21_336
.LBB21_172:
	s_mov_b32 s5, 0
                                        ; implicit-def: $vgpr1_vgpr2
                                        ; implicit-def: $sgpr30
	s_cbranch_execz .LBB21_336
.LBB21_173:
	v_mov_b32_e32 v4, s27
	v_cmp_eq_u32_e64 s4, 0, v0
	v_cndmask_b32_e64 v51, 0, 1, s29
	s_clause 0x3
	buffer_load_dword v1, v4, s[0:3], 0 offen
	buffer_load_dword v2, v4, s[0:3], 0 offen offset:4
	buffer_load_dword v3, v4, s[0:3], 0 offen offset:8
	;; [unrolled: 1-line block ×3, first 2 shown]
	s_waitcnt vmcnt(0)
	ds_write_b128 v50, v[1:4]
	s_waitcnt lgkmcnt(0)
	s_waitcnt_vscnt null, 0x0
	s_barrier
	buffer_gl0_inv
	s_and_saveexec_b32 s6, s4
	s_cbranch_execz .LBB21_177
; %bb.174:
	ds_read_b128 v[1:4], v50
	s_andn2_b32 vcc_lo, exec_lo, s29
	s_cbranch_vccnz .LBB21_176
; %bb.175:
	s_clause 0x3
	buffer_load_dword v52, v49, s[0:3], 0 offen offset:8
	buffer_load_dword v53, v49, s[0:3], 0 offen offset:12
	buffer_load_dword v56, v49, s[0:3], 0 offen
	buffer_load_dword v57, v49, s[0:3], 0 offen offset:4
	s_waitcnt vmcnt(2) lgkmcnt(0)
	v_mul_f64 v[58:59], v[3:4], v[52:53]
	v_mul_f64 v[52:53], v[1:2], v[52:53]
	s_waitcnt vmcnt(0)
	v_fma_f64 v[1:2], v[1:2], v[56:57], -v[58:59]
	v_fma_f64 v[3:4], v[3:4], v[56:57], v[52:53]
.LBB21_176:
	v_mov_b32_e32 v52, 0
	ds_read_b128 v[56:59], v52 offset:16
	s_waitcnt lgkmcnt(0)
	v_mul_f64 v[52:53], v[3:4], v[58:59]
	v_mul_f64 v[58:59], v[1:2], v[58:59]
	v_fma_f64 v[1:2], v[1:2], v[56:57], -v[52:53]
	v_fma_f64 v[3:4], v[3:4], v[56:57], v[58:59]
	buffer_store_dword v2, off, s[0:3], 0 offset:20
	buffer_store_dword v1, off, s[0:3], 0 offset:16
	;; [unrolled: 1-line block ×4, first 2 shown]
.LBB21_177:
	s_or_b32 exec_lo, exec_lo, s6
	v_mov_b32_e32 v4, s28
	s_mov_b32 s6, exec_lo
	s_clause 0x3
	buffer_load_dword v1, v4, s[0:3], 0 offen
	buffer_load_dword v2, v4, s[0:3], 0 offen offset:4
	buffer_load_dword v3, v4, s[0:3], 0 offen offset:8
	;; [unrolled: 1-line block ×3, first 2 shown]
	s_waitcnt vmcnt(0)
	ds_write_b128 v50, v[1:4]
	s_waitcnt lgkmcnt(0)
	s_waitcnt_vscnt null, 0x0
	s_barrier
	buffer_gl0_inv
	v_cmpx_gt_u32_e32 2, v0
	s_cbranch_execz .LBB21_183
; %bb.178:
	ds_read_b128 v[1:4], v50
	v_cmp_ne_u32_e32 vcc_lo, 1, v51
	s_cbranch_vccnz .LBB21_180
; %bb.179:
	s_clause 0x3
	buffer_load_dword v52, v49, s[0:3], 0 offen offset:8
	buffer_load_dword v53, v49, s[0:3], 0 offen offset:12
	buffer_load_dword v56, v49, s[0:3], 0 offen
	buffer_load_dword v57, v49, s[0:3], 0 offen offset:4
	s_waitcnt vmcnt(2) lgkmcnt(0)
	v_mul_f64 v[58:59], v[3:4], v[52:53]
	v_mul_f64 v[52:53], v[1:2], v[52:53]
	s_waitcnt vmcnt(0)
	v_fma_f64 v[1:2], v[1:2], v[56:57], -v[58:59]
	v_fma_f64 v[3:4], v[3:4], v[56:57], v[52:53]
.LBB21_180:
	s_and_saveexec_b32 s8, s4
	s_cbranch_execz .LBB21_182
; %bb.181:
	s_clause 0x3
	buffer_load_dword v52, off, s[0:3], 0 offset:24
	buffer_load_dword v53, off, s[0:3], 0 offset:28
	;; [unrolled: 1-line block ×4, first 2 shown]
	v_mov_b32_e32 v54, 0
	ds_read_b128 v[56:59], v54 offset:368
	s_waitcnt vmcnt(2) lgkmcnt(0)
	v_mul_f64 v[62:63], v[58:59], v[52:53]
	v_mul_f64 v[52:53], v[56:57], v[52:53]
	s_waitcnt vmcnt(0)
	v_fma_f64 v[56:57], v[56:57], v[60:61], -v[62:63]
	v_fma_f64 v[52:53], v[58:59], v[60:61], v[52:53]
	v_add_f64 v[1:2], v[1:2], v[56:57]
	v_add_f64 v[3:4], v[3:4], v[52:53]
.LBB21_182:
	s_or_b32 exec_lo, exec_lo, s8
	v_mov_b32_e32 v52, 0
	ds_read_b128 v[56:59], v52 offset:32
	s_waitcnt lgkmcnt(0)
	v_mul_f64 v[52:53], v[3:4], v[58:59]
	v_mul_f64 v[58:59], v[1:2], v[58:59]
	v_fma_f64 v[1:2], v[1:2], v[56:57], -v[52:53]
	v_fma_f64 v[3:4], v[3:4], v[56:57], v[58:59]
	buffer_store_dword v2, off, s[0:3], 0 offset:36
	buffer_store_dword v1, off, s[0:3], 0 offset:32
	;; [unrolled: 1-line block ×4, first 2 shown]
.LBB21_183:
	s_or_b32 exec_lo, exec_lo, s6
	v_mov_b32_e32 v4, s26
	s_mov_b32 s6, exec_lo
	s_clause 0x3
	buffer_load_dword v1, v4, s[0:3], 0 offen
	buffer_load_dword v2, v4, s[0:3], 0 offen offset:4
	buffer_load_dword v3, v4, s[0:3], 0 offen offset:8
	;; [unrolled: 1-line block ×3, first 2 shown]
	s_waitcnt vmcnt(0)
	ds_write_b128 v50, v[1:4]
	s_waitcnt lgkmcnt(0)
	s_waitcnt_vscnt null, 0x0
	s_barrier
	buffer_gl0_inv
	v_cmpx_gt_u32_e32 3, v0
	s_cbranch_execz .LBB21_191
; %bb.184:
	ds_read_b128 v[1:4], v50
	v_cmp_ne_u32_e32 vcc_lo, 1, v51
	s_cbranch_vccnz .LBB21_186
; %bb.185:
	s_clause 0x3
	buffer_load_dword v52, v49, s[0:3], 0 offen offset:8
	buffer_load_dword v53, v49, s[0:3], 0 offen offset:12
	buffer_load_dword v56, v49, s[0:3], 0 offen
	buffer_load_dword v57, v49, s[0:3], 0 offen offset:4
	s_waitcnt vmcnt(2) lgkmcnt(0)
	v_mul_f64 v[58:59], v[3:4], v[52:53]
	v_mul_f64 v[52:53], v[1:2], v[52:53]
	s_waitcnt vmcnt(0)
	v_fma_f64 v[1:2], v[1:2], v[56:57], -v[58:59]
	v_fma_f64 v[3:4], v[3:4], v[56:57], v[52:53]
.LBB21_186:
	s_mov_b32 s8, exec_lo
	v_cmpx_ne_u32_e32 2, v0
	s_cbranch_execz .LBB21_190
; %bb.187:
	s_clause 0x3
	buffer_load_dword v52, v49, s[0:3], 0 offen offset:24
	buffer_load_dword v53, v49, s[0:3], 0 offen offset:28
	;; [unrolled: 1-line block ×4, first 2 shown]
	ds_read_b128 v[56:59], v50 offset:16
	s_waitcnt vmcnt(2) lgkmcnt(0)
	v_mul_f64 v[62:63], v[58:59], v[52:53]
	v_mul_f64 v[52:53], v[56:57], v[52:53]
	s_waitcnt vmcnt(0)
	v_fma_f64 v[56:57], v[56:57], v[60:61], -v[62:63]
	v_fma_f64 v[52:53], v[58:59], v[60:61], v[52:53]
	v_add_f64 v[1:2], v[1:2], v[56:57]
	v_add_f64 v[3:4], v[3:4], v[52:53]
	s_and_saveexec_b32 s29, s4
	s_cbranch_execz .LBB21_189
; %bb.188:
	s_clause 0x3
	buffer_load_dword v52, off, s[0:3], 0 offset:40
	buffer_load_dword v53, off, s[0:3], 0 offset:44
	;; [unrolled: 1-line block ×4, first 2 shown]
	v_mov_b32_e32 v54, 0
	ds_read_b128 v[56:59], v54 offset:384
	s_waitcnt vmcnt(2) lgkmcnt(0)
	v_mul_f64 v[62:63], v[56:57], v[52:53]
	v_mul_f64 v[52:53], v[58:59], v[52:53]
	s_waitcnt vmcnt(0)
	v_fma_f64 v[58:59], v[58:59], v[60:61], v[62:63]
	v_fma_f64 v[52:53], v[56:57], v[60:61], -v[52:53]
	v_add_f64 v[3:4], v[3:4], v[58:59]
	v_add_f64 v[1:2], v[1:2], v[52:53]
.LBB21_189:
	s_or_b32 exec_lo, exec_lo, s29
.LBB21_190:
	s_or_b32 exec_lo, exec_lo, s8
	v_mov_b32_e32 v52, 0
	ds_read_b128 v[56:59], v52 offset:48
	s_waitcnt lgkmcnt(0)
	v_mul_f64 v[52:53], v[3:4], v[58:59]
	v_mul_f64 v[58:59], v[1:2], v[58:59]
	v_fma_f64 v[1:2], v[1:2], v[56:57], -v[52:53]
	v_fma_f64 v[3:4], v[3:4], v[56:57], v[58:59]
	buffer_store_dword v2, off, s[0:3], 0 offset:52
	buffer_store_dword v1, off, s[0:3], 0 offset:48
	;; [unrolled: 1-line block ×4, first 2 shown]
.LBB21_191:
	s_or_b32 exec_lo, exec_lo, s6
	v_mov_b32_e32 v4, s25
	s_mov_b32 s4, exec_lo
	s_clause 0x3
	buffer_load_dword v1, v4, s[0:3], 0 offen
	buffer_load_dword v2, v4, s[0:3], 0 offen offset:4
	buffer_load_dword v3, v4, s[0:3], 0 offen offset:8
	;; [unrolled: 1-line block ×3, first 2 shown]
	s_waitcnt vmcnt(0)
	ds_write_b128 v50, v[1:4]
	s_waitcnt lgkmcnt(0)
	s_waitcnt_vscnt null, 0x0
	s_barrier
	buffer_gl0_inv
	v_cmpx_gt_u32_e32 4, v0
	s_cbranch_execz .LBB21_199
; %bb.192:
	ds_read_b128 v[1:4], v50
	v_cmp_ne_u32_e32 vcc_lo, 1, v51
	s_cbranch_vccnz .LBB21_194
; %bb.193:
	s_clause 0x3
	buffer_load_dword v52, v49, s[0:3], 0 offen offset:8
	buffer_load_dword v53, v49, s[0:3], 0 offen offset:12
	buffer_load_dword v56, v49, s[0:3], 0 offen
	buffer_load_dword v57, v49, s[0:3], 0 offen offset:4
	s_waitcnt vmcnt(2) lgkmcnt(0)
	v_mul_f64 v[58:59], v[3:4], v[52:53]
	v_mul_f64 v[52:53], v[1:2], v[52:53]
	s_waitcnt vmcnt(0)
	v_fma_f64 v[1:2], v[1:2], v[56:57], -v[58:59]
	v_fma_f64 v[3:4], v[3:4], v[56:57], v[52:53]
.LBB21_194:
	s_mov_b32 s6, exec_lo
	v_cmpx_ne_u32_e32 3, v0
	s_cbranch_execz .LBB21_198
; %bb.195:
	v_add_nc_u32_e32 v52, 0x170, v55
	v_add3_u32 v53, 0, v55, 16
	v_mov_b32_e32 v54, v0
	s_mov_b32 s8, 0
	.p2align	6
.LBB21_196:                             ; =>This Inner Loop Header: Depth=1
	s_clause 0x3
	buffer_load_dword v60, v53, s[0:3], 0 offen offset:8
	buffer_load_dword v61, v53, s[0:3], 0 offen offset:12
	buffer_load_dword v62, v53, s[0:3], 0 offen
	buffer_load_dword v63, v53, s[0:3], 0 offen offset:4
	ds_read_b128 v[56:59], v52
	v_add_nc_u32_e32 v54, 1, v54
	v_add_nc_u32_e32 v52, 16, v52
	;; [unrolled: 1-line block ×3, first 2 shown]
	v_cmp_lt_u32_e32 vcc_lo, 2, v54
	s_or_b32 s8, vcc_lo, s8
	s_waitcnt vmcnt(2) lgkmcnt(0)
	v_mul_f64 v[64:65], v[58:59], v[60:61]
	v_mul_f64 v[60:61], v[56:57], v[60:61]
	s_waitcnt vmcnt(0)
	v_fma_f64 v[56:57], v[56:57], v[62:63], -v[64:65]
	v_fma_f64 v[58:59], v[58:59], v[62:63], v[60:61]
	v_add_f64 v[1:2], v[1:2], v[56:57]
	v_add_f64 v[3:4], v[3:4], v[58:59]
	s_andn2_b32 exec_lo, exec_lo, s8
	s_cbranch_execnz .LBB21_196
; %bb.197:
	s_or_b32 exec_lo, exec_lo, s8
.LBB21_198:
	s_or_b32 exec_lo, exec_lo, s6
	v_mov_b32_e32 v52, 0
	ds_read_b128 v[56:59], v52 offset:64
	s_waitcnt lgkmcnt(0)
	v_mul_f64 v[52:53], v[3:4], v[58:59]
	v_mul_f64 v[58:59], v[1:2], v[58:59]
	v_fma_f64 v[1:2], v[1:2], v[56:57], -v[52:53]
	v_fma_f64 v[3:4], v[3:4], v[56:57], v[58:59]
	buffer_store_dword v2, off, s[0:3], 0 offset:68
	buffer_store_dword v1, off, s[0:3], 0 offset:64
	;; [unrolled: 1-line block ×4, first 2 shown]
.LBB21_199:
	s_or_b32 exec_lo, exec_lo, s4
	v_mov_b32_e32 v4, s24
	s_mov_b32 s4, exec_lo
	s_clause 0x3
	buffer_load_dword v1, v4, s[0:3], 0 offen
	buffer_load_dword v2, v4, s[0:3], 0 offen offset:4
	buffer_load_dword v3, v4, s[0:3], 0 offen offset:8
	;; [unrolled: 1-line block ×3, first 2 shown]
	s_waitcnt vmcnt(0)
	ds_write_b128 v50, v[1:4]
	s_waitcnt lgkmcnt(0)
	s_waitcnt_vscnt null, 0x0
	s_barrier
	buffer_gl0_inv
	v_cmpx_gt_u32_e32 5, v0
	s_cbranch_execz .LBB21_207
; %bb.200:
	ds_read_b128 v[1:4], v50
	v_cmp_ne_u32_e32 vcc_lo, 1, v51
	s_cbranch_vccnz .LBB21_202
; %bb.201:
	s_clause 0x3
	buffer_load_dword v52, v49, s[0:3], 0 offen offset:8
	buffer_load_dword v53, v49, s[0:3], 0 offen offset:12
	buffer_load_dword v56, v49, s[0:3], 0 offen
	buffer_load_dword v57, v49, s[0:3], 0 offen offset:4
	s_waitcnt vmcnt(2) lgkmcnt(0)
	v_mul_f64 v[58:59], v[3:4], v[52:53]
	v_mul_f64 v[52:53], v[1:2], v[52:53]
	s_waitcnt vmcnt(0)
	v_fma_f64 v[1:2], v[1:2], v[56:57], -v[58:59]
	v_fma_f64 v[3:4], v[3:4], v[56:57], v[52:53]
.LBB21_202:
	s_mov_b32 s6, exec_lo
	v_cmpx_ne_u32_e32 4, v0
	s_cbranch_execz .LBB21_206
; %bb.203:
	v_add_nc_u32_e32 v52, 0x170, v55
	v_add3_u32 v53, 0, v55, 16
	v_mov_b32_e32 v54, v0
	s_mov_b32 s8, 0
	.p2align	6
.LBB21_204:                             ; =>This Inner Loop Header: Depth=1
	s_clause 0x3
	buffer_load_dword v60, v53, s[0:3], 0 offen offset:8
	buffer_load_dword v61, v53, s[0:3], 0 offen offset:12
	buffer_load_dword v62, v53, s[0:3], 0 offen
	buffer_load_dword v63, v53, s[0:3], 0 offen offset:4
	ds_read_b128 v[56:59], v52
	v_add_nc_u32_e32 v54, 1, v54
	v_add_nc_u32_e32 v52, 16, v52
	;; [unrolled: 1-line block ×3, first 2 shown]
	v_cmp_lt_u32_e32 vcc_lo, 3, v54
	s_or_b32 s8, vcc_lo, s8
	s_waitcnt vmcnt(2) lgkmcnt(0)
	v_mul_f64 v[64:65], v[58:59], v[60:61]
	v_mul_f64 v[60:61], v[56:57], v[60:61]
	s_waitcnt vmcnt(0)
	v_fma_f64 v[56:57], v[56:57], v[62:63], -v[64:65]
	v_fma_f64 v[58:59], v[58:59], v[62:63], v[60:61]
	v_add_f64 v[1:2], v[1:2], v[56:57]
	v_add_f64 v[3:4], v[3:4], v[58:59]
	s_andn2_b32 exec_lo, exec_lo, s8
	s_cbranch_execnz .LBB21_204
; %bb.205:
	s_or_b32 exec_lo, exec_lo, s8
.LBB21_206:
	s_or_b32 exec_lo, exec_lo, s6
	v_mov_b32_e32 v52, 0
	ds_read_b128 v[56:59], v52 offset:80
	s_waitcnt lgkmcnt(0)
	v_mul_f64 v[52:53], v[3:4], v[58:59]
	v_mul_f64 v[58:59], v[1:2], v[58:59]
	v_fma_f64 v[1:2], v[1:2], v[56:57], -v[52:53]
	v_fma_f64 v[3:4], v[3:4], v[56:57], v[58:59]
	buffer_store_dword v2, off, s[0:3], 0 offset:84
	buffer_store_dword v1, off, s[0:3], 0 offset:80
	;; [unrolled: 1-line block ×4, first 2 shown]
.LBB21_207:
	s_or_b32 exec_lo, exec_lo, s4
	v_mov_b32_e32 v4, s23
	s_mov_b32 s4, exec_lo
	s_clause 0x3
	buffer_load_dword v1, v4, s[0:3], 0 offen
	buffer_load_dword v2, v4, s[0:3], 0 offen offset:4
	buffer_load_dword v3, v4, s[0:3], 0 offen offset:8
	;; [unrolled: 1-line block ×3, first 2 shown]
	s_waitcnt vmcnt(0)
	ds_write_b128 v50, v[1:4]
	s_waitcnt lgkmcnt(0)
	s_waitcnt_vscnt null, 0x0
	s_barrier
	buffer_gl0_inv
	v_cmpx_gt_u32_e32 6, v0
	s_cbranch_execz .LBB21_215
; %bb.208:
	ds_read_b128 v[1:4], v50
	v_cmp_ne_u32_e32 vcc_lo, 1, v51
	s_cbranch_vccnz .LBB21_210
; %bb.209:
	s_clause 0x3
	buffer_load_dword v52, v49, s[0:3], 0 offen offset:8
	buffer_load_dword v53, v49, s[0:3], 0 offen offset:12
	buffer_load_dword v56, v49, s[0:3], 0 offen
	buffer_load_dword v57, v49, s[0:3], 0 offen offset:4
	s_waitcnt vmcnt(2) lgkmcnt(0)
	v_mul_f64 v[58:59], v[3:4], v[52:53]
	v_mul_f64 v[52:53], v[1:2], v[52:53]
	s_waitcnt vmcnt(0)
	v_fma_f64 v[1:2], v[1:2], v[56:57], -v[58:59]
	v_fma_f64 v[3:4], v[3:4], v[56:57], v[52:53]
.LBB21_210:
	s_mov_b32 s6, exec_lo
	v_cmpx_ne_u32_e32 5, v0
	s_cbranch_execz .LBB21_214
; %bb.211:
	v_add_nc_u32_e32 v52, 0x170, v55
	v_add3_u32 v53, 0, v55, 16
	v_mov_b32_e32 v54, v0
	s_mov_b32 s8, 0
	.p2align	6
.LBB21_212:                             ; =>This Inner Loop Header: Depth=1
	s_clause 0x3
	buffer_load_dword v60, v53, s[0:3], 0 offen offset:8
	buffer_load_dword v61, v53, s[0:3], 0 offen offset:12
	buffer_load_dword v62, v53, s[0:3], 0 offen
	buffer_load_dword v63, v53, s[0:3], 0 offen offset:4
	ds_read_b128 v[56:59], v52
	v_add_nc_u32_e32 v54, 1, v54
	v_add_nc_u32_e32 v52, 16, v52
	;; [unrolled: 1-line block ×3, first 2 shown]
	v_cmp_lt_u32_e32 vcc_lo, 4, v54
	s_or_b32 s8, vcc_lo, s8
	s_waitcnt vmcnt(2) lgkmcnt(0)
	v_mul_f64 v[64:65], v[58:59], v[60:61]
	v_mul_f64 v[60:61], v[56:57], v[60:61]
	s_waitcnt vmcnt(0)
	v_fma_f64 v[56:57], v[56:57], v[62:63], -v[64:65]
	v_fma_f64 v[58:59], v[58:59], v[62:63], v[60:61]
	v_add_f64 v[1:2], v[1:2], v[56:57]
	v_add_f64 v[3:4], v[3:4], v[58:59]
	s_andn2_b32 exec_lo, exec_lo, s8
	s_cbranch_execnz .LBB21_212
; %bb.213:
	s_or_b32 exec_lo, exec_lo, s8
.LBB21_214:
	s_or_b32 exec_lo, exec_lo, s6
	v_mov_b32_e32 v52, 0
	ds_read_b128 v[56:59], v52 offset:96
	s_waitcnt lgkmcnt(0)
	v_mul_f64 v[52:53], v[3:4], v[58:59]
	v_mul_f64 v[58:59], v[1:2], v[58:59]
	v_fma_f64 v[1:2], v[1:2], v[56:57], -v[52:53]
	v_fma_f64 v[3:4], v[3:4], v[56:57], v[58:59]
	buffer_store_dword v2, off, s[0:3], 0 offset:100
	buffer_store_dword v1, off, s[0:3], 0 offset:96
	;; [unrolled: 1-line block ×4, first 2 shown]
.LBB21_215:
	s_or_b32 exec_lo, exec_lo, s4
	v_mov_b32_e32 v4, s22
	s_mov_b32 s4, exec_lo
	s_clause 0x3
	buffer_load_dword v1, v4, s[0:3], 0 offen
	buffer_load_dword v2, v4, s[0:3], 0 offen offset:4
	buffer_load_dword v3, v4, s[0:3], 0 offen offset:8
	;; [unrolled: 1-line block ×3, first 2 shown]
	s_waitcnt vmcnt(0)
	ds_write_b128 v50, v[1:4]
	s_waitcnt lgkmcnt(0)
	s_waitcnt_vscnt null, 0x0
	s_barrier
	buffer_gl0_inv
	v_cmpx_gt_u32_e32 7, v0
	s_cbranch_execz .LBB21_223
; %bb.216:
	ds_read_b128 v[1:4], v50
	v_cmp_ne_u32_e32 vcc_lo, 1, v51
	s_cbranch_vccnz .LBB21_218
; %bb.217:
	s_clause 0x3
	buffer_load_dword v52, v49, s[0:3], 0 offen offset:8
	buffer_load_dword v53, v49, s[0:3], 0 offen offset:12
	buffer_load_dword v56, v49, s[0:3], 0 offen
	buffer_load_dword v57, v49, s[0:3], 0 offen offset:4
	s_waitcnt vmcnt(2) lgkmcnt(0)
	v_mul_f64 v[58:59], v[3:4], v[52:53]
	v_mul_f64 v[52:53], v[1:2], v[52:53]
	s_waitcnt vmcnt(0)
	v_fma_f64 v[1:2], v[1:2], v[56:57], -v[58:59]
	v_fma_f64 v[3:4], v[3:4], v[56:57], v[52:53]
.LBB21_218:
	s_mov_b32 s6, exec_lo
	v_cmpx_ne_u32_e32 6, v0
	s_cbranch_execz .LBB21_222
; %bb.219:
	v_add_nc_u32_e32 v52, 0x170, v55
	v_add3_u32 v53, 0, v55, 16
	v_mov_b32_e32 v54, v0
	s_mov_b32 s8, 0
	.p2align	6
.LBB21_220:                             ; =>This Inner Loop Header: Depth=1
	s_clause 0x3
	buffer_load_dword v60, v53, s[0:3], 0 offen offset:8
	buffer_load_dword v61, v53, s[0:3], 0 offen offset:12
	buffer_load_dword v62, v53, s[0:3], 0 offen
	buffer_load_dword v63, v53, s[0:3], 0 offen offset:4
	ds_read_b128 v[56:59], v52
	v_add_nc_u32_e32 v54, 1, v54
	v_add_nc_u32_e32 v52, 16, v52
	v_add_nc_u32_e32 v53, 16, v53
	v_cmp_lt_u32_e32 vcc_lo, 5, v54
	s_or_b32 s8, vcc_lo, s8
	s_waitcnt vmcnt(2) lgkmcnt(0)
	v_mul_f64 v[64:65], v[58:59], v[60:61]
	v_mul_f64 v[60:61], v[56:57], v[60:61]
	s_waitcnt vmcnt(0)
	v_fma_f64 v[56:57], v[56:57], v[62:63], -v[64:65]
	v_fma_f64 v[58:59], v[58:59], v[62:63], v[60:61]
	v_add_f64 v[1:2], v[1:2], v[56:57]
	v_add_f64 v[3:4], v[3:4], v[58:59]
	s_andn2_b32 exec_lo, exec_lo, s8
	s_cbranch_execnz .LBB21_220
; %bb.221:
	s_or_b32 exec_lo, exec_lo, s8
.LBB21_222:
	s_or_b32 exec_lo, exec_lo, s6
	v_mov_b32_e32 v52, 0
	ds_read_b128 v[56:59], v52 offset:112
	s_waitcnt lgkmcnt(0)
	v_mul_f64 v[52:53], v[3:4], v[58:59]
	v_mul_f64 v[58:59], v[1:2], v[58:59]
	v_fma_f64 v[1:2], v[1:2], v[56:57], -v[52:53]
	v_fma_f64 v[3:4], v[3:4], v[56:57], v[58:59]
	buffer_store_dword v2, off, s[0:3], 0 offset:116
	buffer_store_dword v1, off, s[0:3], 0 offset:112
	;; [unrolled: 1-line block ×4, first 2 shown]
.LBB21_223:
	s_or_b32 exec_lo, exec_lo, s4
	v_mov_b32_e32 v4, s21
	s_mov_b32 s4, exec_lo
	s_clause 0x3
	buffer_load_dword v1, v4, s[0:3], 0 offen
	buffer_load_dword v2, v4, s[0:3], 0 offen offset:4
	buffer_load_dword v3, v4, s[0:3], 0 offen offset:8
	;; [unrolled: 1-line block ×3, first 2 shown]
	s_waitcnt vmcnt(0)
	ds_write_b128 v50, v[1:4]
	s_waitcnt lgkmcnt(0)
	s_waitcnt_vscnt null, 0x0
	s_barrier
	buffer_gl0_inv
	v_cmpx_gt_u32_e32 8, v0
	s_cbranch_execz .LBB21_231
; %bb.224:
	ds_read_b128 v[1:4], v50
	v_cmp_ne_u32_e32 vcc_lo, 1, v51
	s_cbranch_vccnz .LBB21_226
; %bb.225:
	s_clause 0x3
	buffer_load_dword v52, v49, s[0:3], 0 offen offset:8
	buffer_load_dword v53, v49, s[0:3], 0 offen offset:12
	buffer_load_dword v56, v49, s[0:3], 0 offen
	buffer_load_dword v57, v49, s[0:3], 0 offen offset:4
	s_waitcnt vmcnt(2) lgkmcnt(0)
	v_mul_f64 v[58:59], v[3:4], v[52:53]
	v_mul_f64 v[52:53], v[1:2], v[52:53]
	s_waitcnt vmcnt(0)
	v_fma_f64 v[1:2], v[1:2], v[56:57], -v[58:59]
	v_fma_f64 v[3:4], v[3:4], v[56:57], v[52:53]
.LBB21_226:
	s_mov_b32 s6, exec_lo
	v_cmpx_ne_u32_e32 7, v0
	s_cbranch_execz .LBB21_230
; %bb.227:
	v_add_nc_u32_e32 v52, 0x170, v55
	v_add3_u32 v53, 0, v55, 16
	v_mov_b32_e32 v54, v0
	s_mov_b32 s8, 0
	.p2align	6
.LBB21_228:                             ; =>This Inner Loop Header: Depth=1
	s_clause 0x3
	buffer_load_dword v60, v53, s[0:3], 0 offen offset:8
	buffer_load_dword v61, v53, s[0:3], 0 offen offset:12
	buffer_load_dword v62, v53, s[0:3], 0 offen
	buffer_load_dword v63, v53, s[0:3], 0 offen offset:4
	ds_read_b128 v[56:59], v52
	v_add_nc_u32_e32 v54, 1, v54
	v_add_nc_u32_e32 v52, 16, v52
	;; [unrolled: 1-line block ×3, first 2 shown]
	v_cmp_lt_u32_e32 vcc_lo, 6, v54
	s_or_b32 s8, vcc_lo, s8
	s_waitcnt vmcnt(2) lgkmcnt(0)
	v_mul_f64 v[64:65], v[58:59], v[60:61]
	v_mul_f64 v[60:61], v[56:57], v[60:61]
	s_waitcnt vmcnt(0)
	v_fma_f64 v[56:57], v[56:57], v[62:63], -v[64:65]
	v_fma_f64 v[58:59], v[58:59], v[62:63], v[60:61]
	v_add_f64 v[1:2], v[1:2], v[56:57]
	v_add_f64 v[3:4], v[3:4], v[58:59]
	s_andn2_b32 exec_lo, exec_lo, s8
	s_cbranch_execnz .LBB21_228
; %bb.229:
	s_or_b32 exec_lo, exec_lo, s8
.LBB21_230:
	s_or_b32 exec_lo, exec_lo, s6
	v_mov_b32_e32 v52, 0
	ds_read_b128 v[56:59], v52 offset:128
	s_waitcnt lgkmcnt(0)
	v_mul_f64 v[52:53], v[3:4], v[58:59]
	v_mul_f64 v[58:59], v[1:2], v[58:59]
	v_fma_f64 v[1:2], v[1:2], v[56:57], -v[52:53]
	v_fma_f64 v[3:4], v[3:4], v[56:57], v[58:59]
	buffer_store_dword v2, off, s[0:3], 0 offset:132
	buffer_store_dword v1, off, s[0:3], 0 offset:128
	;; [unrolled: 1-line block ×4, first 2 shown]
.LBB21_231:
	s_or_b32 exec_lo, exec_lo, s4
	v_mov_b32_e32 v4, s20
	s_mov_b32 s4, exec_lo
	s_clause 0x3
	buffer_load_dword v1, v4, s[0:3], 0 offen
	buffer_load_dword v2, v4, s[0:3], 0 offen offset:4
	buffer_load_dword v3, v4, s[0:3], 0 offen offset:8
	;; [unrolled: 1-line block ×3, first 2 shown]
	s_waitcnt vmcnt(0)
	ds_write_b128 v50, v[1:4]
	s_waitcnt lgkmcnt(0)
	s_waitcnt_vscnt null, 0x0
	s_barrier
	buffer_gl0_inv
	v_cmpx_gt_u32_e32 9, v0
	s_cbranch_execz .LBB21_239
; %bb.232:
	ds_read_b128 v[1:4], v50
	v_cmp_ne_u32_e32 vcc_lo, 1, v51
	s_cbranch_vccnz .LBB21_234
; %bb.233:
	s_clause 0x3
	buffer_load_dword v52, v49, s[0:3], 0 offen offset:8
	buffer_load_dword v53, v49, s[0:3], 0 offen offset:12
	buffer_load_dword v56, v49, s[0:3], 0 offen
	buffer_load_dword v57, v49, s[0:3], 0 offen offset:4
	s_waitcnt vmcnt(2) lgkmcnt(0)
	v_mul_f64 v[58:59], v[3:4], v[52:53]
	v_mul_f64 v[52:53], v[1:2], v[52:53]
	s_waitcnt vmcnt(0)
	v_fma_f64 v[1:2], v[1:2], v[56:57], -v[58:59]
	v_fma_f64 v[3:4], v[3:4], v[56:57], v[52:53]
.LBB21_234:
	s_mov_b32 s6, exec_lo
	v_cmpx_ne_u32_e32 8, v0
	s_cbranch_execz .LBB21_238
; %bb.235:
	v_add_nc_u32_e32 v52, 0x170, v55
	v_add3_u32 v53, 0, v55, 16
	v_mov_b32_e32 v54, v0
	s_mov_b32 s8, 0
	.p2align	6
.LBB21_236:                             ; =>This Inner Loop Header: Depth=1
	s_clause 0x3
	buffer_load_dword v60, v53, s[0:3], 0 offen offset:8
	buffer_load_dword v61, v53, s[0:3], 0 offen offset:12
	buffer_load_dword v62, v53, s[0:3], 0 offen
	buffer_load_dword v63, v53, s[0:3], 0 offen offset:4
	ds_read_b128 v[56:59], v52
	v_add_nc_u32_e32 v54, 1, v54
	v_add_nc_u32_e32 v52, 16, v52
	;; [unrolled: 1-line block ×3, first 2 shown]
	v_cmp_lt_u32_e32 vcc_lo, 7, v54
	s_or_b32 s8, vcc_lo, s8
	s_waitcnt vmcnt(2) lgkmcnt(0)
	v_mul_f64 v[64:65], v[58:59], v[60:61]
	v_mul_f64 v[60:61], v[56:57], v[60:61]
	s_waitcnt vmcnt(0)
	v_fma_f64 v[56:57], v[56:57], v[62:63], -v[64:65]
	v_fma_f64 v[58:59], v[58:59], v[62:63], v[60:61]
	v_add_f64 v[1:2], v[1:2], v[56:57]
	v_add_f64 v[3:4], v[3:4], v[58:59]
	s_andn2_b32 exec_lo, exec_lo, s8
	s_cbranch_execnz .LBB21_236
; %bb.237:
	s_or_b32 exec_lo, exec_lo, s8
.LBB21_238:
	s_or_b32 exec_lo, exec_lo, s6
	v_mov_b32_e32 v52, 0
	ds_read_b128 v[56:59], v52 offset:144
	s_waitcnt lgkmcnt(0)
	v_mul_f64 v[52:53], v[3:4], v[58:59]
	v_mul_f64 v[58:59], v[1:2], v[58:59]
	v_fma_f64 v[1:2], v[1:2], v[56:57], -v[52:53]
	v_fma_f64 v[3:4], v[3:4], v[56:57], v[58:59]
	buffer_store_dword v2, off, s[0:3], 0 offset:148
	buffer_store_dword v1, off, s[0:3], 0 offset:144
	;; [unrolled: 1-line block ×4, first 2 shown]
.LBB21_239:
	s_or_b32 exec_lo, exec_lo, s4
	v_mov_b32_e32 v4, s19
	s_mov_b32 s4, exec_lo
	s_clause 0x3
	buffer_load_dword v1, v4, s[0:3], 0 offen
	buffer_load_dword v2, v4, s[0:3], 0 offen offset:4
	buffer_load_dword v3, v4, s[0:3], 0 offen offset:8
	;; [unrolled: 1-line block ×3, first 2 shown]
	s_waitcnt vmcnt(0)
	ds_write_b128 v50, v[1:4]
	s_waitcnt lgkmcnt(0)
	s_waitcnt_vscnt null, 0x0
	s_barrier
	buffer_gl0_inv
	v_cmpx_gt_u32_e32 10, v0
	s_cbranch_execz .LBB21_247
; %bb.240:
	ds_read_b128 v[1:4], v50
	v_cmp_ne_u32_e32 vcc_lo, 1, v51
	s_cbranch_vccnz .LBB21_242
; %bb.241:
	s_clause 0x3
	buffer_load_dword v52, v49, s[0:3], 0 offen offset:8
	buffer_load_dword v53, v49, s[0:3], 0 offen offset:12
	buffer_load_dword v56, v49, s[0:3], 0 offen
	buffer_load_dword v57, v49, s[0:3], 0 offen offset:4
	s_waitcnt vmcnt(2) lgkmcnt(0)
	v_mul_f64 v[58:59], v[3:4], v[52:53]
	v_mul_f64 v[52:53], v[1:2], v[52:53]
	s_waitcnt vmcnt(0)
	v_fma_f64 v[1:2], v[1:2], v[56:57], -v[58:59]
	v_fma_f64 v[3:4], v[3:4], v[56:57], v[52:53]
.LBB21_242:
	s_mov_b32 s6, exec_lo
	v_cmpx_ne_u32_e32 9, v0
	s_cbranch_execz .LBB21_246
; %bb.243:
	v_add_nc_u32_e32 v52, 0x170, v55
	v_add3_u32 v53, 0, v55, 16
	v_mov_b32_e32 v54, v0
	s_mov_b32 s8, 0
	.p2align	6
.LBB21_244:                             ; =>This Inner Loop Header: Depth=1
	s_clause 0x3
	buffer_load_dword v60, v53, s[0:3], 0 offen offset:8
	buffer_load_dword v61, v53, s[0:3], 0 offen offset:12
	buffer_load_dword v62, v53, s[0:3], 0 offen
	buffer_load_dword v63, v53, s[0:3], 0 offen offset:4
	ds_read_b128 v[56:59], v52
	v_add_nc_u32_e32 v54, 1, v54
	v_add_nc_u32_e32 v52, 16, v52
	;; [unrolled: 1-line block ×3, first 2 shown]
	v_cmp_lt_u32_e32 vcc_lo, 8, v54
	s_or_b32 s8, vcc_lo, s8
	s_waitcnt vmcnt(2) lgkmcnt(0)
	v_mul_f64 v[64:65], v[58:59], v[60:61]
	v_mul_f64 v[60:61], v[56:57], v[60:61]
	s_waitcnt vmcnt(0)
	v_fma_f64 v[56:57], v[56:57], v[62:63], -v[64:65]
	v_fma_f64 v[58:59], v[58:59], v[62:63], v[60:61]
	v_add_f64 v[1:2], v[1:2], v[56:57]
	v_add_f64 v[3:4], v[3:4], v[58:59]
	s_andn2_b32 exec_lo, exec_lo, s8
	s_cbranch_execnz .LBB21_244
; %bb.245:
	s_or_b32 exec_lo, exec_lo, s8
.LBB21_246:
	s_or_b32 exec_lo, exec_lo, s6
	v_mov_b32_e32 v52, 0
	ds_read_b128 v[56:59], v52 offset:160
	s_waitcnt lgkmcnt(0)
	v_mul_f64 v[52:53], v[3:4], v[58:59]
	v_mul_f64 v[58:59], v[1:2], v[58:59]
	v_fma_f64 v[1:2], v[1:2], v[56:57], -v[52:53]
	v_fma_f64 v[3:4], v[3:4], v[56:57], v[58:59]
	buffer_store_dword v2, off, s[0:3], 0 offset:164
	buffer_store_dword v1, off, s[0:3], 0 offset:160
	;; [unrolled: 1-line block ×4, first 2 shown]
.LBB21_247:
	s_or_b32 exec_lo, exec_lo, s4
	v_mov_b32_e32 v4, s18
	s_mov_b32 s4, exec_lo
	s_clause 0x3
	buffer_load_dword v1, v4, s[0:3], 0 offen
	buffer_load_dword v2, v4, s[0:3], 0 offen offset:4
	buffer_load_dword v3, v4, s[0:3], 0 offen offset:8
	;; [unrolled: 1-line block ×3, first 2 shown]
	s_waitcnt vmcnt(0)
	ds_write_b128 v50, v[1:4]
	s_waitcnt lgkmcnt(0)
	s_waitcnt_vscnt null, 0x0
	s_barrier
	buffer_gl0_inv
	v_cmpx_gt_u32_e32 11, v0
	s_cbranch_execz .LBB21_255
; %bb.248:
	ds_read_b128 v[1:4], v50
	v_cmp_ne_u32_e32 vcc_lo, 1, v51
	s_cbranch_vccnz .LBB21_250
; %bb.249:
	s_clause 0x3
	buffer_load_dword v52, v49, s[0:3], 0 offen offset:8
	buffer_load_dword v53, v49, s[0:3], 0 offen offset:12
	buffer_load_dword v56, v49, s[0:3], 0 offen
	buffer_load_dword v57, v49, s[0:3], 0 offen offset:4
	s_waitcnt vmcnt(2) lgkmcnt(0)
	v_mul_f64 v[58:59], v[3:4], v[52:53]
	v_mul_f64 v[52:53], v[1:2], v[52:53]
	s_waitcnt vmcnt(0)
	v_fma_f64 v[1:2], v[1:2], v[56:57], -v[58:59]
	v_fma_f64 v[3:4], v[3:4], v[56:57], v[52:53]
.LBB21_250:
	s_mov_b32 s6, exec_lo
	v_cmpx_ne_u32_e32 10, v0
	s_cbranch_execz .LBB21_254
; %bb.251:
	v_add_nc_u32_e32 v52, 0x170, v55
	v_add3_u32 v53, 0, v55, 16
	v_mov_b32_e32 v54, v0
	s_mov_b32 s8, 0
	.p2align	6
.LBB21_252:                             ; =>This Inner Loop Header: Depth=1
	s_clause 0x3
	buffer_load_dword v60, v53, s[0:3], 0 offen offset:8
	buffer_load_dword v61, v53, s[0:3], 0 offen offset:12
	buffer_load_dword v62, v53, s[0:3], 0 offen
	buffer_load_dword v63, v53, s[0:3], 0 offen offset:4
	ds_read_b128 v[56:59], v52
	v_add_nc_u32_e32 v54, 1, v54
	v_add_nc_u32_e32 v52, 16, v52
	;; [unrolled: 1-line block ×3, first 2 shown]
	v_cmp_lt_u32_e32 vcc_lo, 9, v54
	s_or_b32 s8, vcc_lo, s8
	s_waitcnt vmcnt(2) lgkmcnt(0)
	v_mul_f64 v[64:65], v[58:59], v[60:61]
	v_mul_f64 v[60:61], v[56:57], v[60:61]
	s_waitcnt vmcnt(0)
	v_fma_f64 v[56:57], v[56:57], v[62:63], -v[64:65]
	v_fma_f64 v[58:59], v[58:59], v[62:63], v[60:61]
	v_add_f64 v[1:2], v[1:2], v[56:57]
	v_add_f64 v[3:4], v[3:4], v[58:59]
	s_andn2_b32 exec_lo, exec_lo, s8
	s_cbranch_execnz .LBB21_252
; %bb.253:
	s_or_b32 exec_lo, exec_lo, s8
.LBB21_254:
	s_or_b32 exec_lo, exec_lo, s6
	v_mov_b32_e32 v52, 0
	ds_read_b128 v[56:59], v52 offset:176
	s_waitcnt lgkmcnt(0)
	v_mul_f64 v[52:53], v[3:4], v[58:59]
	v_mul_f64 v[58:59], v[1:2], v[58:59]
	v_fma_f64 v[1:2], v[1:2], v[56:57], -v[52:53]
	v_fma_f64 v[3:4], v[3:4], v[56:57], v[58:59]
	buffer_store_dword v2, off, s[0:3], 0 offset:180
	buffer_store_dword v1, off, s[0:3], 0 offset:176
	;; [unrolled: 1-line block ×4, first 2 shown]
.LBB21_255:
	s_or_b32 exec_lo, exec_lo, s4
	v_mov_b32_e32 v4, s17
	s_mov_b32 s4, exec_lo
	s_clause 0x3
	buffer_load_dword v1, v4, s[0:3], 0 offen
	buffer_load_dword v2, v4, s[0:3], 0 offen offset:4
	buffer_load_dword v3, v4, s[0:3], 0 offen offset:8
	;; [unrolled: 1-line block ×3, first 2 shown]
	s_waitcnt vmcnt(0)
	ds_write_b128 v50, v[1:4]
	s_waitcnt lgkmcnt(0)
	s_waitcnt_vscnt null, 0x0
	s_barrier
	buffer_gl0_inv
	v_cmpx_gt_u32_e32 12, v0
	s_cbranch_execz .LBB21_263
; %bb.256:
	ds_read_b128 v[1:4], v50
	v_cmp_ne_u32_e32 vcc_lo, 1, v51
	s_cbranch_vccnz .LBB21_258
; %bb.257:
	s_clause 0x3
	buffer_load_dword v52, v49, s[0:3], 0 offen offset:8
	buffer_load_dword v53, v49, s[0:3], 0 offen offset:12
	buffer_load_dword v56, v49, s[0:3], 0 offen
	buffer_load_dword v57, v49, s[0:3], 0 offen offset:4
	s_waitcnt vmcnt(2) lgkmcnt(0)
	v_mul_f64 v[58:59], v[3:4], v[52:53]
	v_mul_f64 v[52:53], v[1:2], v[52:53]
	s_waitcnt vmcnt(0)
	v_fma_f64 v[1:2], v[1:2], v[56:57], -v[58:59]
	v_fma_f64 v[3:4], v[3:4], v[56:57], v[52:53]
.LBB21_258:
	s_mov_b32 s6, exec_lo
	v_cmpx_ne_u32_e32 11, v0
	s_cbranch_execz .LBB21_262
; %bb.259:
	v_add_nc_u32_e32 v52, 0x170, v55
	v_add3_u32 v53, 0, v55, 16
	v_mov_b32_e32 v54, v0
	s_mov_b32 s8, 0
	.p2align	6
.LBB21_260:                             ; =>This Inner Loop Header: Depth=1
	s_clause 0x3
	buffer_load_dword v60, v53, s[0:3], 0 offen offset:8
	buffer_load_dword v61, v53, s[0:3], 0 offen offset:12
	buffer_load_dword v62, v53, s[0:3], 0 offen
	buffer_load_dword v63, v53, s[0:3], 0 offen offset:4
	ds_read_b128 v[56:59], v52
	v_add_nc_u32_e32 v54, 1, v54
	v_add_nc_u32_e32 v52, 16, v52
	;; [unrolled: 1-line block ×3, first 2 shown]
	v_cmp_lt_u32_e32 vcc_lo, 10, v54
	s_or_b32 s8, vcc_lo, s8
	s_waitcnt vmcnt(2) lgkmcnt(0)
	v_mul_f64 v[64:65], v[58:59], v[60:61]
	v_mul_f64 v[60:61], v[56:57], v[60:61]
	s_waitcnt vmcnt(0)
	v_fma_f64 v[56:57], v[56:57], v[62:63], -v[64:65]
	v_fma_f64 v[58:59], v[58:59], v[62:63], v[60:61]
	v_add_f64 v[1:2], v[1:2], v[56:57]
	v_add_f64 v[3:4], v[3:4], v[58:59]
	s_andn2_b32 exec_lo, exec_lo, s8
	s_cbranch_execnz .LBB21_260
; %bb.261:
	s_or_b32 exec_lo, exec_lo, s8
.LBB21_262:
	s_or_b32 exec_lo, exec_lo, s6
	v_mov_b32_e32 v52, 0
	ds_read_b128 v[56:59], v52 offset:192
	s_waitcnt lgkmcnt(0)
	v_mul_f64 v[52:53], v[3:4], v[58:59]
	v_mul_f64 v[58:59], v[1:2], v[58:59]
	v_fma_f64 v[1:2], v[1:2], v[56:57], -v[52:53]
	v_fma_f64 v[3:4], v[3:4], v[56:57], v[58:59]
	buffer_store_dword v2, off, s[0:3], 0 offset:196
	buffer_store_dword v1, off, s[0:3], 0 offset:192
	;; [unrolled: 1-line block ×4, first 2 shown]
.LBB21_263:
	s_or_b32 exec_lo, exec_lo, s4
	v_mov_b32_e32 v4, s16
	s_mov_b32 s4, exec_lo
	s_clause 0x3
	buffer_load_dword v1, v4, s[0:3], 0 offen
	buffer_load_dword v2, v4, s[0:3], 0 offen offset:4
	buffer_load_dword v3, v4, s[0:3], 0 offen offset:8
	;; [unrolled: 1-line block ×3, first 2 shown]
	s_waitcnt vmcnt(0)
	ds_write_b128 v50, v[1:4]
	s_waitcnt lgkmcnt(0)
	s_waitcnt_vscnt null, 0x0
	s_barrier
	buffer_gl0_inv
	v_cmpx_gt_u32_e32 13, v0
	s_cbranch_execz .LBB21_271
; %bb.264:
	ds_read_b128 v[1:4], v50
	v_cmp_ne_u32_e32 vcc_lo, 1, v51
	s_cbranch_vccnz .LBB21_266
; %bb.265:
	s_clause 0x3
	buffer_load_dword v52, v49, s[0:3], 0 offen offset:8
	buffer_load_dword v53, v49, s[0:3], 0 offen offset:12
	buffer_load_dword v56, v49, s[0:3], 0 offen
	buffer_load_dword v57, v49, s[0:3], 0 offen offset:4
	s_waitcnt vmcnt(2) lgkmcnt(0)
	v_mul_f64 v[58:59], v[3:4], v[52:53]
	v_mul_f64 v[52:53], v[1:2], v[52:53]
	s_waitcnt vmcnt(0)
	v_fma_f64 v[1:2], v[1:2], v[56:57], -v[58:59]
	v_fma_f64 v[3:4], v[3:4], v[56:57], v[52:53]
.LBB21_266:
	s_mov_b32 s6, exec_lo
	v_cmpx_ne_u32_e32 12, v0
	s_cbranch_execz .LBB21_270
; %bb.267:
	v_add_nc_u32_e32 v52, 0x170, v55
	v_add3_u32 v53, 0, v55, 16
	v_mov_b32_e32 v54, v0
	s_mov_b32 s8, 0
	.p2align	6
.LBB21_268:                             ; =>This Inner Loop Header: Depth=1
	s_clause 0x3
	buffer_load_dword v60, v53, s[0:3], 0 offen offset:8
	buffer_load_dword v61, v53, s[0:3], 0 offen offset:12
	buffer_load_dword v62, v53, s[0:3], 0 offen
	buffer_load_dword v63, v53, s[0:3], 0 offen offset:4
	ds_read_b128 v[56:59], v52
	v_add_nc_u32_e32 v54, 1, v54
	v_add_nc_u32_e32 v52, 16, v52
	;; [unrolled: 1-line block ×3, first 2 shown]
	v_cmp_lt_u32_e32 vcc_lo, 11, v54
	s_or_b32 s8, vcc_lo, s8
	s_waitcnt vmcnt(2) lgkmcnt(0)
	v_mul_f64 v[64:65], v[58:59], v[60:61]
	v_mul_f64 v[60:61], v[56:57], v[60:61]
	s_waitcnt vmcnt(0)
	v_fma_f64 v[56:57], v[56:57], v[62:63], -v[64:65]
	v_fma_f64 v[58:59], v[58:59], v[62:63], v[60:61]
	v_add_f64 v[1:2], v[1:2], v[56:57]
	v_add_f64 v[3:4], v[3:4], v[58:59]
	s_andn2_b32 exec_lo, exec_lo, s8
	s_cbranch_execnz .LBB21_268
; %bb.269:
	s_or_b32 exec_lo, exec_lo, s8
.LBB21_270:
	s_or_b32 exec_lo, exec_lo, s6
	v_mov_b32_e32 v52, 0
	ds_read_b128 v[56:59], v52 offset:208
	s_waitcnt lgkmcnt(0)
	v_mul_f64 v[52:53], v[3:4], v[58:59]
	v_mul_f64 v[58:59], v[1:2], v[58:59]
	v_fma_f64 v[1:2], v[1:2], v[56:57], -v[52:53]
	v_fma_f64 v[3:4], v[3:4], v[56:57], v[58:59]
	buffer_store_dword v2, off, s[0:3], 0 offset:212
	buffer_store_dword v1, off, s[0:3], 0 offset:208
	;; [unrolled: 1-line block ×4, first 2 shown]
.LBB21_271:
	s_or_b32 exec_lo, exec_lo, s4
	v_mov_b32_e32 v4, s15
	s_mov_b32 s4, exec_lo
	s_clause 0x3
	buffer_load_dword v1, v4, s[0:3], 0 offen
	buffer_load_dword v2, v4, s[0:3], 0 offen offset:4
	buffer_load_dword v3, v4, s[0:3], 0 offen offset:8
	;; [unrolled: 1-line block ×3, first 2 shown]
	s_waitcnt vmcnt(0)
	ds_write_b128 v50, v[1:4]
	s_waitcnt lgkmcnt(0)
	s_waitcnt_vscnt null, 0x0
	s_barrier
	buffer_gl0_inv
	v_cmpx_gt_u32_e32 14, v0
	s_cbranch_execz .LBB21_279
; %bb.272:
	ds_read_b128 v[1:4], v50
	v_cmp_ne_u32_e32 vcc_lo, 1, v51
	s_cbranch_vccnz .LBB21_274
; %bb.273:
	s_clause 0x3
	buffer_load_dword v52, v49, s[0:3], 0 offen offset:8
	buffer_load_dword v53, v49, s[0:3], 0 offen offset:12
	buffer_load_dword v56, v49, s[0:3], 0 offen
	buffer_load_dword v57, v49, s[0:3], 0 offen offset:4
	s_waitcnt vmcnt(2) lgkmcnt(0)
	v_mul_f64 v[58:59], v[3:4], v[52:53]
	v_mul_f64 v[52:53], v[1:2], v[52:53]
	s_waitcnt vmcnt(0)
	v_fma_f64 v[1:2], v[1:2], v[56:57], -v[58:59]
	v_fma_f64 v[3:4], v[3:4], v[56:57], v[52:53]
.LBB21_274:
	s_mov_b32 s6, exec_lo
	v_cmpx_ne_u32_e32 13, v0
	s_cbranch_execz .LBB21_278
; %bb.275:
	v_add_nc_u32_e32 v52, 0x170, v55
	v_add3_u32 v53, 0, v55, 16
	v_mov_b32_e32 v54, v0
	s_mov_b32 s8, 0
	.p2align	6
.LBB21_276:                             ; =>This Inner Loop Header: Depth=1
	s_clause 0x3
	buffer_load_dword v60, v53, s[0:3], 0 offen offset:8
	buffer_load_dword v61, v53, s[0:3], 0 offen offset:12
	buffer_load_dword v62, v53, s[0:3], 0 offen
	buffer_load_dword v63, v53, s[0:3], 0 offen offset:4
	ds_read_b128 v[56:59], v52
	v_add_nc_u32_e32 v54, 1, v54
	v_add_nc_u32_e32 v52, 16, v52
	;; [unrolled: 1-line block ×3, first 2 shown]
	v_cmp_lt_u32_e32 vcc_lo, 12, v54
	s_or_b32 s8, vcc_lo, s8
	s_waitcnt vmcnt(2) lgkmcnt(0)
	v_mul_f64 v[64:65], v[58:59], v[60:61]
	v_mul_f64 v[60:61], v[56:57], v[60:61]
	s_waitcnt vmcnt(0)
	v_fma_f64 v[56:57], v[56:57], v[62:63], -v[64:65]
	v_fma_f64 v[58:59], v[58:59], v[62:63], v[60:61]
	v_add_f64 v[1:2], v[1:2], v[56:57]
	v_add_f64 v[3:4], v[3:4], v[58:59]
	s_andn2_b32 exec_lo, exec_lo, s8
	s_cbranch_execnz .LBB21_276
; %bb.277:
	s_or_b32 exec_lo, exec_lo, s8
.LBB21_278:
	s_or_b32 exec_lo, exec_lo, s6
	v_mov_b32_e32 v52, 0
	ds_read_b128 v[56:59], v52 offset:224
	s_waitcnt lgkmcnt(0)
	v_mul_f64 v[52:53], v[3:4], v[58:59]
	v_mul_f64 v[58:59], v[1:2], v[58:59]
	v_fma_f64 v[1:2], v[1:2], v[56:57], -v[52:53]
	v_fma_f64 v[3:4], v[3:4], v[56:57], v[58:59]
	buffer_store_dword v2, off, s[0:3], 0 offset:228
	buffer_store_dword v1, off, s[0:3], 0 offset:224
	;; [unrolled: 1-line block ×4, first 2 shown]
.LBB21_279:
	s_or_b32 exec_lo, exec_lo, s4
	v_mov_b32_e32 v4, s14
	s_mov_b32 s4, exec_lo
	s_clause 0x3
	buffer_load_dword v1, v4, s[0:3], 0 offen
	buffer_load_dword v2, v4, s[0:3], 0 offen offset:4
	buffer_load_dword v3, v4, s[0:3], 0 offen offset:8
	;; [unrolled: 1-line block ×3, first 2 shown]
	s_waitcnt vmcnt(0)
	ds_write_b128 v50, v[1:4]
	s_waitcnt lgkmcnt(0)
	s_waitcnt_vscnt null, 0x0
	s_barrier
	buffer_gl0_inv
	v_cmpx_gt_u32_e32 15, v0
	s_cbranch_execz .LBB21_287
; %bb.280:
	ds_read_b128 v[1:4], v50
	v_cmp_ne_u32_e32 vcc_lo, 1, v51
	s_cbranch_vccnz .LBB21_282
; %bb.281:
	s_clause 0x3
	buffer_load_dword v52, v49, s[0:3], 0 offen offset:8
	buffer_load_dword v53, v49, s[0:3], 0 offen offset:12
	buffer_load_dword v56, v49, s[0:3], 0 offen
	buffer_load_dword v57, v49, s[0:3], 0 offen offset:4
	s_waitcnt vmcnt(2) lgkmcnt(0)
	v_mul_f64 v[58:59], v[3:4], v[52:53]
	v_mul_f64 v[52:53], v[1:2], v[52:53]
	s_waitcnt vmcnt(0)
	v_fma_f64 v[1:2], v[1:2], v[56:57], -v[58:59]
	v_fma_f64 v[3:4], v[3:4], v[56:57], v[52:53]
.LBB21_282:
	s_mov_b32 s6, exec_lo
	v_cmpx_ne_u32_e32 14, v0
	s_cbranch_execz .LBB21_286
; %bb.283:
	v_add_nc_u32_e32 v52, 0x170, v55
	v_add3_u32 v53, 0, v55, 16
	v_mov_b32_e32 v54, v0
	s_mov_b32 s8, 0
	.p2align	6
.LBB21_284:                             ; =>This Inner Loop Header: Depth=1
	s_clause 0x3
	buffer_load_dword v60, v53, s[0:3], 0 offen offset:8
	buffer_load_dword v61, v53, s[0:3], 0 offen offset:12
	buffer_load_dword v62, v53, s[0:3], 0 offen
	buffer_load_dword v63, v53, s[0:3], 0 offen offset:4
	ds_read_b128 v[56:59], v52
	v_add_nc_u32_e32 v54, 1, v54
	v_add_nc_u32_e32 v52, 16, v52
	v_add_nc_u32_e32 v53, 16, v53
	v_cmp_lt_u32_e32 vcc_lo, 13, v54
	s_or_b32 s8, vcc_lo, s8
	s_waitcnt vmcnt(2) lgkmcnt(0)
	v_mul_f64 v[64:65], v[58:59], v[60:61]
	v_mul_f64 v[60:61], v[56:57], v[60:61]
	s_waitcnt vmcnt(0)
	v_fma_f64 v[56:57], v[56:57], v[62:63], -v[64:65]
	v_fma_f64 v[58:59], v[58:59], v[62:63], v[60:61]
	v_add_f64 v[1:2], v[1:2], v[56:57]
	v_add_f64 v[3:4], v[3:4], v[58:59]
	s_andn2_b32 exec_lo, exec_lo, s8
	s_cbranch_execnz .LBB21_284
; %bb.285:
	s_or_b32 exec_lo, exec_lo, s8
.LBB21_286:
	s_or_b32 exec_lo, exec_lo, s6
	v_mov_b32_e32 v52, 0
	ds_read_b128 v[56:59], v52 offset:240
	s_waitcnt lgkmcnt(0)
	v_mul_f64 v[52:53], v[3:4], v[58:59]
	v_mul_f64 v[58:59], v[1:2], v[58:59]
	v_fma_f64 v[1:2], v[1:2], v[56:57], -v[52:53]
	v_fma_f64 v[3:4], v[3:4], v[56:57], v[58:59]
	buffer_store_dword v2, off, s[0:3], 0 offset:244
	buffer_store_dword v1, off, s[0:3], 0 offset:240
	;; [unrolled: 1-line block ×4, first 2 shown]
.LBB21_287:
	s_or_b32 exec_lo, exec_lo, s4
	v_mov_b32_e32 v4, s13
	s_mov_b32 s4, exec_lo
	s_clause 0x3
	buffer_load_dword v1, v4, s[0:3], 0 offen
	buffer_load_dword v2, v4, s[0:3], 0 offen offset:4
	buffer_load_dword v3, v4, s[0:3], 0 offen offset:8
	;; [unrolled: 1-line block ×3, first 2 shown]
	s_waitcnt vmcnt(0)
	ds_write_b128 v50, v[1:4]
	s_waitcnt lgkmcnt(0)
	s_waitcnt_vscnt null, 0x0
	s_barrier
	buffer_gl0_inv
	v_cmpx_gt_u32_e32 16, v0
	s_cbranch_execz .LBB21_295
; %bb.288:
	ds_read_b128 v[1:4], v50
	v_cmp_ne_u32_e32 vcc_lo, 1, v51
	s_cbranch_vccnz .LBB21_290
; %bb.289:
	s_clause 0x3
	buffer_load_dword v52, v49, s[0:3], 0 offen offset:8
	buffer_load_dword v53, v49, s[0:3], 0 offen offset:12
	buffer_load_dword v56, v49, s[0:3], 0 offen
	buffer_load_dword v57, v49, s[0:3], 0 offen offset:4
	s_waitcnt vmcnt(2) lgkmcnt(0)
	v_mul_f64 v[58:59], v[3:4], v[52:53]
	v_mul_f64 v[52:53], v[1:2], v[52:53]
	s_waitcnt vmcnt(0)
	v_fma_f64 v[1:2], v[1:2], v[56:57], -v[58:59]
	v_fma_f64 v[3:4], v[3:4], v[56:57], v[52:53]
.LBB21_290:
	s_mov_b32 s6, exec_lo
	v_cmpx_ne_u32_e32 15, v0
	s_cbranch_execz .LBB21_294
; %bb.291:
	v_add_nc_u32_e32 v52, 0x170, v55
	v_add3_u32 v53, 0, v55, 16
	v_mov_b32_e32 v54, v0
	s_mov_b32 s8, 0
	.p2align	6
.LBB21_292:                             ; =>This Inner Loop Header: Depth=1
	s_clause 0x3
	buffer_load_dword v60, v53, s[0:3], 0 offen offset:8
	buffer_load_dword v61, v53, s[0:3], 0 offen offset:12
	buffer_load_dword v62, v53, s[0:3], 0 offen
	buffer_load_dword v63, v53, s[0:3], 0 offen offset:4
	ds_read_b128 v[56:59], v52
	v_add_nc_u32_e32 v54, 1, v54
	v_add_nc_u32_e32 v52, 16, v52
	;; [unrolled: 1-line block ×3, first 2 shown]
	v_cmp_lt_u32_e32 vcc_lo, 14, v54
	s_or_b32 s8, vcc_lo, s8
	s_waitcnt vmcnt(2) lgkmcnt(0)
	v_mul_f64 v[64:65], v[58:59], v[60:61]
	v_mul_f64 v[60:61], v[56:57], v[60:61]
	s_waitcnt vmcnt(0)
	v_fma_f64 v[56:57], v[56:57], v[62:63], -v[64:65]
	v_fma_f64 v[58:59], v[58:59], v[62:63], v[60:61]
	v_add_f64 v[1:2], v[1:2], v[56:57]
	v_add_f64 v[3:4], v[3:4], v[58:59]
	s_andn2_b32 exec_lo, exec_lo, s8
	s_cbranch_execnz .LBB21_292
; %bb.293:
	s_or_b32 exec_lo, exec_lo, s8
.LBB21_294:
	s_or_b32 exec_lo, exec_lo, s6
	v_mov_b32_e32 v52, 0
	ds_read_b128 v[56:59], v52 offset:256
	s_waitcnt lgkmcnt(0)
	v_mul_f64 v[52:53], v[3:4], v[58:59]
	v_mul_f64 v[58:59], v[1:2], v[58:59]
	v_fma_f64 v[1:2], v[1:2], v[56:57], -v[52:53]
	v_fma_f64 v[3:4], v[3:4], v[56:57], v[58:59]
	buffer_store_dword v2, off, s[0:3], 0 offset:260
	buffer_store_dword v1, off, s[0:3], 0 offset:256
	buffer_store_dword v4, off, s[0:3], 0 offset:268
	buffer_store_dword v3, off, s[0:3], 0 offset:264
.LBB21_295:
	s_or_b32 exec_lo, exec_lo, s4
	v_mov_b32_e32 v4, s12
	s_mov_b32 s4, exec_lo
	s_clause 0x3
	buffer_load_dword v1, v4, s[0:3], 0 offen
	buffer_load_dword v2, v4, s[0:3], 0 offen offset:4
	buffer_load_dword v3, v4, s[0:3], 0 offen offset:8
	;; [unrolled: 1-line block ×3, first 2 shown]
	s_waitcnt vmcnt(0)
	ds_write_b128 v50, v[1:4]
	s_waitcnt lgkmcnt(0)
	s_waitcnt_vscnt null, 0x0
	s_barrier
	buffer_gl0_inv
	v_cmpx_gt_u32_e32 17, v0
	s_cbranch_execz .LBB21_303
; %bb.296:
	ds_read_b128 v[1:4], v50
	v_cmp_ne_u32_e32 vcc_lo, 1, v51
	s_cbranch_vccnz .LBB21_298
; %bb.297:
	s_clause 0x3
	buffer_load_dword v52, v49, s[0:3], 0 offen offset:8
	buffer_load_dword v53, v49, s[0:3], 0 offen offset:12
	buffer_load_dword v56, v49, s[0:3], 0 offen
	buffer_load_dword v57, v49, s[0:3], 0 offen offset:4
	s_waitcnt vmcnt(2) lgkmcnt(0)
	v_mul_f64 v[58:59], v[3:4], v[52:53]
	v_mul_f64 v[52:53], v[1:2], v[52:53]
	s_waitcnt vmcnt(0)
	v_fma_f64 v[1:2], v[1:2], v[56:57], -v[58:59]
	v_fma_f64 v[3:4], v[3:4], v[56:57], v[52:53]
.LBB21_298:
	s_mov_b32 s6, exec_lo
	v_cmpx_ne_u32_e32 16, v0
	s_cbranch_execz .LBB21_302
; %bb.299:
	v_add_nc_u32_e32 v52, 0x170, v55
	v_add3_u32 v53, 0, v55, 16
	v_mov_b32_e32 v54, v0
	s_mov_b32 s8, 0
	.p2align	6
.LBB21_300:                             ; =>This Inner Loop Header: Depth=1
	s_clause 0x3
	buffer_load_dword v60, v53, s[0:3], 0 offen offset:8
	buffer_load_dword v61, v53, s[0:3], 0 offen offset:12
	buffer_load_dword v62, v53, s[0:3], 0 offen
	buffer_load_dword v63, v53, s[0:3], 0 offen offset:4
	ds_read_b128 v[56:59], v52
	v_add_nc_u32_e32 v54, 1, v54
	v_add_nc_u32_e32 v52, 16, v52
	;; [unrolled: 1-line block ×3, first 2 shown]
	v_cmp_lt_u32_e32 vcc_lo, 15, v54
	s_or_b32 s8, vcc_lo, s8
	s_waitcnt vmcnt(2) lgkmcnt(0)
	v_mul_f64 v[64:65], v[58:59], v[60:61]
	v_mul_f64 v[60:61], v[56:57], v[60:61]
	s_waitcnt vmcnt(0)
	v_fma_f64 v[56:57], v[56:57], v[62:63], -v[64:65]
	v_fma_f64 v[58:59], v[58:59], v[62:63], v[60:61]
	v_add_f64 v[1:2], v[1:2], v[56:57]
	v_add_f64 v[3:4], v[3:4], v[58:59]
	s_andn2_b32 exec_lo, exec_lo, s8
	s_cbranch_execnz .LBB21_300
; %bb.301:
	s_or_b32 exec_lo, exec_lo, s8
.LBB21_302:
	s_or_b32 exec_lo, exec_lo, s6
	v_mov_b32_e32 v52, 0
	ds_read_b128 v[56:59], v52 offset:272
	s_waitcnt lgkmcnt(0)
	v_mul_f64 v[52:53], v[3:4], v[58:59]
	v_mul_f64 v[58:59], v[1:2], v[58:59]
	v_fma_f64 v[1:2], v[1:2], v[56:57], -v[52:53]
	v_fma_f64 v[3:4], v[3:4], v[56:57], v[58:59]
	buffer_store_dword v2, off, s[0:3], 0 offset:276
	buffer_store_dword v1, off, s[0:3], 0 offset:272
	;; [unrolled: 1-line block ×4, first 2 shown]
.LBB21_303:
	s_or_b32 exec_lo, exec_lo, s4
	v_mov_b32_e32 v4, s11
	s_mov_b32 s4, exec_lo
	s_clause 0x3
	buffer_load_dword v1, v4, s[0:3], 0 offen
	buffer_load_dword v2, v4, s[0:3], 0 offen offset:4
	buffer_load_dword v3, v4, s[0:3], 0 offen offset:8
	;; [unrolled: 1-line block ×3, first 2 shown]
	s_waitcnt vmcnt(0)
	ds_write_b128 v50, v[1:4]
	s_waitcnt lgkmcnt(0)
	s_waitcnt_vscnt null, 0x0
	s_barrier
	buffer_gl0_inv
	v_cmpx_gt_u32_e32 18, v0
	s_cbranch_execz .LBB21_311
; %bb.304:
	ds_read_b128 v[1:4], v50
	v_cmp_ne_u32_e32 vcc_lo, 1, v51
	s_cbranch_vccnz .LBB21_306
; %bb.305:
	s_clause 0x3
	buffer_load_dword v52, v49, s[0:3], 0 offen offset:8
	buffer_load_dword v53, v49, s[0:3], 0 offen offset:12
	buffer_load_dword v56, v49, s[0:3], 0 offen
	buffer_load_dword v57, v49, s[0:3], 0 offen offset:4
	s_waitcnt vmcnt(2) lgkmcnt(0)
	v_mul_f64 v[58:59], v[3:4], v[52:53]
	v_mul_f64 v[52:53], v[1:2], v[52:53]
	s_waitcnt vmcnt(0)
	v_fma_f64 v[1:2], v[1:2], v[56:57], -v[58:59]
	v_fma_f64 v[3:4], v[3:4], v[56:57], v[52:53]
.LBB21_306:
	s_mov_b32 s6, exec_lo
	v_cmpx_ne_u32_e32 17, v0
	s_cbranch_execz .LBB21_310
; %bb.307:
	v_add_nc_u32_e32 v52, 0x170, v55
	v_add3_u32 v53, 0, v55, 16
	v_mov_b32_e32 v54, v0
	s_mov_b32 s8, 0
	.p2align	6
.LBB21_308:                             ; =>This Inner Loop Header: Depth=1
	s_clause 0x3
	buffer_load_dword v60, v53, s[0:3], 0 offen offset:8
	buffer_load_dword v61, v53, s[0:3], 0 offen offset:12
	buffer_load_dword v62, v53, s[0:3], 0 offen
	buffer_load_dword v63, v53, s[0:3], 0 offen offset:4
	ds_read_b128 v[56:59], v52
	v_add_nc_u32_e32 v54, 1, v54
	v_add_nc_u32_e32 v52, 16, v52
	;; [unrolled: 1-line block ×3, first 2 shown]
	v_cmp_lt_u32_e32 vcc_lo, 16, v54
	s_or_b32 s8, vcc_lo, s8
	s_waitcnt vmcnt(2) lgkmcnt(0)
	v_mul_f64 v[64:65], v[58:59], v[60:61]
	v_mul_f64 v[60:61], v[56:57], v[60:61]
	s_waitcnt vmcnt(0)
	v_fma_f64 v[56:57], v[56:57], v[62:63], -v[64:65]
	v_fma_f64 v[58:59], v[58:59], v[62:63], v[60:61]
	v_add_f64 v[1:2], v[1:2], v[56:57]
	v_add_f64 v[3:4], v[3:4], v[58:59]
	s_andn2_b32 exec_lo, exec_lo, s8
	s_cbranch_execnz .LBB21_308
; %bb.309:
	s_or_b32 exec_lo, exec_lo, s8
.LBB21_310:
	s_or_b32 exec_lo, exec_lo, s6
	v_mov_b32_e32 v52, 0
	ds_read_b128 v[56:59], v52 offset:288
	s_waitcnt lgkmcnt(0)
	v_mul_f64 v[52:53], v[3:4], v[58:59]
	v_mul_f64 v[58:59], v[1:2], v[58:59]
	v_fma_f64 v[1:2], v[1:2], v[56:57], -v[52:53]
	v_fma_f64 v[3:4], v[3:4], v[56:57], v[58:59]
	buffer_store_dword v2, off, s[0:3], 0 offset:292
	buffer_store_dword v1, off, s[0:3], 0 offset:288
	;; [unrolled: 1-line block ×4, first 2 shown]
.LBB21_311:
	s_or_b32 exec_lo, exec_lo, s4
	v_mov_b32_e32 v4, s10
	s_mov_b32 s4, exec_lo
	s_clause 0x3
	buffer_load_dword v1, v4, s[0:3], 0 offen
	buffer_load_dword v2, v4, s[0:3], 0 offen offset:4
	buffer_load_dword v3, v4, s[0:3], 0 offen offset:8
	buffer_load_dword v4, v4, s[0:3], 0 offen offset:12
	s_waitcnt vmcnt(0)
	ds_write_b128 v50, v[1:4]
	s_waitcnt lgkmcnt(0)
	s_waitcnt_vscnt null, 0x0
	s_barrier
	buffer_gl0_inv
	v_cmpx_gt_u32_e32 19, v0
	s_cbranch_execz .LBB21_319
; %bb.312:
	ds_read_b128 v[1:4], v50
	v_cmp_ne_u32_e32 vcc_lo, 1, v51
	s_cbranch_vccnz .LBB21_314
; %bb.313:
	s_clause 0x3
	buffer_load_dword v52, v49, s[0:3], 0 offen offset:8
	buffer_load_dword v53, v49, s[0:3], 0 offen offset:12
	buffer_load_dword v56, v49, s[0:3], 0 offen
	buffer_load_dword v57, v49, s[0:3], 0 offen offset:4
	s_waitcnt vmcnt(2) lgkmcnt(0)
	v_mul_f64 v[58:59], v[3:4], v[52:53]
	v_mul_f64 v[52:53], v[1:2], v[52:53]
	s_waitcnt vmcnt(0)
	v_fma_f64 v[1:2], v[1:2], v[56:57], -v[58:59]
	v_fma_f64 v[3:4], v[3:4], v[56:57], v[52:53]
.LBB21_314:
	s_mov_b32 s6, exec_lo
	v_cmpx_ne_u32_e32 18, v0
	s_cbranch_execz .LBB21_318
; %bb.315:
	v_add_nc_u32_e32 v52, 0x170, v55
	v_add3_u32 v53, 0, v55, 16
	v_mov_b32_e32 v54, v0
	s_mov_b32 s8, 0
	.p2align	6
.LBB21_316:                             ; =>This Inner Loop Header: Depth=1
	s_clause 0x3
	buffer_load_dword v60, v53, s[0:3], 0 offen offset:8
	buffer_load_dword v61, v53, s[0:3], 0 offen offset:12
	buffer_load_dword v62, v53, s[0:3], 0 offen
	buffer_load_dword v63, v53, s[0:3], 0 offen offset:4
	ds_read_b128 v[56:59], v52
	v_add_nc_u32_e32 v54, 1, v54
	v_add_nc_u32_e32 v52, 16, v52
	;; [unrolled: 1-line block ×3, first 2 shown]
	v_cmp_lt_u32_e32 vcc_lo, 17, v54
	s_or_b32 s8, vcc_lo, s8
	s_waitcnt vmcnt(2) lgkmcnt(0)
	v_mul_f64 v[64:65], v[58:59], v[60:61]
	v_mul_f64 v[60:61], v[56:57], v[60:61]
	s_waitcnt vmcnt(0)
	v_fma_f64 v[56:57], v[56:57], v[62:63], -v[64:65]
	v_fma_f64 v[58:59], v[58:59], v[62:63], v[60:61]
	v_add_f64 v[1:2], v[1:2], v[56:57]
	v_add_f64 v[3:4], v[3:4], v[58:59]
	s_andn2_b32 exec_lo, exec_lo, s8
	s_cbranch_execnz .LBB21_316
; %bb.317:
	s_or_b32 exec_lo, exec_lo, s8
.LBB21_318:
	s_or_b32 exec_lo, exec_lo, s6
	v_mov_b32_e32 v52, 0
	ds_read_b128 v[56:59], v52 offset:304
	s_waitcnt lgkmcnt(0)
	v_mul_f64 v[52:53], v[3:4], v[58:59]
	v_mul_f64 v[58:59], v[1:2], v[58:59]
	v_fma_f64 v[1:2], v[1:2], v[56:57], -v[52:53]
	v_fma_f64 v[3:4], v[3:4], v[56:57], v[58:59]
	buffer_store_dword v2, off, s[0:3], 0 offset:308
	buffer_store_dword v1, off, s[0:3], 0 offset:304
	;; [unrolled: 1-line block ×4, first 2 shown]
.LBB21_319:
	s_or_b32 exec_lo, exec_lo, s4
	v_mov_b32_e32 v4, s9
	v_cmp_gt_u32_e64 s4, 20, v0
	s_clause 0x3
	buffer_load_dword v1, v4, s[0:3], 0 offen
	buffer_load_dword v2, v4, s[0:3], 0 offen offset:4
	buffer_load_dword v3, v4, s[0:3], 0 offen offset:8
	;; [unrolled: 1-line block ×3, first 2 shown]
	s_waitcnt vmcnt(0)
	ds_write_b128 v50, v[1:4]
	s_waitcnt lgkmcnt(0)
	s_waitcnt_vscnt null, 0x0
	s_barrier
	buffer_gl0_inv
	s_and_saveexec_b32 s6, s4
	s_cbranch_execz .LBB21_327
; %bb.320:
	ds_read_b128 v[1:4], v50
	v_cmp_ne_u32_e32 vcc_lo, 1, v51
	s_cbranch_vccnz .LBB21_322
; %bb.321:
	s_clause 0x3
	buffer_load_dword v52, v49, s[0:3], 0 offen offset:8
	buffer_load_dword v53, v49, s[0:3], 0 offen offset:12
	buffer_load_dword v56, v49, s[0:3], 0 offen
	buffer_load_dword v57, v49, s[0:3], 0 offen offset:4
	s_waitcnt vmcnt(2) lgkmcnt(0)
	v_mul_f64 v[58:59], v[3:4], v[52:53]
	v_mul_f64 v[52:53], v[1:2], v[52:53]
	s_waitcnt vmcnt(0)
	v_fma_f64 v[1:2], v[1:2], v[56:57], -v[58:59]
	v_fma_f64 v[3:4], v[3:4], v[56:57], v[52:53]
.LBB21_322:
	s_mov_b32 s8, exec_lo
	v_cmpx_ne_u32_e32 19, v0
	s_cbranch_execz .LBB21_326
; %bb.323:
	v_add_nc_u32_e32 v52, 0x170, v55
	v_add3_u32 v53, 0, v55, 16
	v_mov_b32_e32 v54, v0
	s_mov_b32 s29, 0
	.p2align	6
.LBB21_324:                             ; =>This Inner Loop Header: Depth=1
	s_clause 0x3
	buffer_load_dword v60, v53, s[0:3], 0 offen offset:8
	buffer_load_dword v61, v53, s[0:3], 0 offen offset:12
	buffer_load_dword v62, v53, s[0:3], 0 offen
	buffer_load_dword v63, v53, s[0:3], 0 offen offset:4
	ds_read_b128 v[56:59], v52
	v_add_nc_u32_e32 v54, 1, v54
	v_add_nc_u32_e32 v52, 16, v52
	;; [unrolled: 1-line block ×3, first 2 shown]
	v_cmp_lt_u32_e32 vcc_lo, 18, v54
	s_or_b32 s29, vcc_lo, s29
	s_waitcnt vmcnt(2) lgkmcnt(0)
	v_mul_f64 v[64:65], v[58:59], v[60:61]
	v_mul_f64 v[60:61], v[56:57], v[60:61]
	s_waitcnt vmcnt(0)
	v_fma_f64 v[56:57], v[56:57], v[62:63], -v[64:65]
	v_fma_f64 v[58:59], v[58:59], v[62:63], v[60:61]
	v_add_f64 v[1:2], v[1:2], v[56:57]
	v_add_f64 v[3:4], v[3:4], v[58:59]
	s_andn2_b32 exec_lo, exec_lo, s29
	s_cbranch_execnz .LBB21_324
; %bb.325:
	s_or_b32 exec_lo, exec_lo, s29
.LBB21_326:
	s_or_b32 exec_lo, exec_lo, s8
	v_mov_b32_e32 v52, 0
	ds_read_b128 v[56:59], v52 offset:320
	s_waitcnt lgkmcnt(0)
	v_mul_f64 v[52:53], v[3:4], v[58:59]
	v_mul_f64 v[58:59], v[1:2], v[58:59]
	v_fma_f64 v[1:2], v[1:2], v[56:57], -v[52:53]
	v_fma_f64 v[3:4], v[3:4], v[56:57], v[58:59]
	buffer_store_dword v2, off, s[0:3], 0 offset:324
	buffer_store_dword v1, off, s[0:3], 0 offset:320
	;; [unrolled: 1-line block ×4, first 2 shown]
.LBB21_327:
	s_or_b32 exec_lo, exec_lo, s6
	v_mov_b32_e32 v4, s7
	s_mov_b32 s6, exec_lo
                                        ; implicit-def: $sgpr30
	s_clause 0x3
	buffer_load_dword v1, v4, s[0:3], 0 offen
	buffer_load_dword v2, v4, s[0:3], 0 offen offset:4
	buffer_load_dword v3, v4, s[0:3], 0 offen offset:8
	buffer_load_dword v4, v4, s[0:3], 0 offen offset:12
	s_waitcnt vmcnt(0)
	ds_write_b128 v50, v[1:4]
	s_waitcnt lgkmcnt(0)
	s_waitcnt_vscnt null, 0x0
	s_barrier
	buffer_gl0_inv
                                        ; implicit-def: $vgpr1_vgpr2
	v_cmpx_ne_u32_e32 21, v0
	s_cbranch_execz .LBB21_335
; %bb.328:
	ds_read_b128 v[1:4], v50
	v_cmp_ne_u32_e32 vcc_lo, 1, v51
	s_cbranch_vccnz .LBB21_330
; %bb.329:
	s_clause 0x3
	buffer_load_dword v50, v49, s[0:3], 0 offen offset:8
	buffer_load_dword v51, v49, s[0:3], 0 offen offset:12
	buffer_load_dword v52, v49, s[0:3], 0 offen
	buffer_load_dword v53, v49, s[0:3], 0 offen offset:4
	s_waitcnt vmcnt(2) lgkmcnt(0)
	v_mul_f64 v[56:57], v[3:4], v[50:51]
	v_mul_f64 v[49:50], v[1:2], v[50:51]
	s_waitcnt vmcnt(0)
	v_fma_f64 v[1:2], v[1:2], v[52:53], -v[56:57]
	v_fma_f64 v[3:4], v[3:4], v[52:53], v[49:50]
.LBB21_330:
	s_and_saveexec_b32 s8, s4
	s_cbranch_execz .LBB21_334
; %bb.331:
	v_add_nc_u32_e32 v49, 0x170, v55
	v_add3_u32 v50, 0, v55, 16
	s_mov_b32 s4, 0
	.p2align	6
.LBB21_332:                             ; =>This Inner Loop Header: Depth=1
	s_clause 0x3
	buffer_load_dword v55, v50, s[0:3], 0 offen offset:8
	buffer_load_dword v56, v50, s[0:3], 0 offen offset:12
	buffer_load_dword v57, v50, s[0:3], 0 offen
	buffer_load_dword v58, v50, s[0:3], 0 offen offset:4
	ds_read_b128 v[51:54], v49
	v_add_nc_u32_e32 v0, 1, v0
	v_add_nc_u32_e32 v49, 16, v49
	;; [unrolled: 1-line block ×3, first 2 shown]
	v_cmp_lt_u32_e32 vcc_lo, 19, v0
	s_or_b32 s4, vcc_lo, s4
	s_waitcnt vmcnt(2) lgkmcnt(0)
	v_mul_f64 v[59:60], v[53:54], v[55:56]
	v_mul_f64 v[55:56], v[51:52], v[55:56]
	s_waitcnt vmcnt(0)
	v_fma_f64 v[51:52], v[51:52], v[57:58], -v[59:60]
	v_fma_f64 v[53:54], v[53:54], v[57:58], v[55:56]
	v_add_f64 v[1:2], v[1:2], v[51:52]
	v_add_f64 v[3:4], v[3:4], v[53:54]
	s_andn2_b32 exec_lo, exec_lo, s4
	s_cbranch_execnz .LBB21_332
; %bb.333:
	s_or_b32 exec_lo, exec_lo, s4
.LBB21_334:
	s_or_b32 exec_lo, exec_lo, s8
	v_mov_b32_e32 v0, 0
	s_movk_i32 s30, 0x158
	s_or_b32 s5, s5, exec_lo
	ds_read_b128 v[49:52], v0 offset:336
	s_waitcnt lgkmcnt(0)
	v_mul_f64 v[53:54], v[3:4], v[51:52]
	v_mul_f64 v[51:52], v[1:2], v[51:52]
	v_fma_f64 v[53:54], v[1:2], v[49:50], -v[53:54]
	v_fma_f64 v[1:2], v[3:4], v[49:50], v[51:52]
	buffer_store_dword v54, off, s[0:3], 0 offset:340
	buffer_store_dword v53, off, s[0:3], 0 offset:336
.LBB21_335:
	s_or_b32 exec_lo, exec_lo, s6
.LBB21_336:
	s_and_saveexec_b32 s4, s5
	s_cbranch_execz .LBB21_338
; %bb.337:
	v_mov_b32_e32 v0, s30
	buffer_store_dword v2, v0, s[0:3], 0 offen offset:4
	buffer_store_dword v1, v0, s[0:3], 0 offen
.LBB21_338:
	s_or_b32 exec_lo, exec_lo, s4
	v_mov_b32_e32 v3, s28
	v_mov_b32_e32 v56, s25
	;; [unrolled: 1-line block ×7, first 2 shown]
	s_clause 0x1f
	buffer_load_dword v0, v3, s[0:3], 0 offen
	buffer_load_dword v1, v3, s[0:3], 0 offen offset:4
	buffer_load_dword v2, v3, s[0:3], 0 offen offset:8
	buffer_load_dword v3, v3, s[0:3], 0 offen offset:12
	buffer_load_dword v49, v52, s[0:3], 0 offen
	buffer_load_dword v50, v52, s[0:3], 0 offen offset:4
	buffer_load_dword v51, v52, s[0:3], 0 offen offset:8
	buffer_load_dword v52, v52, s[0:3], 0 offen offset:12
	;; [unrolled: 4-line block ×7, first 2 shown]
	buffer_load_dword v73, off, s[0:3], 0
	buffer_load_dword v74, off, s[0:3], 0 offset:4
	buffer_load_dword v75, off, s[0:3], 0 offset:8
	;; [unrolled: 1-line block ×3, first 2 shown]
	v_mov_b32_e32 v4, s21
	v_mov_b32_e32 v78, s11
	;; [unrolled: 1-line block ×6, first 2 shown]
	s_waitcnt vmcnt(0)
	global_store_dwordx4 v[33:34], v[73:76], off
	s_clause 0x3
	buffer_load_dword v73, v4, s[0:3], 0 offen
	buffer_load_dword v74, v4, s[0:3], 0 offen offset:4
	buffer_load_dword v75, v4, s[0:3], 0 offen offset:8
	;; [unrolled: 1-line block ×3, first 2 shown]
	v_mov_b32_e32 v4, s20
	global_store_dwordx4 v[27:28], v[69:72], off
	s_clause 0x3
	buffer_load_dword v69, v4, s[0:3], 0 offen
	buffer_load_dword v70, v4, s[0:3], 0 offen offset:4
	buffer_load_dword v71, v4, s[0:3], 0 offen offset:8
	;; [unrolled: 1-line block ×3, first 2 shown]
	v_mov_b32_e32 v4, s19
	v_mov_b32_e32 v28, s17
	global_store_dwordx4 v[19:20], v[0:3], off
	v_mov_b32_e32 v19, s15
	v_mov_b32_e32 v34, s13
	;; [unrolled: 1-line block ×3, first 2 shown]
	global_store_dwordx4 v[9:10], v[49:52], off
	global_store_dwordx4 v[7:8], v[53:56], off
	v_mov_b32_e32 v33, s16
	s_clause 0x7
	buffer_load_dword v0, v4, s[0:3], 0 offen
	buffer_load_dword v1, v4, s[0:3], 0 offen offset:4
	buffer_load_dword v2, v4, s[0:3], 0 offen offset:8
	;; [unrolled: 1-line block ×3, first 2 shown]
	buffer_load_dword v7, v27, s[0:3], 0 offen
	buffer_load_dword v8, v27, s[0:3], 0 offen offset:4
	buffer_load_dword v9, v27, s[0:3], 0 offen offset:8
	;; [unrolled: 1-line block ×3, first 2 shown]
	global_store_dwordx4 v[11:12], v[57:60], off
	v_mov_b32_e32 v20, s14
	s_clause 0x7
	buffer_load_dword v49, v28, s[0:3], 0 offen
	buffer_load_dword v50, v28, s[0:3], 0 offen offset:4
	buffer_load_dword v51, v28, s[0:3], 0 offen offset:8
	;; [unrolled: 1-line block ×3, first 2 shown]
	buffer_load_dword v53, v33, s[0:3], 0 offen
	buffer_load_dword v54, v33, s[0:3], 0 offen offset:4
	buffer_load_dword v55, v33, s[0:3], 0 offen offset:8
	;; [unrolled: 1-line block ×3, first 2 shown]
	global_store_dwordx4 v[13:14], v[61:64], off
	s_clause 0x7
	buffer_load_dword v11, v19, s[0:3], 0 offen
	buffer_load_dword v12, v19, s[0:3], 0 offen offset:4
	buffer_load_dword v13, v19, s[0:3], 0 offen offset:8
	;; [unrolled: 1-line block ×3, first 2 shown]
	buffer_load_dword v57, v20, s[0:3], 0 offen
	buffer_load_dword v58, v20, s[0:3], 0 offen offset:4
	buffer_load_dword v59, v20, s[0:3], 0 offen offset:8
	;; [unrolled: 1-line block ×3, first 2 shown]
	global_store_dwordx4 v[15:16], v[65:68], off
	s_clause 0x7
	buffer_load_dword v61, v34, s[0:3], 0 offen
	buffer_load_dword v62, v34, s[0:3], 0 offen offset:4
	buffer_load_dword v63, v34, s[0:3], 0 offen offset:8
	buffer_load_dword v64, v34, s[0:3], 0 offen offset:12
	buffer_load_dword v65, v77, s[0:3], 0 offen
	buffer_load_dword v66, v77, s[0:3], 0 offen offset:4
	buffer_load_dword v67, v77, s[0:3], 0 offen offset:8
	buffer_load_dword v68, v77, s[0:3], 0 offen offset:12
	s_waitcnt vmcnt(36)
	global_store_dwordx4 v[17:18], v[73:76], off
	s_clause 0x7
	buffer_load_dword v15, v78, s[0:3], 0 offen
	buffer_load_dword v16, v78, s[0:3], 0 offen offset:4
	buffer_load_dword v17, v78, s[0:3], 0 offen offset:8
	buffer_load_dword v18, v78, s[0:3], 0 offen offset:12
	buffer_load_dword v73, v79, s[0:3], 0 offen
	buffer_load_dword v74, v79, s[0:3], 0 offen offset:4
	buffer_load_dword v75, v79, s[0:3], 0 offen offset:8
	buffer_load_dword v76, v79, s[0:3], 0 offen offset:12
	s_waitcnt vmcnt(40)
	;; [unrolled: 11-line block ×3, first 2 shown]
	global_store_dwordx4 v[23:24], v[0:3], off
	s_waitcnt vmcnt(40)
	global_store_dwordx4 v[25:26], v[7:10], off
	s_waitcnt vmcnt(36)
	;; [unrolled: 2-line block ×11, first 2 shown]
	global_store_dwordx4 v[5:6], v[69:72], off
.LBB21_339:
	s_endpgm
	.section	.rodata,"a",@progbits
	.p2align	6, 0x0
	.amdhsa_kernel _ZN9rocsolver6v33100L18trti2_kernel_smallILi22E19rocblas_complex_numIdEPS3_EEv13rocblas_fill_17rocblas_diagonal_T1_iil
		.amdhsa_group_segment_fixed_size 704
		.amdhsa_private_segment_fixed_size 368
		.amdhsa_kernarg_size 32
		.amdhsa_user_sgpr_count 6
		.amdhsa_user_sgpr_private_segment_buffer 1
		.amdhsa_user_sgpr_dispatch_ptr 0
		.amdhsa_user_sgpr_queue_ptr 0
		.amdhsa_user_sgpr_kernarg_segment_ptr 1
		.amdhsa_user_sgpr_dispatch_id 0
		.amdhsa_user_sgpr_flat_scratch_init 0
		.amdhsa_user_sgpr_private_segment_size 0
		.amdhsa_wavefront_size32 1
		.amdhsa_uses_dynamic_stack 0
		.amdhsa_system_sgpr_private_segment_wavefront_offset 1
		.amdhsa_system_sgpr_workgroup_id_x 1
		.amdhsa_system_sgpr_workgroup_id_y 0
		.amdhsa_system_sgpr_workgroup_id_z 0
		.amdhsa_system_sgpr_workgroup_info 0
		.amdhsa_system_vgpr_workitem_id 0
		.amdhsa_next_free_vgpr 88
		.amdhsa_next_free_sgpr 38
		.amdhsa_reserve_vcc 1
		.amdhsa_reserve_flat_scratch 0
		.amdhsa_float_round_mode_32 0
		.amdhsa_float_round_mode_16_64 0
		.amdhsa_float_denorm_mode_32 3
		.amdhsa_float_denorm_mode_16_64 3
		.amdhsa_dx10_clamp 1
		.amdhsa_ieee_mode 1
		.amdhsa_fp16_overflow 0
		.amdhsa_workgroup_processor_mode 1
		.amdhsa_memory_ordered 1
		.amdhsa_forward_progress 1
		.amdhsa_shared_vgpr_count 0
		.amdhsa_exception_fp_ieee_invalid_op 0
		.amdhsa_exception_fp_denorm_src 0
		.amdhsa_exception_fp_ieee_div_zero 0
		.amdhsa_exception_fp_ieee_overflow 0
		.amdhsa_exception_fp_ieee_underflow 0
		.amdhsa_exception_fp_ieee_inexact 0
		.amdhsa_exception_int_div_zero 0
	.end_amdhsa_kernel
	.section	.text._ZN9rocsolver6v33100L18trti2_kernel_smallILi22E19rocblas_complex_numIdEPS3_EEv13rocblas_fill_17rocblas_diagonal_T1_iil,"axG",@progbits,_ZN9rocsolver6v33100L18trti2_kernel_smallILi22E19rocblas_complex_numIdEPS3_EEv13rocblas_fill_17rocblas_diagonal_T1_iil,comdat
.Lfunc_end21:
	.size	_ZN9rocsolver6v33100L18trti2_kernel_smallILi22E19rocblas_complex_numIdEPS3_EEv13rocblas_fill_17rocblas_diagonal_T1_iil, .Lfunc_end21-_ZN9rocsolver6v33100L18trti2_kernel_smallILi22E19rocblas_complex_numIdEPS3_EEv13rocblas_fill_17rocblas_diagonal_T1_iil
                                        ; -- End function
	.set _ZN9rocsolver6v33100L18trti2_kernel_smallILi22E19rocblas_complex_numIdEPS3_EEv13rocblas_fill_17rocblas_diagonal_T1_iil.num_vgpr, 88
	.set _ZN9rocsolver6v33100L18trti2_kernel_smallILi22E19rocblas_complex_numIdEPS3_EEv13rocblas_fill_17rocblas_diagonal_T1_iil.num_agpr, 0
	.set _ZN9rocsolver6v33100L18trti2_kernel_smallILi22E19rocblas_complex_numIdEPS3_EEv13rocblas_fill_17rocblas_diagonal_T1_iil.numbered_sgpr, 38
	.set _ZN9rocsolver6v33100L18trti2_kernel_smallILi22E19rocblas_complex_numIdEPS3_EEv13rocblas_fill_17rocblas_diagonal_T1_iil.num_named_barrier, 0
	.set _ZN9rocsolver6v33100L18trti2_kernel_smallILi22E19rocblas_complex_numIdEPS3_EEv13rocblas_fill_17rocblas_diagonal_T1_iil.private_seg_size, 368
	.set _ZN9rocsolver6v33100L18trti2_kernel_smallILi22E19rocblas_complex_numIdEPS3_EEv13rocblas_fill_17rocblas_diagonal_T1_iil.uses_vcc, 1
	.set _ZN9rocsolver6v33100L18trti2_kernel_smallILi22E19rocblas_complex_numIdEPS3_EEv13rocblas_fill_17rocblas_diagonal_T1_iil.uses_flat_scratch, 0
	.set _ZN9rocsolver6v33100L18trti2_kernel_smallILi22E19rocblas_complex_numIdEPS3_EEv13rocblas_fill_17rocblas_diagonal_T1_iil.has_dyn_sized_stack, 0
	.set _ZN9rocsolver6v33100L18trti2_kernel_smallILi22E19rocblas_complex_numIdEPS3_EEv13rocblas_fill_17rocblas_diagonal_T1_iil.has_recursion, 0
	.set _ZN9rocsolver6v33100L18trti2_kernel_smallILi22E19rocblas_complex_numIdEPS3_EEv13rocblas_fill_17rocblas_diagonal_T1_iil.has_indirect_call, 0
	.section	.AMDGPU.csdata,"",@progbits
; Kernel info:
; codeLenInByte = 21980
; TotalNumSgprs: 40
; NumVgprs: 88
; ScratchSize: 368
; MemoryBound: 0
; FloatMode: 240
; IeeeMode: 1
; LDSByteSize: 704 bytes/workgroup (compile time only)
; SGPRBlocks: 0
; VGPRBlocks: 10
; NumSGPRsForWavesPerEU: 40
; NumVGPRsForWavesPerEU: 88
; Occupancy: 10
; WaveLimiterHint : 0
; COMPUTE_PGM_RSRC2:SCRATCH_EN: 1
; COMPUTE_PGM_RSRC2:USER_SGPR: 6
; COMPUTE_PGM_RSRC2:TRAP_HANDLER: 0
; COMPUTE_PGM_RSRC2:TGID_X_EN: 1
; COMPUTE_PGM_RSRC2:TGID_Y_EN: 0
; COMPUTE_PGM_RSRC2:TGID_Z_EN: 0
; COMPUTE_PGM_RSRC2:TIDIG_COMP_CNT: 0
	.section	.text._ZN9rocsolver6v33100L18trti2_kernel_smallILi23E19rocblas_complex_numIdEPS3_EEv13rocblas_fill_17rocblas_diagonal_T1_iil,"axG",@progbits,_ZN9rocsolver6v33100L18trti2_kernel_smallILi23E19rocblas_complex_numIdEPS3_EEv13rocblas_fill_17rocblas_diagonal_T1_iil,comdat
	.globl	_ZN9rocsolver6v33100L18trti2_kernel_smallILi23E19rocblas_complex_numIdEPS3_EEv13rocblas_fill_17rocblas_diagonal_T1_iil ; -- Begin function _ZN9rocsolver6v33100L18trti2_kernel_smallILi23E19rocblas_complex_numIdEPS3_EEv13rocblas_fill_17rocblas_diagonal_T1_iil
	.p2align	8
	.type	_ZN9rocsolver6v33100L18trti2_kernel_smallILi23E19rocblas_complex_numIdEPS3_EEv13rocblas_fill_17rocblas_diagonal_T1_iil,@function
_ZN9rocsolver6v33100L18trti2_kernel_smallILi23E19rocblas_complex_numIdEPS3_EEv13rocblas_fill_17rocblas_diagonal_T1_iil: ; @_ZN9rocsolver6v33100L18trti2_kernel_smallILi23E19rocblas_complex_numIdEPS3_EEv13rocblas_fill_17rocblas_diagonal_T1_iil
; %bb.0:
	s_add_u32 s0, s0, s7
	s_addc_u32 s1, s1, 0
	s_mov_b32 s7, exec_lo
	v_cmpx_gt_u32_e32 23, v0
	s_cbranch_execz .LBB22_355
; %bb.1:
	s_load_dwordx8 s[8:15], s[4:5], 0x0
	s_ashr_i32 s4, s6, 31
	v_lshlrev_b32_e32 v57, 4, v0
	s_movk_i32 s30, 0xf0
	s_movk_i32 s31, 0x100
	;; [unrolled: 1-line block ×8, first 2 shown]
	s_waitcnt lgkmcnt(0)
	s_mul_hi_u32 s5, s14, s6
	s_mul_i32 s4, s14, s4
	s_mul_i32 s7, s15, s6
	s_add_i32 s5, s5, s4
	s_mul_i32 s4, s14, s6
	s_add_i32 s5, s5, s7
	s_ashr_i32 s7, s12, 31
	s_lshl_b64 s[4:5], s[4:5], 4
	s_mov_b32 s6, s12
	s_add_u32 s10, s10, s4
	s_addc_u32 s11, s11, s5
	s_lshl_b64 s[4:5], s[6:7], 4
	s_mov_b32 s6, s13
	s_add_u32 s4, s10, s4
	s_addc_u32 s5, s11, s5
	v_add_co_u32 v7, s10, s4, v57
	s_ashr_i32 s7, s13, 31
	v_add_co_ci_u32_e64 v8, null, s5, 0, s10
	s_lshl_b64 s[6:7], s[6:7], 4
	global_load_dwordx4 v[1:4], v57, s[4:5]
	v_add_co_u32 v5, vcc_lo, v7, s6
	v_add_co_ci_u32_e64 v6, null, s7, v8, vcc_lo
	v_add3_u32 v9, s13, s13, v0
	s_cmpk_lg_i32 s9, 0x84
	s_movk_i32 s6, 0x70
	global_load_dwordx4 v[51:54], v[5:6], off
	s_movk_i32 s7, 0x80
	v_add_nc_u32_e32 v11, s13, v9
	v_ashrrev_i32_e32 v10, 31, v9
	s_movk_i32 s10, 0x90
	s_movk_i32 s11, 0xa0
	;; [unrolled: 1-line block ×3, first 2 shown]
	v_add_nc_u32_e32 v13, s13, v11
	v_ashrrev_i32_e32 v12, 31, v11
	v_lshlrev_b64 v[9:10], 4, v[9:10]
	s_movk_i32 s14, 0xd0
	s_movk_i32 s15, 0xe0
	v_ashrrev_i32_e32 v14, 31, v13
	v_add_nc_u32_e32 v17, s13, v13
	v_lshlrev_b64 v[15:16], 4, v[11:12]
	v_add_co_u32 v11, vcc_lo, s4, v9
	v_lshlrev_b64 v[13:14], 4, v[13:14]
	v_ashrrev_i32_e32 v18, 31, v17
	v_add_nc_u32_e32 v19, s13, v17
	v_add_co_ci_u32_e64 v12, null, s5, v10, vcc_lo
	v_add_co_u32 v9, vcc_lo, s4, v15
	v_add_co_ci_u32_e64 v10, null, s5, v16, vcc_lo
	v_add_co_u32 v39, vcc_lo, s4, v13
	v_lshlrev_b64 v[15:16], 4, v[17:18]
	v_ashrrev_i32_e32 v20, 31, v19
	v_add_nc_u32_e32 v17, s13, v19
	v_add_co_ci_u32_e64 v40, null, s5, v14, vcc_lo
	global_load_dwordx4 v[58:61], v[11:12], off
	v_lshlrev_b64 v[13:14], 4, v[19:20]
	v_add_nc_u32_e32 v19, s13, v17
	s_clause 0x1
	global_load_dwordx4 v[62:65], v[9:10], off
	global_load_dwordx4 v[66:69], v[39:40], off
	v_ashrrev_i32_e32 v18, 31, v17
	v_add_co_u32 v21, vcc_lo, s4, v15
	v_ashrrev_i32_e32 v20, 31, v19
	v_add_co_ci_u32_e64 v22, null, s5, v16, vcc_lo
	v_lshlrev_b64 v[15:16], 4, v[17:18]
	v_add_co_u32 v27, vcc_lo, s4, v13
	v_add_co_ci_u32_e64 v28, null, s5, v14, vcc_lo
	v_lshlrev_b64 v[13:14], 4, v[19:20]
	global_load_dwordx4 v[70:73], v[21:22], off
	v_add_co_u32 v29, vcc_lo, s4, v15
	v_add_co_ci_u32_e64 v30, null, s5, v16, vcc_lo
	global_load_dwordx4 v[74:77], v[27:28], off
	v_add_co_u32 v23, vcc_lo, s4, v13
	v_add_co_ci_u32_e64 v24, null, s5, v14, vcc_lo
	v_add_nc_u32_e32 v17, s13, v19
	s_cselect_b32 s29, -1, 0
	s_cmpk_eq_i32 s9, 0x84
	s_waitcnt vmcnt(6)
	buffer_store_dword v4, off, s[0:3], 0 offset:12
	buffer_store_dword v3, off, s[0:3], 0 offset:8
	;; [unrolled: 1-line block ×3, first 2 shown]
	buffer_store_dword v1, off, s[0:3], 0
	global_load_dwordx4 v[1:4], v[29:30], off
	v_add_nc_u32_e32 v19, s13, v17
	v_ashrrev_i32_e32 v18, 31, v17
	s_waitcnt vmcnt(6)
	buffer_store_dword v54, off, s[0:3], 0 offset:28
	buffer_store_dword v53, off, s[0:3], 0 offset:24
	;; [unrolled: 1-line block ×4, first 2 shown]
	global_load_dwordx4 v[51:54], v[23:24], off
	v_ashrrev_i32_e32 v20, 31, v19
	v_add_nc_u32_e32 v25, s13, v19
	v_lshlrev_b64 v[15:16], 4, v[17:18]
	s_waitcnt vmcnt(6)
	buffer_store_dword v61, off, s[0:3], 0 offset:44
	buffer_store_dword v60, off, s[0:3], 0 offset:40
	;; [unrolled: 1-line block ×4, first 2 shown]
	v_lshlrev_b64 v[13:14], 4, v[19:20]
	v_ashrrev_i32_e32 v26, 31, v25
	v_add_nc_u32_e32 v19, s13, v25
	v_add_co_u32 v17, vcc_lo, s4, v15
	v_add_co_ci_u32_e64 v18, null, s5, v16, vcc_lo
	v_lshlrev_b64 v[15:16], 4, v[25:26]
	v_add_nc_u32_e32 v25, s13, v19
	v_add_co_u32 v13, vcc_lo, s4, v13
	v_ashrrev_i32_e32 v20, 31, v19
	v_add_co_ci_u32_e64 v14, null, s5, v14, vcc_lo
	v_add_nc_u32_e32 v31, s13, v25
	v_add_co_u32 v15, vcc_lo, s4, v15
	v_ashrrev_i32_e32 v26, 31, v25
	v_lshlrev_b64 v[19:20], 4, v[19:20]
	v_add_co_ci_u32_e64 v16, null, s5, v16, vcc_lo
	global_load_dwordx4 v[58:61], v[17:18], off
	s_waitcnt vmcnt(6)
	buffer_store_dword v65, off, s[0:3], 0 offset:60
	buffer_store_dword v64, off, s[0:3], 0 offset:56
	;; [unrolled: 1-line block ×4, first 2 shown]
	global_load_dwordx4 v[62:65], v[13:14], off
	v_add_nc_u32_e32 v33, s13, v31
	v_ashrrev_i32_e32 v32, 31, v31
	v_lshlrev_b64 v[25:26], 4, v[25:26]
	s_waitcnt vmcnt(6)
	buffer_store_dword v69, off, s[0:3], 0 offset:76
	buffer_store_dword v68, off, s[0:3], 0 offset:72
	;; [unrolled: 1-line block ×4, first 2 shown]
	global_load_dwordx4 v[66:69], v[15:16], off
	v_add_co_u32 v19, vcc_lo, s4, v19
	v_ashrrev_i32_e32 v34, 31, v33
	v_add_co_ci_u32_e64 v20, null, s5, v20, vcc_lo
	v_lshlrev_b64 v[31:32], 4, v[31:32]
	v_add_co_u32 v25, vcc_lo, s4, v25
	v_add_nc_u32_e32 v35, s13, v33
	v_add_co_ci_u32_e64 v26, null, s5, v26, vcc_lo
	v_lshlrev_b64 v[33:34], 4, v[33:34]
	s_waitcnt vmcnt(6)
	buffer_store_dword v73, off, s[0:3], 0 offset:92
	buffer_store_dword v72, off, s[0:3], 0 offset:88
	;; [unrolled: 1-line block ×4, first 2 shown]
	global_load_dwordx4 v[70:73], v[19:20], off
	v_add_co_u32 v31, vcc_lo, s4, v31
	v_add_co_ci_u32_e64 v32, null, s5, v32, vcc_lo
	s_waitcnt vmcnt(6)
	buffer_store_dword v77, off, s[0:3], 0 offset:108
	buffer_store_dword v76, off, s[0:3], 0 offset:104
	;; [unrolled: 1-line block ×4, first 2 shown]
	global_load_dwordx4 v[74:77], v[25:26], off
	v_add_co_u32 v33, vcc_lo, s4, v33
	v_add_co_ci_u32_e64 v34, null, s5, v34, vcc_lo
	v_add_nc_u32_e32 v37, s13, v35
	v_ashrrev_i32_e32 v36, 31, v35
	s_waitcnt vmcnt(6)
	buffer_store_dword v4, off, s[0:3], 0 offset:124
	buffer_store_dword v3, off, s[0:3], 0 offset:120
	;; [unrolled: 1-line block ×4, first 2 shown]
	global_load_dwordx4 v[1:4], v[31:32], off
	v_add_nc_u32_e32 v41, s13, v37
	v_ashrrev_i32_e32 v38, 31, v37
	s_waitcnt vmcnt(6)
	buffer_store_dword v54, off, s[0:3], 0 offset:140
	buffer_store_dword v53, off, s[0:3], 0 offset:136
	;; [unrolled: 1-line block ×4, first 2 shown]
	global_load_dwordx4 v[51:54], v[33:34], off
	v_ashrrev_i32_e32 v42, 31, v41
	v_lshlrev_b64 v[35:36], 4, v[35:36]
	v_lshlrev_b64 v[37:38], 4, v[37:38]
	v_add_nc_u32_e32 v43, s13, v41
	s_waitcnt vmcnt(6)
	buffer_store_dword v58, off, s[0:3], 0 offset:144
	buffer_store_dword v59, off, s[0:3], 0 offset:148
	;; [unrolled: 1-line block ×4, first 2 shown]
	v_lshlrev_b64 v[41:42], 4, v[41:42]
	v_add_co_u32 v35, vcc_lo, s4, v35
	v_add_nc_u32_e32 v45, s13, v43
	v_add_co_ci_u32_e64 v36, null, s5, v36, vcc_lo
	v_add_co_u32 v37, vcc_lo, s4, v37
	v_ashrrev_i32_e32 v44, 31, v43
	v_add_co_ci_u32_e64 v38, null, s5, v38, vcc_lo
	v_add_co_u32 v41, vcc_lo, s4, v41
	v_add_nc_u32_e32 v47, s13, v45
	v_add_co_ci_u32_e64 v42, null, s5, v42, vcc_lo
	v_ashrrev_i32_e32 v46, 31, v45
	v_lshlrev_b64 v[43:44], 4, v[43:44]
	global_load_dwordx4 v[58:61], v[35:36], off
	s_waitcnt vmcnt(6)
	buffer_store_dword v62, off, s[0:3], 0 offset:160
	buffer_store_dword v63, off, s[0:3], 0 offset:164
	;; [unrolled: 1-line block ×4, first 2 shown]
	s_waitcnt vmcnt(5)
	buffer_store_dword v66, off, s[0:3], 0 offset:176
	buffer_store_dword v67, off, s[0:3], 0 offset:180
	;; [unrolled: 1-line block ×4, first 2 shown]
	s_clause 0x1
	global_load_dwordx4 v[62:65], v[37:38], off
	global_load_dwordx4 v[66:69], v[41:42], off
	v_add_nc_u32_e32 v49, s13, v47
	v_ashrrev_i32_e32 v48, 31, v47
	v_lshlrev_b64 v[45:46], 4, v[45:46]
	v_add_co_u32 v43, vcc_lo, s4, v43
	v_ashrrev_i32_e32 v50, 31, v49
	v_add_co_ci_u32_e64 v44, null, s5, v44, vcc_lo
	v_lshlrev_b64 v[55:56], 4, v[47:48]
	v_add_co_u32 v47, vcc_lo, s4, v45
	v_add_co_ci_u32_e64 v48, null, s5, v46, vcc_lo
	v_lshlrev_b64 v[45:46], 4, v[49:50]
	s_waitcnt vmcnt(6)
	buffer_store_dword v73, off, s[0:3], 0 offset:204
	buffer_store_dword v72, off, s[0:3], 0 offset:200
	;; [unrolled: 1-line block ×4, first 2 shown]
	global_load_dwordx4 v[70:73], v[43:44], off
	v_add_co_u32 v49, vcc_lo, s4, v55
	v_add_co_ci_u32_e64 v50, null, s5, v56, vcc_lo
	s_waitcnt vmcnt(6)
	buffer_store_dword v77, off, s[0:3], 0 offset:220
	buffer_store_dword v76, off, s[0:3], 0 offset:216
	;; [unrolled: 1-line block ×4, first 2 shown]
	global_load_dwordx4 v[74:77], v[47:48], off
	v_add_co_u32 v45, vcc_lo, s4, v45
	v_add_co_ci_u32_e64 v46, null, s5, v46, vcc_lo
	s_movk_i32 s4, 0x50
	s_movk_i32 s5, 0x60
	;; [unrolled: 1-line block ×3, first 2 shown]
	s_waitcnt vmcnt(6)
	buffer_store_dword v4, off, s[0:3], 0 offset:236
	buffer_store_dword v3, off, s[0:3], 0 offset:232
	buffer_store_dword v2, off, s[0:3], 0 offset:228
	buffer_store_dword v1, off, s[0:3], 0 offset:224
	global_load_dwordx4 v[1:4], v[49:50], off
	s_waitcnt vmcnt(6)
	buffer_store_dword v54, off, s[0:3], 0 offset:252
	buffer_store_dword v53, off, s[0:3], 0 offset:248
	;; [unrolled: 1-line block ×4, first 2 shown]
	global_load_dwordx4 v[51:54], v[45:46], off
	s_waitcnt vmcnt(6)
	buffer_store_dword v61, off, s[0:3], 0 offset:268
	buffer_store_dword v60, off, s[0:3], 0 offset:264
	buffer_store_dword v59, off, s[0:3], 0 offset:260
	buffer_store_dword v58, off, s[0:3], 0 offset:256
	s_waitcnt vmcnt(5)
	buffer_store_dword v65, off, s[0:3], 0 offset:284
	buffer_store_dword v64, off, s[0:3], 0 offset:280
	buffer_store_dword v63, off, s[0:3], 0 offset:276
	buffer_store_dword v62, off, s[0:3], 0 offset:272
	;; [unrolled: 5-line block ×7, first 2 shown]
	s_cbranch_scc1 .LBB22_7
; %bb.2:
	v_lshl_add_u32 v58, v0, 4, 0
                                        ; implicit-def: $vgpr53_vgpr54
                                        ; implicit-def: $vgpr3_vgpr4
	s_clause 0x3
	buffer_load_dword v51, v58, s[0:3], 0 offen
	buffer_load_dword v52, v58, s[0:3], 0 offen offset:4
	buffer_load_dword v55, v58, s[0:3], 0 offen offset:8
	;; [unrolled: 1-line block ×3, first 2 shown]
	s_waitcnt vmcnt(0)
	v_cmp_ngt_f64_e64 s9, |v[51:52]|, |v[55:56]|
	s_and_saveexec_b32 s16, s9
	s_xor_b32 s9, exec_lo, s16
	s_cbranch_execz .LBB22_4
; %bb.3:
	v_div_scale_f64 v[1:2], null, v[55:56], v[55:56], v[51:52]
	v_div_scale_f64 v[59:60], vcc_lo, v[51:52], v[55:56], v[51:52]
	v_rcp_f64_e32 v[3:4], v[1:2]
	v_fma_f64 v[53:54], -v[1:2], v[3:4], 1.0
	v_fma_f64 v[3:4], v[3:4], v[53:54], v[3:4]
	v_fma_f64 v[53:54], -v[1:2], v[3:4], 1.0
	v_fma_f64 v[3:4], v[3:4], v[53:54], v[3:4]
	v_mul_f64 v[53:54], v[59:60], v[3:4]
	v_fma_f64 v[1:2], -v[1:2], v[53:54], v[59:60]
	v_div_fmas_f64 v[1:2], v[1:2], v[3:4], v[53:54]
	v_div_fixup_f64 v[1:2], v[1:2], v[55:56], v[51:52]
	v_fma_f64 v[3:4], v[51:52], v[1:2], v[55:56]
	v_div_scale_f64 v[51:52], null, v[3:4], v[3:4], 1.0
	v_div_scale_f64 v[59:60], vcc_lo, 1.0, v[3:4], 1.0
	v_rcp_f64_e32 v[53:54], v[51:52]
	v_fma_f64 v[55:56], -v[51:52], v[53:54], 1.0
	v_fma_f64 v[53:54], v[53:54], v[55:56], v[53:54]
	v_fma_f64 v[55:56], -v[51:52], v[53:54], 1.0
	v_fma_f64 v[53:54], v[53:54], v[55:56], v[53:54]
	v_mul_f64 v[55:56], v[59:60], v[53:54]
	v_fma_f64 v[51:52], -v[51:52], v[55:56], v[59:60]
	v_div_fmas_f64 v[51:52], v[51:52], v[53:54], v[55:56]
                                        ; implicit-def: $vgpr55_vgpr56
	v_div_fixup_f64 v[3:4], v[51:52], v[3:4], 1.0
                                        ; implicit-def: $vgpr51_vgpr52
	v_mul_f64 v[53:54], v[1:2], v[3:4]
	v_xor_b32_e32 v4, 0x80000000, v4
	v_xor_b32_e32 v2, 0x80000000, v54
	v_mov_b32_e32 v1, v53
.LBB22_4:
	s_andn2_saveexec_b32 s9, s9
	s_cbranch_execz .LBB22_6
; %bb.5:
	v_div_scale_f64 v[1:2], null, v[51:52], v[51:52], v[55:56]
	v_div_scale_f64 v[59:60], vcc_lo, v[55:56], v[51:52], v[55:56]
	v_rcp_f64_e32 v[3:4], v[1:2]
	v_fma_f64 v[53:54], -v[1:2], v[3:4], 1.0
	v_fma_f64 v[3:4], v[3:4], v[53:54], v[3:4]
	v_fma_f64 v[53:54], -v[1:2], v[3:4], 1.0
	v_fma_f64 v[3:4], v[3:4], v[53:54], v[3:4]
	v_mul_f64 v[53:54], v[59:60], v[3:4]
	v_fma_f64 v[1:2], -v[1:2], v[53:54], v[59:60]
	v_div_fmas_f64 v[1:2], v[1:2], v[3:4], v[53:54]
	v_div_fixup_f64 v[1:2], v[1:2], v[51:52], v[55:56]
	v_fma_f64 v[3:4], v[55:56], v[1:2], v[51:52]
	v_div_scale_f64 v[51:52], null, v[3:4], v[3:4], 1.0
	v_rcp_f64_e32 v[53:54], v[51:52]
	v_fma_f64 v[55:56], -v[51:52], v[53:54], 1.0
	v_fma_f64 v[53:54], v[53:54], v[55:56], v[53:54]
	v_fma_f64 v[55:56], -v[51:52], v[53:54], 1.0
	v_fma_f64 v[53:54], v[53:54], v[55:56], v[53:54]
	v_div_scale_f64 v[55:56], vcc_lo, 1.0, v[3:4], 1.0
	v_mul_f64 v[59:60], v[55:56], v[53:54]
	v_fma_f64 v[51:52], -v[51:52], v[59:60], v[55:56]
	v_div_fmas_f64 v[51:52], v[51:52], v[53:54], v[59:60]
	v_div_fixup_f64 v[53:54], v[51:52], v[3:4], 1.0
	v_mul_f64 v[3:4], v[1:2], -v[53:54]
	v_xor_b32_e32 v2, 0x80000000, v54
	v_mov_b32_e32 v1, v53
.LBB22_6:
	s_or_b32 exec_lo, exec_lo, s9
	buffer_store_dword v4, v58, s[0:3], 0 offen offset:12
	v_xor_b32_e32 v4, 0x80000000, v4
	buffer_store_dword v54, v58, s[0:3], 0 offen offset:4
	buffer_store_dword v53, v58, s[0:3], 0 offen
	buffer_store_dword v3, v58, s[0:3], 0 offen offset:8
	s_branch .LBB22_8
.LBB22_7:
	v_mov_b32_e32 v1, 0
	v_mov_b32_e32 v3, 0
	;; [unrolled: 1-line block ×4, first 2 shown]
.LBB22_8:
	v_add_nc_u32_e32 v52, 0x170, v57
	v_mov_b32_e32 v51, v57
	s_mov_b32 s28, 16
	s_mov_b32 s27, 32
	;; [unrolled: 1-line block ×21, first 2 shown]
	s_cmpk_eq_i32 s8, 0x79
	ds_write_b128 v57, v[1:4]
	s_cbranch_scc1 .LBB22_180
; %bb.9:
	v_mov_b32_e32 v4, s7
	v_cmp_eq_u32_e64 s4, 22, v0
	s_clause 0x3
	buffer_load_dword v1, v4, s[0:3], 0 offen
	buffer_load_dword v2, v4, s[0:3], 0 offen offset:4
	buffer_load_dword v3, v4, s[0:3], 0 offen offset:8
	;; [unrolled: 1-line block ×3, first 2 shown]
	s_waitcnt vmcnt(0)
	ds_write_b128 v52, v[1:4]
	s_waitcnt lgkmcnt(0)
	s_waitcnt_vscnt null, 0x0
	s_barrier
	buffer_gl0_inv
	s_and_saveexec_b32 s5, s4
	s_cbranch_execz .LBB22_13
; %bb.10:
	ds_read_b128 v[1:4], v52
	s_andn2_b32 vcc_lo, exec_lo, s29
	s_cbranch_vccnz .LBB22_12
; %bb.11:
	s_clause 0x3
	buffer_load_dword v53, v51, s[0:3], 0 offen offset:8
	buffer_load_dword v54, v51, s[0:3], 0 offen offset:12
	buffer_load_dword v55, v51, s[0:3], 0 offen
	buffer_load_dword v56, v51, s[0:3], 0 offen offset:4
	s_waitcnt vmcnt(2) lgkmcnt(0)
	v_mul_f64 v[58:59], v[3:4], v[53:54]
	v_mul_f64 v[53:54], v[1:2], v[53:54]
	s_waitcnt vmcnt(0)
	v_fma_f64 v[1:2], v[1:2], v[55:56], -v[58:59]
	v_fma_f64 v[3:4], v[3:4], v[55:56], v[53:54]
.LBB22_12:
	v_mov_b32_e32 v53, 0
	ds_read_b128 v[53:56], v53 offset:336
	s_waitcnt lgkmcnt(0)
	v_mul_f64 v[58:59], v[3:4], v[55:56]
	v_mul_f64 v[55:56], v[1:2], v[55:56]
	v_fma_f64 v[1:2], v[1:2], v[53:54], -v[58:59]
	v_fma_f64 v[3:4], v[3:4], v[53:54], v[55:56]
	buffer_store_dword v2, off, s[0:3], 0 offset:340
	buffer_store_dword v1, off, s[0:3], 0 offset:336
	;; [unrolled: 1-line block ×4, first 2 shown]
.LBB22_13:
	s_or_b32 exec_lo, exec_lo, s5
	v_mov_b32_e32 v4, s9
	v_cmp_lt_u32_e64 s5, 20, v0
	s_clause 0x3
	buffer_load_dword v1, v4, s[0:3], 0 offen
	buffer_load_dword v2, v4, s[0:3], 0 offen offset:4
	buffer_load_dword v3, v4, s[0:3], 0 offen offset:8
	;; [unrolled: 1-line block ×3, first 2 shown]
	s_waitcnt vmcnt(0)
	ds_write_b128 v52, v[1:4]
	s_waitcnt lgkmcnt(0)
	s_waitcnt_vscnt null, 0x0
	s_barrier
	buffer_gl0_inv
	s_and_saveexec_b32 s8, s5
	s_cbranch_execz .LBB22_19
; %bb.14:
	ds_read_b128 v[1:4], v52
	s_andn2_b32 vcc_lo, exec_lo, s29
	s_cbranch_vccnz .LBB22_16
; %bb.15:
	s_clause 0x3
	buffer_load_dword v53, v51, s[0:3], 0 offen offset:8
	buffer_load_dword v54, v51, s[0:3], 0 offen offset:12
	buffer_load_dword v55, v51, s[0:3], 0 offen
	buffer_load_dword v56, v51, s[0:3], 0 offen offset:4
	s_waitcnt vmcnt(2) lgkmcnt(0)
	v_mul_f64 v[58:59], v[3:4], v[53:54]
	v_mul_f64 v[53:54], v[1:2], v[53:54]
	s_waitcnt vmcnt(0)
	v_fma_f64 v[1:2], v[1:2], v[55:56], -v[58:59]
	v_fma_f64 v[3:4], v[3:4], v[55:56], v[53:54]
.LBB22_16:
	s_and_saveexec_b32 s30, s4
	s_cbranch_execz .LBB22_18
; %bb.17:
	s_clause 0x3
	buffer_load_dword v58, off, s[0:3], 0 offset:344
	buffer_load_dword v59, off, s[0:3], 0 offset:348
	;; [unrolled: 1-line block ×4, first 2 shown]
	v_mov_b32_e32 v53, 0
	ds_read_b128 v[53:56], v53 offset:704
	s_waitcnt vmcnt(2) lgkmcnt(0)
	v_mul_f64 v[62:63], v[53:54], v[58:59]
	v_mul_f64 v[58:59], v[55:56], v[58:59]
	s_waitcnt vmcnt(0)
	v_fma_f64 v[55:56], v[55:56], v[60:61], v[62:63]
	v_fma_f64 v[53:54], v[53:54], v[60:61], -v[58:59]
	v_add_f64 v[3:4], v[3:4], v[55:56]
	v_add_f64 v[1:2], v[1:2], v[53:54]
.LBB22_18:
	s_or_b32 exec_lo, exec_lo, s30
	v_mov_b32_e32 v53, 0
	ds_read_b128 v[53:56], v53 offset:320
	s_waitcnt lgkmcnt(0)
	v_mul_f64 v[58:59], v[3:4], v[55:56]
	v_mul_f64 v[55:56], v[1:2], v[55:56]
	v_fma_f64 v[1:2], v[1:2], v[53:54], -v[58:59]
	v_fma_f64 v[3:4], v[3:4], v[53:54], v[55:56]
	buffer_store_dword v2, off, s[0:3], 0 offset:324
	buffer_store_dword v1, off, s[0:3], 0 offset:320
	;; [unrolled: 1-line block ×4, first 2 shown]
.LBB22_19:
	s_or_b32 exec_lo, exec_lo, s8
	v_mov_b32_e32 v4, s10
	v_cmp_lt_u32_e64 s4, 19, v0
	s_clause 0x3
	buffer_load_dword v1, v4, s[0:3], 0 offen
	buffer_load_dword v2, v4, s[0:3], 0 offen offset:4
	buffer_load_dword v3, v4, s[0:3], 0 offen offset:8
	;; [unrolled: 1-line block ×3, first 2 shown]
	s_waitcnt vmcnt(0)
	ds_write_b128 v52, v[1:4]
	s_waitcnt lgkmcnt(0)
	s_waitcnt_vscnt null, 0x0
	s_barrier
	buffer_gl0_inv
	s_and_saveexec_b32 s8, s4
	s_cbranch_execz .LBB22_27
; %bb.20:
	ds_read_b128 v[1:4], v52
	s_andn2_b32 vcc_lo, exec_lo, s29
	s_cbranch_vccnz .LBB22_22
; %bb.21:
	s_clause 0x3
	buffer_load_dword v53, v51, s[0:3], 0 offen offset:8
	buffer_load_dword v54, v51, s[0:3], 0 offen offset:12
	buffer_load_dword v55, v51, s[0:3], 0 offen
	buffer_load_dword v56, v51, s[0:3], 0 offen offset:4
	s_waitcnt vmcnt(2) lgkmcnt(0)
	v_mul_f64 v[58:59], v[3:4], v[53:54]
	v_mul_f64 v[53:54], v[1:2], v[53:54]
	s_waitcnt vmcnt(0)
	v_fma_f64 v[1:2], v[1:2], v[55:56], -v[58:59]
	v_fma_f64 v[3:4], v[3:4], v[55:56], v[53:54]
.LBB22_22:
	s_and_saveexec_b32 s30, s5
	s_cbranch_execz .LBB22_26
; %bb.23:
	v_subrev_nc_u32_e32 v53, 20, v0
	s_movk_i32 s31, 0x2b0
	s_mov_b32 s5, 0
	s_mov_b32 s33, s9
	.p2align	6
.LBB22_24:                              ; =>This Inner Loop Header: Depth=1
	v_mov_b32_e32 v56, s33
	v_add_nc_u32_e32 v53, -1, v53
	s_add_i32 s33, s33, 16
	s_clause 0x3
	buffer_load_dword v54, v56, s[0:3], 0 offen offset:8
	buffer_load_dword v55, v56, s[0:3], 0 offen offset:12
	buffer_load_dword v62, v56, s[0:3], 0 offen
	buffer_load_dword v63, v56, s[0:3], 0 offen offset:4
	v_mov_b32_e32 v56, s31
	v_cmp_eq_u32_e32 vcc_lo, 0, v53
	s_add_i32 s31, s31, 16
	ds_read_b128 v[58:61], v56
	s_or_b32 s5, vcc_lo, s5
	s_waitcnt vmcnt(2) lgkmcnt(0)
	v_mul_f64 v[64:65], v[60:61], v[54:55]
	v_mul_f64 v[54:55], v[58:59], v[54:55]
	s_waitcnt vmcnt(0)
	v_fma_f64 v[58:59], v[58:59], v[62:63], -v[64:65]
	v_fma_f64 v[54:55], v[60:61], v[62:63], v[54:55]
	v_add_f64 v[1:2], v[1:2], v[58:59]
	v_add_f64 v[3:4], v[3:4], v[54:55]
	s_andn2_b32 exec_lo, exec_lo, s5
	s_cbranch_execnz .LBB22_24
; %bb.25:
	s_or_b32 exec_lo, exec_lo, s5
.LBB22_26:
	s_or_b32 exec_lo, exec_lo, s30
	v_mov_b32_e32 v53, 0
	ds_read_b128 v[53:56], v53 offset:304
	s_waitcnt lgkmcnt(0)
	v_mul_f64 v[58:59], v[3:4], v[55:56]
	v_mul_f64 v[55:56], v[1:2], v[55:56]
	v_fma_f64 v[1:2], v[1:2], v[53:54], -v[58:59]
	v_fma_f64 v[3:4], v[3:4], v[53:54], v[55:56]
	buffer_store_dword v2, off, s[0:3], 0 offset:308
	buffer_store_dword v1, off, s[0:3], 0 offset:304
	buffer_store_dword v4, off, s[0:3], 0 offset:316
	buffer_store_dword v3, off, s[0:3], 0 offset:312
.LBB22_27:
	s_or_b32 exec_lo, exec_lo, s8
	v_mov_b32_e32 v4, s11
	v_cmp_lt_u32_e64 s5, 18, v0
	s_clause 0x3
	buffer_load_dword v1, v4, s[0:3], 0 offen
	buffer_load_dword v2, v4, s[0:3], 0 offen offset:4
	buffer_load_dword v3, v4, s[0:3], 0 offen offset:8
	;; [unrolled: 1-line block ×3, first 2 shown]
	s_waitcnt vmcnt(0)
	ds_write_b128 v52, v[1:4]
	s_waitcnt lgkmcnt(0)
	s_waitcnt_vscnt null, 0x0
	s_barrier
	buffer_gl0_inv
	s_and_saveexec_b32 s8, s5
	s_cbranch_execz .LBB22_35
; %bb.28:
	ds_read_b128 v[1:4], v52
	s_andn2_b32 vcc_lo, exec_lo, s29
	s_cbranch_vccnz .LBB22_30
; %bb.29:
	s_clause 0x3
	buffer_load_dword v53, v51, s[0:3], 0 offen offset:8
	buffer_load_dword v54, v51, s[0:3], 0 offen offset:12
	buffer_load_dword v55, v51, s[0:3], 0 offen
	buffer_load_dword v56, v51, s[0:3], 0 offen offset:4
	s_waitcnt vmcnt(2) lgkmcnt(0)
	v_mul_f64 v[58:59], v[3:4], v[53:54]
	v_mul_f64 v[53:54], v[1:2], v[53:54]
	s_waitcnt vmcnt(0)
	v_fma_f64 v[1:2], v[1:2], v[55:56], -v[58:59]
	v_fma_f64 v[3:4], v[3:4], v[55:56], v[53:54]
.LBB22_30:
	s_and_saveexec_b32 s30, s4
	s_cbranch_execz .LBB22_34
; %bb.31:
	v_subrev_nc_u32_e32 v53, 19, v0
	s_movk_i32 s31, 0x2a0
	s_mov_b32 s4, 0
	s_mov_b32 s33, s10
	.p2align	6
.LBB22_32:                              ; =>This Inner Loop Header: Depth=1
	v_mov_b32_e32 v56, s33
	v_add_nc_u32_e32 v53, -1, v53
	s_add_i32 s33, s33, 16
	s_clause 0x3
	buffer_load_dword v54, v56, s[0:3], 0 offen offset:8
	buffer_load_dword v55, v56, s[0:3], 0 offen offset:12
	buffer_load_dword v62, v56, s[0:3], 0 offen
	buffer_load_dword v63, v56, s[0:3], 0 offen offset:4
	v_mov_b32_e32 v56, s31
	v_cmp_eq_u32_e32 vcc_lo, 0, v53
	s_add_i32 s31, s31, 16
	ds_read_b128 v[58:61], v56
	s_or_b32 s4, vcc_lo, s4
	s_waitcnt vmcnt(2) lgkmcnt(0)
	v_mul_f64 v[64:65], v[60:61], v[54:55]
	v_mul_f64 v[54:55], v[58:59], v[54:55]
	s_waitcnt vmcnt(0)
	v_fma_f64 v[58:59], v[58:59], v[62:63], -v[64:65]
	v_fma_f64 v[54:55], v[60:61], v[62:63], v[54:55]
	v_add_f64 v[1:2], v[1:2], v[58:59]
	v_add_f64 v[3:4], v[3:4], v[54:55]
	s_andn2_b32 exec_lo, exec_lo, s4
	s_cbranch_execnz .LBB22_32
; %bb.33:
	s_or_b32 exec_lo, exec_lo, s4
.LBB22_34:
	s_or_b32 exec_lo, exec_lo, s30
	v_mov_b32_e32 v53, 0
	ds_read_b128 v[53:56], v53 offset:288
	s_waitcnt lgkmcnt(0)
	v_mul_f64 v[58:59], v[3:4], v[55:56]
	v_mul_f64 v[55:56], v[1:2], v[55:56]
	v_fma_f64 v[1:2], v[1:2], v[53:54], -v[58:59]
	v_fma_f64 v[3:4], v[3:4], v[53:54], v[55:56]
	buffer_store_dword v2, off, s[0:3], 0 offset:292
	buffer_store_dword v1, off, s[0:3], 0 offset:288
	;; [unrolled: 1-line block ×4, first 2 shown]
.LBB22_35:
	s_or_b32 exec_lo, exec_lo, s8
	v_mov_b32_e32 v4, s12
	v_cmp_lt_u32_e64 s4, 17, v0
	s_clause 0x3
	buffer_load_dword v1, v4, s[0:3], 0 offen
	buffer_load_dword v2, v4, s[0:3], 0 offen offset:4
	buffer_load_dword v3, v4, s[0:3], 0 offen offset:8
	;; [unrolled: 1-line block ×3, first 2 shown]
	s_waitcnt vmcnt(0)
	ds_write_b128 v52, v[1:4]
	s_waitcnt lgkmcnt(0)
	s_waitcnt_vscnt null, 0x0
	s_barrier
	buffer_gl0_inv
	s_and_saveexec_b32 s8, s4
	s_cbranch_execz .LBB22_43
; %bb.36:
	ds_read_b128 v[1:4], v52
	s_andn2_b32 vcc_lo, exec_lo, s29
	s_cbranch_vccnz .LBB22_38
; %bb.37:
	s_clause 0x3
	buffer_load_dword v53, v51, s[0:3], 0 offen offset:8
	buffer_load_dword v54, v51, s[0:3], 0 offen offset:12
	buffer_load_dword v55, v51, s[0:3], 0 offen
	buffer_load_dword v56, v51, s[0:3], 0 offen offset:4
	s_waitcnt vmcnt(2) lgkmcnt(0)
	v_mul_f64 v[58:59], v[3:4], v[53:54]
	v_mul_f64 v[53:54], v[1:2], v[53:54]
	s_waitcnt vmcnt(0)
	v_fma_f64 v[1:2], v[1:2], v[55:56], -v[58:59]
	v_fma_f64 v[3:4], v[3:4], v[55:56], v[53:54]
.LBB22_38:
	s_and_saveexec_b32 s30, s5
	s_cbranch_execz .LBB22_42
; %bb.39:
	v_subrev_nc_u32_e32 v53, 18, v0
	s_movk_i32 s31, 0x290
	s_mov_b32 s5, 0
	s_mov_b32 s33, s11
	.p2align	6
.LBB22_40:                              ; =>This Inner Loop Header: Depth=1
	v_mov_b32_e32 v56, s33
	v_add_nc_u32_e32 v53, -1, v53
	s_add_i32 s33, s33, 16
	s_clause 0x3
	buffer_load_dword v54, v56, s[0:3], 0 offen offset:8
	buffer_load_dword v55, v56, s[0:3], 0 offen offset:12
	buffer_load_dword v62, v56, s[0:3], 0 offen
	buffer_load_dword v63, v56, s[0:3], 0 offen offset:4
	v_mov_b32_e32 v56, s31
	v_cmp_eq_u32_e32 vcc_lo, 0, v53
	s_add_i32 s31, s31, 16
	ds_read_b128 v[58:61], v56
	s_or_b32 s5, vcc_lo, s5
	s_waitcnt vmcnt(2) lgkmcnt(0)
	v_mul_f64 v[64:65], v[60:61], v[54:55]
	v_mul_f64 v[54:55], v[58:59], v[54:55]
	s_waitcnt vmcnt(0)
	v_fma_f64 v[58:59], v[58:59], v[62:63], -v[64:65]
	v_fma_f64 v[54:55], v[60:61], v[62:63], v[54:55]
	v_add_f64 v[1:2], v[1:2], v[58:59]
	v_add_f64 v[3:4], v[3:4], v[54:55]
	s_andn2_b32 exec_lo, exec_lo, s5
	s_cbranch_execnz .LBB22_40
; %bb.41:
	s_or_b32 exec_lo, exec_lo, s5
.LBB22_42:
	s_or_b32 exec_lo, exec_lo, s30
	v_mov_b32_e32 v53, 0
	ds_read_b128 v[53:56], v53 offset:272
	s_waitcnt lgkmcnt(0)
	v_mul_f64 v[58:59], v[3:4], v[55:56]
	v_mul_f64 v[55:56], v[1:2], v[55:56]
	v_fma_f64 v[1:2], v[1:2], v[53:54], -v[58:59]
	v_fma_f64 v[3:4], v[3:4], v[53:54], v[55:56]
	buffer_store_dword v2, off, s[0:3], 0 offset:276
	buffer_store_dword v1, off, s[0:3], 0 offset:272
	;; [unrolled: 1-line block ×4, first 2 shown]
.LBB22_43:
	s_or_b32 exec_lo, exec_lo, s8
	v_mov_b32_e32 v4, s13
	v_cmp_lt_u32_e64 s5, 16, v0
	s_clause 0x3
	buffer_load_dword v1, v4, s[0:3], 0 offen
	buffer_load_dword v2, v4, s[0:3], 0 offen offset:4
	buffer_load_dword v3, v4, s[0:3], 0 offen offset:8
	;; [unrolled: 1-line block ×3, first 2 shown]
	s_waitcnt vmcnt(0)
	ds_write_b128 v52, v[1:4]
	s_waitcnt lgkmcnt(0)
	s_waitcnt_vscnt null, 0x0
	s_barrier
	buffer_gl0_inv
	s_and_saveexec_b32 s8, s5
	s_cbranch_execz .LBB22_51
; %bb.44:
	ds_read_b128 v[1:4], v52
	s_andn2_b32 vcc_lo, exec_lo, s29
	s_cbranch_vccnz .LBB22_46
; %bb.45:
	s_clause 0x3
	buffer_load_dword v53, v51, s[0:3], 0 offen offset:8
	buffer_load_dword v54, v51, s[0:3], 0 offen offset:12
	buffer_load_dword v55, v51, s[0:3], 0 offen
	buffer_load_dword v56, v51, s[0:3], 0 offen offset:4
	s_waitcnt vmcnt(2) lgkmcnt(0)
	v_mul_f64 v[58:59], v[3:4], v[53:54]
	v_mul_f64 v[53:54], v[1:2], v[53:54]
	s_waitcnt vmcnt(0)
	v_fma_f64 v[1:2], v[1:2], v[55:56], -v[58:59]
	v_fma_f64 v[3:4], v[3:4], v[55:56], v[53:54]
.LBB22_46:
	s_and_saveexec_b32 s30, s4
	s_cbranch_execz .LBB22_50
; %bb.47:
	v_subrev_nc_u32_e32 v53, 17, v0
	s_movk_i32 s31, 0x280
	s_mov_b32 s4, 0
	s_mov_b32 s33, s12
	.p2align	6
.LBB22_48:                              ; =>This Inner Loop Header: Depth=1
	v_mov_b32_e32 v56, s33
	v_add_nc_u32_e32 v53, -1, v53
	s_add_i32 s33, s33, 16
	s_clause 0x3
	buffer_load_dword v54, v56, s[0:3], 0 offen offset:8
	buffer_load_dword v55, v56, s[0:3], 0 offen offset:12
	buffer_load_dword v62, v56, s[0:3], 0 offen
	buffer_load_dword v63, v56, s[0:3], 0 offen offset:4
	v_mov_b32_e32 v56, s31
	v_cmp_eq_u32_e32 vcc_lo, 0, v53
	s_add_i32 s31, s31, 16
	ds_read_b128 v[58:61], v56
	s_or_b32 s4, vcc_lo, s4
	s_waitcnt vmcnt(2) lgkmcnt(0)
	v_mul_f64 v[64:65], v[60:61], v[54:55]
	v_mul_f64 v[54:55], v[58:59], v[54:55]
	s_waitcnt vmcnt(0)
	v_fma_f64 v[58:59], v[58:59], v[62:63], -v[64:65]
	v_fma_f64 v[54:55], v[60:61], v[62:63], v[54:55]
	v_add_f64 v[1:2], v[1:2], v[58:59]
	v_add_f64 v[3:4], v[3:4], v[54:55]
	s_andn2_b32 exec_lo, exec_lo, s4
	s_cbranch_execnz .LBB22_48
; %bb.49:
	s_or_b32 exec_lo, exec_lo, s4
.LBB22_50:
	s_or_b32 exec_lo, exec_lo, s30
	v_mov_b32_e32 v53, 0
	ds_read_b128 v[53:56], v53 offset:256
	s_waitcnt lgkmcnt(0)
	v_mul_f64 v[58:59], v[3:4], v[55:56]
	v_mul_f64 v[55:56], v[1:2], v[55:56]
	v_fma_f64 v[1:2], v[1:2], v[53:54], -v[58:59]
	v_fma_f64 v[3:4], v[3:4], v[53:54], v[55:56]
	buffer_store_dword v2, off, s[0:3], 0 offset:260
	buffer_store_dword v1, off, s[0:3], 0 offset:256
	;; [unrolled: 1-line block ×4, first 2 shown]
.LBB22_51:
	s_or_b32 exec_lo, exec_lo, s8
	v_mov_b32_e32 v4, s14
	v_cmp_lt_u32_e64 s4, 15, v0
	s_clause 0x3
	buffer_load_dword v1, v4, s[0:3], 0 offen
	buffer_load_dword v2, v4, s[0:3], 0 offen offset:4
	buffer_load_dword v3, v4, s[0:3], 0 offen offset:8
	buffer_load_dword v4, v4, s[0:3], 0 offen offset:12
	s_waitcnt vmcnt(0)
	ds_write_b128 v52, v[1:4]
	s_waitcnt lgkmcnt(0)
	s_waitcnt_vscnt null, 0x0
	s_barrier
	buffer_gl0_inv
	s_and_saveexec_b32 s8, s4
	s_cbranch_execz .LBB22_59
; %bb.52:
	ds_read_b128 v[1:4], v52
	s_andn2_b32 vcc_lo, exec_lo, s29
	s_cbranch_vccnz .LBB22_54
; %bb.53:
	s_clause 0x3
	buffer_load_dword v53, v51, s[0:3], 0 offen offset:8
	buffer_load_dword v54, v51, s[0:3], 0 offen offset:12
	buffer_load_dword v55, v51, s[0:3], 0 offen
	buffer_load_dword v56, v51, s[0:3], 0 offen offset:4
	s_waitcnt vmcnt(2) lgkmcnt(0)
	v_mul_f64 v[58:59], v[3:4], v[53:54]
	v_mul_f64 v[53:54], v[1:2], v[53:54]
	s_waitcnt vmcnt(0)
	v_fma_f64 v[1:2], v[1:2], v[55:56], -v[58:59]
	v_fma_f64 v[3:4], v[3:4], v[55:56], v[53:54]
.LBB22_54:
	s_and_saveexec_b32 s30, s5
	s_cbranch_execz .LBB22_58
; %bb.55:
	v_add_nc_u32_e32 v53, -16, v0
	s_movk_i32 s31, 0x270
	s_mov_b32 s5, 0
	s_mov_b32 s33, s13
	.p2align	6
.LBB22_56:                              ; =>This Inner Loop Header: Depth=1
	v_mov_b32_e32 v56, s33
	v_add_nc_u32_e32 v53, -1, v53
	s_add_i32 s33, s33, 16
	s_clause 0x3
	buffer_load_dword v54, v56, s[0:3], 0 offen offset:8
	buffer_load_dword v55, v56, s[0:3], 0 offen offset:12
	buffer_load_dword v62, v56, s[0:3], 0 offen
	buffer_load_dword v63, v56, s[0:3], 0 offen offset:4
	v_mov_b32_e32 v56, s31
	v_cmp_eq_u32_e32 vcc_lo, 0, v53
	s_add_i32 s31, s31, 16
	ds_read_b128 v[58:61], v56
	s_or_b32 s5, vcc_lo, s5
	s_waitcnt vmcnt(2) lgkmcnt(0)
	v_mul_f64 v[64:65], v[60:61], v[54:55]
	v_mul_f64 v[54:55], v[58:59], v[54:55]
	s_waitcnt vmcnt(0)
	v_fma_f64 v[58:59], v[58:59], v[62:63], -v[64:65]
	v_fma_f64 v[54:55], v[60:61], v[62:63], v[54:55]
	v_add_f64 v[1:2], v[1:2], v[58:59]
	v_add_f64 v[3:4], v[3:4], v[54:55]
	s_andn2_b32 exec_lo, exec_lo, s5
	s_cbranch_execnz .LBB22_56
; %bb.57:
	s_or_b32 exec_lo, exec_lo, s5
.LBB22_58:
	s_or_b32 exec_lo, exec_lo, s30
	v_mov_b32_e32 v53, 0
	ds_read_b128 v[53:56], v53 offset:240
	s_waitcnt lgkmcnt(0)
	v_mul_f64 v[58:59], v[3:4], v[55:56]
	v_mul_f64 v[55:56], v[1:2], v[55:56]
	v_fma_f64 v[1:2], v[1:2], v[53:54], -v[58:59]
	v_fma_f64 v[3:4], v[3:4], v[53:54], v[55:56]
	buffer_store_dword v2, off, s[0:3], 0 offset:244
	buffer_store_dword v1, off, s[0:3], 0 offset:240
	;; [unrolled: 1-line block ×4, first 2 shown]
.LBB22_59:
	s_or_b32 exec_lo, exec_lo, s8
	v_mov_b32_e32 v4, s15
	v_cmp_lt_u32_e64 s5, 14, v0
	s_clause 0x3
	buffer_load_dword v1, v4, s[0:3], 0 offen
	buffer_load_dword v2, v4, s[0:3], 0 offen offset:4
	buffer_load_dword v3, v4, s[0:3], 0 offen offset:8
	;; [unrolled: 1-line block ×3, first 2 shown]
	s_waitcnt vmcnt(0)
	ds_write_b128 v52, v[1:4]
	s_waitcnt lgkmcnt(0)
	s_waitcnt_vscnt null, 0x0
	s_barrier
	buffer_gl0_inv
	s_and_saveexec_b32 s8, s5
	s_cbranch_execz .LBB22_67
; %bb.60:
	ds_read_b128 v[1:4], v52
	s_andn2_b32 vcc_lo, exec_lo, s29
	s_cbranch_vccnz .LBB22_62
; %bb.61:
	s_clause 0x3
	buffer_load_dword v53, v51, s[0:3], 0 offen offset:8
	buffer_load_dword v54, v51, s[0:3], 0 offen offset:12
	buffer_load_dword v55, v51, s[0:3], 0 offen
	buffer_load_dword v56, v51, s[0:3], 0 offen offset:4
	s_waitcnt vmcnt(2) lgkmcnt(0)
	v_mul_f64 v[58:59], v[3:4], v[53:54]
	v_mul_f64 v[53:54], v[1:2], v[53:54]
	s_waitcnt vmcnt(0)
	v_fma_f64 v[1:2], v[1:2], v[55:56], -v[58:59]
	v_fma_f64 v[3:4], v[3:4], v[55:56], v[53:54]
.LBB22_62:
	s_and_saveexec_b32 s30, s4
	s_cbranch_execz .LBB22_66
; %bb.63:
	v_add_nc_u32_e32 v53, -15, v0
	s_movk_i32 s31, 0x260
	s_mov_b32 s4, 0
	s_mov_b32 s33, s14
	.p2align	6
.LBB22_64:                              ; =>This Inner Loop Header: Depth=1
	v_mov_b32_e32 v56, s33
	v_add_nc_u32_e32 v53, -1, v53
	s_add_i32 s33, s33, 16
	s_clause 0x3
	buffer_load_dword v54, v56, s[0:3], 0 offen offset:8
	buffer_load_dword v55, v56, s[0:3], 0 offen offset:12
	buffer_load_dword v62, v56, s[0:3], 0 offen
	buffer_load_dword v63, v56, s[0:3], 0 offen offset:4
	v_mov_b32_e32 v56, s31
	v_cmp_eq_u32_e32 vcc_lo, 0, v53
	s_add_i32 s31, s31, 16
	ds_read_b128 v[58:61], v56
	s_or_b32 s4, vcc_lo, s4
	s_waitcnt vmcnt(2) lgkmcnt(0)
	v_mul_f64 v[64:65], v[60:61], v[54:55]
	v_mul_f64 v[54:55], v[58:59], v[54:55]
	s_waitcnt vmcnt(0)
	v_fma_f64 v[58:59], v[58:59], v[62:63], -v[64:65]
	v_fma_f64 v[54:55], v[60:61], v[62:63], v[54:55]
	v_add_f64 v[1:2], v[1:2], v[58:59]
	v_add_f64 v[3:4], v[3:4], v[54:55]
	s_andn2_b32 exec_lo, exec_lo, s4
	s_cbranch_execnz .LBB22_64
; %bb.65:
	s_or_b32 exec_lo, exec_lo, s4
.LBB22_66:
	s_or_b32 exec_lo, exec_lo, s30
	v_mov_b32_e32 v53, 0
	ds_read_b128 v[53:56], v53 offset:224
	s_waitcnt lgkmcnt(0)
	v_mul_f64 v[58:59], v[3:4], v[55:56]
	v_mul_f64 v[55:56], v[1:2], v[55:56]
	v_fma_f64 v[1:2], v[1:2], v[53:54], -v[58:59]
	v_fma_f64 v[3:4], v[3:4], v[53:54], v[55:56]
	buffer_store_dword v2, off, s[0:3], 0 offset:228
	buffer_store_dword v1, off, s[0:3], 0 offset:224
	buffer_store_dword v4, off, s[0:3], 0 offset:236
	buffer_store_dword v3, off, s[0:3], 0 offset:232
.LBB22_67:
	s_or_b32 exec_lo, exec_lo, s8
	v_mov_b32_e32 v4, s16
	v_cmp_lt_u32_e64 s4, 13, v0
	s_clause 0x3
	buffer_load_dword v1, v4, s[0:3], 0 offen
	buffer_load_dword v2, v4, s[0:3], 0 offen offset:4
	buffer_load_dword v3, v4, s[0:3], 0 offen offset:8
	;; [unrolled: 1-line block ×3, first 2 shown]
	s_waitcnt vmcnt(0)
	ds_write_b128 v52, v[1:4]
	s_waitcnt lgkmcnt(0)
	s_waitcnt_vscnt null, 0x0
	s_barrier
	buffer_gl0_inv
	s_and_saveexec_b32 s8, s4
	s_cbranch_execz .LBB22_75
; %bb.68:
	ds_read_b128 v[1:4], v52
	s_andn2_b32 vcc_lo, exec_lo, s29
	s_cbranch_vccnz .LBB22_70
; %bb.69:
	s_clause 0x3
	buffer_load_dword v53, v51, s[0:3], 0 offen offset:8
	buffer_load_dword v54, v51, s[0:3], 0 offen offset:12
	buffer_load_dword v55, v51, s[0:3], 0 offen
	buffer_load_dword v56, v51, s[0:3], 0 offen offset:4
	s_waitcnt vmcnt(2) lgkmcnt(0)
	v_mul_f64 v[58:59], v[3:4], v[53:54]
	v_mul_f64 v[53:54], v[1:2], v[53:54]
	s_waitcnt vmcnt(0)
	v_fma_f64 v[1:2], v[1:2], v[55:56], -v[58:59]
	v_fma_f64 v[3:4], v[3:4], v[55:56], v[53:54]
.LBB22_70:
	s_and_saveexec_b32 s30, s5
	s_cbranch_execz .LBB22_74
; %bb.71:
	v_add_nc_u32_e32 v53, -14, v0
	s_movk_i32 s31, 0x250
	s_mov_b32 s5, 0
	s_mov_b32 s33, s15
	.p2align	6
.LBB22_72:                              ; =>This Inner Loop Header: Depth=1
	v_mov_b32_e32 v56, s33
	v_add_nc_u32_e32 v53, -1, v53
	s_add_i32 s33, s33, 16
	s_clause 0x3
	buffer_load_dword v54, v56, s[0:3], 0 offen offset:8
	buffer_load_dword v55, v56, s[0:3], 0 offen offset:12
	buffer_load_dword v62, v56, s[0:3], 0 offen
	buffer_load_dword v63, v56, s[0:3], 0 offen offset:4
	v_mov_b32_e32 v56, s31
	v_cmp_eq_u32_e32 vcc_lo, 0, v53
	s_add_i32 s31, s31, 16
	ds_read_b128 v[58:61], v56
	s_or_b32 s5, vcc_lo, s5
	s_waitcnt vmcnt(2) lgkmcnt(0)
	v_mul_f64 v[64:65], v[60:61], v[54:55]
	v_mul_f64 v[54:55], v[58:59], v[54:55]
	s_waitcnt vmcnt(0)
	v_fma_f64 v[58:59], v[58:59], v[62:63], -v[64:65]
	v_fma_f64 v[54:55], v[60:61], v[62:63], v[54:55]
	v_add_f64 v[1:2], v[1:2], v[58:59]
	v_add_f64 v[3:4], v[3:4], v[54:55]
	s_andn2_b32 exec_lo, exec_lo, s5
	s_cbranch_execnz .LBB22_72
; %bb.73:
	s_or_b32 exec_lo, exec_lo, s5
.LBB22_74:
	s_or_b32 exec_lo, exec_lo, s30
	v_mov_b32_e32 v53, 0
	ds_read_b128 v[53:56], v53 offset:208
	s_waitcnt lgkmcnt(0)
	v_mul_f64 v[58:59], v[3:4], v[55:56]
	v_mul_f64 v[55:56], v[1:2], v[55:56]
	v_fma_f64 v[1:2], v[1:2], v[53:54], -v[58:59]
	v_fma_f64 v[3:4], v[3:4], v[53:54], v[55:56]
	buffer_store_dword v2, off, s[0:3], 0 offset:212
	buffer_store_dword v1, off, s[0:3], 0 offset:208
	;; [unrolled: 1-line block ×4, first 2 shown]
.LBB22_75:
	s_or_b32 exec_lo, exec_lo, s8
	v_mov_b32_e32 v4, s17
	v_cmp_lt_u32_e64 s5, 12, v0
	s_clause 0x3
	buffer_load_dword v1, v4, s[0:3], 0 offen
	buffer_load_dword v2, v4, s[0:3], 0 offen offset:4
	buffer_load_dword v3, v4, s[0:3], 0 offen offset:8
	;; [unrolled: 1-line block ×3, first 2 shown]
	s_waitcnt vmcnt(0)
	ds_write_b128 v52, v[1:4]
	s_waitcnt lgkmcnt(0)
	s_waitcnt_vscnt null, 0x0
	s_barrier
	buffer_gl0_inv
	s_and_saveexec_b32 s8, s5
	s_cbranch_execz .LBB22_83
; %bb.76:
	ds_read_b128 v[1:4], v52
	s_andn2_b32 vcc_lo, exec_lo, s29
	s_cbranch_vccnz .LBB22_78
; %bb.77:
	s_clause 0x3
	buffer_load_dword v53, v51, s[0:3], 0 offen offset:8
	buffer_load_dword v54, v51, s[0:3], 0 offen offset:12
	buffer_load_dword v55, v51, s[0:3], 0 offen
	buffer_load_dword v56, v51, s[0:3], 0 offen offset:4
	s_waitcnt vmcnt(2) lgkmcnt(0)
	v_mul_f64 v[58:59], v[3:4], v[53:54]
	v_mul_f64 v[53:54], v[1:2], v[53:54]
	s_waitcnt vmcnt(0)
	v_fma_f64 v[1:2], v[1:2], v[55:56], -v[58:59]
	v_fma_f64 v[3:4], v[3:4], v[55:56], v[53:54]
.LBB22_78:
	s_and_saveexec_b32 s30, s4
	s_cbranch_execz .LBB22_82
; %bb.79:
	v_add_nc_u32_e32 v53, -13, v0
	s_movk_i32 s31, 0x240
	s_mov_b32 s4, 0
	s_mov_b32 s33, s16
	.p2align	6
.LBB22_80:                              ; =>This Inner Loop Header: Depth=1
	v_mov_b32_e32 v56, s33
	v_add_nc_u32_e32 v53, -1, v53
	s_add_i32 s33, s33, 16
	s_clause 0x3
	buffer_load_dword v54, v56, s[0:3], 0 offen offset:8
	buffer_load_dword v55, v56, s[0:3], 0 offen offset:12
	buffer_load_dword v62, v56, s[0:3], 0 offen
	buffer_load_dword v63, v56, s[0:3], 0 offen offset:4
	v_mov_b32_e32 v56, s31
	v_cmp_eq_u32_e32 vcc_lo, 0, v53
	s_add_i32 s31, s31, 16
	ds_read_b128 v[58:61], v56
	s_or_b32 s4, vcc_lo, s4
	s_waitcnt vmcnt(2) lgkmcnt(0)
	v_mul_f64 v[64:65], v[60:61], v[54:55]
	v_mul_f64 v[54:55], v[58:59], v[54:55]
	s_waitcnt vmcnt(0)
	v_fma_f64 v[58:59], v[58:59], v[62:63], -v[64:65]
	v_fma_f64 v[54:55], v[60:61], v[62:63], v[54:55]
	v_add_f64 v[1:2], v[1:2], v[58:59]
	v_add_f64 v[3:4], v[3:4], v[54:55]
	s_andn2_b32 exec_lo, exec_lo, s4
	s_cbranch_execnz .LBB22_80
; %bb.81:
	s_or_b32 exec_lo, exec_lo, s4
.LBB22_82:
	s_or_b32 exec_lo, exec_lo, s30
	v_mov_b32_e32 v53, 0
	ds_read_b128 v[53:56], v53 offset:192
	s_waitcnt lgkmcnt(0)
	v_mul_f64 v[58:59], v[3:4], v[55:56]
	v_mul_f64 v[55:56], v[1:2], v[55:56]
	v_fma_f64 v[1:2], v[1:2], v[53:54], -v[58:59]
	v_fma_f64 v[3:4], v[3:4], v[53:54], v[55:56]
	buffer_store_dword v2, off, s[0:3], 0 offset:196
	buffer_store_dword v1, off, s[0:3], 0 offset:192
	;; [unrolled: 1-line block ×4, first 2 shown]
.LBB22_83:
	s_or_b32 exec_lo, exec_lo, s8
	v_mov_b32_e32 v4, s18
	v_cmp_lt_u32_e64 s4, 11, v0
	s_clause 0x3
	buffer_load_dword v1, v4, s[0:3], 0 offen
	buffer_load_dword v2, v4, s[0:3], 0 offen offset:4
	buffer_load_dword v3, v4, s[0:3], 0 offen offset:8
	;; [unrolled: 1-line block ×3, first 2 shown]
	s_waitcnt vmcnt(0)
	ds_write_b128 v52, v[1:4]
	s_waitcnt lgkmcnt(0)
	s_waitcnt_vscnt null, 0x0
	s_barrier
	buffer_gl0_inv
	s_and_saveexec_b32 s8, s4
	s_cbranch_execz .LBB22_91
; %bb.84:
	ds_read_b128 v[1:4], v52
	s_andn2_b32 vcc_lo, exec_lo, s29
	s_cbranch_vccnz .LBB22_86
; %bb.85:
	s_clause 0x3
	buffer_load_dword v53, v51, s[0:3], 0 offen offset:8
	buffer_load_dword v54, v51, s[0:3], 0 offen offset:12
	buffer_load_dword v55, v51, s[0:3], 0 offen
	buffer_load_dword v56, v51, s[0:3], 0 offen offset:4
	s_waitcnt vmcnt(2) lgkmcnt(0)
	v_mul_f64 v[58:59], v[3:4], v[53:54]
	v_mul_f64 v[53:54], v[1:2], v[53:54]
	s_waitcnt vmcnt(0)
	v_fma_f64 v[1:2], v[1:2], v[55:56], -v[58:59]
	v_fma_f64 v[3:4], v[3:4], v[55:56], v[53:54]
.LBB22_86:
	s_and_saveexec_b32 s30, s5
	s_cbranch_execz .LBB22_90
; %bb.87:
	v_add_nc_u32_e32 v53, -12, v0
	s_movk_i32 s31, 0x230
	s_mov_b32 s5, 0
	s_mov_b32 s33, s17
	.p2align	6
.LBB22_88:                              ; =>This Inner Loop Header: Depth=1
	v_mov_b32_e32 v56, s33
	v_add_nc_u32_e32 v53, -1, v53
	s_add_i32 s33, s33, 16
	s_clause 0x3
	buffer_load_dword v54, v56, s[0:3], 0 offen offset:8
	buffer_load_dword v55, v56, s[0:3], 0 offen offset:12
	buffer_load_dword v62, v56, s[0:3], 0 offen
	buffer_load_dword v63, v56, s[0:3], 0 offen offset:4
	v_mov_b32_e32 v56, s31
	v_cmp_eq_u32_e32 vcc_lo, 0, v53
	s_add_i32 s31, s31, 16
	ds_read_b128 v[58:61], v56
	s_or_b32 s5, vcc_lo, s5
	s_waitcnt vmcnt(2) lgkmcnt(0)
	v_mul_f64 v[64:65], v[60:61], v[54:55]
	v_mul_f64 v[54:55], v[58:59], v[54:55]
	s_waitcnt vmcnt(0)
	v_fma_f64 v[58:59], v[58:59], v[62:63], -v[64:65]
	v_fma_f64 v[54:55], v[60:61], v[62:63], v[54:55]
	v_add_f64 v[1:2], v[1:2], v[58:59]
	v_add_f64 v[3:4], v[3:4], v[54:55]
	s_andn2_b32 exec_lo, exec_lo, s5
	s_cbranch_execnz .LBB22_88
; %bb.89:
	s_or_b32 exec_lo, exec_lo, s5
.LBB22_90:
	s_or_b32 exec_lo, exec_lo, s30
	v_mov_b32_e32 v53, 0
	ds_read_b128 v[53:56], v53 offset:176
	s_waitcnt lgkmcnt(0)
	v_mul_f64 v[58:59], v[3:4], v[55:56]
	v_mul_f64 v[55:56], v[1:2], v[55:56]
	v_fma_f64 v[1:2], v[1:2], v[53:54], -v[58:59]
	v_fma_f64 v[3:4], v[3:4], v[53:54], v[55:56]
	buffer_store_dword v2, off, s[0:3], 0 offset:180
	buffer_store_dword v1, off, s[0:3], 0 offset:176
	;; [unrolled: 1-line block ×4, first 2 shown]
.LBB22_91:
	s_or_b32 exec_lo, exec_lo, s8
	v_mov_b32_e32 v4, s19
	v_cmp_lt_u32_e64 s5, 10, v0
	s_clause 0x3
	buffer_load_dword v1, v4, s[0:3], 0 offen
	buffer_load_dword v2, v4, s[0:3], 0 offen offset:4
	buffer_load_dword v3, v4, s[0:3], 0 offen offset:8
	;; [unrolled: 1-line block ×3, first 2 shown]
	s_waitcnt vmcnt(0)
	ds_write_b128 v52, v[1:4]
	s_waitcnt lgkmcnt(0)
	s_waitcnt_vscnt null, 0x0
	s_barrier
	buffer_gl0_inv
	s_and_saveexec_b32 s8, s5
	s_cbranch_execz .LBB22_99
; %bb.92:
	ds_read_b128 v[1:4], v52
	s_andn2_b32 vcc_lo, exec_lo, s29
	s_cbranch_vccnz .LBB22_94
; %bb.93:
	s_clause 0x3
	buffer_load_dword v53, v51, s[0:3], 0 offen offset:8
	buffer_load_dword v54, v51, s[0:3], 0 offen offset:12
	buffer_load_dword v55, v51, s[0:3], 0 offen
	buffer_load_dword v56, v51, s[0:3], 0 offen offset:4
	s_waitcnt vmcnt(2) lgkmcnt(0)
	v_mul_f64 v[58:59], v[3:4], v[53:54]
	v_mul_f64 v[53:54], v[1:2], v[53:54]
	s_waitcnt vmcnt(0)
	v_fma_f64 v[1:2], v[1:2], v[55:56], -v[58:59]
	v_fma_f64 v[3:4], v[3:4], v[55:56], v[53:54]
.LBB22_94:
	s_and_saveexec_b32 s30, s4
	s_cbranch_execz .LBB22_98
; %bb.95:
	v_add_nc_u32_e32 v53, -11, v0
	s_movk_i32 s31, 0x220
	s_mov_b32 s4, 0
	s_mov_b32 s33, s18
	.p2align	6
.LBB22_96:                              ; =>This Inner Loop Header: Depth=1
	v_mov_b32_e32 v56, s33
	v_add_nc_u32_e32 v53, -1, v53
	s_add_i32 s33, s33, 16
	s_clause 0x3
	buffer_load_dword v54, v56, s[0:3], 0 offen offset:8
	buffer_load_dword v55, v56, s[0:3], 0 offen offset:12
	buffer_load_dword v62, v56, s[0:3], 0 offen
	buffer_load_dword v63, v56, s[0:3], 0 offen offset:4
	v_mov_b32_e32 v56, s31
	v_cmp_eq_u32_e32 vcc_lo, 0, v53
	s_add_i32 s31, s31, 16
	ds_read_b128 v[58:61], v56
	s_or_b32 s4, vcc_lo, s4
	s_waitcnt vmcnt(2) lgkmcnt(0)
	v_mul_f64 v[64:65], v[60:61], v[54:55]
	v_mul_f64 v[54:55], v[58:59], v[54:55]
	s_waitcnt vmcnt(0)
	v_fma_f64 v[58:59], v[58:59], v[62:63], -v[64:65]
	v_fma_f64 v[54:55], v[60:61], v[62:63], v[54:55]
	v_add_f64 v[1:2], v[1:2], v[58:59]
	v_add_f64 v[3:4], v[3:4], v[54:55]
	s_andn2_b32 exec_lo, exec_lo, s4
	s_cbranch_execnz .LBB22_96
; %bb.97:
	s_or_b32 exec_lo, exec_lo, s4
.LBB22_98:
	s_or_b32 exec_lo, exec_lo, s30
	v_mov_b32_e32 v53, 0
	ds_read_b128 v[53:56], v53 offset:160
	s_waitcnt lgkmcnt(0)
	v_mul_f64 v[58:59], v[3:4], v[55:56]
	v_mul_f64 v[55:56], v[1:2], v[55:56]
	v_fma_f64 v[1:2], v[1:2], v[53:54], -v[58:59]
	v_fma_f64 v[3:4], v[3:4], v[53:54], v[55:56]
	buffer_store_dword v2, off, s[0:3], 0 offset:164
	buffer_store_dword v1, off, s[0:3], 0 offset:160
	;; [unrolled: 1-line block ×4, first 2 shown]
.LBB22_99:
	s_or_b32 exec_lo, exec_lo, s8
	v_mov_b32_e32 v4, s20
	v_cmp_lt_u32_e64 s4, 9, v0
	s_clause 0x3
	buffer_load_dword v1, v4, s[0:3], 0 offen
	buffer_load_dword v2, v4, s[0:3], 0 offen offset:4
	buffer_load_dword v3, v4, s[0:3], 0 offen offset:8
	;; [unrolled: 1-line block ×3, first 2 shown]
	s_waitcnt vmcnt(0)
	ds_write_b128 v52, v[1:4]
	s_waitcnt lgkmcnt(0)
	s_waitcnt_vscnt null, 0x0
	s_barrier
	buffer_gl0_inv
	s_and_saveexec_b32 s8, s4
	s_cbranch_execz .LBB22_107
; %bb.100:
	ds_read_b128 v[1:4], v52
	s_andn2_b32 vcc_lo, exec_lo, s29
	s_cbranch_vccnz .LBB22_102
; %bb.101:
	s_clause 0x3
	buffer_load_dword v53, v51, s[0:3], 0 offen offset:8
	buffer_load_dword v54, v51, s[0:3], 0 offen offset:12
	buffer_load_dword v55, v51, s[0:3], 0 offen
	buffer_load_dword v56, v51, s[0:3], 0 offen offset:4
	s_waitcnt vmcnt(2) lgkmcnt(0)
	v_mul_f64 v[58:59], v[3:4], v[53:54]
	v_mul_f64 v[53:54], v[1:2], v[53:54]
	s_waitcnt vmcnt(0)
	v_fma_f64 v[1:2], v[1:2], v[55:56], -v[58:59]
	v_fma_f64 v[3:4], v[3:4], v[55:56], v[53:54]
.LBB22_102:
	s_and_saveexec_b32 s30, s5
	s_cbranch_execz .LBB22_106
; %bb.103:
	v_add_nc_u32_e32 v53, -10, v0
	s_movk_i32 s31, 0x210
	s_mov_b32 s5, 0
	s_mov_b32 s33, s19
	.p2align	6
.LBB22_104:                             ; =>This Inner Loop Header: Depth=1
	v_mov_b32_e32 v56, s33
	v_add_nc_u32_e32 v53, -1, v53
	s_add_i32 s33, s33, 16
	s_clause 0x3
	buffer_load_dword v54, v56, s[0:3], 0 offen offset:8
	buffer_load_dword v55, v56, s[0:3], 0 offen offset:12
	buffer_load_dword v62, v56, s[0:3], 0 offen
	buffer_load_dword v63, v56, s[0:3], 0 offen offset:4
	v_mov_b32_e32 v56, s31
	v_cmp_eq_u32_e32 vcc_lo, 0, v53
	s_add_i32 s31, s31, 16
	ds_read_b128 v[58:61], v56
	s_or_b32 s5, vcc_lo, s5
	s_waitcnt vmcnt(2) lgkmcnt(0)
	v_mul_f64 v[64:65], v[60:61], v[54:55]
	v_mul_f64 v[54:55], v[58:59], v[54:55]
	s_waitcnt vmcnt(0)
	v_fma_f64 v[58:59], v[58:59], v[62:63], -v[64:65]
	v_fma_f64 v[54:55], v[60:61], v[62:63], v[54:55]
	v_add_f64 v[1:2], v[1:2], v[58:59]
	v_add_f64 v[3:4], v[3:4], v[54:55]
	s_andn2_b32 exec_lo, exec_lo, s5
	s_cbranch_execnz .LBB22_104
; %bb.105:
	s_or_b32 exec_lo, exec_lo, s5
.LBB22_106:
	s_or_b32 exec_lo, exec_lo, s30
	v_mov_b32_e32 v53, 0
	ds_read_b128 v[53:56], v53 offset:144
	s_waitcnt lgkmcnt(0)
	v_mul_f64 v[58:59], v[3:4], v[55:56]
	v_mul_f64 v[55:56], v[1:2], v[55:56]
	v_fma_f64 v[1:2], v[1:2], v[53:54], -v[58:59]
	v_fma_f64 v[3:4], v[3:4], v[53:54], v[55:56]
	buffer_store_dword v2, off, s[0:3], 0 offset:148
	buffer_store_dword v1, off, s[0:3], 0 offset:144
	;; [unrolled: 1-line block ×4, first 2 shown]
.LBB22_107:
	s_or_b32 exec_lo, exec_lo, s8
	v_mov_b32_e32 v4, s21
	v_cmp_lt_u32_e64 s5, 8, v0
	s_clause 0x3
	buffer_load_dword v1, v4, s[0:3], 0 offen
	buffer_load_dword v2, v4, s[0:3], 0 offen offset:4
	buffer_load_dword v3, v4, s[0:3], 0 offen offset:8
	;; [unrolled: 1-line block ×3, first 2 shown]
	s_waitcnt vmcnt(0)
	ds_write_b128 v52, v[1:4]
	s_waitcnt lgkmcnt(0)
	s_waitcnt_vscnt null, 0x0
	s_barrier
	buffer_gl0_inv
	s_and_saveexec_b32 s8, s5
	s_cbranch_execz .LBB22_115
; %bb.108:
	ds_read_b128 v[1:4], v52
	s_andn2_b32 vcc_lo, exec_lo, s29
	s_cbranch_vccnz .LBB22_110
; %bb.109:
	s_clause 0x3
	buffer_load_dword v53, v51, s[0:3], 0 offen offset:8
	buffer_load_dword v54, v51, s[0:3], 0 offen offset:12
	buffer_load_dword v55, v51, s[0:3], 0 offen
	buffer_load_dword v56, v51, s[0:3], 0 offen offset:4
	s_waitcnt vmcnt(2) lgkmcnt(0)
	v_mul_f64 v[58:59], v[3:4], v[53:54]
	v_mul_f64 v[53:54], v[1:2], v[53:54]
	s_waitcnt vmcnt(0)
	v_fma_f64 v[1:2], v[1:2], v[55:56], -v[58:59]
	v_fma_f64 v[3:4], v[3:4], v[55:56], v[53:54]
.LBB22_110:
	s_and_saveexec_b32 s30, s4
	s_cbranch_execz .LBB22_114
; %bb.111:
	v_add_nc_u32_e32 v53, -9, v0
	s_movk_i32 s31, 0x200
	s_mov_b32 s4, 0
	s_mov_b32 s33, s20
	.p2align	6
.LBB22_112:                             ; =>This Inner Loop Header: Depth=1
	v_mov_b32_e32 v56, s33
	v_add_nc_u32_e32 v53, -1, v53
	s_add_i32 s33, s33, 16
	s_clause 0x3
	buffer_load_dword v54, v56, s[0:3], 0 offen offset:8
	buffer_load_dword v55, v56, s[0:3], 0 offen offset:12
	buffer_load_dword v62, v56, s[0:3], 0 offen
	buffer_load_dword v63, v56, s[0:3], 0 offen offset:4
	v_mov_b32_e32 v56, s31
	v_cmp_eq_u32_e32 vcc_lo, 0, v53
	s_add_i32 s31, s31, 16
	ds_read_b128 v[58:61], v56
	s_or_b32 s4, vcc_lo, s4
	s_waitcnt vmcnt(2) lgkmcnt(0)
	v_mul_f64 v[64:65], v[60:61], v[54:55]
	v_mul_f64 v[54:55], v[58:59], v[54:55]
	s_waitcnt vmcnt(0)
	v_fma_f64 v[58:59], v[58:59], v[62:63], -v[64:65]
	v_fma_f64 v[54:55], v[60:61], v[62:63], v[54:55]
	v_add_f64 v[1:2], v[1:2], v[58:59]
	v_add_f64 v[3:4], v[3:4], v[54:55]
	s_andn2_b32 exec_lo, exec_lo, s4
	s_cbranch_execnz .LBB22_112
; %bb.113:
	s_or_b32 exec_lo, exec_lo, s4
.LBB22_114:
	s_or_b32 exec_lo, exec_lo, s30
	v_mov_b32_e32 v53, 0
	ds_read_b128 v[53:56], v53 offset:128
	s_waitcnt lgkmcnt(0)
	v_mul_f64 v[58:59], v[3:4], v[55:56]
	v_mul_f64 v[55:56], v[1:2], v[55:56]
	v_fma_f64 v[1:2], v[1:2], v[53:54], -v[58:59]
	v_fma_f64 v[3:4], v[3:4], v[53:54], v[55:56]
	buffer_store_dword v2, off, s[0:3], 0 offset:132
	buffer_store_dword v1, off, s[0:3], 0 offset:128
	;; [unrolled: 1-line block ×4, first 2 shown]
.LBB22_115:
	s_or_b32 exec_lo, exec_lo, s8
	v_mov_b32_e32 v4, s22
	v_cmp_lt_u32_e64 s4, 7, v0
	s_clause 0x3
	buffer_load_dword v1, v4, s[0:3], 0 offen
	buffer_load_dword v2, v4, s[0:3], 0 offen offset:4
	buffer_load_dword v3, v4, s[0:3], 0 offen offset:8
	;; [unrolled: 1-line block ×3, first 2 shown]
	s_waitcnt vmcnt(0)
	ds_write_b128 v52, v[1:4]
	s_waitcnt lgkmcnt(0)
	s_waitcnt_vscnt null, 0x0
	s_barrier
	buffer_gl0_inv
	s_and_saveexec_b32 s8, s4
	s_cbranch_execz .LBB22_123
; %bb.116:
	ds_read_b128 v[1:4], v52
	s_andn2_b32 vcc_lo, exec_lo, s29
	s_cbranch_vccnz .LBB22_118
; %bb.117:
	s_clause 0x3
	buffer_load_dword v53, v51, s[0:3], 0 offen offset:8
	buffer_load_dword v54, v51, s[0:3], 0 offen offset:12
	buffer_load_dword v55, v51, s[0:3], 0 offen
	buffer_load_dword v56, v51, s[0:3], 0 offen offset:4
	s_waitcnt vmcnt(2) lgkmcnt(0)
	v_mul_f64 v[58:59], v[3:4], v[53:54]
	v_mul_f64 v[53:54], v[1:2], v[53:54]
	s_waitcnt vmcnt(0)
	v_fma_f64 v[1:2], v[1:2], v[55:56], -v[58:59]
	v_fma_f64 v[3:4], v[3:4], v[55:56], v[53:54]
.LBB22_118:
	s_and_saveexec_b32 s30, s5
	s_cbranch_execz .LBB22_122
; %bb.119:
	v_add_nc_u32_e32 v53, -8, v0
	s_movk_i32 s31, 0x1f0
	s_mov_b32 s5, 0
	s_mov_b32 s33, s21
	.p2align	6
.LBB22_120:                             ; =>This Inner Loop Header: Depth=1
	v_mov_b32_e32 v56, s33
	v_add_nc_u32_e32 v53, -1, v53
	s_add_i32 s33, s33, 16
	s_clause 0x3
	buffer_load_dword v54, v56, s[0:3], 0 offen offset:8
	buffer_load_dword v55, v56, s[0:3], 0 offen offset:12
	buffer_load_dword v62, v56, s[0:3], 0 offen
	buffer_load_dword v63, v56, s[0:3], 0 offen offset:4
	v_mov_b32_e32 v56, s31
	v_cmp_eq_u32_e32 vcc_lo, 0, v53
	s_add_i32 s31, s31, 16
	ds_read_b128 v[58:61], v56
	s_or_b32 s5, vcc_lo, s5
	s_waitcnt vmcnt(2) lgkmcnt(0)
	v_mul_f64 v[64:65], v[60:61], v[54:55]
	v_mul_f64 v[54:55], v[58:59], v[54:55]
	s_waitcnt vmcnt(0)
	v_fma_f64 v[58:59], v[58:59], v[62:63], -v[64:65]
	v_fma_f64 v[54:55], v[60:61], v[62:63], v[54:55]
	v_add_f64 v[1:2], v[1:2], v[58:59]
	v_add_f64 v[3:4], v[3:4], v[54:55]
	s_andn2_b32 exec_lo, exec_lo, s5
	s_cbranch_execnz .LBB22_120
; %bb.121:
	s_or_b32 exec_lo, exec_lo, s5
.LBB22_122:
	s_or_b32 exec_lo, exec_lo, s30
	v_mov_b32_e32 v53, 0
	ds_read_b128 v[53:56], v53 offset:112
	s_waitcnt lgkmcnt(0)
	v_mul_f64 v[58:59], v[3:4], v[55:56]
	v_mul_f64 v[55:56], v[1:2], v[55:56]
	v_fma_f64 v[1:2], v[1:2], v[53:54], -v[58:59]
	v_fma_f64 v[3:4], v[3:4], v[53:54], v[55:56]
	buffer_store_dword v2, off, s[0:3], 0 offset:116
	buffer_store_dword v1, off, s[0:3], 0 offset:112
	;; [unrolled: 1-line block ×4, first 2 shown]
.LBB22_123:
	s_or_b32 exec_lo, exec_lo, s8
	v_mov_b32_e32 v4, s23
	v_cmp_lt_u32_e64 s5, 6, v0
	s_clause 0x3
	buffer_load_dword v1, v4, s[0:3], 0 offen
	buffer_load_dword v2, v4, s[0:3], 0 offen offset:4
	buffer_load_dword v3, v4, s[0:3], 0 offen offset:8
	;; [unrolled: 1-line block ×3, first 2 shown]
	s_waitcnt vmcnt(0)
	ds_write_b128 v52, v[1:4]
	s_waitcnt lgkmcnt(0)
	s_waitcnt_vscnt null, 0x0
	s_barrier
	buffer_gl0_inv
	s_and_saveexec_b32 s8, s5
	s_cbranch_execz .LBB22_131
; %bb.124:
	ds_read_b128 v[1:4], v52
	s_andn2_b32 vcc_lo, exec_lo, s29
	s_cbranch_vccnz .LBB22_126
; %bb.125:
	s_clause 0x3
	buffer_load_dword v53, v51, s[0:3], 0 offen offset:8
	buffer_load_dword v54, v51, s[0:3], 0 offen offset:12
	buffer_load_dword v55, v51, s[0:3], 0 offen
	buffer_load_dword v56, v51, s[0:3], 0 offen offset:4
	s_waitcnt vmcnt(2) lgkmcnt(0)
	v_mul_f64 v[58:59], v[3:4], v[53:54]
	v_mul_f64 v[53:54], v[1:2], v[53:54]
	s_waitcnt vmcnt(0)
	v_fma_f64 v[1:2], v[1:2], v[55:56], -v[58:59]
	v_fma_f64 v[3:4], v[3:4], v[55:56], v[53:54]
.LBB22_126:
	s_and_saveexec_b32 s30, s4
	s_cbranch_execz .LBB22_130
; %bb.127:
	v_add_nc_u32_e32 v53, -7, v0
	s_movk_i32 s31, 0x1e0
	s_mov_b32 s4, 0
	s_mov_b32 s33, s22
	.p2align	6
.LBB22_128:                             ; =>This Inner Loop Header: Depth=1
	v_mov_b32_e32 v56, s33
	v_add_nc_u32_e32 v53, -1, v53
	s_add_i32 s33, s33, 16
	s_clause 0x3
	buffer_load_dword v54, v56, s[0:3], 0 offen offset:8
	buffer_load_dword v55, v56, s[0:3], 0 offen offset:12
	buffer_load_dword v62, v56, s[0:3], 0 offen
	buffer_load_dword v63, v56, s[0:3], 0 offen offset:4
	v_mov_b32_e32 v56, s31
	v_cmp_eq_u32_e32 vcc_lo, 0, v53
	s_add_i32 s31, s31, 16
	ds_read_b128 v[58:61], v56
	s_or_b32 s4, vcc_lo, s4
	s_waitcnt vmcnt(2) lgkmcnt(0)
	v_mul_f64 v[64:65], v[60:61], v[54:55]
	v_mul_f64 v[54:55], v[58:59], v[54:55]
	s_waitcnt vmcnt(0)
	v_fma_f64 v[58:59], v[58:59], v[62:63], -v[64:65]
	v_fma_f64 v[54:55], v[60:61], v[62:63], v[54:55]
	v_add_f64 v[1:2], v[1:2], v[58:59]
	v_add_f64 v[3:4], v[3:4], v[54:55]
	s_andn2_b32 exec_lo, exec_lo, s4
	s_cbranch_execnz .LBB22_128
; %bb.129:
	s_or_b32 exec_lo, exec_lo, s4
.LBB22_130:
	s_or_b32 exec_lo, exec_lo, s30
	v_mov_b32_e32 v53, 0
	ds_read_b128 v[53:56], v53 offset:96
	s_waitcnt lgkmcnt(0)
	v_mul_f64 v[58:59], v[3:4], v[55:56]
	v_mul_f64 v[55:56], v[1:2], v[55:56]
	v_fma_f64 v[1:2], v[1:2], v[53:54], -v[58:59]
	v_fma_f64 v[3:4], v[3:4], v[53:54], v[55:56]
	buffer_store_dword v2, off, s[0:3], 0 offset:100
	buffer_store_dword v1, off, s[0:3], 0 offset:96
	;; [unrolled: 1-line block ×4, first 2 shown]
.LBB22_131:
	s_or_b32 exec_lo, exec_lo, s8
	v_mov_b32_e32 v4, s24
	v_cmp_lt_u32_e64 s4, 5, v0
	s_clause 0x3
	buffer_load_dword v1, v4, s[0:3], 0 offen
	buffer_load_dword v2, v4, s[0:3], 0 offen offset:4
	buffer_load_dword v3, v4, s[0:3], 0 offen offset:8
	;; [unrolled: 1-line block ×3, first 2 shown]
	s_waitcnt vmcnt(0)
	ds_write_b128 v52, v[1:4]
	s_waitcnt lgkmcnt(0)
	s_waitcnt_vscnt null, 0x0
	s_barrier
	buffer_gl0_inv
	s_and_saveexec_b32 s8, s4
	s_cbranch_execz .LBB22_139
; %bb.132:
	ds_read_b128 v[1:4], v52
	s_andn2_b32 vcc_lo, exec_lo, s29
	s_cbranch_vccnz .LBB22_134
; %bb.133:
	s_clause 0x3
	buffer_load_dword v53, v51, s[0:3], 0 offen offset:8
	buffer_load_dword v54, v51, s[0:3], 0 offen offset:12
	buffer_load_dword v55, v51, s[0:3], 0 offen
	buffer_load_dword v56, v51, s[0:3], 0 offen offset:4
	s_waitcnt vmcnt(2) lgkmcnt(0)
	v_mul_f64 v[58:59], v[3:4], v[53:54]
	v_mul_f64 v[53:54], v[1:2], v[53:54]
	s_waitcnt vmcnt(0)
	v_fma_f64 v[1:2], v[1:2], v[55:56], -v[58:59]
	v_fma_f64 v[3:4], v[3:4], v[55:56], v[53:54]
.LBB22_134:
	s_and_saveexec_b32 s30, s5
	s_cbranch_execz .LBB22_138
; %bb.135:
	v_add_nc_u32_e32 v53, -6, v0
	s_movk_i32 s31, 0x1d0
	s_mov_b32 s5, 0
	s_mov_b32 s33, s23
	.p2align	6
.LBB22_136:                             ; =>This Inner Loop Header: Depth=1
	v_mov_b32_e32 v56, s33
	v_add_nc_u32_e32 v53, -1, v53
	s_add_i32 s33, s33, 16
	s_clause 0x3
	buffer_load_dword v54, v56, s[0:3], 0 offen offset:8
	buffer_load_dword v55, v56, s[0:3], 0 offen offset:12
	buffer_load_dword v62, v56, s[0:3], 0 offen
	buffer_load_dword v63, v56, s[0:3], 0 offen offset:4
	v_mov_b32_e32 v56, s31
	v_cmp_eq_u32_e32 vcc_lo, 0, v53
	s_add_i32 s31, s31, 16
	ds_read_b128 v[58:61], v56
	s_or_b32 s5, vcc_lo, s5
	s_waitcnt vmcnt(2) lgkmcnt(0)
	v_mul_f64 v[64:65], v[60:61], v[54:55]
	v_mul_f64 v[54:55], v[58:59], v[54:55]
	s_waitcnt vmcnt(0)
	v_fma_f64 v[58:59], v[58:59], v[62:63], -v[64:65]
	v_fma_f64 v[54:55], v[60:61], v[62:63], v[54:55]
	v_add_f64 v[1:2], v[1:2], v[58:59]
	v_add_f64 v[3:4], v[3:4], v[54:55]
	s_andn2_b32 exec_lo, exec_lo, s5
	s_cbranch_execnz .LBB22_136
; %bb.137:
	s_or_b32 exec_lo, exec_lo, s5
.LBB22_138:
	s_or_b32 exec_lo, exec_lo, s30
	v_mov_b32_e32 v53, 0
	ds_read_b128 v[53:56], v53 offset:80
	s_waitcnt lgkmcnt(0)
	v_mul_f64 v[58:59], v[3:4], v[55:56]
	v_mul_f64 v[55:56], v[1:2], v[55:56]
	v_fma_f64 v[1:2], v[1:2], v[53:54], -v[58:59]
	v_fma_f64 v[3:4], v[3:4], v[53:54], v[55:56]
	buffer_store_dword v2, off, s[0:3], 0 offset:84
	buffer_store_dword v1, off, s[0:3], 0 offset:80
	buffer_store_dword v4, off, s[0:3], 0 offset:92
	buffer_store_dword v3, off, s[0:3], 0 offset:88
.LBB22_139:
	s_or_b32 exec_lo, exec_lo, s8
	v_mov_b32_e32 v4, s25
	v_cmp_lt_u32_e64 s5, 4, v0
	s_clause 0x3
	buffer_load_dword v1, v4, s[0:3], 0 offen
	buffer_load_dword v2, v4, s[0:3], 0 offen offset:4
	buffer_load_dword v3, v4, s[0:3], 0 offen offset:8
	;; [unrolled: 1-line block ×3, first 2 shown]
	s_waitcnt vmcnt(0)
	ds_write_b128 v52, v[1:4]
	s_waitcnt lgkmcnt(0)
	s_waitcnt_vscnt null, 0x0
	s_barrier
	buffer_gl0_inv
	s_and_saveexec_b32 s8, s5
	s_cbranch_execz .LBB22_147
; %bb.140:
	ds_read_b128 v[1:4], v52
	s_andn2_b32 vcc_lo, exec_lo, s29
	s_cbranch_vccnz .LBB22_142
; %bb.141:
	s_clause 0x3
	buffer_load_dword v53, v51, s[0:3], 0 offen offset:8
	buffer_load_dword v54, v51, s[0:3], 0 offen offset:12
	buffer_load_dword v55, v51, s[0:3], 0 offen
	buffer_load_dword v56, v51, s[0:3], 0 offen offset:4
	s_waitcnt vmcnt(2) lgkmcnt(0)
	v_mul_f64 v[58:59], v[3:4], v[53:54]
	v_mul_f64 v[53:54], v[1:2], v[53:54]
	s_waitcnt vmcnt(0)
	v_fma_f64 v[1:2], v[1:2], v[55:56], -v[58:59]
	v_fma_f64 v[3:4], v[3:4], v[55:56], v[53:54]
.LBB22_142:
	s_and_saveexec_b32 s30, s4
	s_cbranch_execz .LBB22_146
; %bb.143:
	v_add_nc_u32_e32 v53, -5, v0
	s_movk_i32 s31, 0x1c0
	s_mov_b32 s4, 0
	s_mov_b32 s33, s24
	.p2align	6
.LBB22_144:                             ; =>This Inner Loop Header: Depth=1
	v_mov_b32_e32 v56, s33
	v_add_nc_u32_e32 v53, -1, v53
	s_add_i32 s33, s33, 16
	s_clause 0x3
	buffer_load_dword v54, v56, s[0:3], 0 offen offset:8
	buffer_load_dword v55, v56, s[0:3], 0 offen offset:12
	buffer_load_dword v62, v56, s[0:3], 0 offen
	buffer_load_dword v63, v56, s[0:3], 0 offen offset:4
	v_mov_b32_e32 v56, s31
	v_cmp_eq_u32_e32 vcc_lo, 0, v53
	s_add_i32 s31, s31, 16
	ds_read_b128 v[58:61], v56
	s_or_b32 s4, vcc_lo, s4
	s_waitcnt vmcnt(2) lgkmcnt(0)
	v_mul_f64 v[64:65], v[60:61], v[54:55]
	v_mul_f64 v[54:55], v[58:59], v[54:55]
	s_waitcnt vmcnt(0)
	v_fma_f64 v[58:59], v[58:59], v[62:63], -v[64:65]
	v_fma_f64 v[54:55], v[60:61], v[62:63], v[54:55]
	v_add_f64 v[1:2], v[1:2], v[58:59]
	v_add_f64 v[3:4], v[3:4], v[54:55]
	s_andn2_b32 exec_lo, exec_lo, s4
	s_cbranch_execnz .LBB22_144
; %bb.145:
	s_or_b32 exec_lo, exec_lo, s4
.LBB22_146:
	s_or_b32 exec_lo, exec_lo, s30
	v_mov_b32_e32 v53, 0
	ds_read_b128 v[53:56], v53 offset:64
	s_waitcnt lgkmcnt(0)
	v_mul_f64 v[58:59], v[3:4], v[55:56]
	v_mul_f64 v[55:56], v[1:2], v[55:56]
	v_fma_f64 v[1:2], v[1:2], v[53:54], -v[58:59]
	v_fma_f64 v[3:4], v[3:4], v[53:54], v[55:56]
	buffer_store_dword v2, off, s[0:3], 0 offset:68
	buffer_store_dword v1, off, s[0:3], 0 offset:64
	;; [unrolled: 1-line block ×4, first 2 shown]
.LBB22_147:
	s_or_b32 exec_lo, exec_lo, s8
	v_mov_b32_e32 v4, s26
	v_cmp_lt_u32_e64 s4, 3, v0
	s_clause 0x3
	buffer_load_dword v1, v4, s[0:3], 0 offen
	buffer_load_dword v2, v4, s[0:3], 0 offen offset:4
	buffer_load_dword v3, v4, s[0:3], 0 offen offset:8
	;; [unrolled: 1-line block ×3, first 2 shown]
	s_waitcnt vmcnt(0)
	ds_write_b128 v52, v[1:4]
	s_waitcnt lgkmcnt(0)
	s_waitcnt_vscnt null, 0x0
	s_barrier
	buffer_gl0_inv
	s_and_saveexec_b32 s8, s4
	s_cbranch_execz .LBB22_155
; %bb.148:
	ds_read_b128 v[1:4], v52
	s_andn2_b32 vcc_lo, exec_lo, s29
	s_cbranch_vccnz .LBB22_150
; %bb.149:
	s_clause 0x3
	buffer_load_dword v53, v51, s[0:3], 0 offen offset:8
	buffer_load_dword v54, v51, s[0:3], 0 offen offset:12
	buffer_load_dword v55, v51, s[0:3], 0 offen
	buffer_load_dword v56, v51, s[0:3], 0 offen offset:4
	s_waitcnt vmcnt(2) lgkmcnt(0)
	v_mul_f64 v[58:59], v[3:4], v[53:54]
	v_mul_f64 v[53:54], v[1:2], v[53:54]
	s_waitcnt vmcnt(0)
	v_fma_f64 v[1:2], v[1:2], v[55:56], -v[58:59]
	v_fma_f64 v[3:4], v[3:4], v[55:56], v[53:54]
.LBB22_150:
	s_and_saveexec_b32 s30, s5
	s_cbranch_execz .LBB22_154
; %bb.151:
	v_add_nc_u32_e32 v53, -4, v0
	s_movk_i32 s31, 0x1b0
	s_mov_b32 s5, 0
	s_mov_b32 s33, s25
	.p2align	6
.LBB22_152:                             ; =>This Inner Loop Header: Depth=1
	v_mov_b32_e32 v56, s33
	v_add_nc_u32_e32 v53, -1, v53
	s_add_i32 s33, s33, 16
	s_clause 0x3
	buffer_load_dword v54, v56, s[0:3], 0 offen offset:8
	buffer_load_dword v55, v56, s[0:3], 0 offen offset:12
	buffer_load_dword v62, v56, s[0:3], 0 offen
	buffer_load_dword v63, v56, s[0:3], 0 offen offset:4
	v_mov_b32_e32 v56, s31
	v_cmp_eq_u32_e32 vcc_lo, 0, v53
	s_add_i32 s31, s31, 16
	ds_read_b128 v[58:61], v56
	s_or_b32 s5, vcc_lo, s5
	s_waitcnt vmcnt(2) lgkmcnt(0)
	v_mul_f64 v[64:65], v[60:61], v[54:55]
	v_mul_f64 v[54:55], v[58:59], v[54:55]
	s_waitcnt vmcnt(0)
	v_fma_f64 v[58:59], v[58:59], v[62:63], -v[64:65]
	v_fma_f64 v[54:55], v[60:61], v[62:63], v[54:55]
	v_add_f64 v[1:2], v[1:2], v[58:59]
	v_add_f64 v[3:4], v[3:4], v[54:55]
	s_andn2_b32 exec_lo, exec_lo, s5
	s_cbranch_execnz .LBB22_152
; %bb.153:
	s_or_b32 exec_lo, exec_lo, s5
.LBB22_154:
	s_or_b32 exec_lo, exec_lo, s30
	v_mov_b32_e32 v53, 0
	ds_read_b128 v[53:56], v53 offset:48
	s_waitcnt lgkmcnt(0)
	v_mul_f64 v[58:59], v[3:4], v[55:56]
	v_mul_f64 v[55:56], v[1:2], v[55:56]
	v_fma_f64 v[1:2], v[1:2], v[53:54], -v[58:59]
	v_fma_f64 v[3:4], v[3:4], v[53:54], v[55:56]
	buffer_store_dword v2, off, s[0:3], 0 offset:52
	buffer_store_dword v1, off, s[0:3], 0 offset:48
	;; [unrolled: 1-line block ×4, first 2 shown]
.LBB22_155:
	s_or_b32 exec_lo, exec_lo, s8
	v_mov_b32_e32 v4, s27
	v_cmp_lt_u32_e64 s5, 2, v0
	s_clause 0x3
	buffer_load_dword v1, v4, s[0:3], 0 offen
	buffer_load_dword v2, v4, s[0:3], 0 offen offset:4
	buffer_load_dword v3, v4, s[0:3], 0 offen offset:8
	;; [unrolled: 1-line block ×3, first 2 shown]
	s_waitcnt vmcnt(0)
	ds_write_b128 v52, v[1:4]
	s_waitcnt lgkmcnt(0)
	s_waitcnt_vscnt null, 0x0
	s_barrier
	buffer_gl0_inv
	s_and_saveexec_b32 s8, s5
	s_cbranch_execz .LBB22_163
; %bb.156:
	ds_read_b128 v[1:4], v52
	s_andn2_b32 vcc_lo, exec_lo, s29
	s_cbranch_vccnz .LBB22_158
; %bb.157:
	s_clause 0x3
	buffer_load_dword v53, v51, s[0:3], 0 offen offset:8
	buffer_load_dword v54, v51, s[0:3], 0 offen offset:12
	buffer_load_dword v55, v51, s[0:3], 0 offen
	buffer_load_dword v56, v51, s[0:3], 0 offen offset:4
	s_waitcnt vmcnt(2) lgkmcnt(0)
	v_mul_f64 v[58:59], v[3:4], v[53:54]
	v_mul_f64 v[53:54], v[1:2], v[53:54]
	s_waitcnt vmcnt(0)
	v_fma_f64 v[1:2], v[1:2], v[55:56], -v[58:59]
	v_fma_f64 v[3:4], v[3:4], v[55:56], v[53:54]
.LBB22_158:
	s_and_saveexec_b32 s30, s4
	s_cbranch_execz .LBB22_162
; %bb.159:
	v_add_nc_u32_e32 v53, -3, v0
	s_movk_i32 s31, 0x1a0
	s_mov_b32 s4, 0
	s_mov_b32 s33, s26
	.p2align	6
.LBB22_160:                             ; =>This Inner Loop Header: Depth=1
	v_mov_b32_e32 v56, s33
	v_add_nc_u32_e32 v53, -1, v53
	s_add_i32 s33, s33, 16
	s_clause 0x3
	buffer_load_dword v54, v56, s[0:3], 0 offen offset:8
	buffer_load_dword v55, v56, s[0:3], 0 offen offset:12
	buffer_load_dword v62, v56, s[0:3], 0 offen
	buffer_load_dword v63, v56, s[0:3], 0 offen offset:4
	v_mov_b32_e32 v56, s31
	v_cmp_eq_u32_e32 vcc_lo, 0, v53
	s_add_i32 s31, s31, 16
	ds_read_b128 v[58:61], v56
	s_or_b32 s4, vcc_lo, s4
	s_waitcnt vmcnt(2) lgkmcnt(0)
	v_mul_f64 v[64:65], v[60:61], v[54:55]
	v_mul_f64 v[54:55], v[58:59], v[54:55]
	s_waitcnt vmcnt(0)
	v_fma_f64 v[58:59], v[58:59], v[62:63], -v[64:65]
	v_fma_f64 v[54:55], v[60:61], v[62:63], v[54:55]
	v_add_f64 v[1:2], v[1:2], v[58:59]
	v_add_f64 v[3:4], v[3:4], v[54:55]
	s_andn2_b32 exec_lo, exec_lo, s4
	s_cbranch_execnz .LBB22_160
; %bb.161:
	s_or_b32 exec_lo, exec_lo, s4
.LBB22_162:
	s_or_b32 exec_lo, exec_lo, s30
	v_mov_b32_e32 v53, 0
	ds_read_b128 v[53:56], v53 offset:32
	s_waitcnt lgkmcnt(0)
	v_mul_f64 v[58:59], v[3:4], v[55:56]
	v_mul_f64 v[55:56], v[1:2], v[55:56]
	v_fma_f64 v[1:2], v[1:2], v[53:54], -v[58:59]
	v_fma_f64 v[3:4], v[3:4], v[53:54], v[55:56]
	buffer_store_dword v2, off, s[0:3], 0 offset:36
	buffer_store_dword v1, off, s[0:3], 0 offset:32
	;; [unrolled: 1-line block ×4, first 2 shown]
.LBB22_163:
	s_or_b32 exec_lo, exec_lo, s8
	v_mov_b32_e32 v4, s28
	v_cmp_lt_u32_e64 s4, 1, v0
	s_clause 0x3
	buffer_load_dword v1, v4, s[0:3], 0 offen
	buffer_load_dword v2, v4, s[0:3], 0 offen offset:4
	buffer_load_dword v3, v4, s[0:3], 0 offen offset:8
	;; [unrolled: 1-line block ×3, first 2 shown]
	s_waitcnt vmcnt(0)
	ds_write_b128 v52, v[1:4]
	s_waitcnt lgkmcnt(0)
	s_waitcnt_vscnt null, 0x0
	s_barrier
	buffer_gl0_inv
	s_and_saveexec_b32 s8, s4
	s_cbranch_execz .LBB22_171
; %bb.164:
	ds_read_b128 v[1:4], v52
	s_andn2_b32 vcc_lo, exec_lo, s29
	s_cbranch_vccnz .LBB22_166
; %bb.165:
	s_clause 0x3
	buffer_load_dword v53, v51, s[0:3], 0 offen offset:8
	buffer_load_dword v54, v51, s[0:3], 0 offen offset:12
	buffer_load_dword v55, v51, s[0:3], 0 offen
	buffer_load_dword v56, v51, s[0:3], 0 offen offset:4
	s_waitcnt vmcnt(2) lgkmcnt(0)
	v_mul_f64 v[58:59], v[3:4], v[53:54]
	v_mul_f64 v[53:54], v[1:2], v[53:54]
	s_waitcnt vmcnt(0)
	v_fma_f64 v[1:2], v[1:2], v[55:56], -v[58:59]
	v_fma_f64 v[3:4], v[3:4], v[55:56], v[53:54]
.LBB22_166:
	s_and_saveexec_b32 s30, s5
	s_cbranch_execz .LBB22_170
; %bb.167:
	v_add_nc_u32_e32 v53, -2, v0
	s_movk_i32 s31, 0x190
	s_mov_b32 s5, 0
	s_mov_b32 s33, s27
	.p2align	6
.LBB22_168:                             ; =>This Inner Loop Header: Depth=1
	v_mov_b32_e32 v56, s33
	v_add_nc_u32_e32 v53, -1, v53
	s_add_i32 s33, s33, 16
	s_clause 0x3
	buffer_load_dword v54, v56, s[0:3], 0 offen offset:8
	buffer_load_dword v55, v56, s[0:3], 0 offen offset:12
	buffer_load_dword v62, v56, s[0:3], 0 offen
	buffer_load_dword v63, v56, s[0:3], 0 offen offset:4
	v_mov_b32_e32 v56, s31
	v_cmp_eq_u32_e32 vcc_lo, 0, v53
	s_add_i32 s31, s31, 16
	ds_read_b128 v[58:61], v56
	s_or_b32 s5, vcc_lo, s5
	s_waitcnt vmcnt(2) lgkmcnt(0)
	v_mul_f64 v[64:65], v[60:61], v[54:55]
	v_mul_f64 v[54:55], v[58:59], v[54:55]
	s_waitcnt vmcnt(0)
	v_fma_f64 v[58:59], v[58:59], v[62:63], -v[64:65]
	v_fma_f64 v[54:55], v[60:61], v[62:63], v[54:55]
	v_add_f64 v[1:2], v[1:2], v[58:59]
	v_add_f64 v[3:4], v[3:4], v[54:55]
	s_andn2_b32 exec_lo, exec_lo, s5
	s_cbranch_execnz .LBB22_168
; %bb.169:
	s_or_b32 exec_lo, exec_lo, s5
.LBB22_170:
	s_or_b32 exec_lo, exec_lo, s30
	v_mov_b32_e32 v53, 0
	ds_read_b128 v[53:56], v53 offset:16
	s_waitcnt lgkmcnt(0)
	v_mul_f64 v[58:59], v[3:4], v[55:56]
	v_mul_f64 v[55:56], v[1:2], v[55:56]
	v_fma_f64 v[1:2], v[1:2], v[53:54], -v[58:59]
	v_fma_f64 v[3:4], v[3:4], v[53:54], v[55:56]
	buffer_store_dword v2, off, s[0:3], 0 offset:20
	buffer_store_dword v1, off, s[0:3], 0 offset:16
	;; [unrolled: 1-line block ×4, first 2 shown]
.LBB22_171:
	s_or_b32 exec_lo, exec_lo, s8
	s_clause 0x3
	buffer_load_dword v1, off, s[0:3], 0
	buffer_load_dword v2, off, s[0:3], 0 offset:4
	buffer_load_dword v3, off, s[0:3], 0 offset:8
	;; [unrolled: 1-line block ×3, first 2 shown]
	s_mov_b32 s8, 0
	s_mov_b32 s5, 0
	s_mov_b32 s30, exec_lo
                                        ; implicit-def: $sgpr31
	s_waitcnt vmcnt(0)
	ds_write_b128 v52, v[1:4]
	s_waitcnt lgkmcnt(0)
	s_waitcnt_vscnt null, 0x0
	s_barrier
	buffer_gl0_inv
                                        ; implicit-def: $vgpr1_vgpr2
	v_cmpx_ne_u32_e32 0, v0
	s_cbranch_execz .LBB22_179
; %bb.172:
	ds_read_b128 v[1:4], v52
	s_andn2_b32 vcc_lo, exec_lo, s29
	s_cbranch_vccnz .LBB22_174
; %bb.173:
	s_clause 0x3
	buffer_load_dword v53, v51, s[0:3], 0 offen offset:8
	buffer_load_dword v54, v51, s[0:3], 0 offen offset:12
	buffer_load_dword v55, v51, s[0:3], 0 offen
	buffer_load_dword v56, v51, s[0:3], 0 offen offset:4
	s_waitcnt vmcnt(2) lgkmcnt(0)
	v_mul_f64 v[58:59], v[3:4], v[53:54]
	v_mul_f64 v[53:54], v[1:2], v[53:54]
	s_waitcnt vmcnt(0)
	v_fma_f64 v[1:2], v[1:2], v[55:56], -v[58:59]
	v_fma_f64 v[3:4], v[3:4], v[55:56], v[53:54]
.LBB22_174:
	s_and_saveexec_b32 s5, s4
	s_cbranch_execz .LBB22_178
; %bb.175:
	v_add_nc_u32_e32 v53, -1, v0
	s_movk_i32 s31, 0x180
	s_mov_b32 s4, 0
	s_mov_b32 s33, s28
	.p2align	6
.LBB22_176:                             ; =>This Inner Loop Header: Depth=1
	v_mov_b32_e32 v56, s33
	v_add_nc_u32_e32 v53, -1, v53
	s_add_i32 s33, s33, 16
	s_clause 0x3
	buffer_load_dword v54, v56, s[0:3], 0 offen offset:8
	buffer_load_dword v55, v56, s[0:3], 0 offen offset:12
	buffer_load_dword v62, v56, s[0:3], 0 offen
	buffer_load_dword v63, v56, s[0:3], 0 offen offset:4
	v_mov_b32_e32 v56, s31
	v_cmp_eq_u32_e32 vcc_lo, 0, v53
	s_add_i32 s31, s31, 16
	ds_read_b128 v[58:61], v56
	s_or_b32 s4, vcc_lo, s4
	s_waitcnt vmcnt(2) lgkmcnt(0)
	v_mul_f64 v[64:65], v[60:61], v[54:55]
	v_mul_f64 v[54:55], v[58:59], v[54:55]
	s_waitcnt vmcnt(0)
	v_fma_f64 v[58:59], v[58:59], v[62:63], -v[64:65]
	v_fma_f64 v[54:55], v[60:61], v[62:63], v[54:55]
	v_add_f64 v[1:2], v[1:2], v[58:59]
	v_add_f64 v[3:4], v[3:4], v[54:55]
	s_andn2_b32 exec_lo, exec_lo, s4
	s_cbranch_execnz .LBB22_176
; %bb.177:
	s_or_b32 exec_lo, exec_lo, s4
.LBB22_178:
	s_or_b32 exec_lo, exec_lo, s5
	v_mov_b32_e32 v53, 0
	s_mov_b32 s5, exec_lo
	s_or_b32 s31, 0, 8
	ds_read_b128 v[53:56], v53
	s_waitcnt lgkmcnt(0)
	v_mul_f64 v[58:59], v[3:4], v[55:56]
	v_mul_f64 v[55:56], v[1:2], v[55:56]
	v_fma_f64 v[58:59], v[1:2], v[53:54], -v[58:59]
	v_fma_f64 v[1:2], v[3:4], v[53:54], v[55:56]
	buffer_store_dword v59, off, s[0:3], 0 offset:4
	buffer_store_dword v58, off, s[0:3], 0
.LBB22_179:
	s_or_b32 exec_lo, exec_lo, s30
	s_and_b32 vcc_lo, exec_lo, s8
	s_cbranch_vccnz .LBB22_181
	s_branch .LBB22_352
.LBB22_180:
	s_mov_b32 s5, 0
                                        ; implicit-def: $vgpr1_vgpr2
                                        ; implicit-def: $sgpr31
	s_cbranch_execz .LBB22_352
.LBB22_181:
	v_mov_b32_e32 v4, s28
	v_cmp_eq_u32_e64 s4, 0, v0
	v_cndmask_b32_e64 v53, 0, 1, s29
	s_clause 0x3
	buffer_load_dword v1, v4, s[0:3], 0 offen
	buffer_load_dword v2, v4, s[0:3], 0 offen offset:4
	buffer_load_dword v3, v4, s[0:3], 0 offen offset:8
	;; [unrolled: 1-line block ×3, first 2 shown]
	s_waitcnt vmcnt(0)
	ds_write_b128 v52, v[1:4]
	s_waitcnt lgkmcnt(0)
	s_waitcnt_vscnt null, 0x0
	s_barrier
	buffer_gl0_inv
	s_and_saveexec_b32 s8, s4
	s_cbranch_execz .LBB22_185
; %bb.182:
	ds_read_b128 v[1:4], v52
	s_andn2_b32 vcc_lo, exec_lo, s29
	s_cbranch_vccnz .LBB22_184
; %bb.183:
	s_clause 0x3
	buffer_load_dword v54, v51, s[0:3], 0 offen offset:8
	buffer_load_dword v55, v51, s[0:3], 0 offen offset:12
	buffer_load_dword v58, v51, s[0:3], 0 offen
	buffer_load_dword v59, v51, s[0:3], 0 offen offset:4
	s_waitcnt vmcnt(2) lgkmcnt(0)
	v_mul_f64 v[60:61], v[3:4], v[54:55]
	v_mul_f64 v[54:55], v[1:2], v[54:55]
	s_waitcnt vmcnt(0)
	v_fma_f64 v[1:2], v[1:2], v[58:59], -v[60:61]
	v_fma_f64 v[3:4], v[3:4], v[58:59], v[54:55]
.LBB22_184:
	v_mov_b32_e32 v54, 0
	ds_read_b128 v[58:61], v54 offset:16
	s_waitcnt lgkmcnt(0)
	v_mul_f64 v[54:55], v[3:4], v[60:61]
	v_mul_f64 v[60:61], v[1:2], v[60:61]
	v_fma_f64 v[1:2], v[1:2], v[58:59], -v[54:55]
	v_fma_f64 v[3:4], v[3:4], v[58:59], v[60:61]
	buffer_store_dword v2, off, s[0:3], 0 offset:20
	buffer_store_dword v1, off, s[0:3], 0 offset:16
	;; [unrolled: 1-line block ×4, first 2 shown]
.LBB22_185:
	s_or_b32 exec_lo, exec_lo, s8
	v_mov_b32_e32 v4, s27
	s_mov_b32 s8, exec_lo
	s_clause 0x3
	buffer_load_dword v1, v4, s[0:3], 0 offen
	buffer_load_dword v2, v4, s[0:3], 0 offen offset:4
	buffer_load_dword v3, v4, s[0:3], 0 offen offset:8
	;; [unrolled: 1-line block ×3, first 2 shown]
	s_waitcnt vmcnt(0)
	ds_write_b128 v52, v[1:4]
	s_waitcnt lgkmcnt(0)
	s_waitcnt_vscnt null, 0x0
	s_barrier
	buffer_gl0_inv
	v_cmpx_gt_u32_e32 2, v0
	s_cbranch_execz .LBB22_191
; %bb.186:
	ds_read_b128 v[1:4], v52
	v_cmp_ne_u32_e32 vcc_lo, 1, v53
	s_cbranch_vccnz .LBB22_188
; %bb.187:
	s_clause 0x3
	buffer_load_dword v54, v51, s[0:3], 0 offen offset:8
	buffer_load_dword v55, v51, s[0:3], 0 offen offset:12
	buffer_load_dword v58, v51, s[0:3], 0 offen
	buffer_load_dword v59, v51, s[0:3], 0 offen offset:4
	s_waitcnt vmcnt(2) lgkmcnt(0)
	v_mul_f64 v[60:61], v[3:4], v[54:55]
	v_mul_f64 v[54:55], v[1:2], v[54:55]
	s_waitcnt vmcnt(0)
	v_fma_f64 v[1:2], v[1:2], v[58:59], -v[60:61]
	v_fma_f64 v[3:4], v[3:4], v[58:59], v[54:55]
.LBB22_188:
	s_and_saveexec_b32 s29, s4
	s_cbranch_execz .LBB22_190
; %bb.189:
	s_clause 0x3
	buffer_load_dword v54, off, s[0:3], 0 offset:24
	buffer_load_dword v55, off, s[0:3], 0 offset:28
	buffer_load_dword v62, off, s[0:3], 0 offset:16
	buffer_load_dword v63, off, s[0:3], 0 offset:20
	v_mov_b32_e32 v56, 0
	ds_read_b128 v[58:61], v56 offset:384
	s_waitcnt vmcnt(2) lgkmcnt(0)
	v_mul_f64 v[64:65], v[60:61], v[54:55]
	v_mul_f64 v[54:55], v[58:59], v[54:55]
	s_waitcnt vmcnt(0)
	v_fma_f64 v[58:59], v[58:59], v[62:63], -v[64:65]
	v_fma_f64 v[54:55], v[60:61], v[62:63], v[54:55]
	v_add_f64 v[1:2], v[1:2], v[58:59]
	v_add_f64 v[3:4], v[3:4], v[54:55]
.LBB22_190:
	s_or_b32 exec_lo, exec_lo, s29
	v_mov_b32_e32 v54, 0
	ds_read_b128 v[58:61], v54 offset:32
	s_waitcnt lgkmcnt(0)
	v_mul_f64 v[54:55], v[3:4], v[60:61]
	v_mul_f64 v[60:61], v[1:2], v[60:61]
	v_fma_f64 v[1:2], v[1:2], v[58:59], -v[54:55]
	v_fma_f64 v[3:4], v[3:4], v[58:59], v[60:61]
	buffer_store_dword v2, off, s[0:3], 0 offset:36
	buffer_store_dword v1, off, s[0:3], 0 offset:32
	;; [unrolled: 1-line block ×4, first 2 shown]
.LBB22_191:
	s_or_b32 exec_lo, exec_lo, s8
	v_mov_b32_e32 v4, s26
	s_mov_b32 s8, exec_lo
	s_clause 0x3
	buffer_load_dword v1, v4, s[0:3], 0 offen
	buffer_load_dword v2, v4, s[0:3], 0 offen offset:4
	buffer_load_dword v3, v4, s[0:3], 0 offen offset:8
	;; [unrolled: 1-line block ×3, first 2 shown]
	s_waitcnt vmcnt(0)
	ds_write_b128 v52, v[1:4]
	s_waitcnt lgkmcnt(0)
	s_waitcnt_vscnt null, 0x0
	s_barrier
	buffer_gl0_inv
	v_cmpx_gt_u32_e32 3, v0
	s_cbranch_execz .LBB22_199
; %bb.192:
	ds_read_b128 v[1:4], v52
	v_cmp_ne_u32_e32 vcc_lo, 1, v53
	s_cbranch_vccnz .LBB22_194
; %bb.193:
	s_clause 0x3
	buffer_load_dword v54, v51, s[0:3], 0 offen offset:8
	buffer_load_dword v55, v51, s[0:3], 0 offen offset:12
	buffer_load_dword v58, v51, s[0:3], 0 offen
	buffer_load_dword v59, v51, s[0:3], 0 offen offset:4
	s_waitcnt vmcnt(2) lgkmcnt(0)
	v_mul_f64 v[60:61], v[3:4], v[54:55]
	v_mul_f64 v[54:55], v[1:2], v[54:55]
	s_waitcnt vmcnt(0)
	v_fma_f64 v[1:2], v[1:2], v[58:59], -v[60:61]
	v_fma_f64 v[3:4], v[3:4], v[58:59], v[54:55]
.LBB22_194:
	s_mov_b32 s29, exec_lo
	v_cmpx_ne_u32_e32 2, v0
	s_cbranch_execz .LBB22_198
; %bb.195:
	s_clause 0x3
	buffer_load_dword v54, v51, s[0:3], 0 offen offset:24
	buffer_load_dword v55, v51, s[0:3], 0 offen offset:28
	;; [unrolled: 1-line block ×4, first 2 shown]
	ds_read_b128 v[58:61], v52 offset:16
	s_waitcnt vmcnt(2) lgkmcnt(0)
	v_mul_f64 v[64:65], v[60:61], v[54:55]
	v_mul_f64 v[54:55], v[58:59], v[54:55]
	s_waitcnt vmcnt(0)
	v_fma_f64 v[58:59], v[58:59], v[62:63], -v[64:65]
	v_fma_f64 v[54:55], v[60:61], v[62:63], v[54:55]
	v_add_f64 v[1:2], v[1:2], v[58:59]
	v_add_f64 v[3:4], v[3:4], v[54:55]
	s_and_saveexec_b32 s30, s4
	s_cbranch_execz .LBB22_197
; %bb.196:
	s_clause 0x3
	buffer_load_dword v54, off, s[0:3], 0 offset:40
	buffer_load_dword v55, off, s[0:3], 0 offset:44
	;; [unrolled: 1-line block ×4, first 2 shown]
	v_mov_b32_e32 v56, 0
	ds_read_b128 v[58:61], v56 offset:400
	s_waitcnt vmcnt(2) lgkmcnt(0)
	v_mul_f64 v[64:65], v[58:59], v[54:55]
	v_mul_f64 v[54:55], v[60:61], v[54:55]
	s_waitcnt vmcnt(0)
	v_fma_f64 v[60:61], v[60:61], v[62:63], v[64:65]
	v_fma_f64 v[54:55], v[58:59], v[62:63], -v[54:55]
	v_add_f64 v[3:4], v[3:4], v[60:61]
	v_add_f64 v[1:2], v[1:2], v[54:55]
.LBB22_197:
	s_or_b32 exec_lo, exec_lo, s30
.LBB22_198:
	s_or_b32 exec_lo, exec_lo, s29
	v_mov_b32_e32 v54, 0
	ds_read_b128 v[58:61], v54 offset:48
	s_waitcnt lgkmcnt(0)
	v_mul_f64 v[54:55], v[3:4], v[60:61]
	v_mul_f64 v[60:61], v[1:2], v[60:61]
	v_fma_f64 v[1:2], v[1:2], v[58:59], -v[54:55]
	v_fma_f64 v[3:4], v[3:4], v[58:59], v[60:61]
	buffer_store_dword v2, off, s[0:3], 0 offset:52
	buffer_store_dword v1, off, s[0:3], 0 offset:48
	;; [unrolled: 1-line block ×4, first 2 shown]
.LBB22_199:
	s_or_b32 exec_lo, exec_lo, s8
	v_mov_b32_e32 v4, s25
	s_mov_b32 s4, exec_lo
	s_clause 0x3
	buffer_load_dword v1, v4, s[0:3], 0 offen
	buffer_load_dword v2, v4, s[0:3], 0 offen offset:4
	buffer_load_dword v3, v4, s[0:3], 0 offen offset:8
	;; [unrolled: 1-line block ×3, first 2 shown]
	s_waitcnt vmcnt(0)
	ds_write_b128 v52, v[1:4]
	s_waitcnt lgkmcnt(0)
	s_waitcnt_vscnt null, 0x0
	s_barrier
	buffer_gl0_inv
	v_cmpx_gt_u32_e32 4, v0
	s_cbranch_execz .LBB22_207
; %bb.200:
	ds_read_b128 v[1:4], v52
	v_cmp_ne_u32_e32 vcc_lo, 1, v53
	s_cbranch_vccnz .LBB22_202
; %bb.201:
	s_clause 0x3
	buffer_load_dword v54, v51, s[0:3], 0 offen offset:8
	buffer_load_dword v55, v51, s[0:3], 0 offen offset:12
	buffer_load_dword v58, v51, s[0:3], 0 offen
	buffer_load_dword v59, v51, s[0:3], 0 offen offset:4
	s_waitcnt vmcnt(2) lgkmcnt(0)
	v_mul_f64 v[60:61], v[3:4], v[54:55]
	v_mul_f64 v[54:55], v[1:2], v[54:55]
	s_waitcnt vmcnt(0)
	v_fma_f64 v[1:2], v[1:2], v[58:59], -v[60:61]
	v_fma_f64 v[3:4], v[3:4], v[58:59], v[54:55]
.LBB22_202:
	s_mov_b32 s8, exec_lo
	v_cmpx_ne_u32_e32 3, v0
	s_cbranch_execz .LBB22_206
; %bb.203:
	v_add_nc_u32_e32 v54, 0x180, v57
	v_add3_u32 v55, 0, v57, 16
	v_mov_b32_e32 v56, v0
	s_mov_b32 s29, 0
	.p2align	6
.LBB22_204:                             ; =>This Inner Loop Header: Depth=1
	s_clause 0x3
	buffer_load_dword v62, v55, s[0:3], 0 offen offset:8
	buffer_load_dword v63, v55, s[0:3], 0 offen offset:12
	buffer_load_dword v64, v55, s[0:3], 0 offen
	buffer_load_dword v65, v55, s[0:3], 0 offen offset:4
	ds_read_b128 v[58:61], v54
	v_add_nc_u32_e32 v56, 1, v56
	v_add_nc_u32_e32 v54, 16, v54
	;; [unrolled: 1-line block ×3, first 2 shown]
	v_cmp_lt_u32_e32 vcc_lo, 2, v56
	s_or_b32 s29, vcc_lo, s29
	s_waitcnt vmcnt(2) lgkmcnt(0)
	v_mul_f64 v[66:67], v[60:61], v[62:63]
	v_mul_f64 v[62:63], v[58:59], v[62:63]
	s_waitcnt vmcnt(0)
	v_fma_f64 v[58:59], v[58:59], v[64:65], -v[66:67]
	v_fma_f64 v[60:61], v[60:61], v[64:65], v[62:63]
	v_add_f64 v[1:2], v[1:2], v[58:59]
	v_add_f64 v[3:4], v[3:4], v[60:61]
	s_andn2_b32 exec_lo, exec_lo, s29
	s_cbranch_execnz .LBB22_204
; %bb.205:
	s_or_b32 exec_lo, exec_lo, s29
.LBB22_206:
	s_or_b32 exec_lo, exec_lo, s8
	v_mov_b32_e32 v54, 0
	ds_read_b128 v[58:61], v54 offset:64
	s_waitcnt lgkmcnt(0)
	v_mul_f64 v[54:55], v[3:4], v[60:61]
	v_mul_f64 v[60:61], v[1:2], v[60:61]
	v_fma_f64 v[1:2], v[1:2], v[58:59], -v[54:55]
	v_fma_f64 v[3:4], v[3:4], v[58:59], v[60:61]
	buffer_store_dword v2, off, s[0:3], 0 offset:68
	buffer_store_dword v1, off, s[0:3], 0 offset:64
	buffer_store_dword v4, off, s[0:3], 0 offset:76
	buffer_store_dword v3, off, s[0:3], 0 offset:72
.LBB22_207:
	s_or_b32 exec_lo, exec_lo, s4
	v_mov_b32_e32 v4, s24
	s_mov_b32 s4, exec_lo
	s_clause 0x3
	buffer_load_dword v1, v4, s[0:3], 0 offen
	buffer_load_dword v2, v4, s[0:3], 0 offen offset:4
	buffer_load_dword v3, v4, s[0:3], 0 offen offset:8
	;; [unrolled: 1-line block ×3, first 2 shown]
	s_waitcnt vmcnt(0)
	ds_write_b128 v52, v[1:4]
	s_waitcnt lgkmcnt(0)
	s_waitcnt_vscnt null, 0x0
	s_barrier
	buffer_gl0_inv
	v_cmpx_gt_u32_e32 5, v0
	s_cbranch_execz .LBB22_215
; %bb.208:
	ds_read_b128 v[1:4], v52
	v_cmp_ne_u32_e32 vcc_lo, 1, v53
	s_cbranch_vccnz .LBB22_210
; %bb.209:
	s_clause 0x3
	buffer_load_dword v54, v51, s[0:3], 0 offen offset:8
	buffer_load_dword v55, v51, s[0:3], 0 offen offset:12
	buffer_load_dword v58, v51, s[0:3], 0 offen
	buffer_load_dword v59, v51, s[0:3], 0 offen offset:4
	s_waitcnt vmcnt(2) lgkmcnt(0)
	v_mul_f64 v[60:61], v[3:4], v[54:55]
	v_mul_f64 v[54:55], v[1:2], v[54:55]
	s_waitcnt vmcnt(0)
	v_fma_f64 v[1:2], v[1:2], v[58:59], -v[60:61]
	v_fma_f64 v[3:4], v[3:4], v[58:59], v[54:55]
.LBB22_210:
	s_mov_b32 s8, exec_lo
	v_cmpx_ne_u32_e32 4, v0
	s_cbranch_execz .LBB22_214
; %bb.211:
	v_add_nc_u32_e32 v54, 0x180, v57
	v_add3_u32 v55, 0, v57, 16
	v_mov_b32_e32 v56, v0
	s_mov_b32 s29, 0
	.p2align	6
.LBB22_212:                             ; =>This Inner Loop Header: Depth=1
	s_clause 0x3
	buffer_load_dword v62, v55, s[0:3], 0 offen offset:8
	buffer_load_dword v63, v55, s[0:3], 0 offen offset:12
	buffer_load_dword v64, v55, s[0:3], 0 offen
	buffer_load_dword v65, v55, s[0:3], 0 offen offset:4
	ds_read_b128 v[58:61], v54
	v_add_nc_u32_e32 v56, 1, v56
	v_add_nc_u32_e32 v54, 16, v54
	v_add_nc_u32_e32 v55, 16, v55
	v_cmp_lt_u32_e32 vcc_lo, 3, v56
	s_or_b32 s29, vcc_lo, s29
	s_waitcnt vmcnt(2) lgkmcnt(0)
	v_mul_f64 v[66:67], v[60:61], v[62:63]
	v_mul_f64 v[62:63], v[58:59], v[62:63]
	s_waitcnt vmcnt(0)
	v_fma_f64 v[58:59], v[58:59], v[64:65], -v[66:67]
	v_fma_f64 v[60:61], v[60:61], v[64:65], v[62:63]
	v_add_f64 v[1:2], v[1:2], v[58:59]
	v_add_f64 v[3:4], v[3:4], v[60:61]
	s_andn2_b32 exec_lo, exec_lo, s29
	s_cbranch_execnz .LBB22_212
; %bb.213:
	s_or_b32 exec_lo, exec_lo, s29
.LBB22_214:
	s_or_b32 exec_lo, exec_lo, s8
	v_mov_b32_e32 v54, 0
	ds_read_b128 v[58:61], v54 offset:80
	s_waitcnt lgkmcnt(0)
	v_mul_f64 v[54:55], v[3:4], v[60:61]
	v_mul_f64 v[60:61], v[1:2], v[60:61]
	v_fma_f64 v[1:2], v[1:2], v[58:59], -v[54:55]
	v_fma_f64 v[3:4], v[3:4], v[58:59], v[60:61]
	buffer_store_dword v2, off, s[0:3], 0 offset:84
	buffer_store_dword v1, off, s[0:3], 0 offset:80
	;; [unrolled: 1-line block ×4, first 2 shown]
.LBB22_215:
	s_or_b32 exec_lo, exec_lo, s4
	v_mov_b32_e32 v4, s23
	s_mov_b32 s4, exec_lo
	s_clause 0x3
	buffer_load_dword v1, v4, s[0:3], 0 offen
	buffer_load_dword v2, v4, s[0:3], 0 offen offset:4
	buffer_load_dword v3, v4, s[0:3], 0 offen offset:8
	;; [unrolled: 1-line block ×3, first 2 shown]
	s_waitcnt vmcnt(0)
	ds_write_b128 v52, v[1:4]
	s_waitcnt lgkmcnt(0)
	s_waitcnt_vscnt null, 0x0
	s_barrier
	buffer_gl0_inv
	v_cmpx_gt_u32_e32 6, v0
	s_cbranch_execz .LBB22_223
; %bb.216:
	ds_read_b128 v[1:4], v52
	v_cmp_ne_u32_e32 vcc_lo, 1, v53
	s_cbranch_vccnz .LBB22_218
; %bb.217:
	s_clause 0x3
	buffer_load_dword v54, v51, s[0:3], 0 offen offset:8
	buffer_load_dword v55, v51, s[0:3], 0 offen offset:12
	buffer_load_dword v58, v51, s[0:3], 0 offen
	buffer_load_dword v59, v51, s[0:3], 0 offen offset:4
	s_waitcnt vmcnt(2) lgkmcnt(0)
	v_mul_f64 v[60:61], v[3:4], v[54:55]
	v_mul_f64 v[54:55], v[1:2], v[54:55]
	s_waitcnt vmcnt(0)
	v_fma_f64 v[1:2], v[1:2], v[58:59], -v[60:61]
	v_fma_f64 v[3:4], v[3:4], v[58:59], v[54:55]
.LBB22_218:
	s_mov_b32 s8, exec_lo
	v_cmpx_ne_u32_e32 5, v0
	s_cbranch_execz .LBB22_222
; %bb.219:
	v_add_nc_u32_e32 v54, 0x180, v57
	v_add3_u32 v55, 0, v57, 16
	v_mov_b32_e32 v56, v0
	s_mov_b32 s29, 0
	.p2align	6
.LBB22_220:                             ; =>This Inner Loop Header: Depth=1
	s_clause 0x3
	buffer_load_dword v62, v55, s[0:3], 0 offen offset:8
	buffer_load_dword v63, v55, s[0:3], 0 offen offset:12
	buffer_load_dword v64, v55, s[0:3], 0 offen
	buffer_load_dword v65, v55, s[0:3], 0 offen offset:4
	ds_read_b128 v[58:61], v54
	v_add_nc_u32_e32 v56, 1, v56
	v_add_nc_u32_e32 v54, 16, v54
	;; [unrolled: 1-line block ×3, first 2 shown]
	v_cmp_lt_u32_e32 vcc_lo, 4, v56
	s_or_b32 s29, vcc_lo, s29
	s_waitcnt vmcnt(2) lgkmcnt(0)
	v_mul_f64 v[66:67], v[60:61], v[62:63]
	v_mul_f64 v[62:63], v[58:59], v[62:63]
	s_waitcnt vmcnt(0)
	v_fma_f64 v[58:59], v[58:59], v[64:65], -v[66:67]
	v_fma_f64 v[60:61], v[60:61], v[64:65], v[62:63]
	v_add_f64 v[1:2], v[1:2], v[58:59]
	v_add_f64 v[3:4], v[3:4], v[60:61]
	s_andn2_b32 exec_lo, exec_lo, s29
	s_cbranch_execnz .LBB22_220
; %bb.221:
	s_or_b32 exec_lo, exec_lo, s29
.LBB22_222:
	s_or_b32 exec_lo, exec_lo, s8
	v_mov_b32_e32 v54, 0
	ds_read_b128 v[58:61], v54 offset:96
	s_waitcnt lgkmcnt(0)
	v_mul_f64 v[54:55], v[3:4], v[60:61]
	v_mul_f64 v[60:61], v[1:2], v[60:61]
	v_fma_f64 v[1:2], v[1:2], v[58:59], -v[54:55]
	v_fma_f64 v[3:4], v[3:4], v[58:59], v[60:61]
	buffer_store_dword v2, off, s[0:3], 0 offset:100
	buffer_store_dword v1, off, s[0:3], 0 offset:96
	;; [unrolled: 1-line block ×4, first 2 shown]
.LBB22_223:
	s_or_b32 exec_lo, exec_lo, s4
	v_mov_b32_e32 v4, s22
	s_mov_b32 s4, exec_lo
	s_clause 0x3
	buffer_load_dword v1, v4, s[0:3], 0 offen
	buffer_load_dword v2, v4, s[0:3], 0 offen offset:4
	buffer_load_dword v3, v4, s[0:3], 0 offen offset:8
	;; [unrolled: 1-line block ×3, first 2 shown]
	s_waitcnt vmcnt(0)
	ds_write_b128 v52, v[1:4]
	s_waitcnt lgkmcnt(0)
	s_waitcnt_vscnt null, 0x0
	s_barrier
	buffer_gl0_inv
	v_cmpx_gt_u32_e32 7, v0
	s_cbranch_execz .LBB22_231
; %bb.224:
	ds_read_b128 v[1:4], v52
	v_cmp_ne_u32_e32 vcc_lo, 1, v53
	s_cbranch_vccnz .LBB22_226
; %bb.225:
	s_clause 0x3
	buffer_load_dword v54, v51, s[0:3], 0 offen offset:8
	buffer_load_dword v55, v51, s[0:3], 0 offen offset:12
	buffer_load_dword v58, v51, s[0:3], 0 offen
	buffer_load_dword v59, v51, s[0:3], 0 offen offset:4
	s_waitcnt vmcnt(2) lgkmcnt(0)
	v_mul_f64 v[60:61], v[3:4], v[54:55]
	v_mul_f64 v[54:55], v[1:2], v[54:55]
	s_waitcnt vmcnt(0)
	v_fma_f64 v[1:2], v[1:2], v[58:59], -v[60:61]
	v_fma_f64 v[3:4], v[3:4], v[58:59], v[54:55]
.LBB22_226:
	s_mov_b32 s8, exec_lo
	v_cmpx_ne_u32_e32 6, v0
	s_cbranch_execz .LBB22_230
; %bb.227:
	v_add_nc_u32_e32 v54, 0x180, v57
	v_add3_u32 v55, 0, v57, 16
	v_mov_b32_e32 v56, v0
	s_mov_b32 s29, 0
	.p2align	6
.LBB22_228:                             ; =>This Inner Loop Header: Depth=1
	s_clause 0x3
	buffer_load_dword v62, v55, s[0:3], 0 offen offset:8
	buffer_load_dword v63, v55, s[0:3], 0 offen offset:12
	buffer_load_dword v64, v55, s[0:3], 0 offen
	buffer_load_dword v65, v55, s[0:3], 0 offen offset:4
	ds_read_b128 v[58:61], v54
	v_add_nc_u32_e32 v56, 1, v56
	v_add_nc_u32_e32 v54, 16, v54
	;; [unrolled: 1-line block ×3, first 2 shown]
	v_cmp_lt_u32_e32 vcc_lo, 5, v56
	s_or_b32 s29, vcc_lo, s29
	s_waitcnt vmcnt(2) lgkmcnt(0)
	v_mul_f64 v[66:67], v[60:61], v[62:63]
	v_mul_f64 v[62:63], v[58:59], v[62:63]
	s_waitcnt vmcnt(0)
	v_fma_f64 v[58:59], v[58:59], v[64:65], -v[66:67]
	v_fma_f64 v[60:61], v[60:61], v[64:65], v[62:63]
	v_add_f64 v[1:2], v[1:2], v[58:59]
	v_add_f64 v[3:4], v[3:4], v[60:61]
	s_andn2_b32 exec_lo, exec_lo, s29
	s_cbranch_execnz .LBB22_228
; %bb.229:
	s_or_b32 exec_lo, exec_lo, s29
.LBB22_230:
	s_or_b32 exec_lo, exec_lo, s8
	v_mov_b32_e32 v54, 0
	ds_read_b128 v[58:61], v54 offset:112
	s_waitcnt lgkmcnt(0)
	v_mul_f64 v[54:55], v[3:4], v[60:61]
	v_mul_f64 v[60:61], v[1:2], v[60:61]
	v_fma_f64 v[1:2], v[1:2], v[58:59], -v[54:55]
	v_fma_f64 v[3:4], v[3:4], v[58:59], v[60:61]
	buffer_store_dword v2, off, s[0:3], 0 offset:116
	buffer_store_dword v1, off, s[0:3], 0 offset:112
	;; [unrolled: 1-line block ×4, first 2 shown]
.LBB22_231:
	s_or_b32 exec_lo, exec_lo, s4
	v_mov_b32_e32 v4, s21
	s_mov_b32 s4, exec_lo
	s_clause 0x3
	buffer_load_dword v1, v4, s[0:3], 0 offen
	buffer_load_dword v2, v4, s[0:3], 0 offen offset:4
	buffer_load_dword v3, v4, s[0:3], 0 offen offset:8
	;; [unrolled: 1-line block ×3, first 2 shown]
	s_waitcnt vmcnt(0)
	ds_write_b128 v52, v[1:4]
	s_waitcnt lgkmcnt(0)
	s_waitcnt_vscnt null, 0x0
	s_barrier
	buffer_gl0_inv
	v_cmpx_gt_u32_e32 8, v0
	s_cbranch_execz .LBB22_239
; %bb.232:
	ds_read_b128 v[1:4], v52
	v_cmp_ne_u32_e32 vcc_lo, 1, v53
	s_cbranch_vccnz .LBB22_234
; %bb.233:
	s_clause 0x3
	buffer_load_dword v54, v51, s[0:3], 0 offen offset:8
	buffer_load_dword v55, v51, s[0:3], 0 offen offset:12
	buffer_load_dword v58, v51, s[0:3], 0 offen
	buffer_load_dword v59, v51, s[0:3], 0 offen offset:4
	s_waitcnt vmcnt(2) lgkmcnt(0)
	v_mul_f64 v[60:61], v[3:4], v[54:55]
	v_mul_f64 v[54:55], v[1:2], v[54:55]
	s_waitcnt vmcnt(0)
	v_fma_f64 v[1:2], v[1:2], v[58:59], -v[60:61]
	v_fma_f64 v[3:4], v[3:4], v[58:59], v[54:55]
.LBB22_234:
	s_mov_b32 s8, exec_lo
	v_cmpx_ne_u32_e32 7, v0
	s_cbranch_execz .LBB22_238
; %bb.235:
	v_add_nc_u32_e32 v54, 0x180, v57
	v_add3_u32 v55, 0, v57, 16
	v_mov_b32_e32 v56, v0
	s_mov_b32 s29, 0
	.p2align	6
.LBB22_236:                             ; =>This Inner Loop Header: Depth=1
	s_clause 0x3
	buffer_load_dword v62, v55, s[0:3], 0 offen offset:8
	buffer_load_dword v63, v55, s[0:3], 0 offen offset:12
	buffer_load_dword v64, v55, s[0:3], 0 offen
	buffer_load_dword v65, v55, s[0:3], 0 offen offset:4
	ds_read_b128 v[58:61], v54
	v_add_nc_u32_e32 v56, 1, v56
	v_add_nc_u32_e32 v54, 16, v54
	;; [unrolled: 1-line block ×3, first 2 shown]
	v_cmp_lt_u32_e32 vcc_lo, 6, v56
	s_or_b32 s29, vcc_lo, s29
	s_waitcnt vmcnt(2) lgkmcnt(0)
	v_mul_f64 v[66:67], v[60:61], v[62:63]
	v_mul_f64 v[62:63], v[58:59], v[62:63]
	s_waitcnt vmcnt(0)
	v_fma_f64 v[58:59], v[58:59], v[64:65], -v[66:67]
	v_fma_f64 v[60:61], v[60:61], v[64:65], v[62:63]
	v_add_f64 v[1:2], v[1:2], v[58:59]
	v_add_f64 v[3:4], v[3:4], v[60:61]
	s_andn2_b32 exec_lo, exec_lo, s29
	s_cbranch_execnz .LBB22_236
; %bb.237:
	s_or_b32 exec_lo, exec_lo, s29
.LBB22_238:
	s_or_b32 exec_lo, exec_lo, s8
	v_mov_b32_e32 v54, 0
	ds_read_b128 v[58:61], v54 offset:128
	s_waitcnt lgkmcnt(0)
	v_mul_f64 v[54:55], v[3:4], v[60:61]
	v_mul_f64 v[60:61], v[1:2], v[60:61]
	v_fma_f64 v[1:2], v[1:2], v[58:59], -v[54:55]
	v_fma_f64 v[3:4], v[3:4], v[58:59], v[60:61]
	buffer_store_dword v2, off, s[0:3], 0 offset:132
	buffer_store_dword v1, off, s[0:3], 0 offset:128
	;; [unrolled: 1-line block ×4, first 2 shown]
.LBB22_239:
	s_or_b32 exec_lo, exec_lo, s4
	v_mov_b32_e32 v4, s20
	s_mov_b32 s4, exec_lo
	s_clause 0x3
	buffer_load_dword v1, v4, s[0:3], 0 offen
	buffer_load_dword v2, v4, s[0:3], 0 offen offset:4
	buffer_load_dword v3, v4, s[0:3], 0 offen offset:8
	;; [unrolled: 1-line block ×3, first 2 shown]
	s_waitcnt vmcnt(0)
	ds_write_b128 v52, v[1:4]
	s_waitcnt lgkmcnt(0)
	s_waitcnt_vscnt null, 0x0
	s_barrier
	buffer_gl0_inv
	v_cmpx_gt_u32_e32 9, v0
	s_cbranch_execz .LBB22_247
; %bb.240:
	ds_read_b128 v[1:4], v52
	v_cmp_ne_u32_e32 vcc_lo, 1, v53
	s_cbranch_vccnz .LBB22_242
; %bb.241:
	s_clause 0x3
	buffer_load_dword v54, v51, s[0:3], 0 offen offset:8
	buffer_load_dword v55, v51, s[0:3], 0 offen offset:12
	buffer_load_dword v58, v51, s[0:3], 0 offen
	buffer_load_dword v59, v51, s[0:3], 0 offen offset:4
	s_waitcnt vmcnt(2) lgkmcnt(0)
	v_mul_f64 v[60:61], v[3:4], v[54:55]
	v_mul_f64 v[54:55], v[1:2], v[54:55]
	s_waitcnt vmcnt(0)
	v_fma_f64 v[1:2], v[1:2], v[58:59], -v[60:61]
	v_fma_f64 v[3:4], v[3:4], v[58:59], v[54:55]
.LBB22_242:
	s_mov_b32 s8, exec_lo
	v_cmpx_ne_u32_e32 8, v0
	s_cbranch_execz .LBB22_246
; %bb.243:
	v_add_nc_u32_e32 v54, 0x180, v57
	v_add3_u32 v55, 0, v57, 16
	v_mov_b32_e32 v56, v0
	s_mov_b32 s29, 0
	.p2align	6
.LBB22_244:                             ; =>This Inner Loop Header: Depth=1
	s_clause 0x3
	buffer_load_dword v62, v55, s[0:3], 0 offen offset:8
	buffer_load_dword v63, v55, s[0:3], 0 offen offset:12
	buffer_load_dword v64, v55, s[0:3], 0 offen
	buffer_load_dword v65, v55, s[0:3], 0 offen offset:4
	ds_read_b128 v[58:61], v54
	v_add_nc_u32_e32 v56, 1, v56
	v_add_nc_u32_e32 v54, 16, v54
	;; [unrolled: 1-line block ×3, first 2 shown]
	v_cmp_lt_u32_e32 vcc_lo, 7, v56
	s_or_b32 s29, vcc_lo, s29
	s_waitcnt vmcnt(2) lgkmcnt(0)
	v_mul_f64 v[66:67], v[60:61], v[62:63]
	v_mul_f64 v[62:63], v[58:59], v[62:63]
	s_waitcnt vmcnt(0)
	v_fma_f64 v[58:59], v[58:59], v[64:65], -v[66:67]
	v_fma_f64 v[60:61], v[60:61], v[64:65], v[62:63]
	v_add_f64 v[1:2], v[1:2], v[58:59]
	v_add_f64 v[3:4], v[3:4], v[60:61]
	s_andn2_b32 exec_lo, exec_lo, s29
	s_cbranch_execnz .LBB22_244
; %bb.245:
	s_or_b32 exec_lo, exec_lo, s29
.LBB22_246:
	s_or_b32 exec_lo, exec_lo, s8
	v_mov_b32_e32 v54, 0
	ds_read_b128 v[58:61], v54 offset:144
	s_waitcnt lgkmcnt(0)
	v_mul_f64 v[54:55], v[3:4], v[60:61]
	v_mul_f64 v[60:61], v[1:2], v[60:61]
	v_fma_f64 v[1:2], v[1:2], v[58:59], -v[54:55]
	v_fma_f64 v[3:4], v[3:4], v[58:59], v[60:61]
	buffer_store_dword v2, off, s[0:3], 0 offset:148
	buffer_store_dword v1, off, s[0:3], 0 offset:144
	;; [unrolled: 1-line block ×4, first 2 shown]
.LBB22_247:
	s_or_b32 exec_lo, exec_lo, s4
	v_mov_b32_e32 v4, s19
	s_mov_b32 s4, exec_lo
	s_clause 0x3
	buffer_load_dword v1, v4, s[0:3], 0 offen
	buffer_load_dword v2, v4, s[0:3], 0 offen offset:4
	buffer_load_dword v3, v4, s[0:3], 0 offen offset:8
	;; [unrolled: 1-line block ×3, first 2 shown]
	s_waitcnt vmcnt(0)
	ds_write_b128 v52, v[1:4]
	s_waitcnt lgkmcnt(0)
	s_waitcnt_vscnt null, 0x0
	s_barrier
	buffer_gl0_inv
	v_cmpx_gt_u32_e32 10, v0
	s_cbranch_execz .LBB22_255
; %bb.248:
	ds_read_b128 v[1:4], v52
	v_cmp_ne_u32_e32 vcc_lo, 1, v53
	s_cbranch_vccnz .LBB22_250
; %bb.249:
	s_clause 0x3
	buffer_load_dword v54, v51, s[0:3], 0 offen offset:8
	buffer_load_dword v55, v51, s[0:3], 0 offen offset:12
	buffer_load_dword v58, v51, s[0:3], 0 offen
	buffer_load_dword v59, v51, s[0:3], 0 offen offset:4
	s_waitcnt vmcnt(2) lgkmcnt(0)
	v_mul_f64 v[60:61], v[3:4], v[54:55]
	v_mul_f64 v[54:55], v[1:2], v[54:55]
	s_waitcnt vmcnt(0)
	v_fma_f64 v[1:2], v[1:2], v[58:59], -v[60:61]
	v_fma_f64 v[3:4], v[3:4], v[58:59], v[54:55]
.LBB22_250:
	s_mov_b32 s8, exec_lo
	v_cmpx_ne_u32_e32 9, v0
	s_cbranch_execz .LBB22_254
; %bb.251:
	v_add_nc_u32_e32 v54, 0x180, v57
	v_add3_u32 v55, 0, v57, 16
	v_mov_b32_e32 v56, v0
	s_mov_b32 s29, 0
	.p2align	6
.LBB22_252:                             ; =>This Inner Loop Header: Depth=1
	s_clause 0x3
	buffer_load_dword v62, v55, s[0:3], 0 offen offset:8
	buffer_load_dword v63, v55, s[0:3], 0 offen offset:12
	buffer_load_dword v64, v55, s[0:3], 0 offen
	buffer_load_dword v65, v55, s[0:3], 0 offen offset:4
	ds_read_b128 v[58:61], v54
	v_add_nc_u32_e32 v56, 1, v56
	v_add_nc_u32_e32 v54, 16, v54
	;; [unrolled: 1-line block ×3, first 2 shown]
	v_cmp_lt_u32_e32 vcc_lo, 8, v56
	s_or_b32 s29, vcc_lo, s29
	s_waitcnt vmcnt(2) lgkmcnt(0)
	v_mul_f64 v[66:67], v[60:61], v[62:63]
	v_mul_f64 v[62:63], v[58:59], v[62:63]
	s_waitcnt vmcnt(0)
	v_fma_f64 v[58:59], v[58:59], v[64:65], -v[66:67]
	v_fma_f64 v[60:61], v[60:61], v[64:65], v[62:63]
	v_add_f64 v[1:2], v[1:2], v[58:59]
	v_add_f64 v[3:4], v[3:4], v[60:61]
	s_andn2_b32 exec_lo, exec_lo, s29
	s_cbranch_execnz .LBB22_252
; %bb.253:
	s_or_b32 exec_lo, exec_lo, s29
.LBB22_254:
	s_or_b32 exec_lo, exec_lo, s8
	v_mov_b32_e32 v54, 0
	ds_read_b128 v[58:61], v54 offset:160
	s_waitcnt lgkmcnt(0)
	v_mul_f64 v[54:55], v[3:4], v[60:61]
	v_mul_f64 v[60:61], v[1:2], v[60:61]
	v_fma_f64 v[1:2], v[1:2], v[58:59], -v[54:55]
	v_fma_f64 v[3:4], v[3:4], v[58:59], v[60:61]
	buffer_store_dword v2, off, s[0:3], 0 offset:164
	buffer_store_dword v1, off, s[0:3], 0 offset:160
	;; [unrolled: 1-line block ×4, first 2 shown]
.LBB22_255:
	s_or_b32 exec_lo, exec_lo, s4
	v_mov_b32_e32 v4, s18
	s_mov_b32 s4, exec_lo
	s_clause 0x3
	buffer_load_dword v1, v4, s[0:3], 0 offen
	buffer_load_dword v2, v4, s[0:3], 0 offen offset:4
	buffer_load_dword v3, v4, s[0:3], 0 offen offset:8
	;; [unrolled: 1-line block ×3, first 2 shown]
	s_waitcnt vmcnt(0)
	ds_write_b128 v52, v[1:4]
	s_waitcnt lgkmcnt(0)
	s_waitcnt_vscnt null, 0x0
	s_barrier
	buffer_gl0_inv
	v_cmpx_gt_u32_e32 11, v0
	s_cbranch_execz .LBB22_263
; %bb.256:
	ds_read_b128 v[1:4], v52
	v_cmp_ne_u32_e32 vcc_lo, 1, v53
	s_cbranch_vccnz .LBB22_258
; %bb.257:
	s_clause 0x3
	buffer_load_dword v54, v51, s[0:3], 0 offen offset:8
	buffer_load_dword v55, v51, s[0:3], 0 offen offset:12
	buffer_load_dword v58, v51, s[0:3], 0 offen
	buffer_load_dword v59, v51, s[0:3], 0 offen offset:4
	s_waitcnt vmcnt(2) lgkmcnt(0)
	v_mul_f64 v[60:61], v[3:4], v[54:55]
	v_mul_f64 v[54:55], v[1:2], v[54:55]
	s_waitcnt vmcnt(0)
	v_fma_f64 v[1:2], v[1:2], v[58:59], -v[60:61]
	v_fma_f64 v[3:4], v[3:4], v[58:59], v[54:55]
.LBB22_258:
	s_mov_b32 s8, exec_lo
	v_cmpx_ne_u32_e32 10, v0
	s_cbranch_execz .LBB22_262
; %bb.259:
	v_add_nc_u32_e32 v54, 0x180, v57
	v_add3_u32 v55, 0, v57, 16
	v_mov_b32_e32 v56, v0
	s_mov_b32 s29, 0
	.p2align	6
.LBB22_260:                             ; =>This Inner Loop Header: Depth=1
	s_clause 0x3
	buffer_load_dword v62, v55, s[0:3], 0 offen offset:8
	buffer_load_dword v63, v55, s[0:3], 0 offen offset:12
	buffer_load_dword v64, v55, s[0:3], 0 offen
	buffer_load_dword v65, v55, s[0:3], 0 offen offset:4
	ds_read_b128 v[58:61], v54
	v_add_nc_u32_e32 v56, 1, v56
	v_add_nc_u32_e32 v54, 16, v54
	;; [unrolled: 1-line block ×3, first 2 shown]
	v_cmp_lt_u32_e32 vcc_lo, 9, v56
	s_or_b32 s29, vcc_lo, s29
	s_waitcnt vmcnt(2) lgkmcnt(0)
	v_mul_f64 v[66:67], v[60:61], v[62:63]
	v_mul_f64 v[62:63], v[58:59], v[62:63]
	s_waitcnt vmcnt(0)
	v_fma_f64 v[58:59], v[58:59], v[64:65], -v[66:67]
	v_fma_f64 v[60:61], v[60:61], v[64:65], v[62:63]
	v_add_f64 v[1:2], v[1:2], v[58:59]
	v_add_f64 v[3:4], v[3:4], v[60:61]
	s_andn2_b32 exec_lo, exec_lo, s29
	s_cbranch_execnz .LBB22_260
; %bb.261:
	s_or_b32 exec_lo, exec_lo, s29
.LBB22_262:
	s_or_b32 exec_lo, exec_lo, s8
	v_mov_b32_e32 v54, 0
	ds_read_b128 v[58:61], v54 offset:176
	s_waitcnt lgkmcnt(0)
	v_mul_f64 v[54:55], v[3:4], v[60:61]
	v_mul_f64 v[60:61], v[1:2], v[60:61]
	v_fma_f64 v[1:2], v[1:2], v[58:59], -v[54:55]
	v_fma_f64 v[3:4], v[3:4], v[58:59], v[60:61]
	buffer_store_dword v2, off, s[0:3], 0 offset:180
	buffer_store_dword v1, off, s[0:3], 0 offset:176
	buffer_store_dword v4, off, s[0:3], 0 offset:188
	buffer_store_dword v3, off, s[0:3], 0 offset:184
.LBB22_263:
	s_or_b32 exec_lo, exec_lo, s4
	v_mov_b32_e32 v4, s17
	s_mov_b32 s4, exec_lo
	s_clause 0x3
	buffer_load_dword v1, v4, s[0:3], 0 offen
	buffer_load_dword v2, v4, s[0:3], 0 offen offset:4
	buffer_load_dword v3, v4, s[0:3], 0 offen offset:8
	;; [unrolled: 1-line block ×3, first 2 shown]
	s_waitcnt vmcnt(0)
	ds_write_b128 v52, v[1:4]
	s_waitcnt lgkmcnt(0)
	s_waitcnt_vscnt null, 0x0
	s_barrier
	buffer_gl0_inv
	v_cmpx_gt_u32_e32 12, v0
	s_cbranch_execz .LBB22_271
; %bb.264:
	ds_read_b128 v[1:4], v52
	v_cmp_ne_u32_e32 vcc_lo, 1, v53
	s_cbranch_vccnz .LBB22_266
; %bb.265:
	s_clause 0x3
	buffer_load_dword v54, v51, s[0:3], 0 offen offset:8
	buffer_load_dword v55, v51, s[0:3], 0 offen offset:12
	buffer_load_dword v58, v51, s[0:3], 0 offen
	buffer_load_dword v59, v51, s[0:3], 0 offen offset:4
	s_waitcnt vmcnt(2) lgkmcnt(0)
	v_mul_f64 v[60:61], v[3:4], v[54:55]
	v_mul_f64 v[54:55], v[1:2], v[54:55]
	s_waitcnt vmcnt(0)
	v_fma_f64 v[1:2], v[1:2], v[58:59], -v[60:61]
	v_fma_f64 v[3:4], v[3:4], v[58:59], v[54:55]
.LBB22_266:
	s_mov_b32 s8, exec_lo
	v_cmpx_ne_u32_e32 11, v0
	s_cbranch_execz .LBB22_270
; %bb.267:
	v_add_nc_u32_e32 v54, 0x180, v57
	v_add3_u32 v55, 0, v57, 16
	v_mov_b32_e32 v56, v0
	s_mov_b32 s29, 0
	.p2align	6
.LBB22_268:                             ; =>This Inner Loop Header: Depth=1
	s_clause 0x3
	buffer_load_dword v62, v55, s[0:3], 0 offen offset:8
	buffer_load_dword v63, v55, s[0:3], 0 offen offset:12
	buffer_load_dword v64, v55, s[0:3], 0 offen
	buffer_load_dword v65, v55, s[0:3], 0 offen offset:4
	ds_read_b128 v[58:61], v54
	v_add_nc_u32_e32 v56, 1, v56
	v_add_nc_u32_e32 v54, 16, v54
	;; [unrolled: 1-line block ×3, first 2 shown]
	v_cmp_lt_u32_e32 vcc_lo, 10, v56
	s_or_b32 s29, vcc_lo, s29
	s_waitcnt vmcnt(2) lgkmcnt(0)
	v_mul_f64 v[66:67], v[60:61], v[62:63]
	v_mul_f64 v[62:63], v[58:59], v[62:63]
	s_waitcnt vmcnt(0)
	v_fma_f64 v[58:59], v[58:59], v[64:65], -v[66:67]
	v_fma_f64 v[60:61], v[60:61], v[64:65], v[62:63]
	v_add_f64 v[1:2], v[1:2], v[58:59]
	v_add_f64 v[3:4], v[3:4], v[60:61]
	s_andn2_b32 exec_lo, exec_lo, s29
	s_cbranch_execnz .LBB22_268
; %bb.269:
	s_or_b32 exec_lo, exec_lo, s29
.LBB22_270:
	s_or_b32 exec_lo, exec_lo, s8
	v_mov_b32_e32 v54, 0
	ds_read_b128 v[58:61], v54 offset:192
	s_waitcnt lgkmcnt(0)
	v_mul_f64 v[54:55], v[3:4], v[60:61]
	v_mul_f64 v[60:61], v[1:2], v[60:61]
	v_fma_f64 v[1:2], v[1:2], v[58:59], -v[54:55]
	v_fma_f64 v[3:4], v[3:4], v[58:59], v[60:61]
	buffer_store_dword v2, off, s[0:3], 0 offset:196
	buffer_store_dword v1, off, s[0:3], 0 offset:192
	;; [unrolled: 1-line block ×4, first 2 shown]
.LBB22_271:
	s_or_b32 exec_lo, exec_lo, s4
	v_mov_b32_e32 v4, s16
	s_mov_b32 s4, exec_lo
	s_clause 0x3
	buffer_load_dword v1, v4, s[0:3], 0 offen
	buffer_load_dword v2, v4, s[0:3], 0 offen offset:4
	buffer_load_dword v3, v4, s[0:3], 0 offen offset:8
	;; [unrolled: 1-line block ×3, first 2 shown]
	s_waitcnt vmcnt(0)
	ds_write_b128 v52, v[1:4]
	s_waitcnt lgkmcnt(0)
	s_waitcnt_vscnt null, 0x0
	s_barrier
	buffer_gl0_inv
	v_cmpx_gt_u32_e32 13, v0
	s_cbranch_execz .LBB22_279
; %bb.272:
	ds_read_b128 v[1:4], v52
	v_cmp_ne_u32_e32 vcc_lo, 1, v53
	s_cbranch_vccnz .LBB22_274
; %bb.273:
	s_clause 0x3
	buffer_load_dword v54, v51, s[0:3], 0 offen offset:8
	buffer_load_dword v55, v51, s[0:3], 0 offen offset:12
	buffer_load_dword v58, v51, s[0:3], 0 offen
	buffer_load_dword v59, v51, s[0:3], 0 offen offset:4
	s_waitcnt vmcnt(2) lgkmcnt(0)
	v_mul_f64 v[60:61], v[3:4], v[54:55]
	v_mul_f64 v[54:55], v[1:2], v[54:55]
	s_waitcnt vmcnt(0)
	v_fma_f64 v[1:2], v[1:2], v[58:59], -v[60:61]
	v_fma_f64 v[3:4], v[3:4], v[58:59], v[54:55]
.LBB22_274:
	s_mov_b32 s8, exec_lo
	v_cmpx_ne_u32_e32 12, v0
	s_cbranch_execz .LBB22_278
; %bb.275:
	v_add_nc_u32_e32 v54, 0x180, v57
	v_add3_u32 v55, 0, v57, 16
	v_mov_b32_e32 v56, v0
	s_mov_b32 s29, 0
	.p2align	6
.LBB22_276:                             ; =>This Inner Loop Header: Depth=1
	s_clause 0x3
	buffer_load_dword v62, v55, s[0:3], 0 offen offset:8
	buffer_load_dword v63, v55, s[0:3], 0 offen offset:12
	buffer_load_dword v64, v55, s[0:3], 0 offen
	buffer_load_dword v65, v55, s[0:3], 0 offen offset:4
	ds_read_b128 v[58:61], v54
	v_add_nc_u32_e32 v56, 1, v56
	v_add_nc_u32_e32 v54, 16, v54
	;; [unrolled: 1-line block ×3, first 2 shown]
	v_cmp_lt_u32_e32 vcc_lo, 11, v56
	s_or_b32 s29, vcc_lo, s29
	s_waitcnt vmcnt(2) lgkmcnt(0)
	v_mul_f64 v[66:67], v[60:61], v[62:63]
	v_mul_f64 v[62:63], v[58:59], v[62:63]
	s_waitcnt vmcnt(0)
	v_fma_f64 v[58:59], v[58:59], v[64:65], -v[66:67]
	v_fma_f64 v[60:61], v[60:61], v[64:65], v[62:63]
	v_add_f64 v[1:2], v[1:2], v[58:59]
	v_add_f64 v[3:4], v[3:4], v[60:61]
	s_andn2_b32 exec_lo, exec_lo, s29
	s_cbranch_execnz .LBB22_276
; %bb.277:
	s_or_b32 exec_lo, exec_lo, s29
.LBB22_278:
	s_or_b32 exec_lo, exec_lo, s8
	v_mov_b32_e32 v54, 0
	ds_read_b128 v[58:61], v54 offset:208
	s_waitcnt lgkmcnt(0)
	v_mul_f64 v[54:55], v[3:4], v[60:61]
	v_mul_f64 v[60:61], v[1:2], v[60:61]
	v_fma_f64 v[1:2], v[1:2], v[58:59], -v[54:55]
	v_fma_f64 v[3:4], v[3:4], v[58:59], v[60:61]
	buffer_store_dword v2, off, s[0:3], 0 offset:212
	buffer_store_dword v1, off, s[0:3], 0 offset:208
	;; [unrolled: 1-line block ×4, first 2 shown]
.LBB22_279:
	s_or_b32 exec_lo, exec_lo, s4
	v_mov_b32_e32 v4, s15
	s_mov_b32 s4, exec_lo
	s_clause 0x3
	buffer_load_dword v1, v4, s[0:3], 0 offen
	buffer_load_dword v2, v4, s[0:3], 0 offen offset:4
	buffer_load_dword v3, v4, s[0:3], 0 offen offset:8
	;; [unrolled: 1-line block ×3, first 2 shown]
	s_waitcnt vmcnt(0)
	ds_write_b128 v52, v[1:4]
	s_waitcnt lgkmcnt(0)
	s_waitcnt_vscnt null, 0x0
	s_barrier
	buffer_gl0_inv
	v_cmpx_gt_u32_e32 14, v0
	s_cbranch_execz .LBB22_287
; %bb.280:
	ds_read_b128 v[1:4], v52
	v_cmp_ne_u32_e32 vcc_lo, 1, v53
	s_cbranch_vccnz .LBB22_282
; %bb.281:
	s_clause 0x3
	buffer_load_dword v54, v51, s[0:3], 0 offen offset:8
	buffer_load_dword v55, v51, s[0:3], 0 offen offset:12
	buffer_load_dword v58, v51, s[0:3], 0 offen
	buffer_load_dword v59, v51, s[0:3], 0 offen offset:4
	s_waitcnt vmcnt(2) lgkmcnt(0)
	v_mul_f64 v[60:61], v[3:4], v[54:55]
	v_mul_f64 v[54:55], v[1:2], v[54:55]
	s_waitcnt vmcnt(0)
	v_fma_f64 v[1:2], v[1:2], v[58:59], -v[60:61]
	v_fma_f64 v[3:4], v[3:4], v[58:59], v[54:55]
.LBB22_282:
	s_mov_b32 s8, exec_lo
	v_cmpx_ne_u32_e32 13, v0
	s_cbranch_execz .LBB22_286
; %bb.283:
	v_add_nc_u32_e32 v54, 0x180, v57
	v_add3_u32 v55, 0, v57, 16
	v_mov_b32_e32 v56, v0
	s_mov_b32 s29, 0
	.p2align	6
.LBB22_284:                             ; =>This Inner Loop Header: Depth=1
	s_clause 0x3
	buffer_load_dword v62, v55, s[0:3], 0 offen offset:8
	buffer_load_dword v63, v55, s[0:3], 0 offen offset:12
	buffer_load_dword v64, v55, s[0:3], 0 offen
	buffer_load_dword v65, v55, s[0:3], 0 offen offset:4
	ds_read_b128 v[58:61], v54
	v_add_nc_u32_e32 v56, 1, v56
	v_add_nc_u32_e32 v54, 16, v54
	;; [unrolled: 1-line block ×3, first 2 shown]
	v_cmp_lt_u32_e32 vcc_lo, 12, v56
	s_or_b32 s29, vcc_lo, s29
	s_waitcnt vmcnt(2) lgkmcnt(0)
	v_mul_f64 v[66:67], v[60:61], v[62:63]
	v_mul_f64 v[62:63], v[58:59], v[62:63]
	s_waitcnt vmcnt(0)
	v_fma_f64 v[58:59], v[58:59], v[64:65], -v[66:67]
	v_fma_f64 v[60:61], v[60:61], v[64:65], v[62:63]
	v_add_f64 v[1:2], v[1:2], v[58:59]
	v_add_f64 v[3:4], v[3:4], v[60:61]
	s_andn2_b32 exec_lo, exec_lo, s29
	s_cbranch_execnz .LBB22_284
; %bb.285:
	s_or_b32 exec_lo, exec_lo, s29
.LBB22_286:
	s_or_b32 exec_lo, exec_lo, s8
	v_mov_b32_e32 v54, 0
	ds_read_b128 v[58:61], v54 offset:224
	s_waitcnt lgkmcnt(0)
	v_mul_f64 v[54:55], v[3:4], v[60:61]
	v_mul_f64 v[60:61], v[1:2], v[60:61]
	v_fma_f64 v[1:2], v[1:2], v[58:59], -v[54:55]
	v_fma_f64 v[3:4], v[3:4], v[58:59], v[60:61]
	buffer_store_dword v2, off, s[0:3], 0 offset:228
	buffer_store_dword v1, off, s[0:3], 0 offset:224
	;; [unrolled: 1-line block ×4, first 2 shown]
.LBB22_287:
	s_or_b32 exec_lo, exec_lo, s4
	v_mov_b32_e32 v4, s14
	s_mov_b32 s4, exec_lo
	s_clause 0x3
	buffer_load_dword v1, v4, s[0:3], 0 offen
	buffer_load_dword v2, v4, s[0:3], 0 offen offset:4
	buffer_load_dword v3, v4, s[0:3], 0 offen offset:8
	;; [unrolled: 1-line block ×3, first 2 shown]
	s_waitcnt vmcnt(0)
	ds_write_b128 v52, v[1:4]
	s_waitcnt lgkmcnt(0)
	s_waitcnt_vscnt null, 0x0
	s_barrier
	buffer_gl0_inv
	v_cmpx_gt_u32_e32 15, v0
	s_cbranch_execz .LBB22_295
; %bb.288:
	ds_read_b128 v[1:4], v52
	v_cmp_ne_u32_e32 vcc_lo, 1, v53
	s_cbranch_vccnz .LBB22_290
; %bb.289:
	s_clause 0x3
	buffer_load_dword v54, v51, s[0:3], 0 offen offset:8
	buffer_load_dword v55, v51, s[0:3], 0 offen offset:12
	buffer_load_dword v58, v51, s[0:3], 0 offen
	buffer_load_dword v59, v51, s[0:3], 0 offen offset:4
	s_waitcnt vmcnt(2) lgkmcnt(0)
	v_mul_f64 v[60:61], v[3:4], v[54:55]
	v_mul_f64 v[54:55], v[1:2], v[54:55]
	s_waitcnt vmcnt(0)
	v_fma_f64 v[1:2], v[1:2], v[58:59], -v[60:61]
	v_fma_f64 v[3:4], v[3:4], v[58:59], v[54:55]
.LBB22_290:
	s_mov_b32 s8, exec_lo
	v_cmpx_ne_u32_e32 14, v0
	s_cbranch_execz .LBB22_294
; %bb.291:
	v_add_nc_u32_e32 v54, 0x180, v57
	v_add3_u32 v55, 0, v57, 16
	v_mov_b32_e32 v56, v0
	s_mov_b32 s29, 0
	.p2align	6
.LBB22_292:                             ; =>This Inner Loop Header: Depth=1
	s_clause 0x3
	buffer_load_dword v62, v55, s[0:3], 0 offen offset:8
	buffer_load_dword v63, v55, s[0:3], 0 offen offset:12
	buffer_load_dword v64, v55, s[0:3], 0 offen
	buffer_load_dword v65, v55, s[0:3], 0 offen offset:4
	ds_read_b128 v[58:61], v54
	v_add_nc_u32_e32 v56, 1, v56
	v_add_nc_u32_e32 v54, 16, v54
	;; [unrolled: 1-line block ×3, first 2 shown]
	v_cmp_lt_u32_e32 vcc_lo, 13, v56
	s_or_b32 s29, vcc_lo, s29
	s_waitcnt vmcnt(2) lgkmcnt(0)
	v_mul_f64 v[66:67], v[60:61], v[62:63]
	v_mul_f64 v[62:63], v[58:59], v[62:63]
	s_waitcnt vmcnt(0)
	v_fma_f64 v[58:59], v[58:59], v[64:65], -v[66:67]
	v_fma_f64 v[60:61], v[60:61], v[64:65], v[62:63]
	v_add_f64 v[1:2], v[1:2], v[58:59]
	v_add_f64 v[3:4], v[3:4], v[60:61]
	s_andn2_b32 exec_lo, exec_lo, s29
	s_cbranch_execnz .LBB22_292
; %bb.293:
	s_or_b32 exec_lo, exec_lo, s29
.LBB22_294:
	s_or_b32 exec_lo, exec_lo, s8
	v_mov_b32_e32 v54, 0
	ds_read_b128 v[58:61], v54 offset:240
	s_waitcnt lgkmcnt(0)
	v_mul_f64 v[54:55], v[3:4], v[60:61]
	v_mul_f64 v[60:61], v[1:2], v[60:61]
	v_fma_f64 v[1:2], v[1:2], v[58:59], -v[54:55]
	v_fma_f64 v[3:4], v[3:4], v[58:59], v[60:61]
	buffer_store_dword v2, off, s[0:3], 0 offset:244
	buffer_store_dword v1, off, s[0:3], 0 offset:240
	;; [unrolled: 1-line block ×4, first 2 shown]
.LBB22_295:
	s_or_b32 exec_lo, exec_lo, s4
	v_mov_b32_e32 v4, s13
	s_mov_b32 s4, exec_lo
	s_clause 0x3
	buffer_load_dword v1, v4, s[0:3], 0 offen
	buffer_load_dword v2, v4, s[0:3], 0 offen offset:4
	buffer_load_dword v3, v4, s[0:3], 0 offen offset:8
	buffer_load_dword v4, v4, s[0:3], 0 offen offset:12
	s_waitcnt vmcnt(0)
	ds_write_b128 v52, v[1:4]
	s_waitcnt lgkmcnt(0)
	s_waitcnt_vscnt null, 0x0
	s_barrier
	buffer_gl0_inv
	v_cmpx_gt_u32_e32 16, v0
	s_cbranch_execz .LBB22_303
; %bb.296:
	ds_read_b128 v[1:4], v52
	v_cmp_ne_u32_e32 vcc_lo, 1, v53
	s_cbranch_vccnz .LBB22_298
; %bb.297:
	s_clause 0x3
	buffer_load_dword v54, v51, s[0:3], 0 offen offset:8
	buffer_load_dword v55, v51, s[0:3], 0 offen offset:12
	buffer_load_dword v58, v51, s[0:3], 0 offen
	buffer_load_dword v59, v51, s[0:3], 0 offen offset:4
	s_waitcnt vmcnt(2) lgkmcnt(0)
	v_mul_f64 v[60:61], v[3:4], v[54:55]
	v_mul_f64 v[54:55], v[1:2], v[54:55]
	s_waitcnt vmcnt(0)
	v_fma_f64 v[1:2], v[1:2], v[58:59], -v[60:61]
	v_fma_f64 v[3:4], v[3:4], v[58:59], v[54:55]
.LBB22_298:
	s_mov_b32 s8, exec_lo
	v_cmpx_ne_u32_e32 15, v0
	s_cbranch_execz .LBB22_302
; %bb.299:
	v_add_nc_u32_e32 v54, 0x180, v57
	v_add3_u32 v55, 0, v57, 16
	v_mov_b32_e32 v56, v0
	s_mov_b32 s29, 0
	.p2align	6
.LBB22_300:                             ; =>This Inner Loop Header: Depth=1
	s_clause 0x3
	buffer_load_dword v62, v55, s[0:3], 0 offen offset:8
	buffer_load_dword v63, v55, s[0:3], 0 offen offset:12
	buffer_load_dword v64, v55, s[0:3], 0 offen
	buffer_load_dword v65, v55, s[0:3], 0 offen offset:4
	ds_read_b128 v[58:61], v54
	v_add_nc_u32_e32 v56, 1, v56
	v_add_nc_u32_e32 v54, 16, v54
	;; [unrolled: 1-line block ×3, first 2 shown]
	v_cmp_lt_u32_e32 vcc_lo, 14, v56
	s_or_b32 s29, vcc_lo, s29
	s_waitcnt vmcnt(2) lgkmcnt(0)
	v_mul_f64 v[66:67], v[60:61], v[62:63]
	v_mul_f64 v[62:63], v[58:59], v[62:63]
	s_waitcnt vmcnt(0)
	v_fma_f64 v[58:59], v[58:59], v[64:65], -v[66:67]
	v_fma_f64 v[60:61], v[60:61], v[64:65], v[62:63]
	v_add_f64 v[1:2], v[1:2], v[58:59]
	v_add_f64 v[3:4], v[3:4], v[60:61]
	s_andn2_b32 exec_lo, exec_lo, s29
	s_cbranch_execnz .LBB22_300
; %bb.301:
	s_or_b32 exec_lo, exec_lo, s29
.LBB22_302:
	s_or_b32 exec_lo, exec_lo, s8
	v_mov_b32_e32 v54, 0
	ds_read_b128 v[58:61], v54 offset:256
	s_waitcnt lgkmcnt(0)
	v_mul_f64 v[54:55], v[3:4], v[60:61]
	v_mul_f64 v[60:61], v[1:2], v[60:61]
	v_fma_f64 v[1:2], v[1:2], v[58:59], -v[54:55]
	v_fma_f64 v[3:4], v[3:4], v[58:59], v[60:61]
	buffer_store_dword v2, off, s[0:3], 0 offset:260
	buffer_store_dword v1, off, s[0:3], 0 offset:256
	buffer_store_dword v4, off, s[0:3], 0 offset:268
	buffer_store_dword v3, off, s[0:3], 0 offset:264
.LBB22_303:
	s_or_b32 exec_lo, exec_lo, s4
	v_mov_b32_e32 v4, s12
	s_mov_b32 s4, exec_lo
	s_clause 0x3
	buffer_load_dword v1, v4, s[0:3], 0 offen
	buffer_load_dword v2, v4, s[0:3], 0 offen offset:4
	buffer_load_dword v3, v4, s[0:3], 0 offen offset:8
	;; [unrolled: 1-line block ×3, first 2 shown]
	s_waitcnt vmcnt(0)
	ds_write_b128 v52, v[1:4]
	s_waitcnt lgkmcnt(0)
	s_waitcnt_vscnt null, 0x0
	s_barrier
	buffer_gl0_inv
	v_cmpx_gt_u32_e32 17, v0
	s_cbranch_execz .LBB22_311
; %bb.304:
	ds_read_b128 v[1:4], v52
	v_cmp_ne_u32_e32 vcc_lo, 1, v53
	s_cbranch_vccnz .LBB22_306
; %bb.305:
	s_clause 0x3
	buffer_load_dword v54, v51, s[0:3], 0 offen offset:8
	buffer_load_dword v55, v51, s[0:3], 0 offen offset:12
	buffer_load_dword v58, v51, s[0:3], 0 offen
	buffer_load_dword v59, v51, s[0:3], 0 offen offset:4
	s_waitcnt vmcnt(2) lgkmcnt(0)
	v_mul_f64 v[60:61], v[3:4], v[54:55]
	v_mul_f64 v[54:55], v[1:2], v[54:55]
	s_waitcnt vmcnt(0)
	v_fma_f64 v[1:2], v[1:2], v[58:59], -v[60:61]
	v_fma_f64 v[3:4], v[3:4], v[58:59], v[54:55]
.LBB22_306:
	s_mov_b32 s8, exec_lo
	v_cmpx_ne_u32_e32 16, v0
	s_cbranch_execz .LBB22_310
; %bb.307:
	v_add_nc_u32_e32 v54, 0x180, v57
	v_add3_u32 v55, 0, v57, 16
	v_mov_b32_e32 v56, v0
	s_mov_b32 s29, 0
	.p2align	6
.LBB22_308:                             ; =>This Inner Loop Header: Depth=1
	s_clause 0x3
	buffer_load_dword v62, v55, s[0:3], 0 offen offset:8
	buffer_load_dword v63, v55, s[0:3], 0 offen offset:12
	buffer_load_dword v64, v55, s[0:3], 0 offen
	buffer_load_dword v65, v55, s[0:3], 0 offen offset:4
	ds_read_b128 v[58:61], v54
	v_add_nc_u32_e32 v56, 1, v56
	v_add_nc_u32_e32 v54, 16, v54
	;; [unrolled: 1-line block ×3, first 2 shown]
	v_cmp_lt_u32_e32 vcc_lo, 15, v56
	s_or_b32 s29, vcc_lo, s29
	s_waitcnt vmcnt(2) lgkmcnt(0)
	v_mul_f64 v[66:67], v[60:61], v[62:63]
	v_mul_f64 v[62:63], v[58:59], v[62:63]
	s_waitcnt vmcnt(0)
	v_fma_f64 v[58:59], v[58:59], v[64:65], -v[66:67]
	v_fma_f64 v[60:61], v[60:61], v[64:65], v[62:63]
	v_add_f64 v[1:2], v[1:2], v[58:59]
	v_add_f64 v[3:4], v[3:4], v[60:61]
	s_andn2_b32 exec_lo, exec_lo, s29
	s_cbranch_execnz .LBB22_308
; %bb.309:
	s_or_b32 exec_lo, exec_lo, s29
.LBB22_310:
	s_or_b32 exec_lo, exec_lo, s8
	v_mov_b32_e32 v54, 0
	ds_read_b128 v[58:61], v54 offset:272
	s_waitcnt lgkmcnt(0)
	v_mul_f64 v[54:55], v[3:4], v[60:61]
	v_mul_f64 v[60:61], v[1:2], v[60:61]
	v_fma_f64 v[1:2], v[1:2], v[58:59], -v[54:55]
	v_fma_f64 v[3:4], v[3:4], v[58:59], v[60:61]
	buffer_store_dword v2, off, s[0:3], 0 offset:276
	buffer_store_dword v1, off, s[0:3], 0 offset:272
	buffer_store_dword v4, off, s[0:3], 0 offset:284
	buffer_store_dword v3, off, s[0:3], 0 offset:280
.LBB22_311:
	s_or_b32 exec_lo, exec_lo, s4
	v_mov_b32_e32 v4, s11
	s_mov_b32 s4, exec_lo
	s_clause 0x3
	buffer_load_dword v1, v4, s[0:3], 0 offen
	buffer_load_dword v2, v4, s[0:3], 0 offen offset:4
	buffer_load_dword v3, v4, s[0:3], 0 offen offset:8
	;; [unrolled: 1-line block ×3, first 2 shown]
	s_waitcnt vmcnt(0)
	ds_write_b128 v52, v[1:4]
	s_waitcnt lgkmcnt(0)
	s_waitcnt_vscnt null, 0x0
	s_barrier
	buffer_gl0_inv
	v_cmpx_gt_u32_e32 18, v0
	s_cbranch_execz .LBB22_319
; %bb.312:
	ds_read_b128 v[1:4], v52
	v_cmp_ne_u32_e32 vcc_lo, 1, v53
	s_cbranch_vccnz .LBB22_314
; %bb.313:
	s_clause 0x3
	buffer_load_dword v54, v51, s[0:3], 0 offen offset:8
	buffer_load_dword v55, v51, s[0:3], 0 offen offset:12
	buffer_load_dword v58, v51, s[0:3], 0 offen
	buffer_load_dword v59, v51, s[0:3], 0 offen offset:4
	s_waitcnt vmcnt(2) lgkmcnt(0)
	v_mul_f64 v[60:61], v[3:4], v[54:55]
	v_mul_f64 v[54:55], v[1:2], v[54:55]
	s_waitcnt vmcnt(0)
	v_fma_f64 v[1:2], v[1:2], v[58:59], -v[60:61]
	v_fma_f64 v[3:4], v[3:4], v[58:59], v[54:55]
.LBB22_314:
	s_mov_b32 s8, exec_lo
	v_cmpx_ne_u32_e32 17, v0
	s_cbranch_execz .LBB22_318
; %bb.315:
	v_add_nc_u32_e32 v54, 0x180, v57
	v_add3_u32 v55, 0, v57, 16
	v_mov_b32_e32 v56, v0
	s_mov_b32 s29, 0
	.p2align	6
.LBB22_316:                             ; =>This Inner Loop Header: Depth=1
	s_clause 0x3
	buffer_load_dword v62, v55, s[0:3], 0 offen offset:8
	buffer_load_dword v63, v55, s[0:3], 0 offen offset:12
	buffer_load_dword v64, v55, s[0:3], 0 offen
	buffer_load_dword v65, v55, s[0:3], 0 offen offset:4
	ds_read_b128 v[58:61], v54
	v_add_nc_u32_e32 v56, 1, v56
	v_add_nc_u32_e32 v54, 16, v54
	;; [unrolled: 1-line block ×3, first 2 shown]
	v_cmp_lt_u32_e32 vcc_lo, 16, v56
	s_or_b32 s29, vcc_lo, s29
	s_waitcnt vmcnt(2) lgkmcnt(0)
	v_mul_f64 v[66:67], v[60:61], v[62:63]
	v_mul_f64 v[62:63], v[58:59], v[62:63]
	s_waitcnt vmcnt(0)
	v_fma_f64 v[58:59], v[58:59], v[64:65], -v[66:67]
	v_fma_f64 v[60:61], v[60:61], v[64:65], v[62:63]
	v_add_f64 v[1:2], v[1:2], v[58:59]
	v_add_f64 v[3:4], v[3:4], v[60:61]
	s_andn2_b32 exec_lo, exec_lo, s29
	s_cbranch_execnz .LBB22_316
; %bb.317:
	s_or_b32 exec_lo, exec_lo, s29
.LBB22_318:
	s_or_b32 exec_lo, exec_lo, s8
	v_mov_b32_e32 v54, 0
	ds_read_b128 v[58:61], v54 offset:288
	s_waitcnt lgkmcnt(0)
	v_mul_f64 v[54:55], v[3:4], v[60:61]
	v_mul_f64 v[60:61], v[1:2], v[60:61]
	v_fma_f64 v[1:2], v[1:2], v[58:59], -v[54:55]
	v_fma_f64 v[3:4], v[3:4], v[58:59], v[60:61]
	buffer_store_dword v2, off, s[0:3], 0 offset:292
	buffer_store_dword v1, off, s[0:3], 0 offset:288
	buffer_store_dword v4, off, s[0:3], 0 offset:300
	buffer_store_dword v3, off, s[0:3], 0 offset:296
.LBB22_319:
	s_or_b32 exec_lo, exec_lo, s4
	v_mov_b32_e32 v4, s10
	s_mov_b32 s4, exec_lo
	s_clause 0x3
	buffer_load_dword v1, v4, s[0:3], 0 offen
	buffer_load_dword v2, v4, s[0:3], 0 offen offset:4
	buffer_load_dword v3, v4, s[0:3], 0 offen offset:8
	;; [unrolled: 1-line block ×3, first 2 shown]
	s_waitcnt vmcnt(0)
	ds_write_b128 v52, v[1:4]
	s_waitcnt lgkmcnt(0)
	s_waitcnt_vscnt null, 0x0
	s_barrier
	buffer_gl0_inv
	v_cmpx_gt_u32_e32 19, v0
	s_cbranch_execz .LBB22_327
; %bb.320:
	ds_read_b128 v[1:4], v52
	v_cmp_ne_u32_e32 vcc_lo, 1, v53
	s_cbranch_vccnz .LBB22_322
; %bb.321:
	s_clause 0x3
	buffer_load_dword v54, v51, s[0:3], 0 offen offset:8
	buffer_load_dword v55, v51, s[0:3], 0 offen offset:12
	buffer_load_dword v58, v51, s[0:3], 0 offen
	buffer_load_dword v59, v51, s[0:3], 0 offen offset:4
	s_waitcnt vmcnt(2) lgkmcnt(0)
	v_mul_f64 v[60:61], v[3:4], v[54:55]
	v_mul_f64 v[54:55], v[1:2], v[54:55]
	s_waitcnt vmcnt(0)
	v_fma_f64 v[1:2], v[1:2], v[58:59], -v[60:61]
	v_fma_f64 v[3:4], v[3:4], v[58:59], v[54:55]
.LBB22_322:
	s_mov_b32 s8, exec_lo
	v_cmpx_ne_u32_e32 18, v0
	s_cbranch_execz .LBB22_326
; %bb.323:
	v_add_nc_u32_e32 v54, 0x180, v57
	v_add3_u32 v55, 0, v57, 16
	v_mov_b32_e32 v56, v0
	s_mov_b32 s29, 0
	.p2align	6
.LBB22_324:                             ; =>This Inner Loop Header: Depth=1
	s_clause 0x3
	buffer_load_dword v62, v55, s[0:3], 0 offen offset:8
	buffer_load_dword v63, v55, s[0:3], 0 offen offset:12
	buffer_load_dword v64, v55, s[0:3], 0 offen
	buffer_load_dword v65, v55, s[0:3], 0 offen offset:4
	ds_read_b128 v[58:61], v54
	v_add_nc_u32_e32 v56, 1, v56
	v_add_nc_u32_e32 v54, 16, v54
	;; [unrolled: 1-line block ×3, first 2 shown]
	v_cmp_lt_u32_e32 vcc_lo, 17, v56
	s_or_b32 s29, vcc_lo, s29
	s_waitcnt vmcnt(2) lgkmcnt(0)
	v_mul_f64 v[66:67], v[60:61], v[62:63]
	v_mul_f64 v[62:63], v[58:59], v[62:63]
	s_waitcnt vmcnt(0)
	v_fma_f64 v[58:59], v[58:59], v[64:65], -v[66:67]
	v_fma_f64 v[60:61], v[60:61], v[64:65], v[62:63]
	v_add_f64 v[1:2], v[1:2], v[58:59]
	v_add_f64 v[3:4], v[3:4], v[60:61]
	s_andn2_b32 exec_lo, exec_lo, s29
	s_cbranch_execnz .LBB22_324
; %bb.325:
	s_or_b32 exec_lo, exec_lo, s29
.LBB22_326:
	s_or_b32 exec_lo, exec_lo, s8
	v_mov_b32_e32 v54, 0
	ds_read_b128 v[58:61], v54 offset:304
	s_waitcnt lgkmcnt(0)
	v_mul_f64 v[54:55], v[3:4], v[60:61]
	v_mul_f64 v[60:61], v[1:2], v[60:61]
	v_fma_f64 v[1:2], v[1:2], v[58:59], -v[54:55]
	v_fma_f64 v[3:4], v[3:4], v[58:59], v[60:61]
	buffer_store_dword v2, off, s[0:3], 0 offset:308
	buffer_store_dword v1, off, s[0:3], 0 offset:304
	;; [unrolled: 1-line block ×4, first 2 shown]
.LBB22_327:
	s_or_b32 exec_lo, exec_lo, s4
	v_mov_b32_e32 v4, s9
	s_mov_b32 s4, exec_lo
	s_clause 0x3
	buffer_load_dword v1, v4, s[0:3], 0 offen
	buffer_load_dword v2, v4, s[0:3], 0 offen offset:4
	buffer_load_dword v3, v4, s[0:3], 0 offen offset:8
	;; [unrolled: 1-line block ×3, first 2 shown]
	s_waitcnt vmcnt(0)
	ds_write_b128 v52, v[1:4]
	s_waitcnt lgkmcnt(0)
	s_waitcnt_vscnt null, 0x0
	s_barrier
	buffer_gl0_inv
	v_cmpx_gt_u32_e32 20, v0
	s_cbranch_execz .LBB22_335
; %bb.328:
	ds_read_b128 v[1:4], v52
	v_cmp_ne_u32_e32 vcc_lo, 1, v53
	s_cbranch_vccnz .LBB22_330
; %bb.329:
	s_clause 0x3
	buffer_load_dword v54, v51, s[0:3], 0 offen offset:8
	buffer_load_dword v55, v51, s[0:3], 0 offen offset:12
	buffer_load_dword v58, v51, s[0:3], 0 offen
	buffer_load_dword v59, v51, s[0:3], 0 offen offset:4
	s_waitcnt vmcnt(2) lgkmcnt(0)
	v_mul_f64 v[60:61], v[3:4], v[54:55]
	v_mul_f64 v[54:55], v[1:2], v[54:55]
	s_waitcnt vmcnt(0)
	v_fma_f64 v[1:2], v[1:2], v[58:59], -v[60:61]
	v_fma_f64 v[3:4], v[3:4], v[58:59], v[54:55]
.LBB22_330:
	s_mov_b32 s8, exec_lo
	v_cmpx_ne_u32_e32 19, v0
	s_cbranch_execz .LBB22_334
; %bb.331:
	v_add_nc_u32_e32 v54, 0x180, v57
	v_add3_u32 v55, 0, v57, 16
	v_mov_b32_e32 v56, v0
	s_mov_b32 s29, 0
	.p2align	6
.LBB22_332:                             ; =>This Inner Loop Header: Depth=1
	s_clause 0x3
	buffer_load_dword v62, v55, s[0:3], 0 offen offset:8
	buffer_load_dword v63, v55, s[0:3], 0 offen offset:12
	buffer_load_dword v64, v55, s[0:3], 0 offen
	buffer_load_dword v65, v55, s[0:3], 0 offen offset:4
	ds_read_b128 v[58:61], v54
	v_add_nc_u32_e32 v56, 1, v56
	v_add_nc_u32_e32 v54, 16, v54
	;; [unrolled: 1-line block ×3, first 2 shown]
	v_cmp_lt_u32_e32 vcc_lo, 18, v56
	s_or_b32 s29, vcc_lo, s29
	s_waitcnt vmcnt(2) lgkmcnt(0)
	v_mul_f64 v[66:67], v[60:61], v[62:63]
	v_mul_f64 v[62:63], v[58:59], v[62:63]
	s_waitcnt vmcnt(0)
	v_fma_f64 v[58:59], v[58:59], v[64:65], -v[66:67]
	v_fma_f64 v[60:61], v[60:61], v[64:65], v[62:63]
	v_add_f64 v[1:2], v[1:2], v[58:59]
	v_add_f64 v[3:4], v[3:4], v[60:61]
	s_andn2_b32 exec_lo, exec_lo, s29
	s_cbranch_execnz .LBB22_332
; %bb.333:
	s_or_b32 exec_lo, exec_lo, s29
.LBB22_334:
	s_or_b32 exec_lo, exec_lo, s8
	v_mov_b32_e32 v54, 0
	ds_read_b128 v[58:61], v54 offset:320
	s_waitcnt lgkmcnt(0)
	v_mul_f64 v[54:55], v[3:4], v[60:61]
	v_mul_f64 v[60:61], v[1:2], v[60:61]
	v_fma_f64 v[1:2], v[1:2], v[58:59], -v[54:55]
	v_fma_f64 v[3:4], v[3:4], v[58:59], v[60:61]
	buffer_store_dword v2, off, s[0:3], 0 offset:324
	buffer_store_dword v1, off, s[0:3], 0 offset:320
	;; [unrolled: 1-line block ×4, first 2 shown]
.LBB22_335:
	s_or_b32 exec_lo, exec_lo, s4
	v_mov_b32_e32 v4, s7
	v_cmp_gt_u32_e64 s4, 21, v0
	s_clause 0x3
	buffer_load_dword v1, v4, s[0:3], 0 offen
	buffer_load_dword v2, v4, s[0:3], 0 offen offset:4
	buffer_load_dword v3, v4, s[0:3], 0 offen offset:8
	;; [unrolled: 1-line block ×3, first 2 shown]
	s_waitcnt vmcnt(0)
	ds_write_b128 v52, v[1:4]
	s_waitcnt lgkmcnt(0)
	s_waitcnt_vscnt null, 0x0
	s_barrier
	buffer_gl0_inv
	s_and_saveexec_b32 s8, s4
	s_cbranch_execz .LBB22_343
; %bb.336:
	ds_read_b128 v[1:4], v52
	v_cmp_ne_u32_e32 vcc_lo, 1, v53
	s_cbranch_vccnz .LBB22_338
; %bb.337:
	s_clause 0x3
	buffer_load_dword v54, v51, s[0:3], 0 offen offset:8
	buffer_load_dword v55, v51, s[0:3], 0 offen offset:12
	buffer_load_dword v58, v51, s[0:3], 0 offen
	buffer_load_dword v59, v51, s[0:3], 0 offen offset:4
	s_waitcnt vmcnt(2) lgkmcnt(0)
	v_mul_f64 v[60:61], v[3:4], v[54:55]
	v_mul_f64 v[54:55], v[1:2], v[54:55]
	s_waitcnt vmcnt(0)
	v_fma_f64 v[1:2], v[1:2], v[58:59], -v[60:61]
	v_fma_f64 v[3:4], v[3:4], v[58:59], v[54:55]
.LBB22_338:
	s_mov_b32 s29, exec_lo
	v_cmpx_ne_u32_e32 20, v0
	s_cbranch_execz .LBB22_342
; %bb.339:
	v_add_nc_u32_e32 v54, 0x180, v57
	v_add3_u32 v55, 0, v57, 16
	v_mov_b32_e32 v56, v0
	s_mov_b32 s30, 0
	.p2align	6
.LBB22_340:                             ; =>This Inner Loop Header: Depth=1
	s_clause 0x3
	buffer_load_dword v62, v55, s[0:3], 0 offen offset:8
	buffer_load_dword v63, v55, s[0:3], 0 offen offset:12
	buffer_load_dword v64, v55, s[0:3], 0 offen
	buffer_load_dword v65, v55, s[0:3], 0 offen offset:4
	ds_read_b128 v[58:61], v54
	v_add_nc_u32_e32 v56, 1, v56
	v_add_nc_u32_e32 v54, 16, v54
	;; [unrolled: 1-line block ×3, first 2 shown]
	v_cmp_lt_u32_e32 vcc_lo, 19, v56
	s_or_b32 s30, vcc_lo, s30
	s_waitcnt vmcnt(2) lgkmcnt(0)
	v_mul_f64 v[66:67], v[60:61], v[62:63]
	v_mul_f64 v[62:63], v[58:59], v[62:63]
	s_waitcnt vmcnt(0)
	v_fma_f64 v[58:59], v[58:59], v[64:65], -v[66:67]
	v_fma_f64 v[60:61], v[60:61], v[64:65], v[62:63]
	v_add_f64 v[1:2], v[1:2], v[58:59]
	v_add_f64 v[3:4], v[3:4], v[60:61]
	s_andn2_b32 exec_lo, exec_lo, s30
	s_cbranch_execnz .LBB22_340
; %bb.341:
	s_or_b32 exec_lo, exec_lo, s30
.LBB22_342:
	s_or_b32 exec_lo, exec_lo, s29
	v_mov_b32_e32 v54, 0
	ds_read_b128 v[58:61], v54 offset:336
	s_waitcnt lgkmcnt(0)
	v_mul_f64 v[54:55], v[3:4], v[60:61]
	v_mul_f64 v[60:61], v[1:2], v[60:61]
	v_fma_f64 v[1:2], v[1:2], v[58:59], -v[54:55]
	v_fma_f64 v[3:4], v[3:4], v[58:59], v[60:61]
	buffer_store_dword v2, off, s[0:3], 0 offset:340
	buffer_store_dword v1, off, s[0:3], 0 offset:336
	;; [unrolled: 1-line block ×4, first 2 shown]
.LBB22_343:
	s_or_b32 exec_lo, exec_lo, s8
	v_mov_b32_e32 v4, s6
	s_mov_b32 s8, exec_lo
                                        ; implicit-def: $sgpr31
	s_clause 0x3
	buffer_load_dword v1, v4, s[0:3], 0 offen
	buffer_load_dword v2, v4, s[0:3], 0 offen offset:4
	buffer_load_dword v3, v4, s[0:3], 0 offen offset:8
	buffer_load_dword v4, v4, s[0:3], 0 offen offset:12
	s_waitcnt vmcnt(0)
	ds_write_b128 v52, v[1:4]
	s_waitcnt lgkmcnt(0)
	s_waitcnt_vscnt null, 0x0
	s_barrier
	buffer_gl0_inv
                                        ; implicit-def: $vgpr1_vgpr2
	v_cmpx_ne_u32_e32 22, v0
	s_cbranch_execz .LBB22_351
; %bb.344:
	ds_read_b128 v[1:4], v52
	v_cmp_ne_u32_e32 vcc_lo, 1, v53
	s_cbranch_vccnz .LBB22_346
; %bb.345:
	s_clause 0x3
	buffer_load_dword v52, v51, s[0:3], 0 offen offset:8
	buffer_load_dword v53, v51, s[0:3], 0 offen offset:12
	buffer_load_dword v54, v51, s[0:3], 0 offen
	buffer_load_dword v55, v51, s[0:3], 0 offen offset:4
	s_waitcnt vmcnt(2) lgkmcnt(0)
	v_mul_f64 v[58:59], v[3:4], v[52:53]
	v_mul_f64 v[51:52], v[1:2], v[52:53]
	s_waitcnt vmcnt(0)
	v_fma_f64 v[1:2], v[1:2], v[54:55], -v[58:59]
	v_fma_f64 v[3:4], v[3:4], v[54:55], v[51:52]
.LBB22_346:
	s_and_saveexec_b32 s29, s4
	s_cbranch_execz .LBB22_350
; %bb.347:
	v_add_nc_u32_e32 v51, 0x180, v57
	v_add3_u32 v52, 0, v57, 16
	s_mov_b32 s4, 0
	.p2align	6
.LBB22_348:                             ; =>This Inner Loop Header: Depth=1
	s_clause 0x3
	buffer_load_dword v57, v52, s[0:3], 0 offen offset:8
	buffer_load_dword v58, v52, s[0:3], 0 offen offset:12
	buffer_load_dword v59, v52, s[0:3], 0 offen
	buffer_load_dword v60, v52, s[0:3], 0 offen offset:4
	ds_read_b128 v[53:56], v51
	v_add_nc_u32_e32 v0, 1, v0
	v_add_nc_u32_e32 v51, 16, v51
	;; [unrolled: 1-line block ×3, first 2 shown]
	v_cmp_lt_u32_e32 vcc_lo, 20, v0
	s_or_b32 s4, vcc_lo, s4
	s_waitcnt vmcnt(2) lgkmcnt(0)
	v_mul_f64 v[61:62], v[55:56], v[57:58]
	v_mul_f64 v[57:58], v[53:54], v[57:58]
	s_waitcnt vmcnt(0)
	v_fma_f64 v[53:54], v[53:54], v[59:60], -v[61:62]
	v_fma_f64 v[55:56], v[55:56], v[59:60], v[57:58]
	v_add_f64 v[1:2], v[1:2], v[53:54]
	v_add_f64 v[3:4], v[3:4], v[55:56]
	s_andn2_b32 exec_lo, exec_lo, s4
	s_cbranch_execnz .LBB22_348
; %bb.349:
	s_or_b32 exec_lo, exec_lo, s4
.LBB22_350:
	s_or_b32 exec_lo, exec_lo, s29
	v_mov_b32_e32 v0, 0
	s_movk_i32 s31, 0x168
	s_or_b32 s5, s5, exec_lo
	ds_read_b128 v[51:54], v0 offset:352
	s_waitcnt lgkmcnt(0)
	v_mul_f64 v[55:56], v[3:4], v[53:54]
	v_mul_f64 v[53:54], v[1:2], v[53:54]
	v_fma_f64 v[55:56], v[1:2], v[51:52], -v[55:56]
	v_fma_f64 v[1:2], v[3:4], v[51:52], v[53:54]
	buffer_store_dword v56, off, s[0:3], 0 offset:356
	buffer_store_dword v55, off, s[0:3], 0 offset:352
.LBB22_351:
	s_or_b32 exec_lo, exec_lo, s8
.LBB22_352:
	s_and_saveexec_b32 s4, s5
	s_cbranch_execz .LBB22_354
; %bb.353:
	v_mov_b32_e32 v0, s31
	buffer_store_dword v2, v0, s[0:3], 0 offen offset:4
	buffer_store_dword v1, v0, s[0:3], 0 offen
.LBB22_354:
	s_or_b32 exec_lo, exec_lo, s4
	v_mov_b32_e32 v4, s28
	s_clause 0x3
	buffer_load_dword v0, off, s[0:3], 0
	buffer_load_dword v1, off, s[0:3], 0 offset:4
	buffer_load_dword v2, off, s[0:3], 0 offset:8
	;; [unrolled: 1-line block ×3, first 2 shown]
	v_mov_b32_e32 v66, s25
	v_mov_b32_e32 v78, s21
	;; [unrolled: 1-line block ×3, first 2 shown]
	s_clause 0x3
	buffer_load_dword v51, v4, s[0:3], 0 offen
	buffer_load_dword v52, v4, s[0:3], 0 offen offset:4
	buffer_load_dword v53, v4, s[0:3], 0 offen offset:8
	;; [unrolled: 1-line block ×3, first 2 shown]
	v_mov_b32_e32 v4, s27
	v_mov_b32_e32 v82, s13
	;; [unrolled: 1-line block ×4, first 2 shown]
	s_clause 0x3
	buffer_load_dword v55, v4, s[0:3], 0 offen
	buffer_load_dword v56, v4, s[0:3], 0 offen offset:4
	buffer_load_dword v57, v4, s[0:3], 0 offen offset:8
	;; [unrolled: 1-line block ×3, first 2 shown]
	v_mov_b32_e32 v4, s26
	v_mov_b32_e32 v86, s9
	;; [unrolled: 1-line block ×3, first 2 shown]
	s_clause 0x3
	buffer_load_dword v59, v4, s[0:3], 0 offen
	buffer_load_dword v60, v4, s[0:3], 0 offen offset:4
	buffer_load_dword v61, v4, s[0:3], 0 offen offset:8
	buffer_load_dword v62, v4, s[0:3], 0 offen offset:12
	v_mov_b32_e32 v4, s24
	s_clause 0x7
	buffer_load_dword v63, v66, s[0:3], 0 offen
	buffer_load_dword v64, v66, s[0:3], 0 offen offset:4
	buffer_load_dword v65, v66, s[0:3], 0 offen offset:8
	;; [unrolled: 1-line block ×3, first 2 shown]
	buffer_load_dword v67, v4, s[0:3], 0 offen
	buffer_load_dword v68, v4, s[0:3], 0 offen offset:4
	buffer_load_dword v69, v4, s[0:3], 0 offen offset:8
	;; [unrolled: 1-line block ×3, first 2 shown]
	v_mov_b32_e32 v4, s23
	s_clause 0x3
	buffer_load_dword v71, v4, s[0:3], 0 offen
	buffer_load_dword v72, v4, s[0:3], 0 offen offset:4
	buffer_load_dword v73, v4, s[0:3], 0 offen offset:8
	;; [unrolled: 1-line block ×3, first 2 shown]
	v_mov_b32_e32 v4, s22
	v_mov_b32_e32 v83, s12
	;; [unrolled: 1-line block ×3, first 2 shown]
	s_waitcnt vmcnt(24)
	global_store_dwordx4 v[7:8], v[0:3], off
	v_mov_b32_e32 v7, s20
	v_mov_b32_e32 v8, s19
	s_clause 0x7
	buffer_load_dword v0, v4, s[0:3], 0 offen
	buffer_load_dword v1, v4, s[0:3], 0 offen offset:4
	buffer_load_dword v2, v4, s[0:3], 0 offen offset:8
	buffer_load_dword v3, v4, s[0:3], 0 offen offset:12
	buffer_load_dword v75, v78, s[0:3], 0 offen
	buffer_load_dword v76, v78, s[0:3], 0 offen offset:4
	buffer_load_dword v77, v78, s[0:3], 0 offen offset:8
	;; [unrolled: 1-line block ×3, first 2 shown]
	s_waitcnt vmcnt(28)
	global_store_dwordx4 v[5:6], v[51:54], off
	s_clause 0x3
	buffer_load_dword v4, v7, s[0:3], 0 offen
	buffer_load_dword v5, v7, s[0:3], 0 offen offset:4
	buffer_load_dword v6, v7, s[0:3], 0 offen offset:8
	;; [unrolled: 1-line block ×3, first 2 shown]
	s_waitcnt vmcnt(28)
	global_store_dwordx4 v[11:12], v[55:58], off
	s_clause 0x3
	buffer_load_dword v51, v8, s[0:3], 0 offen
	buffer_load_dword v52, v8, s[0:3], 0 offen offset:4
	buffer_load_dword v53, v8, s[0:3], 0 offen offset:8
	;; [unrolled: 1-line block ×3, first 2 shown]
	v_mov_b32_e32 v11, s18
	v_mov_b32_e32 v12, s17
	s_waitcnt vmcnt(28)
	global_store_dwordx4 v[9:10], v[59:62], off
	s_waitcnt vmcnt(24)
	global_store_dwordx4 v[39:40], v[63:66], off
	s_clause 0x3
	buffer_load_dword v8, v11, s[0:3], 0 offen
	buffer_load_dword v9, v11, s[0:3], 0 offen offset:4
	buffer_load_dword v10, v11, s[0:3], 0 offen offset:8
	;; [unrolled: 1-line block ×3, first 2 shown]
	s_waitcnt vmcnt(24)
	global_store_dwordx4 v[21:22], v[67:70], off
	v_mov_b32_e32 v40, s6
	s_clause 0x7
	buffer_load_dword v55, v12, s[0:3], 0 offen
	buffer_load_dword v56, v12, s[0:3], 0 offen offset:4
	buffer_load_dword v57, v12, s[0:3], 0 offen offset:8
	;; [unrolled: 1-line block ×3, first 2 shown]
	buffer_load_dword v59, v79, s[0:3], 0 offen
	buffer_load_dword v60, v79, s[0:3], 0 offen offset:4
	buffer_load_dword v61, v79, s[0:3], 0 offen offset:8
	;; [unrolled: 1-line block ×3, first 2 shown]
	v_mov_b32_e32 v39, s7
	s_waitcnt vmcnt(28)
	global_store_dwordx4 v[27:28], v[71:74], off
	s_clause 0x7
	buffer_load_dword v63, v80, s[0:3], 0 offen
	buffer_load_dword v64, v80, s[0:3], 0 offen offset:4
	buffer_load_dword v65, v80, s[0:3], 0 offen offset:8
	buffer_load_dword v66, v80, s[0:3], 0 offen offset:12
	buffer_load_dword v67, v81, s[0:3], 0 offen
	buffer_load_dword v68, v81, s[0:3], 0 offen offset:4
	buffer_load_dword v69, v81, s[0:3], 0 offen offset:8
	buffer_load_dword v70, v81, s[0:3], 0 offen offset:12
	s_waitcnt vmcnt(32)
	global_store_dwordx4 v[29:30], v[0:3], off
	s_clause 0x7
	buffer_load_dword v0, v82, s[0:3], 0 offen
	buffer_load_dword v1, v82, s[0:3], 0 offen offset:4
	buffer_load_dword v2, v82, s[0:3], 0 offen offset:8
	buffer_load_dword v3, v82, s[0:3], 0 offen offset:12
	buffer_load_dword v27, v83, s[0:3], 0 offen
	buffer_load_dword v28, v83, s[0:3], 0 offen offset:4
	buffer_load_dword v29, v83, s[0:3], 0 offen offset:8
	buffer_load_dword v30, v83, s[0:3], 0 offen offset:12
	;; [unrolled: 11-line block ×4, first 2 shown]
	s_waitcnt vmcnt(44)
	global_store_dwordx4 v[13:14], v[51:54], off
	s_clause 0x3
	buffer_load_dword v51, v40, s[0:3], 0 offen
	buffer_load_dword v52, v40, s[0:3], 0 offen offset:4
	buffer_load_dword v53, v40, s[0:3], 0 offen offset:8
	buffer_load_dword v54, v40, s[0:3], 0 offen offset:12
	s_waitcnt vmcnt(44)
	global_store_dwordx4 v[15:16], v[8:11], off
	s_waitcnt vmcnt(40)
	global_store_dwordx4 v[19:20], v[55:58], off
	;; [unrolled: 2-line block ×12, first 2 shown]
.LBB22_355:
	s_endpgm
	.section	.rodata,"a",@progbits
	.p2align	6, 0x0
	.amdhsa_kernel _ZN9rocsolver6v33100L18trti2_kernel_smallILi23E19rocblas_complex_numIdEPS3_EEv13rocblas_fill_17rocblas_diagonal_T1_iil
		.amdhsa_group_segment_fixed_size 736
		.amdhsa_private_segment_fixed_size 384
		.amdhsa_kernarg_size 32
		.amdhsa_user_sgpr_count 6
		.amdhsa_user_sgpr_private_segment_buffer 1
		.amdhsa_user_sgpr_dispatch_ptr 0
		.amdhsa_user_sgpr_queue_ptr 0
		.amdhsa_user_sgpr_kernarg_segment_ptr 1
		.amdhsa_user_sgpr_dispatch_id 0
		.amdhsa_user_sgpr_flat_scratch_init 0
		.amdhsa_user_sgpr_private_segment_size 0
		.amdhsa_wavefront_size32 1
		.amdhsa_uses_dynamic_stack 0
		.amdhsa_system_sgpr_private_segment_wavefront_offset 1
		.amdhsa_system_sgpr_workgroup_id_x 1
		.amdhsa_system_sgpr_workgroup_id_y 0
		.amdhsa_system_sgpr_workgroup_id_z 0
		.amdhsa_system_sgpr_workgroup_info 0
		.amdhsa_system_vgpr_workitem_id 0
		.amdhsa_next_free_vgpr 87
		.amdhsa_next_free_sgpr 39
		.amdhsa_reserve_vcc 1
		.amdhsa_reserve_flat_scratch 0
		.amdhsa_float_round_mode_32 0
		.amdhsa_float_round_mode_16_64 0
		.amdhsa_float_denorm_mode_32 3
		.amdhsa_float_denorm_mode_16_64 3
		.amdhsa_dx10_clamp 1
		.amdhsa_ieee_mode 1
		.amdhsa_fp16_overflow 0
		.amdhsa_workgroup_processor_mode 1
		.amdhsa_memory_ordered 1
		.amdhsa_forward_progress 1
		.amdhsa_shared_vgpr_count 0
		.amdhsa_exception_fp_ieee_invalid_op 0
		.amdhsa_exception_fp_denorm_src 0
		.amdhsa_exception_fp_ieee_div_zero 0
		.amdhsa_exception_fp_ieee_overflow 0
		.amdhsa_exception_fp_ieee_underflow 0
		.amdhsa_exception_fp_ieee_inexact 0
		.amdhsa_exception_int_div_zero 0
	.end_amdhsa_kernel
	.section	.text._ZN9rocsolver6v33100L18trti2_kernel_smallILi23E19rocblas_complex_numIdEPS3_EEv13rocblas_fill_17rocblas_diagonal_T1_iil,"axG",@progbits,_ZN9rocsolver6v33100L18trti2_kernel_smallILi23E19rocblas_complex_numIdEPS3_EEv13rocblas_fill_17rocblas_diagonal_T1_iil,comdat
.Lfunc_end22:
	.size	_ZN9rocsolver6v33100L18trti2_kernel_smallILi23E19rocblas_complex_numIdEPS3_EEv13rocblas_fill_17rocblas_diagonal_T1_iil, .Lfunc_end22-_ZN9rocsolver6v33100L18trti2_kernel_smallILi23E19rocblas_complex_numIdEPS3_EEv13rocblas_fill_17rocblas_diagonal_T1_iil
                                        ; -- End function
	.set _ZN9rocsolver6v33100L18trti2_kernel_smallILi23E19rocblas_complex_numIdEPS3_EEv13rocblas_fill_17rocblas_diagonal_T1_iil.num_vgpr, 87
	.set _ZN9rocsolver6v33100L18trti2_kernel_smallILi23E19rocblas_complex_numIdEPS3_EEv13rocblas_fill_17rocblas_diagonal_T1_iil.num_agpr, 0
	.set _ZN9rocsolver6v33100L18trti2_kernel_smallILi23E19rocblas_complex_numIdEPS3_EEv13rocblas_fill_17rocblas_diagonal_T1_iil.numbered_sgpr, 39
	.set _ZN9rocsolver6v33100L18trti2_kernel_smallILi23E19rocblas_complex_numIdEPS3_EEv13rocblas_fill_17rocblas_diagonal_T1_iil.num_named_barrier, 0
	.set _ZN9rocsolver6v33100L18trti2_kernel_smallILi23E19rocblas_complex_numIdEPS3_EEv13rocblas_fill_17rocblas_diagonal_T1_iil.private_seg_size, 384
	.set _ZN9rocsolver6v33100L18trti2_kernel_smallILi23E19rocblas_complex_numIdEPS3_EEv13rocblas_fill_17rocblas_diagonal_T1_iil.uses_vcc, 1
	.set _ZN9rocsolver6v33100L18trti2_kernel_smallILi23E19rocblas_complex_numIdEPS3_EEv13rocblas_fill_17rocblas_diagonal_T1_iil.uses_flat_scratch, 0
	.set _ZN9rocsolver6v33100L18trti2_kernel_smallILi23E19rocblas_complex_numIdEPS3_EEv13rocblas_fill_17rocblas_diagonal_T1_iil.has_dyn_sized_stack, 0
	.set _ZN9rocsolver6v33100L18trti2_kernel_smallILi23E19rocblas_complex_numIdEPS3_EEv13rocblas_fill_17rocblas_diagonal_T1_iil.has_recursion, 0
	.set _ZN9rocsolver6v33100L18trti2_kernel_smallILi23E19rocblas_complex_numIdEPS3_EEv13rocblas_fill_17rocblas_diagonal_T1_iil.has_indirect_call, 0
	.section	.AMDGPU.csdata,"",@progbits
; Kernel info:
; codeLenInByte = 23044
; TotalNumSgprs: 41
; NumVgprs: 87
; ScratchSize: 384
; MemoryBound: 0
; FloatMode: 240
; IeeeMode: 1
; LDSByteSize: 736 bytes/workgroup (compile time only)
; SGPRBlocks: 0
; VGPRBlocks: 10
; NumSGPRsForWavesPerEU: 41
; NumVGPRsForWavesPerEU: 87
; Occupancy: 10
; WaveLimiterHint : 0
; COMPUTE_PGM_RSRC2:SCRATCH_EN: 1
; COMPUTE_PGM_RSRC2:USER_SGPR: 6
; COMPUTE_PGM_RSRC2:TRAP_HANDLER: 0
; COMPUTE_PGM_RSRC2:TGID_X_EN: 1
; COMPUTE_PGM_RSRC2:TGID_Y_EN: 0
; COMPUTE_PGM_RSRC2:TGID_Z_EN: 0
; COMPUTE_PGM_RSRC2:TIDIG_COMP_CNT: 0
	.section	.text._ZN9rocsolver6v33100L18trti2_kernel_smallILi24E19rocblas_complex_numIdEPS3_EEv13rocblas_fill_17rocblas_diagonal_T1_iil,"axG",@progbits,_ZN9rocsolver6v33100L18trti2_kernel_smallILi24E19rocblas_complex_numIdEPS3_EEv13rocblas_fill_17rocblas_diagonal_T1_iil,comdat
	.globl	_ZN9rocsolver6v33100L18trti2_kernel_smallILi24E19rocblas_complex_numIdEPS3_EEv13rocblas_fill_17rocblas_diagonal_T1_iil ; -- Begin function _ZN9rocsolver6v33100L18trti2_kernel_smallILi24E19rocblas_complex_numIdEPS3_EEv13rocblas_fill_17rocblas_diagonal_T1_iil
	.p2align	8
	.type	_ZN9rocsolver6v33100L18trti2_kernel_smallILi24E19rocblas_complex_numIdEPS3_EEv13rocblas_fill_17rocblas_diagonal_T1_iil,@function
_ZN9rocsolver6v33100L18trti2_kernel_smallILi24E19rocblas_complex_numIdEPS3_EEv13rocblas_fill_17rocblas_diagonal_T1_iil: ; @_ZN9rocsolver6v33100L18trti2_kernel_smallILi24E19rocblas_complex_numIdEPS3_EEv13rocblas_fill_17rocblas_diagonal_T1_iil
; %bb.0:
	s_add_u32 s0, s0, s7
	s_addc_u32 s1, s1, 0
	s_mov_b32 s7, exec_lo
	v_cmpx_gt_u32_e32 24, v0
	s_cbranch_execz .LBB23_371
; %bb.1:
	s_load_dwordx8 s[8:15], s[4:5], 0x0
	s_ashr_i32 s4, s6, 31
	v_lshlrev_b32_e32 v59, 4, v0
	s_movk_i32 s16, 0xf0
	s_movk_i32 s33, 0x100
	;; [unrolled: 1-line block ×9, first 2 shown]
	s_waitcnt lgkmcnt(0)
	s_mul_hi_u32 s7, s14, s6
	s_mul_i32 s4, s14, s4
	s_mul_i32 s15, s15, s6
	s_add_i32 s7, s7, s4
	s_mul_i32 s6, s14, s6
	s_add_i32 s7, s7, s15
	v_add3_u32 v5, s13, s13, v0
	s_lshl_b64 s[6:7], s[6:7], 4
	s_ashr_i32 s5, s12, 31
	s_mov_b32 s4, s12
	s_add_u32 s6, s10, s6
	s_addc_u32 s7, s11, s7
	s_lshl_b64 s[4:5], s[4:5], 4
	v_ashrrev_i32_e32 v6, 31, v5
	s_add_u32 s4, s6, s4
	s_addc_u32 s5, s7, s5
	v_add_co_u32 v35, s6, s4, v59
	s_mov_b32 s14, s13
	s_ashr_i32 s15, s13, 31
	v_add_co_ci_u32_e64 v36, null, s5, 0, s6
	s_lshl_b64 s[6:7], s[14:15], 4
	v_lshlrev_b64 v[6:7], 4, v[5:6]
	global_load_dwordx4 v[1:4], v59, s[4:5]
	v_add_co_u32 v25, vcc_lo, v35, s6
	v_add_co_ci_u32_e64 v26, null, s7, v36, vcc_lo
	v_add_co_u32 v27, vcc_lo, s4, v6
	v_add_co_ci_u32_e64 v28, null, s5, v7, vcc_lo
	global_load_dwordx4 v[13:16], v[25:26], off
	v_add_nc_u32_e32 v5, s13, v5
	s_cmpk_lg_i32 s9, 0x84
	global_load_dwordx4 v[17:20], v[27:28], off
	s_movk_i32 s6, 0x70
	s_movk_i32 s7, 0x80
	v_add_nc_u32_e32 v7, s13, v5
	v_ashrrev_i32_e32 v6, 31, v5
	s_movk_i32 s10, 0x90
	s_movk_i32 s11, 0xa0
	;; [unrolled: 1-line block ×3, first 2 shown]
	v_add_nc_u32_e32 v9, s13, v7
	v_lshlrev_b64 v[5:6], 4, v[5:6]
	v_ashrrev_i32_e32 v8, 31, v7
	s_movk_i32 s14, 0xd0
	s_movk_i32 s15, 0xe0
	v_add_nc_u32_e32 v11, s13, v9
	v_ashrrev_i32_e32 v10, 31, v9
	v_add_co_u32 v31, vcc_lo, s4, v5
	v_lshlrev_b64 v[7:8], 4, v[7:8]
	v_add_nc_u32_e32 v21, s13, v11
	v_add_co_ci_u32_e64 v32, null, s5, v6, vcc_lo
	v_ashrrev_i32_e32 v12, 31, v11
	s_cselect_b32 s31, -1, 0
	v_add_nc_u32_e32 v29, s13, v21
	v_add_co_u32 v23, vcc_lo, s4, v7
	v_add_co_ci_u32_e64 v24, null, s5, v8, vcc_lo
	v_add_nc_u32_e32 v33, s13, v29
	v_lshlrev_b64 v[7:8], 4, v[9:10]
	v_lshlrev_b64 v[9:10], 4, v[11:12]
	global_load_dwordx4 v[37:40], v[31:32], off
	v_ashrrev_i32_e32 v22, 31, v21
	v_add_nc_u32_e32 v57, s13, v33
	global_load_dwordx4 v[41:44], v[23:24], off
	v_ashrrev_i32_e32 v30, 31, v29
	v_ashrrev_i32_e32 v34, 31, v33
	s_cmpk_eq_i32 s9, 0x84
	v_add_nc_u32_e32 v60, s13, v57
	v_ashrrev_i32_e32 v58, 31, v57
	v_add_nc_u32_e32 v62, s13, v60
	v_ashrrev_i32_e32 v61, 31, v60
	;; [unrolled: 2-line block ×13, first 2 shown]
	s_movk_i32 s13, 0xc0
	v_ashrrev_i32_e32 v6, 31, v5
	v_lshlrev_b64 v[5:6], 4, v[5:6]
	v_add_co_u32 v5, vcc_lo, s4, v5
	v_add_co_ci_u32_e64 v6, null, s5, v6, vcc_lo
	v_add_co_u32 v11, vcc_lo, s4, v7
	v_add_co_ci_u32_e64 v12, null, s5, v8, vcc_lo
	global_load_dwordx4 v[53:56], v[5:6], off
	v_lshlrev_b64 v[7:8], 4, v[21:22]
	v_add_co_u32 v9, vcc_lo, s4, v9
	v_add_co_ci_u32_e64 v10, null, s5, v10, vcc_lo
	s_waitcnt vmcnt(5)
	buffer_store_dword v4, off, s[0:3], 0 offset:12
	buffer_store_dword v3, off, s[0:3], 0 offset:8
	;; [unrolled: 1-line block ×3, first 2 shown]
	buffer_store_dword v1, off, s[0:3], 0
	global_load_dwordx4 v[1:4], v[11:12], off
	v_add_co_u32 v7, vcc_lo, s4, v7
	s_waitcnt vmcnt(5)
	buffer_store_dword v16, off, s[0:3], 0 offset:28
	buffer_store_dword v15, off, s[0:3], 0 offset:24
	;; [unrolled: 1-line block ×4, first 2 shown]
	v_add_co_ci_u32_e64 v8, null, s5, v8, vcc_lo
	global_load_dwordx4 v[45:48], v[9:10], off
	s_waitcnt vmcnt(5)
	buffer_store_dword v20, off, s[0:3], 0 offset:44
	buffer_store_dword v19, off, s[0:3], 0 offset:40
	;; [unrolled: 1-line block ×4, first 2 shown]
	v_lshlrev_b64 v[13:14], 4, v[29:30]
	global_load_dwordx4 v[49:52], v[7:8], off
	v_lshlrev_b64 v[15:16], 4, v[33:34]
	v_lshlrev_b64 v[17:18], 4, v[57:58]
	s_waitcnt vmcnt(5)
	buffer_store_dword v40, off, s[0:3], 0 offset:60
	buffer_store_dword v39, off, s[0:3], 0 offset:56
	;; [unrolled: 1-line block ×4, first 2 shown]
	v_add_co_u32 v13, vcc_lo, s4, v13
	v_add_co_ci_u32_e64 v14, null, s5, v14, vcc_lo
	v_add_co_u32 v15, vcc_lo, s4, v15
	v_add_co_ci_u32_e64 v16, null, s5, v16, vcc_lo
	v_add_co_u32 v17, vcc_lo, s4, v17
	global_load_dwordx4 v[37:40], v[13:14], off
	v_lshlrev_b64 v[19:20], 4, v[60:61]
	s_waitcnt vmcnt(5)
	buffer_store_dword v44, off, s[0:3], 0 offset:76
	buffer_store_dword v43, off, s[0:3], 0 offset:72
	;; [unrolled: 1-line block ×4, first 2 shown]
	v_add_co_ci_u32_e64 v18, null, s5, v18, vcc_lo
	global_load_dwordx4 v[41:44], v[15:16], off
	v_lshlrev_b64 v[29:30], 4, v[62:63]
	v_add_co_u32 v21, vcc_lo, s4, v19
	v_add_co_ci_u32_e64 v22, null, s5, v20, vcc_lo
	v_lshlrev_b64 v[33:34], 4, v[66:67]
	v_add_co_u32 v19, vcc_lo, s4, v29
	v_add_co_ci_u32_e64 v20, null, s5, v30, vcc_lo
	v_lshlrev_b64 v[29:30], 4, v[64:65]
	v_lshlrev_b64 v[57:58], 4, v[68:69]
	s_waitcnt vmcnt(4)
	buffer_store_dword v4, off, s[0:3], 0 offset:92
	buffer_store_dword v3, off, s[0:3], 0 offset:88
	buffer_store_dword v2, off, s[0:3], 0 offset:84
	buffer_store_dword v1, off, s[0:3], 0 offset:80
	global_load_dwordx4 v[1:4], v[17:18], off
	s_waitcnt vmcnt(4)
	buffer_store_dword v48, off, s[0:3], 0 offset:108
	buffer_store_dword v47, off, s[0:3], 0 offset:104
	buffer_store_dword v46, off, s[0:3], 0 offset:100
	buffer_store_dword v45, off, s[0:3], 0 offset:96
	global_load_dwordx4 v[45:48], v[21:22], off
	;; [unrolled: 6-line block ×3, first 2 shown]
	v_add_co_u32 v29, vcc_lo, s4, v29
	v_add_co_ci_u32_e64 v30, null, s5, v30, vcc_lo
	v_add_co_u32 v33, vcc_lo, s4, v33
	v_add_co_ci_u32_e64 v34, null, s5, v34, vcc_lo
	s_waitcnt vmcnt(4)
	buffer_store_dword v40, off, s[0:3], 0 offset:140
	buffer_store_dword v39, off, s[0:3], 0 offset:136
	;; [unrolled: 1-line block ×4, first 2 shown]
	v_add_co_u32 v37, vcc_lo, s4, v57
	global_load_dwordx4 v[60:63], v[29:30], off
	v_lshlrev_b64 v[39:40], 4, v[70:71]
	s_waitcnt vmcnt(4)
	buffer_store_dword v41, off, s[0:3], 0 offset:144
	buffer_store_dword v42, off, s[0:3], 0 offset:148
	;; [unrolled: 1-line block ×4, first 2 shown]
	v_add_co_ci_u32_e64 v38, null, s5, v58, vcc_lo
	global_load_dwordx4 v[64:67], v[33:34], off
	v_lshlrev_b64 v[41:42], 4, v[72:73]
	v_add_co_u32 v39, vcc_lo, s4, v39
	v_add_co_ci_u32_e64 v40, null, s5, v40, vcc_lo
	v_lshlrev_b64 v[43:44], 4, v[76:77]
	v_add_co_u32 v41, vcc_lo, s4, v41
	v_add_co_ci_u32_e64 v42, null, s5, v42, vcc_lo
	s_waitcnt vmcnt(4)
	buffer_store_dword v1, off, s[0:3], 0 offset:160
	buffer_store_dword v2, off, s[0:3], 0 offset:164
	buffer_store_dword v3, off, s[0:3], 0 offset:168
	buffer_store_dword v4, off, s[0:3], 0 offset:172
	global_load_dwordx4 v[1:4], v[37:38], off
	s_waitcnt vmcnt(4)
	buffer_store_dword v45, off, s[0:3], 0 offset:176
	buffer_store_dword v46, off, s[0:3], 0 offset:180
	buffer_store_dword v47, off, s[0:3], 0 offset:184
	buffer_store_dword v48, off, s[0:3], 0 offset:188
	global_load_dwordx4 v[68:71], v[39:40], off
	;; [unrolled: 6-line block ×3, first 2 shown]
	v_lshlrev_b64 v[45:46], 4, v[78:79]
	v_lshlrev_b64 v[47:48], 4, v[80:81]
	v_add_co_u32 v43, vcc_lo, s4, v43
	v_add_co_ci_u32_e64 v44, null, s5, v44, vcc_lo
	v_add_co_u32 v45, vcc_lo, s4, v45
	v_add_co_ci_u32_e64 v46, null, s5, v46, vcc_lo
	;; [unrolled: 2-line block ×3, first 2 shown]
	s_waitcnt vmcnt(4)
	buffer_store_dword v63, off, s[0:3], 0 offset:220
	buffer_store_dword v62, off, s[0:3], 0 offset:216
	;; [unrolled: 1-line block ×4, first 2 shown]
	global_load_dwordx4 v[60:63], v[43:44], off
	v_lshlrev_b64 v[49:50], 4, v[82:83]
	v_lshlrev_b64 v[51:52], 4, v[84:85]
	s_waitcnt vmcnt(4)
	buffer_store_dword v67, off, s[0:3], 0 offset:236
	buffer_store_dword v66, off, s[0:3], 0 offset:232
	;; [unrolled: 1-line block ×4, first 2 shown]
	s_waitcnt vmcnt(3)
	buffer_store_dword v4, off, s[0:3], 0 offset:252
	buffer_store_dword v3, off, s[0:3], 0 offset:248
	;; [unrolled: 1-line block ×4, first 2 shown]
	s_clause 0x1
	global_load_dwordx4 v[1:4], v[45:46], off
	global_load_dwordx4 v[64:67], v[47:48], off
	v_add_co_u32 v49, vcc_lo, s4, v49
	v_add_co_ci_u32_e64 v50, null, s5, v50, vcc_lo
	v_add_co_u32 v51, vcc_lo, s4, v51
	s_waitcnt vmcnt(4)
	buffer_store_dword v71, off, s[0:3], 0 offset:268
	buffer_store_dword v70, off, s[0:3], 0 offset:264
	;; [unrolled: 1-line block ×4, first 2 shown]
	v_add_co_ci_u32_e64 v52, null, s5, v52, vcc_lo
	global_load_dwordx4 v[68:71], v[49:50], off
	s_waitcnt vmcnt(4)
	buffer_store_dword v75, off, s[0:3], 0 offset:284
	buffer_store_dword v74, off, s[0:3], 0 offset:280
	;; [unrolled: 1-line block ×4, first 2 shown]
	s_movk_i32 s4, 0x50
	global_load_dwordx4 v[72:75], v[51:52], off
	s_movk_i32 s5, 0x60
	s_waitcnt vmcnt(4)
	buffer_store_dword v63, off, s[0:3], 0 offset:300
	buffer_store_dword v62, off, s[0:3], 0 offset:296
	buffer_store_dword v61, off, s[0:3], 0 offset:292
	buffer_store_dword v60, off, s[0:3], 0 offset:288
	s_waitcnt vmcnt(3)
	buffer_store_dword v4, off, s[0:3], 0 offset:316
	buffer_store_dword v3, off, s[0:3], 0 offset:312
	buffer_store_dword v2, off, s[0:3], 0 offset:308
	buffer_store_dword v1, off, s[0:3], 0 offset:304
	s_waitcnt vmcnt(2)
	buffer_store_dword v67, off, s[0:3], 0 offset:332
	buffer_store_dword v66, off, s[0:3], 0 offset:328
	buffer_store_dword v65, off, s[0:3], 0 offset:324
	buffer_store_dword v64, off, s[0:3], 0 offset:320
	s_waitcnt vmcnt(1)
	buffer_store_dword v71, off, s[0:3], 0 offset:348
	buffer_store_dword v70, off, s[0:3], 0 offset:344
	buffer_store_dword v69, off, s[0:3], 0 offset:340
	buffer_store_dword v68, off, s[0:3], 0 offset:336
	s_waitcnt vmcnt(0)
	buffer_store_dword v75, off, s[0:3], 0 offset:364
	buffer_store_dword v74, off, s[0:3], 0 offset:360
	buffer_store_dword v73, off, s[0:3], 0 offset:356
	buffer_store_dword v72, off, s[0:3], 0 offset:352
	buffer_store_dword v56, off, s[0:3], 0 offset:380
	buffer_store_dword v55, off, s[0:3], 0 offset:376
	;; [unrolled: 1-line block ×4, first 2 shown]
	s_cbranch_scc1 .LBB23_7
; %bb.2:
	v_lshl_add_u32 v60, v0, 4, 0
                                        ; implicit-def: $vgpr55_vgpr56
                                        ; implicit-def: $vgpr3_vgpr4
	s_clause 0x3
	buffer_load_dword v53, v60, s[0:3], 0 offen
	buffer_load_dword v54, v60, s[0:3], 0 offen offset:4
	buffer_load_dword v57, v60, s[0:3], 0 offen offset:8
	;; [unrolled: 1-line block ×3, first 2 shown]
	s_waitcnt vmcnt(0)
	v_cmp_ngt_f64_e64 s9, |v[53:54]|, |v[57:58]|
	s_and_saveexec_b32 s17, s9
	s_xor_b32 s9, exec_lo, s17
	s_cbranch_execz .LBB23_4
; %bb.3:
	v_div_scale_f64 v[1:2], null, v[57:58], v[57:58], v[53:54]
	v_div_scale_f64 v[61:62], vcc_lo, v[53:54], v[57:58], v[53:54]
	v_rcp_f64_e32 v[3:4], v[1:2]
	v_fma_f64 v[55:56], -v[1:2], v[3:4], 1.0
	v_fma_f64 v[3:4], v[3:4], v[55:56], v[3:4]
	v_fma_f64 v[55:56], -v[1:2], v[3:4], 1.0
	v_fma_f64 v[3:4], v[3:4], v[55:56], v[3:4]
	v_mul_f64 v[55:56], v[61:62], v[3:4]
	v_fma_f64 v[1:2], -v[1:2], v[55:56], v[61:62]
	v_div_fmas_f64 v[1:2], v[1:2], v[3:4], v[55:56]
	v_div_fixup_f64 v[1:2], v[1:2], v[57:58], v[53:54]
	v_fma_f64 v[3:4], v[53:54], v[1:2], v[57:58]
	v_div_scale_f64 v[53:54], null, v[3:4], v[3:4], 1.0
	v_div_scale_f64 v[61:62], vcc_lo, 1.0, v[3:4], 1.0
	v_rcp_f64_e32 v[55:56], v[53:54]
	v_fma_f64 v[57:58], -v[53:54], v[55:56], 1.0
	v_fma_f64 v[55:56], v[55:56], v[57:58], v[55:56]
	v_fma_f64 v[57:58], -v[53:54], v[55:56], 1.0
	v_fma_f64 v[55:56], v[55:56], v[57:58], v[55:56]
	v_mul_f64 v[57:58], v[61:62], v[55:56]
	v_fma_f64 v[53:54], -v[53:54], v[57:58], v[61:62]
	v_div_fmas_f64 v[53:54], v[53:54], v[55:56], v[57:58]
                                        ; implicit-def: $vgpr57_vgpr58
	v_div_fixup_f64 v[3:4], v[53:54], v[3:4], 1.0
                                        ; implicit-def: $vgpr53_vgpr54
	v_mul_f64 v[55:56], v[1:2], v[3:4]
	v_xor_b32_e32 v4, 0x80000000, v4
	v_xor_b32_e32 v2, 0x80000000, v56
	v_mov_b32_e32 v1, v55
.LBB23_4:
	s_andn2_saveexec_b32 s9, s9
	s_cbranch_execz .LBB23_6
; %bb.5:
	v_div_scale_f64 v[1:2], null, v[53:54], v[53:54], v[57:58]
	v_div_scale_f64 v[61:62], vcc_lo, v[57:58], v[53:54], v[57:58]
	v_rcp_f64_e32 v[3:4], v[1:2]
	v_fma_f64 v[55:56], -v[1:2], v[3:4], 1.0
	v_fma_f64 v[3:4], v[3:4], v[55:56], v[3:4]
	v_fma_f64 v[55:56], -v[1:2], v[3:4], 1.0
	v_fma_f64 v[3:4], v[3:4], v[55:56], v[3:4]
	v_mul_f64 v[55:56], v[61:62], v[3:4]
	v_fma_f64 v[1:2], -v[1:2], v[55:56], v[61:62]
	v_div_fmas_f64 v[1:2], v[1:2], v[3:4], v[55:56]
	v_div_fixup_f64 v[1:2], v[1:2], v[53:54], v[57:58]
	v_fma_f64 v[3:4], v[57:58], v[1:2], v[53:54]
	v_div_scale_f64 v[53:54], null, v[3:4], v[3:4], 1.0
	v_rcp_f64_e32 v[55:56], v[53:54]
	v_fma_f64 v[57:58], -v[53:54], v[55:56], 1.0
	v_fma_f64 v[55:56], v[55:56], v[57:58], v[55:56]
	v_fma_f64 v[57:58], -v[53:54], v[55:56], 1.0
	v_fma_f64 v[55:56], v[55:56], v[57:58], v[55:56]
	v_div_scale_f64 v[57:58], vcc_lo, 1.0, v[3:4], 1.0
	v_mul_f64 v[61:62], v[57:58], v[55:56]
	v_fma_f64 v[53:54], -v[53:54], v[61:62], v[57:58]
	v_div_fmas_f64 v[53:54], v[53:54], v[55:56], v[61:62]
	v_div_fixup_f64 v[55:56], v[53:54], v[3:4], 1.0
	v_mul_f64 v[3:4], v[1:2], -v[55:56]
	v_xor_b32_e32 v2, 0x80000000, v56
	v_mov_b32_e32 v1, v55
.LBB23_6:
	s_or_b32 exec_lo, exec_lo, s9
	buffer_store_dword v4, v60, s[0:3], 0 offen offset:12
	v_xor_b32_e32 v4, 0x80000000, v4
	buffer_store_dword v56, v60, s[0:3], 0 offen offset:4
	buffer_store_dword v55, v60, s[0:3], 0 offen
	buffer_store_dword v3, v60, s[0:3], 0 offen offset:8
	s_branch .LBB23_8
.LBB23_7:
	v_mov_b32_e32 v1, 0
	v_mov_b32_e32 v3, 0
	;; [unrolled: 1-line block ×4, first 2 shown]
.LBB23_8:
	v_add_nc_u32_e32 v54, 0x180, v59
	v_mov_b32_e32 v53, v59
	s_mov_b32 s29, 16
	s_mov_b32 s30, 32
	;; [unrolled: 1-line block ×22, first 2 shown]
	s_cmpk_eq_i32 s8, 0x79
	ds_write_b128 v59, v[1:4]
	s_cbranch_scc1 .LBB23_188
; %bb.9:
	v_mov_b32_e32 v4, s9
	v_cmp_eq_u32_e64 s4, 23, v0
	s_clause 0x3
	buffer_load_dword v1, v4, s[0:3], 0 offen
	buffer_load_dword v2, v4, s[0:3], 0 offen offset:4
	buffer_load_dword v3, v4, s[0:3], 0 offen offset:8
	;; [unrolled: 1-line block ×3, first 2 shown]
	s_waitcnt vmcnt(0)
	ds_write_b128 v54, v[1:4]
	s_waitcnt lgkmcnt(0)
	s_waitcnt_vscnt null, 0x0
	s_barrier
	buffer_gl0_inv
	s_and_saveexec_b32 s5, s4
	s_cbranch_execz .LBB23_13
; %bb.10:
	ds_read_b128 v[1:4], v54
	s_andn2_b32 vcc_lo, exec_lo, s31
	s_cbranch_vccnz .LBB23_12
; %bb.11:
	s_clause 0x3
	buffer_load_dword v55, v53, s[0:3], 0 offen offset:8
	buffer_load_dword v56, v53, s[0:3], 0 offen offset:12
	buffer_load_dword v57, v53, s[0:3], 0 offen
	buffer_load_dword v58, v53, s[0:3], 0 offen offset:4
	s_waitcnt vmcnt(2) lgkmcnt(0)
	v_mul_f64 v[60:61], v[3:4], v[55:56]
	v_mul_f64 v[55:56], v[1:2], v[55:56]
	s_waitcnt vmcnt(0)
	v_fma_f64 v[1:2], v[1:2], v[57:58], -v[60:61]
	v_fma_f64 v[3:4], v[3:4], v[57:58], v[55:56]
.LBB23_12:
	v_mov_b32_e32 v55, 0
	ds_read_b128 v[55:58], v55 offset:352
	s_waitcnt lgkmcnt(0)
	v_mul_f64 v[60:61], v[3:4], v[57:58]
	v_mul_f64 v[57:58], v[1:2], v[57:58]
	v_fma_f64 v[1:2], v[1:2], v[55:56], -v[60:61]
	v_fma_f64 v[3:4], v[3:4], v[55:56], v[57:58]
	buffer_store_dword v2, off, s[0:3], 0 offset:356
	buffer_store_dword v1, off, s[0:3], 0 offset:352
	;; [unrolled: 1-line block ×4, first 2 shown]
.LBB23_13:
	s_or_b32 exec_lo, exec_lo, s5
	v_mov_b32_e32 v4, s10
	v_cmp_lt_u32_e64 s5, 21, v0
	s_clause 0x3
	buffer_load_dword v1, v4, s[0:3], 0 offen
	buffer_load_dword v2, v4, s[0:3], 0 offen offset:4
	buffer_load_dword v3, v4, s[0:3], 0 offen offset:8
	;; [unrolled: 1-line block ×3, first 2 shown]
	s_waitcnt vmcnt(0)
	ds_write_b128 v54, v[1:4]
	s_waitcnt lgkmcnt(0)
	s_waitcnt_vscnt null, 0x0
	s_barrier
	buffer_gl0_inv
	s_and_saveexec_b32 s6, s5
	s_cbranch_execz .LBB23_19
; %bb.14:
	ds_read_b128 v[1:4], v54
	s_andn2_b32 vcc_lo, exec_lo, s31
	s_cbranch_vccnz .LBB23_16
; %bb.15:
	s_clause 0x3
	buffer_load_dword v55, v53, s[0:3], 0 offen offset:8
	buffer_load_dword v56, v53, s[0:3], 0 offen offset:12
	buffer_load_dword v57, v53, s[0:3], 0 offen
	buffer_load_dword v58, v53, s[0:3], 0 offen offset:4
	s_waitcnt vmcnt(2) lgkmcnt(0)
	v_mul_f64 v[60:61], v[3:4], v[55:56]
	v_mul_f64 v[55:56], v[1:2], v[55:56]
	s_waitcnt vmcnt(0)
	v_fma_f64 v[1:2], v[1:2], v[57:58], -v[60:61]
	v_fma_f64 v[3:4], v[3:4], v[57:58], v[55:56]
.LBB23_16:
	s_and_saveexec_b32 s8, s4
	s_cbranch_execz .LBB23_18
; %bb.17:
	s_clause 0x3
	buffer_load_dword v60, off, s[0:3], 0 offset:360
	buffer_load_dword v61, off, s[0:3], 0 offset:364
	;; [unrolled: 1-line block ×4, first 2 shown]
	v_mov_b32_e32 v55, 0
	ds_read_b128 v[55:58], v55 offset:736
	s_waitcnt vmcnt(2) lgkmcnt(0)
	v_mul_f64 v[64:65], v[55:56], v[60:61]
	v_mul_f64 v[60:61], v[57:58], v[60:61]
	s_waitcnt vmcnt(0)
	v_fma_f64 v[57:58], v[57:58], v[62:63], v[64:65]
	v_fma_f64 v[55:56], v[55:56], v[62:63], -v[60:61]
	v_add_f64 v[3:4], v[3:4], v[57:58]
	v_add_f64 v[1:2], v[1:2], v[55:56]
.LBB23_18:
	s_or_b32 exec_lo, exec_lo, s8
	v_mov_b32_e32 v55, 0
	ds_read_b128 v[55:58], v55 offset:336
	s_waitcnt lgkmcnt(0)
	v_mul_f64 v[60:61], v[3:4], v[57:58]
	v_mul_f64 v[57:58], v[1:2], v[57:58]
	v_fma_f64 v[1:2], v[1:2], v[55:56], -v[60:61]
	v_fma_f64 v[3:4], v[3:4], v[55:56], v[57:58]
	buffer_store_dword v2, off, s[0:3], 0 offset:340
	buffer_store_dword v1, off, s[0:3], 0 offset:336
	;; [unrolled: 1-line block ×4, first 2 shown]
.LBB23_19:
	s_or_b32 exec_lo, exec_lo, s6
	v_mov_b32_e32 v4, s11
	v_cmp_lt_u32_e64 s4, 20, v0
	s_clause 0x3
	buffer_load_dword v1, v4, s[0:3], 0 offen
	buffer_load_dword v2, v4, s[0:3], 0 offen offset:4
	buffer_load_dword v3, v4, s[0:3], 0 offen offset:8
	;; [unrolled: 1-line block ×3, first 2 shown]
	s_waitcnt vmcnt(0)
	ds_write_b128 v54, v[1:4]
	s_waitcnt lgkmcnt(0)
	s_waitcnt_vscnt null, 0x0
	s_barrier
	buffer_gl0_inv
	s_and_saveexec_b32 s6, s4
	s_cbranch_execz .LBB23_27
; %bb.20:
	ds_read_b128 v[1:4], v54
	s_andn2_b32 vcc_lo, exec_lo, s31
	s_cbranch_vccnz .LBB23_22
; %bb.21:
	s_clause 0x3
	buffer_load_dword v55, v53, s[0:3], 0 offen offset:8
	buffer_load_dword v56, v53, s[0:3], 0 offen offset:12
	buffer_load_dword v57, v53, s[0:3], 0 offen
	buffer_load_dword v58, v53, s[0:3], 0 offen offset:4
	s_waitcnt vmcnt(2) lgkmcnt(0)
	v_mul_f64 v[60:61], v[3:4], v[55:56]
	v_mul_f64 v[55:56], v[1:2], v[55:56]
	s_waitcnt vmcnt(0)
	v_fma_f64 v[1:2], v[1:2], v[57:58], -v[60:61]
	v_fma_f64 v[3:4], v[3:4], v[57:58], v[55:56]
.LBB23_22:
	s_and_saveexec_b32 s8, s5
	s_cbranch_execz .LBB23_26
; %bb.23:
	v_subrev_nc_u32_e32 v55, 21, v0
	s_movk_i32 s33, 0x2d0
	s_mov_b32 s5, 0
	s_mov_b32 s34, s10
	.p2align	6
.LBB23_24:                              ; =>This Inner Loop Header: Depth=1
	v_mov_b32_e32 v58, s34
	v_add_nc_u32_e32 v55, -1, v55
	s_add_i32 s34, s34, 16
	s_clause 0x3
	buffer_load_dword v56, v58, s[0:3], 0 offen offset:8
	buffer_load_dword v57, v58, s[0:3], 0 offen offset:12
	buffer_load_dword v64, v58, s[0:3], 0 offen
	buffer_load_dword v65, v58, s[0:3], 0 offen offset:4
	v_mov_b32_e32 v58, s33
	v_cmp_eq_u32_e32 vcc_lo, 0, v55
	s_add_i32 s33, s33, 16
	ds_read_b128 v[60:63], v58
	s_or_b32 s5, vcc_lo, s5
	s_waitcnt vmcnt(2) lgkmcnt(0)
	v_mul_f64 v[66:67], v[62:63], v[56:57]
	v_mul_f64 v[56:57], v[60:61], v[56:57]
	s_waitcnt vmcnt(0)
	v_fma_f64 v[60:61], v[60:61], v[64:65], -v[66:67]
	v_fma_f64 v[56:57], v[62:63], v[64:65], v[56:57]
	v_add_f64 v[1:2], v[1:2], v[60:61]
	v_add_f64 v[3:4], v[3:4], v[56:57]
	s_andn2_b32 exec_lo, exec_lo, s5
	s_cbranch_execnz .LBB23_24
; %bb.25:
	s_or_b32 exec_lo, exec_lo, s5
.LBB23_26:
	s_or_b32 exec_lo, exec_lo, s8
	v_mov_b32_e32 v55, 0
	ds_read_b128 v[55:58], v55 offset:320
	s_waitcnt lgkmcnt(0)
	v_mul_f64 v[60:61], v[3:4], v[57:58]
	v_mul_f64 v[57:58], v[1:2], v[57:58]
	v_fma_f64 v[1:2], v[1:2], v[55:56], -v[60:61]
	v_fma_f64 v[3:4], v[3:4], v[55:56], v[57:58]
	buffer_store_dword v2, off, s[0:3], 0 offset:324
	buffer_store_dword v1, off, s[0:3], 0 offset:320
	;; [unrolled: 1-line block ×4, first 2 shown]
.LBB23_27:
	s_or_b32 exec_lo, exec_lo, s6
	v_mov_b32_e32 v4, s12
	v_cmp_lt_u32_e64 s5, 19, v0
	s_clause 0x3
	buffer_load_dword v1, v4, s[0:3], 0 offen
	buffer_load_dword v2, v4, s[0:3], 0 offen offset:4
	buffer_load_dword v3, v4, s[0:3], 0 offen offset:8
	;; [unrolled: 1-line block ×3, first 2 shown]
	s_waitcnt vmcnt(0)
	ds_write_b128 v54, v[1:4]
	s_waitcnt lgkmcnt(0)
	s_waitcnt_vscnt null, 0x0
	s_barrier
	buffer_gl0_inv
	s_and_saveexec_b32 s6, s5
	s_cbranch_execz .LBB23_35
; %bb.28:
	ds_read_b128 v[1:4], v54
	s_andn2_b32 vcc_lo, exec_lo, s31
	s_cbranch_vccnz .LBB23_30
; %bb.29:
	s_clause 0x3
	buffer_load_dword v55, v53, s[0:3], 0 offen offset:8
	buffer_load_dword v56, v53, s[0:3], 0 offen offset:12
	buffer_load_dword v57, v53, s[0:3], 0 offen
	buffer_load_dword v58, v53, s[0:3], 0 offen offset:4
	s_waitcnt vmcnt(2) lgkmcnt(0)
	v_mul_f64 v[60:61], v[3:4], v[55:56]
	v_mul_f64 v[55:56], v[1:2], v[55:56]
	s_waitcnt vmcnt(0)
	v_fma_f64 v[1:2], v[1:2], v[57:58], -v[60:61]
	v_fma_f64 v[3:4], v[3:4], v[57:58], v[55:56]
.LBB23_30:
	s_and_saveexec_b32 s8, s4
	s_cbranch_execz .LBB23_34
; %bb.31:
	v_subrev_nc_u32_e32 v55, 20, v0
	s_movk_i32 s33, 0x2c0
	s_mov_b32 s4, 0
	s_mov_b32 s34, s11
	.p2align	6
.LBB23_32:                              ; =>This Inner Loop Header: Depth=1
	v_mov_b32_e32 v58, s34
	v_add_nc_u32_e32 v55, -1, v55
	s_add_i32 s34, s34, 16
	s_clause 0x3
	buffer_load_dword v56, v58, s[0:3], 0 offen offset:8
	buffer_load_dword v57, v58, s[0:3], 0 offen offset:12
	buffer_load_dword v64, v58, s[0:3], 0 offen
	buffer_load_dword v65, v58, s[0:3], 0 offen offset:4
	v_mov_b32_e32 v58, s33
	v_cmp_eq_u32_e32 vcc_lo, 0, v55
	s_add_i32 s33, s33, 16
	ds_read_b128 v[60:63], v58
	s_or_b32 s4, vcc_lo, s4
	s_waitcnt vmcnt(2) lgkmcnt(0)
	v_mul_f64 v[66:67], v[62:63], v[56:57]
	v_mul_f64 v[56:57], v[60:61], v[56:57]
	s_waitcnt vmcnt(0)
	v_fma_f64 v[60:61], v[60:61], v[64:65], -v[66:67]
	v_fma_f64 v[56:57], v[62:63], v[64:65], v[56:57]
	v_add_f64 v[1:2], v[1:2], v[60:61]
	v_add_f64 v[3:4], v[3:4], v[56:57]
	s_andn2_b32 exec_lo, exec_lo, s4
	s_cbranch_execnz .LBB23_32
; %bb.33:
	s_or_b32 exec_lo, exec_lo, s4
.LBB23_34:
	s_or_b32 exec_lo, exec_lo, s8
	v_mov_b32_e32 v55, 0
	ds_read_b128 v[55:58], v55 offset:304
	s_waitcnt lgkmcnt(0)
	v_mul_f64 v[60:61], v[3:4], v[57:58]
	v_mul_f64 v[57:58], v[1:2], v[57:58]
	v_fma_f64 v[1:2], v[1:2], v[55:56], -v[60:61]
	v_fma_f64 v[3:4], v[3:4], v[55:56], v[57:58]
	buffer_store_dword v2, off, s[0:3], 0 offset:308
	buffer_store_dword v1, off, s[0:3], 0 offset:304
	;; [unrolled: 1-line block ×4, first 2 shown]
.LBB23_35:
	s_or_b32 exec_lo, exec_lo, s6
	v_mov_b32_e32 v4, s13
	v_cmp_lt_u32_e64 s4, 18, v0
	s_clause 0x3
	buffer_load_dword v1, v4, s[0:3], 0 offen
	buffer_load_dword v2, v4, s[0:3], 0 offen offset:4
	buffer_load_dword v3, v4, s[0:3], 0 offen offset:8
	;; [unrolled: 1-line block ×3, first 2 shown]
	s_waitcnt vmcnt(0)
	ds_write_b128 v54, v[1:4]
	s_waitcnt lgkmcnt(0)
	s_waitcnt_vscnt null, 0x0
	s_barrier
	buffer_gl0_inv
	s_and_saveexec_b32 s6, s4
	s_cbranch_execz .LBB23_43
; %bb.36:
	ds_read_b128 v[1:4], v54
	s_andn2_b32 vcc_lo, exec_lo, s31
	s_cbranch_vccnz .LBB23_38
; %bb.37:
	s_clause 0x3
	buffer_load_dword v55, v53, s[0:3], 0 offen offset:8
	buffer_load_dword v56, v53, s[0:3], 0 offen offset:12
	buffer_load_dword v57, v53, s[0:3], 0 offen
	buffer_load_dword v58, v53, s[0:3], 0 offen offset:4
	s_waitcnt vmcnt(2) lgkmcnt(0)
	v_mul_f64 v[60:61], v[3:4], v[55:56]
	v_mul_f64 v[55:56], v[1:2], v[55:56]
	s_waitcnt vmcnt(0)
	v_fma_f64 v[1:2], v[1:2], v[57:58], -v[60:61]
	v_fma_f64 v[3:4], v[3:4], v[57:58], v[55:56]
.LBB23_38:
	s_and_saveexec_b32 s8, s5
	s_cbranch_execz .LBB23_42
; %bb.39:
	v_subrev_nc_u32_e32 v55, 19, v0
	s_movk_i32 s33, 0x2b0
	s_mov_b32 s5, 0
	s_mov_b32 s34, s12
	.p2align	6
.LBB23_40:                              ; =>This Inner Loop Header: Depth=1
	v_mov_b32_e32 v58, s34
	v_add_nc_u32_e32 v55, -1, v55
	s_add_i32 s34, s34, 16
	s_clause 0x3
	buffer_load_dword v56, v58, s[0:3], 0 offen offset:8
	buffer_load_dword v57, v58, s[0:3], 0 offen offset:12
	buffer_load_dword v64, v58, s[0:3], 0 offen
	buffer_load_dword v65, v58, s[0:3], 0 offen offset:4
	v_mov_b32_e32 v58, s33
	v_cmp_eq_u32_e32 vcc_lo, 0, v55
	s_add_i32 s33, s33, 16
	ds_read_b128 v[60:63], v58
	s_or_b32 s5, vcc_lo, s5
	s_waitcnt vmcnt(2) lgkmcnt(0)
	v_mul_f64 v[66:67], v[62:63], v[56:57]
	v_mul_f64 v[56:57], v[60:61], v[56:57]
	s_waitcnt vmcnt(0)
	v_fma_f64 v[60:61], v[60:61], v[64:65], -v[66:67]
	v_fma_f64 v[56:57], v[62:63], v[64:65], v[56:57]
	v_add_f64 v[1:2], v[1:2], v[60:61]
	v_add_f64 v[3:4], v[3:4], v[56:57]
	s_andn2_b32 exec_lo, exec_lo, s5
	s_cbranch_execnz .LBB23_40
; %bb.41:
	s_or_b32 exec_lo, exec_lo, s5
.LBB23_42:
	s_or_b32 exec_lo, exec_lo, s8
	v_mov_b32_e32 v55, 0
	ds_read_b128 v[55:58], v55 offset:288
	s_waitcnt lgkmcnt(0)
	v_mul_f64 v[60:61], v[3:4], v[57:58]
	v_mul_f64 v[57:58], v[1:2], v[57:58]
	v_fma_f64 v[1:2], v[1:2], v[55:56], -v[60:61]
	v_fma_f64 v[3:4], v[3:4], v[55:56], v[57:58]
	buffer_store_dword v2, off, s[0:3], 0 offset:292
	buffer_store_dword v1, off, s[0:3], 0 offset:288
	;; [unrolled: 1-line block ×4, first 2 shown]
.LBB23_43:
	s_or_b32 exec_lo, exec_lo, s6
	v_mov_b32_e32 v4, s14
	v_cmp_lt_u32_e64 s5, 17, v0
	s_clause 0x3
	buffer_load_dword v1, v4, s[0:3], 0 offen
	buffer_load_dword v2, v4, s[0:3], 0 offen offset:4
	buffer_load_dword v3, v4, s[0:3], 0 offen offset:8
	;; [unrolled: 1-line block ×3, first 2 shown]
	s_waitcnt vmcnt(0)
	ds_write_b128 v54, v[1:4]
	s_waitcnt lgkmcnt(0)
	s_waitcnt_vscnt null, 0x0
	s_barrier
	buffer_gl0_inv
	s_and_saveexec_b32 s6, s5
	s_cbranch_execz .LBB23_51
; %bb.44:
	ds_read_b128 v[1:4], v54
	s_andn2_b32 vcc_lo, exec_lo, s31
	s_cbranch_vccnz .LBB23_46
; %bb.45:
	s_clause 0x3
	buffer_load_dword v55, v53, s[0:3], 0 offen offset:8
	buffer_load_dword v56, v53, s[0:3], 0 offen offset:12
	buffer_load_dword v57, v53, s[0:3], 0 offen
	buffer_load_dword v58, v53, s[0:3], 0 offen offset:4
	s_waitcnt vmcnt(2) lgkmcnt(0)
	v_mul_f64 v[60:61], v[3:4], v[55:56]
	v_mul_f64 v[55:56], v[1:2], v[55:56]
	s_waitcnt vmcnt(0)
	v_fma_f64 v[1:2], v[1:2], v[57:58], -v[60:61]
	v_fma_f64 v[3:4], v[3:4], v[57:58], v[55:56]
.LBB23_46:
	s_and_saveexec_b32 s8, s4
	s_cbranch_execz .LBB23_50
; %bb.47:
	v_subrev_nc_u32_e32 v55, 18, v0
	s_movk_i32 s33, 0x2a0
	s_mov_b32 s4, 0
	s_mov_b32 s34, s13
	.p2align	6
.LBB23_48:                              ; =>This Inner Loop Header: Depth=1
	v_mov_b32_e32 v58, s34
	v_add_nc_u32_e32 v55, -1, v55
	s_add_i32 s34, s34, 16
	s_clause 0x3
	buffer_load_dword v56, v58, s[0:3], 0 offen offset:8
	buffer_load_dword v57, v58, s[0:3], 0 offen offset:12
	buffer_load_dword v64, v58, s[0:3], 0 offen
	buffer_load_dword v65, v58, s[0:3], 0 offen offset:4
	v_mov_b32_e32 v58, s33
	v_cmp_eq_u32_e32 vcc_lo, 0, v55
	s_add_i32 s33, s33, 16
	ds_read_b128 v[60:63], v58
	s_or_b32 s4, vcc_lo, s4
	s_waitcnt vmcnt(2) lgkmcnt(0)
	v_mul_f64 v[66:67], v[62:63], v[56:57]
	v_mul_f64 v[56:57], v[60:61], v[56:57]
	s_waitcnt vmcnt(0)
	v_fma_f64 v[60:61], v[60:61], v[64:65], -v[66:67]
	v_fma_f64 v[56:57], v[62:63], v[64:65], v[56:57]
	v_add_f64 v[1:2], v[1:2], v[60:61]
	v_add_f64 v[3:4], v[3:4], v[56:57]
	s_andn2_b32 exec_lo, exec_lo, s4
	s_cbranch_execnz .LBB23_48
; %bb.49:
	s_or_b32 exec_lo, exec_lo, s4
.LBB23_50:
	s_or_b32 exec_lo, exec_lo, s8
	v_mov_b32_e32 v55, 0
	ds_read_b128 v[55:58], v55 offset:272
	s_waitcnt lgkmcnt(0)
	v_mul_f64 v[60:61], v[3:4], v[57:58]
	v_mul_f64 v[57:58], v[1:2], v[57:58]
	v_fma_f64 v[1:2], v[1:2], v[55:56], -v[60:61]
	v_fma_f64 v[3:4], v[3:4], v[55:56], v[57:58]
	buffer_store_dword v2, off, s[0:3], 0 offset:276
	buffer_store_dword v1, off, s[0:3], 0 offset:272
	buffer_store_dword v4, off, s[0:3], 0 offset:284
	buffer_store_dword v3, off, s[0:3], 0 offset:280
.LBB23_51:
	s_or_b32 exec_lo, exec_lo, s6
	v_mov_b32_e32 v4, s15
	v_cmp_lt_u32_e64 s4, 16, v0
	s_clause 0x3
	buffer_load_dword v1, v4, s[0:3], 0 offen
	buffer_load_dword v2, v4, s[0:3], 0 offen offset:4
	buffer_load_dword v3, v4, s[0:3], 0 offen offset:8
	buffer_load_dword v4, v4, s[0:3], 0 offen offset:12
	s_waitcnt vmcnt(0)
	ds_write_b128 v54, v[1:4]
	s_waitcnt lgkmcnt(0)
	s_waitcnt_vscnt null, 0x0
	s_barrier
	buffer_gl0_inv
	s_and_saveexec_b32 s6, s4
	s_cbranch_execz .LBB23_59
; %bb.52:
	ds_read_b128 v[1:4], v54
	s_andn2_b32 vcc_lo, exec_lo, s31
	s_cbranch_vccnz .LBB23_54
; %bb.53:
	s_clause 0x3
	buffer_load_dword v55, v53, s[0:3], 0 offen offset:8
	buffer_load_dword v56, v53, s[0:3], 0 offen offset:12
	buffer_load_dword v57, v53, s[0:3], 0 offen
	buffer_load_dword v58, v53, s[0:3], 0 offen offset:4
	s_waitcnt vmcnt(2) lgkmcnt(0)
	v_mul_f64 v[60:61], v[3:4], v[55:56]
	v_mul_f64 v[55:56], v[1:2], v[55:56]
	s_waitcnt vmcnt(0)
	v_fma_f64 v[1:2], v[1:2], v[57:58], -v[60:61]
	v_fma_f64 v[3:4], v[3:4], v[57:58], v[55:56]
.LBB23_54:
	s_and_saveexec_b32 s8, s5
	s_cbranch_execz .LBB23_58
; %bb.55:
	v_subrev_nc_u32_e32 v55, 17, v0
	s_movk_i32 s33, 0x290
	s_mov_b32 s5, 0
	s_mov_b32 s34, s14
	.p2align	6
.LBB23_56:                              ; =>This Inner Loop Header: Depth=1
	v_mov_b32_e32 v58, s34
	v_add_nc_u32_e32 v55, -1, v55
	s_add_i32 s34, s34, 16
	s_clause 0x3
	buffer_load_dword v56, v58, s[0:3], 0 offen offset:8
	buffer_load_dword v57, v58, s[0:3], 0 offen offset:12
	buffer_load_dword v64, v58, s[0:3], 0 offen
	buffer_load_dword v65, v58, s[0:3], 0 offen offset:4
	v_mov_b32_e32 v58, s33
	v_cmp_eq_u32_e32 vcc_lo, 0, v55
	s_add_i32 s33, s33, 16
	ds_read_b128 v[60:63], v58
	s_or_b32 s5, vcc_lo, s5
	s_waitcnt vmcnt(2) lgkmcnt(0)
	v_mul_f64 v[66:67], v[62:63], v[56:57]
	v_mul_f64 v[56:57], v[60:61], v[56:57]
	s_waitcnt vmcnt(0)
	v_fma_f64 v[60:61], v[60:61], v[64:65], -v[66:67]
	v_fma_f64 v[56:57], v[62:63], v[64:65], v[56:57]
	v_add_f64 v[1:2], v[1:2], v[60:61]
	v_add_f64 v[3:4], v[3:4], v[56:57]
	s_andn2_b32 exec_lo, exec_lo, s5
	s_cbranch_execnz .LBB23_56
; %bb.57:
	s_or_b32 exec_lo, exec_lo, s5
.LBB23_58:
	s_or_b32 exec_lo, exec_lo, s8
	v_mov_b32_e32 v55, 0
	ds_read_b128 v[55:58], v55 offset:256
	s_waitcnt lgkmcnt(0)
	v_mul_f64 v[60:61], v[3:4], v[57:58]
	v_mul_f64 v[57:58], v[1:2], v[57:58]
	v_fma_f64 v[1:2], v[1:2], v[55:56], -v[60:61]
	v_fma_f64 v[3:4], v[3:4], v[55:56], v[57:58]
	buffer_store_dword v2, off, s[0:3], 0 offset:260
	buffer_store_dword v1, off, s[0:3], 0 offset:256
	;; [unrolled: 1-line block ×4, first 2 shown]
.LBB23_59:
	s_or_b32 exec_lo, exec_lo, s6
	v_mov_b32_e32 v4, s16
	v_cmp_lt_u32_e64 s5, 15, v0
	s_clause 0x3
	buffer_load_dword v1, v4, s[0:3], 0 offen
	buffer_load_dword v2, v4, s[0:3], 0 offen offset:4
	buffer_load_dword v3, v4, s[0:3], 0 offen offset:8
	;; [unrolled: 1-line block ×3, first 2 shown]
	s_waitcnt vmcnt(0)
	ds_write_b128 v54, v[1:4]
	s_waitcnt lgkmcnt(0)
	s_waitcnt_vscnt null, 0x0
	s_barrier
	buffer_gl0_inv
	s_and_saveexec_b32 s6, s5
	s_cbranch_execz .LBB23_67
; %bb.60:
	ds_read_b128 v[1:4], v54
	s_andn2_b32 vcc_lo, exec_lo, s31
	s_cbranch_vccnz .LBB23_62
; %bb.61:
	s_clause 0x3
	buffer_load_dword v55, v53, s[0:3], 0 offen offset:8
	buffer_load_dword v56, v53, s[0:3], 0 offen offset:12
	buffer_load_dword v57, v53, s[0:3], 0 offen
	buffer_load_dword v58, v53, s[0:3], 0 offen offset:4
	s_waitcnt vmcnt(2) lgkmcnt(0)
	v_mul_f64 v[60:61], v[3:4], v[55:56]
	v_mul_f64 v[55:56], v[1:2], v[55:56]
	s_waitcnt vmcnt(0)
	v_fma_f64 v[1:2], v[1:2], v[57:58], -v[60:61]
	v_fma_f64 v[3:4], v[3:4], v[57:58], v[55:56]
.LBB23_62:
	s_and_saveexec_b32 s8, s4
	s_cbranch_execz .LBB23_66
; %bb.63:
	v_add_nc_u32_e32 v55, -16, v0
	s_movk_i32 s33, 0x280
	s_mov_b32 s4, 0
	s_mov_b32 s34, s15
	.p2align	6
.LBB23_64:                              ; =>This Inner Loop Header: Depth=1
	v_mov_b32_e32 v58, s34
	v_add_nc_u32_e32 v55, -1, v55
	s_add_i32 s34, s34, 16
	s_clause 0x3
	buffer_load_dword v56, v58, s[0:3], 0 offen offset:8
	buffer_load_dword v57, v58, s[0:3], 0 offen offset:12
	buffer_load_dword v64, v58, s[0:3], 0 offen
	buffer_load_dword v65, v58, s[0:3], 0 offen offset:4
	v_mov_b32_e32 v58, s33
	v_cmp_eq_u32_e32 vcc_lo, 0, v55
	s_add_i32 s33, s33, 16
	ds_read_b128 v[60:63], v58
	s_or_b32 s4, vcc_lo, s4
	s_waitcnt vmcnt(2) lgkmcnt(0)
	v_mul_f64 v[66:67], v[62:63], v[56:57]
	v_mul_f64 v[56:57], v[60:61], v[56:57]
	s_waitcnt vmcnt(0)
	v_fma_f64 v[60:61], v[60:61], v[64:65], -v[66:67]
	v_fma_f64 v[56:57], v[62:63], v[64:65], v[56:57]
	v_add_f64 v[1:2], v[1:2], v[60:61]
	v_add_f64 v[3:4], v[3:4], v[56:57]
	s_andn2_b32 exec_lo, exec_lo, s4
	s_cbranch_execnz .LBB23_64
; %bb.65:
	s_or_b32 exec_lo, exec_lo, s4
.LBB23_66:
	s_or_b32 exec_lo, exec_lo, s8
	v_mov_b32_e32 v55, 0
	ds_read_b128 v[55:58], v55 offset:240
	s_waitcnt lgkmcnt(0)
	v_mul_f64 v[60:61], v[3:4], v[57:58]
	v_mul_f64 v[57:58], v[1:2], v[57:58]
	v_fma_f64 v[1:2], v[1:2], v[55:56], -v[60:61]
	v_fma_f64 v[3:4], v[3:4], v[55:56], v[57:58]
	buffer_store_dword v2, off, s[0:3], 0 offset:244
	buffer_store_dword v1, off, s[0:3], 0 offset:240
	buffer_store_dword v4, off, s[0:3], 0 offset:252
	buffer_store_dword v3, off, s[0:3], 0 offset:248
.LBB23_67:
	s_or_b32 exec_lo, exec_lo, s6
	v_mov_b32_e32 v4, s17
	v_cmp_lt_u32_e64 s4, 14, v0
	s_clause 0x3
	buffer_load_dword v1, v4, s[0:3], 0 offen
	buffer_load_dword v2, v4, s[0:3], 0 offen offset:4
	buffer_load_dword v3, v4, s[0:3], 0 offen offset:8
	;; [unrolled: 1-line block ×3, first 2 shown]
	s_waitcnt vmcnt(0)
	ds_write_b128 v54, v[1:4]
	s_waitcnt lgkmcnt(0)
	s_waitcnt_vscnt null, 0x0
	s_barrier
	buffer_gl0_inv
	s_and_saveexec_b32 s6, s4
	s_cbranch_execz .LBB23_75
; %bb.68:
	ds_read_b128 v[1:4], v54
	s_andn2_b32 vcc_lo, exec_lo, s31
	s_cbranch_vccnz .LBB23_70
; %bb.69:
	s_clause 0x3
	buffer_load_dword v55, v53, s[0:3], 0 offen offset:8
	buffer_load_dword v56, v53, s[0:3], 0 offen offset:12
	buffer_load_dword v57, v53, s[0:3], 0 offen
	buffer_load_dword v58, v53, s[0:3], 0 offen offset:4
	s_waitcnt vmcnt(2) lgkmcnt(0)
	v_mul_f64 v[60:61], v[3:4], v[55:56]
	v_mul_f64 v[55:56], v[1:2], v[55:56]
	s_waitcnt vmcnt(0)
	v_fma_f64 v[1:2], v[1:2], v[57:58], -v[60:61]
	v_fma_f64 v[3:4], v[3:4], v[57:58], v[55:56]
.LBB23_70:
	s_and_saveexec_b32 s8, s5
	s_cbranch_execz .LBB23_74
; %bb.71:
	v_add_nc_u32_e32 v55, -15, v0
	s_movk_i32 s33, 0x270
	s_mov_b32 s5, 0
	s_mov_b32 s34, s16
	.p2align	6
.LBB23_72:                              ; =>This Inner Loop Header: Depth=1
	v_mov_b32_e32 v58, s34
	v_add_nc_u32_e32 v55, -1, v55
	s_add_i32 s34, s34, 16
	s_clause 0x3
	buffer_load_dword v56, v58, s[0:3], 0 offen offset:8
	buffer_load_dword v57, v58, s[0:3], 0 offen offset:12
	buffer_load_dword v64, v58, s[0:3], 0 offen
	buffer_load_dword v65, v58, s[0:3], 0 offen offset:4
	v_mov_b32_e32 v58, s33
	v_cmp_eq_u32_e32 vcc_lo, 0, v55
	s_add_i32 s33, s33, 16
	ds_read_b128 v[60:63], v58
	s_or_b32 s5, vcc_lo, s5
	s_waitcnt vmcnt(2) lgkmcnt(0)
	v_mul_f64 v[66:67], v[62:63], v[56:57]
	v_mul_f64 v[56:57], v[60:61], v[56:57]
	s_waitcnt vmcnt(0)
	v_fma_f64 v[60:61], v[60:61], v[64:65], -v[66:67]
	v_fma_f64 v[56:57], v[62:63], v[64:65], v[56:57]
	v_add_f64 v[1:2], v[1:2], v[60:61]
	v_add_f64 v[3:4], v[3:4], v[56:57]
	s_andn2_b32 exec_lo, exec_lo, s5
	s_cbranch_execnz .LBB23_72
; %bb.73:
	s_or_b32 exec_lo, exec_lo, s5
.LBB23_74:
	s_or_b32 exec_lo, exec_lo, s8
	v_mov_b32_e32 v55, 0
	ds_read_b128 v[55:58], v55 offset:224
	s_waitcnt lgkmcnt(0)
	v_mul_f64 v[60:61], v[3:4], v[57:58]
	v_mul_f64 v[57:58], v[1:2], v[57:58]
	v_fma_f64 v[1:2], v[1:2], v[55:56], -v[60:61]
	v_fma_f64 v[3:4], v[3:4], v[55:56], v[57:58]
	buffer_store_dword v2, off, s[0:3], 0 offset:228
	buffer_store_dword v1, off, s[0:3], 0 offset:224
	;; [unrolled: 1-line block ×4, first 2 shown]
.LBB23_75:
	s_or_b32 exec_lo, exec_lo, s6
	v_mov_b32_e32 v4, s18
	v_cmp_lt_u32_e64 s5, 13, v0
	s_clause 0x3
	buffer_load_dword v1, v4, s[0:3], 0 offen
	buffer_load_dword v2, v4, s[0:3], 0 offen offset:4
	buffer_load_dword v3, v4, s[0:3], 0 offen offset:8
	;; [unrolled: 1-line block ×3, first 2 shown]
	s_waitcnt vmcnt(0)
	ds_write_b128 v54, v[1:4]
	s_waitcnt lgkmcnt(0)
	s_waitcnt_vscnt null, 0x0
	s_barrier
	buffer_gl0_inv
	s_and_saveexec_b32 s6, s5
	s_cbranch_execz .LBB23_83
; %bb.76:
	ds_read_b128 v[1:4], v54
	s_andn2_b32 vcc_lo, exec_lo, s31
	s_cbranch_vccnz .LBB23_78
; %bb.77:
	s_clause 0x3
	buffer_load_dword v55, v53, s[0:3], 0 offen offset:8
	buffer_load_dword v56, v53, s[0:3], 0 offen offset:12
	buffer_load_dword v57, v53, s[0:3], 0 offen
	buffer_load_dword v58, v53, s[0:3], 0 offen offset:4
	s_waitcnt vmcnt(2) lgkmcnt(0)
	v_mul_f64 v[60:61], v[3:4], v[55:56]
	v_mul_f64 v[55:56], v[1:2], v[55:56]
	s_waitcnt vmcnt(0)
	v_fma_f64 v[1:2], v[1:2], v[57:58], -v[60:61]
	v_fma_f64 v[3:4], v[3:4], v[57:58], v[55:56]
.LBB23_78:
	s_and_saveexec_b32 s8, s4
	s_cbranch_execz .LBB23_82
; %bb.79:
	v_add_nc_u32_e32 v55, -14, v0
	s_movk_i32 s33, 0x260
	s_mov_b32 s4, 0
	s_mov_b32 s34, s17
	.p2align	6
.LBB23_80:                              ; =>This Inner Loop Header: Depth=1
	v_mov_b32_e32 v58, s34
	v_add_nc_u32_e32 v55, -1, v55
	s_add_i32 s34, s34, 16
	s_clause 0x3
	buffer_load_dword v56, v58, s[0:3], 0 offen offset:8
	buffer_load_dword v57, v58, s[0:3], 0 offen offset:12
	buffer_load_dword v64, v58, s[0:3], 0 offen
	buffer_load_dword v65, v58, s[0:3], 0 offen offset:4
	v_mov_b32_e32 v58, s33
	v_cmp_eq_u32_e32 vcc_lo, 0, v55
	s_add_i32 s33, s33, 16
	ds_read_b128 v[60:63], v58
	s_or_b32 s4, vcc_lo, s4
	s_waitcnt vmcnt(2) lgkmcnt(0)
	v_mul_f64 v[66:67], v[62:63], v[56:57]
	v_mul_f64 v[56:57], v[60:61], v[56:57]
	s_waitcnt vmcnt(0)
	v_fma_f64 v[60:61], v[60:61], v[64:65], -v[66:67]
	v_fma_f64 v[56:57], v[62:63], v[64:65], v[56:57]
	v_add_f64 v[1:2], v[1:2], v[60:61]
	v_add_f64 v[3:4], v[3:4], v[56:57]
	s_andn2_b32 exec_lo, exec_lo, s4
	s_cbranch_execnz .LBB23_80
; %bb.81:
	s_or_b32 exec_lo, exec_lo, s4
.LBB23_82:
	s_or_b32 exec_lo, exec_lo, s8
	v_mov_b32_e32 v55, 0
	ds_read_b128 v[55:58], v55 offset:208
	s_waitcnt lgkmcnt(0)
	v_mul_f64 v[60:61], v[3:4], v[57:58]
	v_mul_f64 v[57:58], v[1:2], v[57:58]
	v_fma_f64 v[1:2], v[1:2], v[55:56], -v[60:61]
	v_fma_f64 v[3:4], v[3:4], v[55:56], v[57:58]
	buffer_store_dword v2, off, s[0:3], 0 offset:212
	buffer_store_dword v1, off, s[0:3], 0 offset:208
	;; [unrolled: 1-line block ×4, first 2 shown]
.LBB23_83:
	s_or_b32 exec_lo, exec_lo, s6
	v_mov_b32_e32 v4, s19
	v_cmp_lt_u32_e64 s4, 12, v0
	s_clause 0x3
	buffer_load_dword v1, v4, s[0:3], 0 offen
	buffer_load_dword v2, v4, s[0:3], 0 offen offset:4
	buffer_load_dword v3, v4, s[0:3], 0 offen offset:8
	;; [unrolled: 1-line block ×3, first 2 shown]
	s_waitcnt vmcnt(0)
	ds_write_b128 v54, v[1:4]
	s_waitcnt lgkmcnt(0)
	s_waitcnt_vscnt null, 0x0
	s_barrier
	buffer_gl0_inv
	s_and_saveexec_b32 s6, s4
	s_cbranch_execz .LBB23_91
; %bb.84:
	ds_read_b128 v[1:4], v54
	s_andn2_b32 vcc_lo, exec_lo, s31
	s_cbranch_vccnz .LBB23_86
; %bb.85:
	s_clause 0x3
	buffer_load_dword v55, v53, s[0:3], 0 offen offset:8
	buffer_load_dword v56, v53, s[0:3], 0 offen offset:12
	buffer_load_dword v57, v53, s[0:3], 0 offen
	buffer_load_dword v58, v53, s[0:3], 0 offen offset:4
	s_waitcnt vmcnt(2) lgkmcnt(0)
	v_mul_f64 v[60:61], v[3:4], v[55:56]
	v_mul_f64 v[55:56], v[1:2], v[55:56]
	s_waitcnt vmcnt(0)
	v_fma_f64 v[1:2], v[1:2], v[57:58], -v[60:61]
	v_fma_f64 v[3:4], v[3:4], v[57:58], v[55:56]
.LBB23_86:
	s_and_saveexec_b32 s8, s5
	s_cbranch_execz .LBB23_90
; %bb.87:
	v_add_nc_u32_e32 v55, -13, v0
	s_movk_i32 s33, 0x250
	s_mov_b32 s5, 0
	s_mov_b32 s34, s18
	.p2align	6
.LBB23_88:                              ; =>This Inner Loop Header: Depth=1
	v_mov_b32_e32 v58, s34
	v_add_nc_u32_e32 v55, -1, v55
	s_add_i32 s34, s34, 16
	s_clause 0x3
	buffer_load_dword v56, v58, s[0:3], 0 offen offset:8
	buffer_load_dword v57, v58, s[0:3], 0 offen offset:12
	buffer_load_dword v64, v58, s[0:3], 0 offen
	buffer_load_dword v65, v58, s[0:3], 0 offen offset:4
	v_mov_b32_e32 v58, s33
	v_cmp_eq_u32_e32 vcc_lo, 0, v55
	s_add_i32 s33, s33, 16
	ds_read_b128 v[60:63], v58
	s_or_b32 s5, vcc_lo, s5
	s_waitcnt vmcnt(2) lgkmcnt(0)
	v_mul_f64 v[66:67], v[62:63], v[56:57]
	v_mul_f64 v[56:57], v[60:61], v[56:57]
	s_waitcnt vmcnt(0)
	v_fma_f64 v[60:61], v[60:61], v[64:65], -v[66:67]
	v_fma_f64 v[56:57], v[62:63], v[64:65], v[56:57]
	v_add_f64 v[1:2], v[1:2], v[60:61]
	v_add_f64 v[3:4], v[3:4], v[56:57]
	s_andn2_b32 exec_lo, exec_lo, s5
	s_cbranch_execnz .LBB23_88
; %bb.89:
	s_or_b32 exec_lo, exec_lo, s5
.LBB23_90:
	s_or_b32 exec_lo, exec_lo, s8
	v_mov_b32_e32 v55, 0
	ds_read_b128 v[55:58], v55 offset:192
	s_waitcnt lgkmcnt(0)
	v_mul_f64 v[60:61], v[3:4], v[57:58]
	v_mul_f64 v[57:58], v[1:2], v[57:58]
	v_fma_f64 v[1:2], v[1:2], v[55:56], -v[60:61]
	v_fma_f64 v[3:4], v[3:4], v[55:56], v[57:58]
	buffer_store_dword v2, off, s[0:3], 0 offset:196
	buffer_store_dword v1, off, s[0:3], 0 offset:192
	;; [unrolled: 1-line block ×4, first 2 shown]
.LBB23_91:
	s_or_b32 exec_lo, exec_lo, s6
	v_mov_b32_e32 v4, s20
	v_cmp_lt_u32_e64 s5, 11, v0
	s_clause 0x3
	buffer_load_dword v1, v4, s[0:3], 0 offen
	buffer_load_dword v2, v4, s[0:3], 0 offen offset:4
	buffer_load_dword v3, v4, s[0:3], 0 offen offset:8
	buffer_load_dword v4, v4, s[0:3], 0 offen offset:12
	s_waitcnt vmcnt(0)
	ds_write_b128 v54, v[1:4]
	s_waitcnt lgkmcnt(0)
	s_waitcnt_vscnt null, 0x0
	s_barrier
	buffer_gl0_inv
	s_and_saveexec_b32 s6, s5
	s_cbranch_execz .LBB23_99
; %bb.92:
	ds_read_b128 v[1:4], v54
	s_andn2_b32 vcc_lo, exec_lo, s31
	s_cbranch_vccnz .LBB23_94
; %bb.93:
	s_clause 0x3
	buffer_load_dword v55, v53, s[0:3], 0 offen offset:8
	buffer_load_dword v56, v53, s[0:3], 0 offen offset:12
	buffer_load_dword v57, v53, s[0:3], 0 offen
	buffer_load_dword v58, v53, s[0:3], 0 offen offset:4
	s_waitcnt vmcnt(2) lgkmcnt(0)
	v_mul_f64 v[60:61], v[3:4], v[55:56]
	v_mul_f64 v[55:56], v[1:2], v[55:56]
	s_waitcnt vmcnt(0)
	v_fma_f64 v[1:2], v[1:2], v[57:58], -v[60:61]
	v_fma_f64 v[3:4], v[3:4], v[57:58], v[55:56]
.LBB23_94:
	s_and_saveexec_b32 s8, s4
	s_cbranch_execz .LBB23_98
; %bb.95:
	v_add_nc_u32_e32 v55, -12, v0
	s_movk_i32 s33, 0x240
	s_mov_b32 s4, 0
	s_mov_b32 s34, s19
	.p2align	6
.LBB23_96:                              ; =>This Inner Loop Header: Depth=1
	v_mov_b32_e32 v58, s34
	v_add_nc_u32_e32 v55, -1, v55
	s_add_i32 s34, s34, 16
	s_clause 0x3
	buffer_load_dword v56, v58, s[0:3], 0 offen offset:8
	buffer_load_dword v57, v58, s[0:3], 0 offen offset:12
	buffer_load_dword v64, v58, s[0:3], 0 offen
	buffer_load_dword v65, v58, s[0:3], 0 offen offset:4
	v_mov_b32_e32 v58, s33
	v_cmp_eq_u32_e32 vcc_lo, 0, v55
	s_add_i32 s33, s33, 16
	ds_read_b128 v[60:63], v58
	s_or_b32 s4, vcc_lo, s4
	s_waitcnt vmcnt(2) lgkmcnt(0)
	v_mul_f64 v[66:67], v[62:63], v[56:57]
	v_mul_f64 v[56:57], v[60:61], v[56:57]
	s_waitcnt vmcnt(0)
	v_fma_f64 v[60:61], v[60:61], v[64:65], -v[66:67]
	v_fma_f64 v[56:57], v[62:63], v[64:65], v[56:57]
	v_add_f64 v[1:2], v[1:2], v[60:61]
	v_add_f64 v[3:4], v[3:4], v[56:57]
	s_andn2_b32 exec_lo, exec_lo, s4
	s_cbranch_execnz .LBB23_96
; %bb.97:
	s_or_b32 exec_lo, exec_lo, s4
.LBB23_98:
	s_or_b32 exec_lo, exec_lo, s8
	v_mov_b32_e32 v55, 0
	ds_read_b128 v[55:58], v55 offset:176
	s_waitcnt lgkmcnt(0)
	v_mul_f64 v[60:61], v[3:4], v[57:58]
	v_mul_f64 v[57:58], v[1:2], v[57:58]
	v_fma_f64 v[1:2], v[1:2], v[55:56], -v[60:61]
	v_fma_f64 v[3:4], v[3:4], v[55:56], v[57:58]
	buffer_store_dword v2, off, s[0:3], 0 offset:180
	buffer_store_dword v1, off, s[0:3], 0 offset:176
	;; [unrolled: 1-line block ×4, first 2 shown]
.LBB23_99:
	s_or_b32 exec_lo, exec_lo, s6
	v_mov_b32_e32 v4, s21
	v_cmp_lt_u32_e64 s4, 10, v0
	s_clause 0x3
	buffer_load_dword v1, v4, s[0:3], 0 offen
	buffer_load_dword v2, v4, s[0:3], 0 offen offset:4
	buffer_load_dword v3, v4, s[0:3], 0 offen offset:8
	;; [unrolled: 1-line block ×3, first 2 shown]
	s_waitcnt vmcnt(0)
	ds_write_b128 v54, v[1:4]
	s_waitcnt lgkmcnt(0)
	s_waitcnt_vscnt null, 0x0
	s_barrier
	buffer_gl0_inv
	s_and_saveexec_b32 s6, s4
	s_cbranch_execz .LBB23_107
; %bb.100:
	ds_read_b128 v[1:4], v54
	s_andn2_b32 vcc_lo, exec_lo, s31
	s_cbranch_vccnz .LBB23_102
; %bb.101:
	s_clause 0x3
	buffer_load_dword v55, v53, s[0:3], 0 offen offset:8
	buffer_load_dword v56, v53, s[0:3], 0 offen offset:12
	buffer_load_dword v57, v53, s[0:3], 0 offen
	buffer_load_dword v58, v53, s[0:3], 0 offen offset:4
	s_waitcnt vmcnt(2) lgkmcnt(0)
	v_mul_f64 v[60:61], v[3:4], v[55:56]
	v_mul_f64 v[55:56], v[1:2], v[55:56]
	s_waitcnt vmcnt(0)
	v_fma_f64 v[1:2], v[1:2], v[57:58], -v[60:61]
	v_fma_f64 v[3:4], v[3:4], v[57:58], v[55:56]
.LBB23_102:
	s_and_saveexec_b32 s8, s5
	s_cbranch_execz .LBB23_106
; %bb.103:
	v_add_nc_u32_e32 v55, -11, v0
	s_movk_i32 s33, 0x230
	s_mov_b32 s5, 0
	s_mov_b32 s34, s20
	.p2align	6
.LBB23_104:                             ; =>This Inner Loop Header: Depth=1
	v_mov_b32_e32 v58, s34
	v_add_nc_u32_e32 v55, -1, v55
	s_add_i32 s34, s34, 16
	s_clause 0x3
	buffer_load_dword v56, v58, s[0:3], 0 offen offset:8
	buffer_load_dword v57, v58, s[0:3], 0 offen offset:12
	buffer_load_dword v64, v58, s[0:3], 0 offen
	buffer_load_dword v65, v58, s[0:3], 0 offen offset:4
	v_mov_b32_e32 v58, s33
	v_cmp_eq_u32_e32 vcc_lo, 0, v55
	s_add_i32 s33, s33, 16
	ds_read_b128 v[60:63], v58
	s_or_b32 s5, vcc_lo, s5
	s_waitcnt vmcnt(2) lgkmcnt(0)
	v_mul_f64 v[66:67], v[62:63], v[56:57]
	v_mul_f64 v[56:57], v[60:61], v[56:57]
	s_waitcnt vmcnt(0)
	v_fma_f64 v[60:61], v[60:61], v[64:65], -v[66:67]
	v_fma_f64 v[56:57], v[62:63], v[64:65], v[56:57]
	v_add_f64 v[1:2], v[1:2], v[60:61]
	v_add_f64 v[3:4], v[3:4], v[56:57]
	s_andn2_b32 exec_lo, exec_lo, s5
	s_cbranch_execnz .LBB23_104
; %bb.105:
	s_or_b32 exec_lo, exec_lo, s5
.LBB23_106:
	s_or_b32 exec_lo, exec_lo, s8
	v_mov_b32_e32 v55, 0
	ds_read_b128 v[55:58], v55 offset:160
	s_waitcnt lgkmcnt(0)
	v_mul_f64 v[60:61], v[3:4], v[57:58]
	v_mul_f64 v[57:58], v[1:2], v[57:58]
	v_fma_f64 v[1:2], v[1:2], v[55:56], -v[60:61]
	v_fma_f64 v[3:4], v[3:4], v[55:56], v[57:58]
	buffer_store_dword v2, off, s[0:3], 0 offset:164
	buffer_store_dword v1, off, s[0:3], 0 offset:160
	;; [unrolled: 1-line block ×4, first 2 shown]
.LBB23_107:
	s_or_b32 exec_lo, exec_lo, s6
	v_mov_b32_e32 v4, s22
	v_cmp_lt_u32_e64 s5, 9, v0
	s_clause 0x3
	buffer_load_dword v1, v4, s[0:3], 0 offen
	buffer_load_dword v2, v4, s[0:3], 0 offen offset:4
	buffer_load_dword v3, v4, s[0:3], 0 offen offset:8
	;; [unrolled: 1-line block ×3, first 2 shown]
	s_waitcnt vmcnt(0)
	ds_write_b128 v54, v[1:4]
	s_waitcnt lgkmcnt(0)
	s_waitcnt_vscnt null, 0x0
	s_barrier
	buffer_gl0_inv
	s_and_saveexec_b32 s6, s5
	s_cbranch_execz .LBB23_115
; %bb.108:
	ds_read_b128 v[1:4], v54
	s_andn2_b32 vcc_lo, exec_lo, s31
	s_cbranch_vccnz .LBB23_110
; %bb.109:
	s_clause 0x3
	buffer_load_dword v55, v53, s[0:3], 0 offen offset:8
	buffer_load_dword v56, v53, s[0:3], 0 offen offset:12
	buffer_load_dword v57, v53, s[0:3], 0 offen
	buffer_load_dword v58, v53, s[0:3], 0 offen offset:4
	s_waitcnt vmcnt(2) lgkmcnt(0)
	v_mul_f64 v[60:61], v[3:4], v[55:56]
	v_mul_f64 v[55:56], v[1:2], v[55:56]
	s_waitcnt vmcnt(0)
	v_fma_f64 v[1:2], v[1:2], v[57:58], -v[60:61]
	v_fma_f64 v[3:4], v[3:4], v[57:58], v[55:56]
.LBB23_110:
	s_and_saveexec_b32 s8, s4
	s_cbranch_execz .LBB23_114
; %bb.111:
	v_add_nc_u32_e32 v55, -10, v0
	s_movk_i32 s33, 0x220
	s_mov_b32 s4, 0
	s_mov_b32 s34, s21
	.p2align	6
.LBB23_112:                             ; =>This Inner Loop Header: Depth=1
	v_mov_b32_e32 v58, s34
	v_add_nc_u32_e32 v55, -1, v55
	s_add_i32 s34, s34, 16
	s_clause 0x3
	buffer_load_dword v56, v58, s[0:3], 0 offen offset:8
	buffer_load_dword v57, v58, s[0:3], 0 offen offset:12
	buffer_load_dword v64, v58, s[0:3], 0 offen
	buffer_load_dword v65, v58, s[0:3], 0 offen offset:4
	v_mov_b32_e32 v58, s33
	v_cmp_eq_u32_e32 vcc_lo, 0, v55
	s_add_i32 s33, s33, 16
	ds_read_b128 v[60:63], v58
	s_or_b32 s4, vcc_lo, s4
	s_waitcnt vmcnt(2) lgkmcnt(0)
	v_mul_f64 v[66:67], v[62:63], v[56:57]
	v_mul_f64 v[56:57], v[60:61], v[56:57]
	s_waitcnt vmcnt(0)
	v_fma_f64 v[60:61], v[60:61], v[64:65], -v[66:67]
	v_fma_f64 v[56:57], v[62:63], v[64:65], v[56:57]
	v_add_f64 v[1:2], v[1:2], v[60:61]
	v_add_f64 v[3:4], v[3:4], v[56:57]
	s_andn2_b32 exec_lo, exec_lo, s4
	s_cbranch_execnz .LBB23_112
; %bb.113:
	s_or_b32 exec_lo, exec_lo, s4
.LBB23_114:
	s_or_b32 exec_lo, exec_lo, s8
	v_mov_b32_e32 v55, 0
	ds_read_b128 v[55:58], v55 offset:144
	s_waitcnt lgkmcnt(0)
	v_mul_f64 v[60:61], v[3:4], v[57:58]
	v_mul_f64 v[57:58], v[1:2], v[57:58]
	v_fma_f64 v[1:2], v[1:2], v[55:56], -v[60:61]
	v_fma_f64 v[3:4], v[3:4], v[55:56], v[57:58]
	buffer_store_dword v2, off, s[0:3], 0 offset:148
	buffer_store_dword v1, off, s[0:3], 0 offset:144
	;; [unrolled: 1-line block ×4, first 2 shown]
.LBB23_115:
	s_or_b32 exec_lo, exec_lo, s6
	v_mov_b32_e32 v4, s23
	v_cmp_lt_u32_e64 s4, 8, v0
	s_clause 0x3
	buffer_load_dword v1, v4, s[0:3], 0 offen
	buffer_load_dword v2, v4, s[0:3], 0 offen offset:4
	buffer_load_dword v3, v4, s[0:3], 0 offen offset:8
	;; [unrolled: 1-line block ×3, first 2 shown]
	s_waitcnt vmcnt(0)
	ds_write_b128 v54, v[1:4]
	s_waitcnt lgkmcnt(0)
	s_waitcnt_vscnt null, 0x0
	s_barrier
	buffer_gl0_inv
	s_and_saveexec_b32 s6, s4
	s_cbranch_execz .LBB23_123
; %bb.116:
	ds_read_b128 v[1:4], v54
	s_andn2_b32 vcc_lo, exec_lo, s31
	s_cbranch_vccnz .LBB23_118
; %bb.117:
	s_clause 0x3
	buffer_load_dword v55, v53, s[0:3], 0 offen offset:8
	buffer_load_dword v56, v53, s[0:3], 0 offen offset:12
	buffer_load_dword v57, v53, s[0:3], 0 offen
	buffer_load_dword v58, v53, s[0:3], 0 offen offset:4
	s_waitcnt vmcnt(2) lgkmcnt(0)
	v_mul_f64 v[60:61], v[3:4], v[55:56]
	v_mul_f64 v[55:56], v[1:2], v[55:56]
	s_waitcnt vmcnt(0)
	v_fma_f64 v[1:2], v[1:2], v[57:58], -v[60:61]
	v_fma_f64 v[3:4], v[3:4], v[57:58], v[55:56]
.LBB23_118:
	s_and_saveexec_b32 s8, s5
	s_cbranch_execz .LBB23_122
; %bb.119:
	v_add_nc_u32_e32 v55, -9, v0
	s_movk_i32 s33, 0x210
	s_mov_b32 s5, 0
	s_mov_b32 s34, s22
	.p2align	6
.LBB23_120:                             ; =>This Inner Loop Header: Depth=1
	v_mov_b32_e32 v58, s34
	v_add_nc_u32_e32 v55, -1, v55
	s_add_i32 s34, s34, 16
	s_clause 0x3
	buffer_load_dword v56, v58, s[0:3], 0 offen offset:8
	buffer_load_dword v57, v58, s[0:3], 0 offen offset:12
	buffer_load_dword v64, v58, s[0:3], 0 offen
	buffer_load_dword v65, v58, s[0:3], 0 offen offset:4
	v_mov_b32_e32 v58, s33
	v_cmp_eq_u32_e32 vcc_lo, 0, v55
	s_add_i32 s33, s33, 16
	ds_read_b128 v[60:63], v58
	s_or_b32 s5, vcc_lo, s5
	s_waitcnt vmcnt(2) lgkmcnt(0)
	v_mul_f64 v[66:67], v[62:63], v[56:57]
	v_mul_f64 v[56:57], v[60:61], v[56:57]
	s_waitcnt vmcnt(0)
	v_fma_f64 v[60:61], v[60:61], v[64:65], -v[66:67]
	v_fma_f64 v[56:57], v[62:63], v[64:65], v[56:57]
	v_add_f64 v[1:2], v[1:2], v[60:61]
	v_add_f64 v[3:4], v[3:4], v[56:57]
	s_andn2_b32 exec_lo, exec_lo, s5
	s_cbranch_execnz .LBB23_120
; %bb.121:
	s_or_b32 exec_lo, exec_lo, s5
.LBB23_122:
	s_or_b32 exec_lo, exec_lo, s8
	v_mov_b32_e32 v55, 0
	ds_read_b128 v[55:58], v55 offset:128
	s_waitcnt lgkmcnt(0)
	v_mul_f64 v[60:61], v[3:4], v[57:58]
	v_mul_f64 v[57:58], v[1:2], v[57:58]
	v_fma_f64 v[1:2], v[1:2], v[55:56], -v[60:61]
	v_fma_f64 v[3:4], v[3:4], v[55:56], v[57:58]
	buffer_store_dword v2, off, s[0:3], 0 offset:132
	buffer_store_dword v1, off, s[0:3], 0 offset:128
	;; [unrolled: 1-line block ×4, first 2 shown]
.LBB23_123:
	s_or_b32 exec_lo, exec_lo, s6
	v_mov_b32_e32 v4, s24
	v_cmp_lt_u32_e64 s5, 7, v0
	s_clause 0x3
	buffer_load_dword v1, v4, s[0:3], 0 offen
	buffer_load_dword v2, v4, s[0:3], 0 offen offset:4
	buffer_load_dword v3, v4, s[0:3], 0 offen offset:8
	;; [unrolled: 1-line block ×3, first 2 shown]
	s_waitcnt vmcnt(0)
	ds_write_b128 v54, v[1:4]
	s_waitcnt lgkmcnt(0)
	s_waitcnt_vscnt null, 0x0
	s_barrier
	buffer_gl0_inv
	s_and_saveexec_b32 s6, s5
	s_cbranch_execz .LBB23_131
; %bb.124:
	ds_read_b128 v[1:4], v54
	s_andn2_b32 vcc_lo, exec_lo, s31
	s_cbranch_vccnz .LBB23_126
; %bb.125:
	s_clause 0x3
	buffer_load_dword v55, v53, s[0:3], 0 offen offset:8
	buffer_load_dword v56, v53, s[0:3], 0 offen offset:12
	buffer_load_dword v57, v53, s[0:3], 0 offen
	buffer_load_dword v58, v53, s[0:3], 0 offen offset:4
	s_waitcnt vmcnt(2) lgkmcnt(0)
	v_mul_f64 v[60:61], v[3:4], v[55:56]
	v_mul_f64 v[55:56], v[1:2], v[55:56]
	s_waitcnt vmcnt(0)
	v_fma_f64 v[1:2], v[1:2], v[57:58], -v[60:61]
	v_fma_f64 v[3:4], v[3:4], v[57:58], v[55:56]
.LBB23_126:
	s_and_saveexec_b32 s8, s4
	s_cbranch_execz .LBB23_130
; %bb.127:
	v_add_nc_u32_e32 v55, -8, v0
	s_movk_i32 s33, 0x200
	s_mov_b32 s4, 0
	s_mov_b32 s34, s23
	.p2align	6
.LBB23_128:                             ; =>This Inner Loop Header: Depth=1
	v_mov_b32_e32 v58, s34
	v_add_nc_u32_e32 v55, -1, v55
	s_add_i32 s34, s34, 16
	s_clause 0x3
	buffer_load_dword v56, v58, s[0:3], 0 offen offset:8
	buffer_load_dword v57, v58, s[0:3], 0 offen offset:12
	buffer_load_dword v64, v58, s[0:3], 0 offen
	buffer_load_dword v65, v58, s[0:3], 0 offen offset:4
	v_mov_b32_e32 v58, s33
	v_cmp_eq_u32_e32 vcc_lo, 0, v55
	s_add_i32 s33, s33, 16
	ds_read_b128 v[60:63], v58
	s_or_b32 s4, vcc_lo, s4
	s_waitcnt vmcnt(2) lgkmcnt(0)
	v_mul_f64 v[66:67], v[62:63], v[56:57]
	v_mul_f64 v[56:57], v[60:61], v[56:57]
	s_waitcnt vmcnt(0)
	v_fma_f64 v[60:61], v[60:61], v[64:65], -v[66:67]
	v_fma_f64 v[56:57], v[62:63], v[64:65], v[56:57]
	v_add_f64 v[1:2], v[1:2], v[60:61]
	v_add_f64 v[3:4], v[3:4], v[56:57]
	s_andn2_b32 exec_lo, exec_lo, s4
	s_cbranch_execnz .LBB23_128
; %bb.129:
	s_or_b32 exec_lo, exec_lo, s4
.LBB23_130:
	s_or_b32 exec_lo, exec_lo, s8
	v_mov_b32_e32 v55, 0
	ds_read_b128 v[55:58], v55 offset:112
	s_waitcnt lgkmcnt(0)
	v_mul_f64 v[60:61], v[3:4], v[57:58]
	v_mul_f64 v[57:58], v[1:2], v[57:58]
	v_fma_f64 v[1:2], v[1:2], v[55:56], -v[60:61]
	v_fma_f64 v[3:4], v[3:4], v[55:56], v[57:58]
	buffer_store_dword v2, off, s[0:3], 0 offset:116
	buffer_store_dword v1, off, s[0:3], 0 offset:112
	;; [unrolled: 1-line block ×4, first 2 shown]
.LBB23_131:
	s_or_b32 exec_lo, exec_lo, s6
	v_mov_b32_e32 v4, s25
	v_cmp_lt_u32_e64 s4, 6, v0
	s_clause 0x3
	buffer_load_dword v1, v4, s[0:3], 0 offen
	buffer_load_dword v2, v4, s[0:3], 0 offen offset:4
	buffer_load_dword v3, v4, s[0:3], 0 offen offset:8
	;; [unrolled: 1-line block ×3, first 2 shown]
	s_waitcnt vmcnt(0)
	ds_write_b128 v54, v[1:4]
	s_waitcnt lgkmcnt(0)
	s_waitcnt_vscnt null, 0x0
	s_barrier
	buffer_gl0_inv
	s_and_saveexec_b32 s6, s4
	s_cbranch_execz .LBB23_139
; %bb.132:
	ds_read_b128 v[1:4], v54
	s_andn2_b32 vcc_lo, exec_lo, s31
	s_cbranch_vccnz .LBB23_134
; %bb.133:
	s_clause 0x3
	buffer_load_dword v55, v53, s[0:3], 0 offen offset:8
	buffer_load_dword v56, v53, s[0:3], 0 offen offset:12
	buffer_load_dword v57, v53, s[0:3], 0 offen
	buffer_load_dword v58, v53, s[0:3], 0 offen offset:4
	s_waitcnt vmcnt(2) lgkmcnt(0)
	v_mul_f64 v[60:61], v[3:4], v[55:56]
	v_mul_f64 v[55:56], v[1:2], v[55:56]
	s_waitcnt vmcnt(0)
	v_fma_f64 v[1:2], v[1:2], v[57:58], -v[60:61]
	v_fma_f64 v[3:4], v[3:4], v[57:58], v[55:56]
.LBB23_134:
	s_and_saveexec_b32 s8, s5
	s_cbranch_execz .LBB23_138
; %bb.135:
	v_add_nc_u32_e32 v55, -7, v0
	s_movk_i32 s33, 0x1f0
	s_mov_b32 s5, 0
	s_mov_b32 s34, s24
	.p2align	6
.LBB23_136:                             ; =>This Inner Loop Header: Depth=1
	v_mov_b32_e32 v58, s34
	v_add_nc_u32_e32 v55, -1, v55
	s_add_i32 s34, s34, 16
	s_clause 0x3
	buffer_load_dword v56, v58, s[0:3], 0 offen offset:8
	buffer_load_dword v57, v58, s[0:3], 0 offen offset:12
	buffer_load_dword v64, v58, s[0:3], 0 offen
	buffer_load_dword v65, v58, s[0:3], 0 offen offset:4
	v_mov_b32_e32 v58, s33
	v_cmp_eq_u32_e32 vcc_lo, 0, v55
	s_add_i32 s33, s33, 16
	ds_read_b128 v[60:63], v58
	s_or_b32 s5, vcc_lo, s5
	s_waitcnt vmcnt(2) lgkmcnt(0)
	v_mul_f64 v[66:67], v[62:63], v[56:57]
	v_mul_f64 v[56:57], v[60:61], v[56:57]
	s_waitcnt vmcnt(0)
	v_fma_f64 v[60:61], v[60:61], v[64:65], -v[66:67]
	v_fma_f64 v[56:57], v[62:63], v[64:65], v[56:57]
	v_add_f64 v[1:2], v[1:2], v[60:61]
	v_add_f64 v[3:4], v[3:4], v[56:57]
	s_andn2_b32 exec_lo, exec_lo, s5
	s_cbranch_execnz .LBB23_136
; %bb.137:
	s_or_b32 exec_lo, exec_lo, s5
.LBB23_138:
	s_or_b32 exec_lo, exec_lo, s8
	v_mov_b32_e32 v55, 0
	ds_read_b128 v[55:58], v55 offset:96
	s_waitcnt lgkmcnt(0)
	v_mul_f64 v[60:61], v[3:4], v[57:58]
	v_mul_f64 v[57:58], v[1:2], v[57:58]
	v_fma_f64 v[1:2], v[1:2], v[55:56], -v[60:61]
	v_fma_f64 v[3:4], v[3:4], v[55:56], v[57:58]
	buffer_store_dword v2, off, s[0:3], 0 offset:100
	buffer_store_dword v1, off, s[0:3], 0 offset:96
	buffer_store_dword v4, off, s[0:3], 0 offset:108
	buffer_store_dword v3, off, s[0:3], 0 offset:104
.LBB23_139:
	s_or_b32 exec_lo, exec_lo, s6
	v_mov_b32_e32 v4, s26
	v_cmp_lt_u32_e64 s5, 5, v0
	s_clause 0x3
	buffer_load_dword v1, v4, s[0:3], 0 offen
	buffer_load_dword v2, v4, s[0:3], 0 offen offset:4
	buffer_load_dword v3, v4, s[0:3], 0 offen offset:8
	;; [unrolled: 1-line block ×3, first 2 shown]
	s_waitcnt vmcnt(0)
	ds_write_b128 v54, v[1:4]
	s_waitcnt lgkmcnt(0)
	s_waitcnt_vscnt null, 0x0
	s_barrier
	buffer_gl0_inv
	s_and_saveexec_b32 s6, s5
	s_cbranch_execz .LBB23_147
; %bb.140:
	ds_read_b128 v[1:4], v54
	s_andn2_b32 vcc_lo, exec_lo, s31
	s_cbranch_vccnz .LBB23_142
; %bb.141:
	s_clause 0x3
	buffer_load_dword v55, v53, s[0:3], 0 offen offset:8
	buffer_load_dword v56, v53, s[0:3], 0 offen offset:12
	buffer_load_dword v57, v53, s[0:3], 0 offen
	buffer_load_dword v58, v53, s[0:3], 0 offen offset:4
	s_waitcnt vmcnt(2) lgkmcnt(0)
	v_mul_f64 v[60:61], v[3:4], v[55:56]
	v_mul_f64 v[55:56], v[1:2], v[55:56]
	s_waitcnt vmcnt(0)
	v_fma_f64 v[1:2], v[1:2], v[57:58], -v[60:61]
	v_fma_f64 v[3:4], v[3:4], v[57:58], v[55:56]
.LBB23_142:
	s_and_saveexec_b32 s8, s4
	s_cbranch_execz .LBB23_146
; %bb.143:
	v_add_nc_u32_e32 v55, -6, v0
	s_movk_i32 s33, 0x1e0
	s_mov_b32 s4, 0
	s_mov_b32 s34, s25
	.p2align	6
.LBB23_144:                             ; =>This Inner Loop Header: Depth=1
	v_mov_b32_e32 v58, s34
	v_add_nc_u32_e32 v55, -1, v55
	s_add_i32 s34, s34, 16
	s_clause 0x3
	buffer_load_dword v56, v58, s[0:3], 0 offen offset:8
	buffer_load_dword v57, v58, s[0:3], 0 offen offset:12
	buffer_load_dword v64, v58, s[0:3], 0 offen
	buffer_load_dword v65, v58, s[0:3], 0 offen offset:4
	v_mov_b32_e32 v58, s33
	v_cmp_eq_u32_e32 vcc_lo, 0, v55
	s_add_i32 s33, s33, 16
	ds_read_b128 v[60:63], v58
	s_or_b32 s4, vcc_lo, s4
	s_waitcnt vmcnt(2) lgkmcnt(0)
	v_mul_f64 v[66:67], v[62:63], v[56:57]
	v_mul_f64 v[56:57], v[60:61], v[56:57]
	s_waitcnt vmcnt(0)
	v_fma_f64 v[60:61], v[60:61], v[64:65], -v[66:67]
	v_fma_f64 v[56:57], v[62:63], v[64:65], v[56:57]
	v_add_f64 v[1:2], v[1:2], v[60:61]
	v_add_f64 v[3:4], v[3:4], v[56:57]
	s_andn2_b32 exec_lo, exec_lo, s4
	s_cbranch_execnz .LBB23_144
; %bb.145:
	s_or_b32 exec_lo, exec_lo, s4
.LBB23_146:
	s_or_b32 exec_lo, exec_lo, s8
	v_mov_b32_e32 v55, 0
	ds_read_b128 v[55:58], v55 offset:80
	s_waitcnt lgkmcnt(0)
	v_mul_f64 v[60:61], v[3:4], v[57:58]
	v_mul_f64 v[57:58], v[1:2], v[57:58]
	v_fma_f64 v[1:2], v[1:2], v[55:56], -v[60:61]
	v_fma_f64 v[3:4], v[3:4], v[55:56], v[57:58]
	buffer_store_dword v2, off, s[0:3], 0 offset:84
	buffer_store_dword v1, off, s[0:3], 0 offset:80
	buffer_store_dword v4, off, s[0:3], 0 offset:92
	buffer_store_dword v3, off, s[0:3], 0 offset:88
.LBB23_147:
	s_or_b32 exec_lo, exec_lo, s6
	v_mov_b32_e32 v4, s27
	v_cmp_lt_u32_e64 s4, 4, v0
	s_clause 0x3
	buffer_load_dword v1, v4, s[0:3], 0 offen
	buffer_load_dword v2, v4, s[0:3], 0 offen offset:4
	buffer_load_dword v3, v4, s[0:3], 0 offen offset:8
	;; [unrolled: 1-line block ×3, first 2 shown]
	s_waitcnt vmcnt(0)
	ds_write_b128 v54, v[1:4]
	s_waitcnt lgkmcnt(0)
	s_waitcnt_vscnt null, 0x0
	s_barrier
	buffer_gl0_inv
	s_and_saveexec_b32 s6, s4
	s_cbranch_execz .LBB23_155
; %bb.148:
	ds_read_b128 v[1:4], v54
	s_andn2_b32 vcc_lo, exec_lo, s31
	s_cbranch_vccnz .LBB23_150
; %bb.149:
	s_clause 0x3
	buffer_load_dword v55, v53, s[0:3], 0 offen offset:8
	buffer_load_dword v56, v53, s[0:3], 0 offen offset:12
	buffer_load_dword v57, v53, s[0:3], 0 offen
	buffer_load_dword v58, v53, s[0:3], 0 offen offset:4
	s_waitcnt vmcnt(2) lgkmcnt(0)
	v_mul_f64 v[60:61], v[3:4], v[55:56]
	v_mul_f64 v[55:56], v[1:2], v[55:56]
	s_waitcnt vmcnt(0)
	v_fma_f64 v[1:2], v[1:2], v[57:58], -v[60:61]
	v_fma_f64 v[3:4], v[3:4], v[57:58], v[55:56]
.LBB23_150:
	s_and_saveexec_b32 s8, s5
	s_cbranch_execz .LBB23_154
; %bb.151:
	v_add_nc_u32_e32 v55, -5, v0
	s_movk_i32 s33, 0x1d0
	s_mov_b32 s5, 0
	s_mov_b32 s34, s26
	.p2align	6
.LBB23_152:                             ; =>This Inner Loop Header: Depth=1
	v_mov_b32_e32 v58, s34
	v_add_nc_u32_e32 v55, -1, v55
	s_add_i32 s34, s34, 16
	s_clause 0x3
	buffer_load_dword v56, v58, s[0:3], 0 offen offset:8
	buffer_load_dword v57, v58, s[0:3], 0 offen offset:12
	buffer_load_dword v64, v58, s[0:3], 0 offen
	buffer_load_dword v65, v58, s[0:3], 0 offen offset:4
	v_mov_b32_e32 v58, s33
	v_cmp_eq_u32_e32 vcc_lo, 0, v55
	s_add_i32 s33, s33, 16
	ds_read_b128 v[60:63], v58
	s_or_b32 s5, vcc_lo, s5
	s_waitcnt vmcnt(2) lgkmcnt(0)
	v_mul_f64 v[66:67], v[62:63], v[56:57]
	v_mul_f64 v[56:57], v[60:61], v[56:57]
	s_waitcnt vmcnt(0)
	v_fma_f64 v[60:61], v[60:61], v[64:65], -v[66:67]
	v_fma_f64 v[56:57], v[62:63], v[64:65], v[56:57]
	v_add_f64 v[1:2], v[1:2], v[60:61]
	v_add_f64 v[3:4], v[3:4], v[56:57]
	s_andn2_b32 exec_lo, exec_lo, s5
	s_cbranch_execnz .LBB23_152
; %bb.153:
	s_or_b32 exec_lo, exec_lo, s5
.LBB23_154:
	s_or_b32 exec_lo, exec_lo, s8
	v_mov_b32_e32 v55, 0
	ds_read_b128 v[55:58], v55 offset:64
	s_waitcnt lgkmcnt(0)
	v_mul_f64 v[60:61], v[3:4], v[57:58]
	v_mul_f64 v[57:58], v[1:2], v[57:58]
	v_fma_f64 v[1:2], v[1:2], v[55:56], -v[60:61]
	v_fma_f64 v[3:4], v[3:4], v[55:56], v[57:58]
	buffer_store_dword v2, off, s[0:3], 0 offset:68
	buffer_store_dword v1, off, s[0:3], 0 offset:64
	;; [unrolled: 1-line block ×4, first 2 shown]
.LBB23_155:
	s_or_b32 exec_lo, exec_lo, s6
	v_mov_b32_e32 v4, s28
	v_cmp_lt_u32_e64 s5, 3, v0
	s_clause 0x3
	buffer_load_dword v1, v4, s[0:3], 0 offen
	buffer_load_dword v2, v4, s[0:3], 0 offen offset:4
	buffer_load_dword v3, v4, s[0:3], 0 offen offset:8
	;; [unrolled: 1-line block ×3, first 2 shown]
	s_waitcnt vmcnt(0)
	ds_write_b128 v54, v[1:4]
	s_waitcnt lgkmcnt(0)
	s_waitcnt_vscnt null, 0x0
	s_barrier
	buffer_gl0_inv
	s_and_saveexec_b32 s6, s5
	s_cbranch_execz .LBB23_163
; %bb.156:
	ds_read_b128 v[1:4], v54
	s_andn2_b32 vcc_lo, exec_lo, s31
	s_cbranch_vccnz .LBB23_158
; %bb.157:
	s_clause 0x3
	buffer_load_dword v55, v53, s[0:3], 0 offen offset:8
	buffer_load_dword v56, v53, s[0:3], 0 offen offset:12
	buffer_load_dword v57, v53, s[0:3], 0 offen
	buffer_load_dword v58, v53, s[0:3], 0 offen offset:4
	s_waitcnt vmcnt(2) lgkmcnt(0)
	v_mul_f64 v[60:61], v[3:4], v[55:56]
	v_mul_f64 v[55:56], v[1:2], v[55:56]
	s_waitcnt vmcnt(0)
	v_fma_f64 v[1:2], v[1:2], v[57:58], -v[60:61]
	v_fma_f64 v[3:4], v[3:4], v[57:58], v[55:56]
.LBB23_158:
	s_and_saveexec_b32 s8, s4
	s_cbranch_execz .LBB23_162
; %bb.159:
	v_add_nc_u32_e32 v55, -4, v0
	s_movk_i32 s33, 0x1c0
	s_mov_b32 s4, 0
	s_mov_b32 s34, s27
	.p2align	6
.LBB23_160:                             ; =>This Inner Loop Header: Depth=1
	v_mov_b32_e32 v58, s34
	v_add_nc_u32_e32 v55, -1, v55
	s_add_i32 s34, s34, 16
	s_clause 0x3
	buffer_load_dword v56, v58, s[0:3], 0 offen offset:8
	buffer_load_dword v57, v58, s[0:3], 0 offen offset:12
	buffer_load_dword v64, v58, s[0:3], 0 offen
	buffer_load_dword v65, v58, s[0:3], 0 offen offset:4
	v_mov_b32_e32 v58, s33
	v_cmp_eq_u32_e32 vcc_lo, 0, v55
	s_add_i32 s33, s33, 16
	ds_read_b128 v[60:63], v58
	s_or_b32 s4, vcc_lo, s4
	s_waitcnt vmcnt(2) lgkmcnt(0)
	v_mul_f64 v[66:67], v[62:63], v[56:57]
	v_mul_f64 v[56:57], v[60:61], v[56:57]
	s_waitcnt vmcnt(0)
	v_fma_f64 v[60:61], v[60:61], v[64:65], -v[66:67]
	v_fma_f64 v[56:57], v[62:63], v[64:65], v[56:57]
	v_add_f64 v[1:2], v[1:2], v[60:61]
	v_add_f64 v[3:4], v[3:4], v[56:57]
	s_andn2_b32 exec_lo, exec_lo, s4
	s_cbranch_execnz .LBB23_160
; %bb.161:
	s_or_b32 exec_lo, exec_lo, s4
.LBB23_162:
	s_or_b32 exec_lo, exec_lo, s8
	v_mov_b32_e32 v55, 0
	ds_read_b128 v[55:58], v55 offset:48
	s_waitcnt lgkmcnt(0)
	v_mul_f64 v[60:61], v[3:4], v[57:58]
	v_mul_f64 v[57:58], v[1:2], v[57:58]
	v_fma_f64 v[1:2], v[1:2], v[55:56], -v[60:61]
	v_fma_f64 v[3:4], v[3:4], v[55:56], v[57:58]
	buffer_store_dword v2, off, s[0:3], 0 offset:52
	buffer_store_dword v1, off, s[0:3], 0 offset:48
	;; [unrolled: 1-line block ×4, first 2 shown]
.LBB23_163:
	s_or_b32 exec_lo, exec_lo, s6
	v_mov_b32_e32 v4, s30
	v_cmp_lt_u32_e64 s6, 2, v0
	s_clause 0x3
	buffer_load_dword v1, v4, s[0:3], 0 offen
	buffer_load_dword v2, v4, s[0:3], 0 offen offset:4
	buffer_load_dword v3, v4, s[0:3], 0 offen offset:8
	;; [unrolled: 1-line block ×3, first 2 shown]
	s_waitcnt vmcnt(0)
	ds_write_b128 v54, v[1:4]
	s_waitcnt lgkmcnt(0)
	s_waitcnt_vscnt null, 0x0
	s_barrier
	buffer_gl0_inv
	s_and_saveexec_b32 s4, s6
	s_cbranch_execz .LBB23_171
; %bb.164:
	ds_read_b128 v[1:4], v54
	s_andn2_b32 vcc_lo, exec_lo, s31
	s_cbranch_vccnz .LBB23_166
; %bb.165:
	s_clause 0x3
	buffer_load_dword v55, v53, s[0:3], 0 offen offset:8
	buffer_load_dword v56, v53, s[0:3], 0 offen offset:12
	buffer_load_dword v57, v53, s[0:3], 0 offen
	buffer_load_dword v58, v53, s[0:3], 0 offen offset:4
	s_waitcnt vmcnt(2) lgkmcnt(0)
	v_mul_f64 v[60:61], v[3:4], v[55:56]
	v_mul_f64 v[55:56], v[1:2], v[55:56]
	s_waitcnt vmcnt(0)
	v_fma_f64 v[1:2], v[1:2], v[57:58], -v[60:61]
	v_fma_f64 v[3:4], v[3:4], v[57:58], v[55:56]
.LBB23_166:
	s_and_saveexec_b32 s8, s5
	s_cbranch_execz .LBB23_170
; %bb.167:
	v_add_nc_u32_e32 v55, -3, v0
	s_movk_i32 s33, 0x1b0
	s_mov_b32 s5, 0
	s_mov_b32 s34, s28
	.p2align	6
.LBB23_168:                             ; =>This Inner Loop Header: Depth=1
	v_mov_b32_e32 v58, s34
	v_add_nc_u32_e32 v55, -1, v55
	s_add_i32 s34, s34, 16
	s_clause 0x3
	buffer_load_dword v56, v58, s[0:3], 0 offen offset:8
	buffer_load_dword v57, v58, s[0:3], 0 offen offset:12
	buffer_load_dword v64, v58, s[0:3], 0 offen
	buffer_load_dword v65, v58, s[0:3], 0 offen offset:4
	v_mov_b32_e32 v58, s33
	v_cmp_eq_u32_e32 vcc_lo, 0, v55
	s_add_i32 s33, s33, 16
	ds_read_b128 v[60:63], v58
	s_or_b32 s5, vcc_lo, s5
	s_waitcnt vmcnt(2) lgkmcnt(0)
	v_mul_f64 v[66:67], v[62:63], v[56:57]
	v_mul_f64 v[56:57], v[60:61], v[56:57]
	s_waitcnt vmcnt(0)
	v_fma_f64 v[60:61], v[60:61], v[64:65], -v[66:67]
	v_fma_f64 v[56:57], v[62:63], v[64:65], v[56:57]
	v_add_f64 v[1:2], v[1:2], v[60:61]
	v_add_f64 v[3:4], v[3:4], v[56:57]
	s_andn2_b32 exec_lo, exec_lo, s5
	s_cbranch_execnz .LBB23_168
; %bb.169:
	s_or_b32 exec_lo, exec_lo, s5
.LBB23_170:
	s_or_b32 exec_lo, exec_lo, s8
	v_mov_b32_e32 v55, 0
	ds_read_b128 v[55:58], v55 offset:32
	s_waitcnt lgkmcnt(0)
	v_mul_f64 v[60:61], v[3:4], v[57:58]
	v_mul_f64 v[57:58], v[1:2], v[57:58]
	v_fma_f64 v[1:2], v[1:2], v[55:56], -v[60:61]
	v_fma_f64 v[3:4], v[3:4], v[55:56], v[57:58]
	buffer_store_dword v2, off, s[0:3], 0 offset:36
	buffer_store_dword v1, off, s[0:3], 0 offset:32
	;; [unrolled: 1-line block ×4, first 2 shown]
.LBB23_171:
	s_or_b32 exec_lo, exec_lo, s4
	v_mov_b32_e32 v4, s29
	v_cmp_lt_u32_e64 s4, 1, v0
	s_clause 0x3
	buffer_load_dword v1, v4, s[0:3], 0 offen
	buffer_load_dword v2, v4, s[0:3], 0 offen offset:4
	buffer_load_dword v3, v4, s[0:3], 0 offen offset:8
	;; [unrolled: 1-line block ×3, first 2 shown]
	s_waitcnt vmcnt(0)
	ds_write_b128 v54, v[1:4]
	s_waitcnt lgkmcnt(0)
	s_waitcnt_vscnt null, 0x0
	s_barrier
	buffer_gl0_inv
	s_and_saveexec_b32 s5, s4
	s_cbranch_execz .LBB23_179
; %bb.172:
	ds_read_b128 v[1:4], v54
	s_andn2_b32 vcc_lo, exec_lo, s31
	s_cbranch_vccnz .LBB23_174
; %bb.173:
	s_clause 0x3
	buffer_load_dword v55, v53, s[0:3], 0 offen offset:8
	buffer_load_dword v56, v53, s[0:3], 0 offen offset:12
	buffer_load_dword v57, v53, s[0:3], 0 offen
	buffer_load_dword v58, v53, s[0:3], 0 offen offset:4
	s_waitcnt vmcnt(2) lgkmcnt(0)
	v_mul_f64 v[60:61], v[3:4], v[55:56]
	v_mul_f64 v[55:56], v[1:2], v[55:56]
	s_waitcnt vmcnt(0)
	v_fma_f64 v[1:2], v[1:2], v[57:58], -v[60:61]
	v_fma_f64 v[3:4], v[3:4], v[57:58], v[55:56]
.LBB23_174:
	s_and_saveexec_b32 s8, s6
	s_cbranch_execz .LBB23_178
; %bb.175:
	v_add_nc_u32_e32 v55, -2, v0
	s_movk_i32 s33, 0x1a0
	s_mov_b32 s6, 0
	s_mov_b32 s34, s30
	.p2align	6
.LBB23_176:                             ; =>This Inner Loop Header: Depth=1
	v_mov_b32_e32 v58, s34
	v_add_nc_u32_e32 v55, -1, v55
	s_add_i32 s34, s34, 16
	s_clause 0x3
	buffer_load_dword v56, v58, s[0:3], 0 offen offset:8
	buffer_load_dword v57, v58, s[0:3], 0 offen offset:12
	buffer_load_dword v64, v58, s[0:3], 0 offen
	buffer_load_dword v65, v58, s[0:3], 0 offen offset:4
	v_mov_b32_e32 v58, s33
	v_cmp_eq_u32_e32 vcc_lo, 0, v55
	s_add_i32 s33, s33, 16
	ds_read_b128 v[60:63], v58
	s_or_b32 s6, vcc_lo, s6
	s_waitcnt vmcnt(2) lgkmcnt(0)
	v_mul_f64 v[66:67], v[62:63], v[56:57]
	v_mul_f64 v[56:57], v[60:61], v[56:57]
	s_waitcnt vmcnt(0)
	v_fma_f64 v[60:61], v[60:61], v[64:65], -v[66:67]
	v_fma_f64 v[56:57], v[62:63], v[64:65], v[56:57]
	v_add_f64 v[1:2], v[1:2], v[60:61]
	v_add_f64 v[3:4], v[3:4], v[56:57]
	s_andn2_b32 exec_lo, exec_lo, s6
	s_cbranch_execnz .LBB23_176
; %bb.177:
	s_or_b32 exec_lo, exec_lo, s6
.LBB23_178:
	s_or_b32 exec_lo, exec_lo, s8
	v_mov_b32_e32 v55, 0
	ds_read_b128 v[55:58], v55 offset:16
	s_waitcnt lgkmcnt(0)
	v_mul_f64 v[60:61], v[3:4], v[57:58]
	v_mul_f64 v[57:58], v[1:2], v[57:58]
	v_fma_f64 v[1:2], v[1:2], v[55:56], -v[60:61]
	v_fma_f64 v[3:4], v[3:4], v[55:56], v[57:58]
	buffer_store_dword v2, off, s[0:3], 0 offset:20
	buffer_store_dword v1, off, s[0:3], 0 offset:16
	;; [unrolled: 1-line block ×4, first 2 shown]
.LBB23_179:
	s_or_b32 exec_lo, exec_lo, s5
	s_clause 0x3
	buffer_load_dword v1, off, s[0:3], 0
	buffer_load_dword v2, off, s[0:3], 0 offset:4
	buffer_load_dword v3, off, s[0:3], 0 offset:8
	;; [unrolled: 1-line block ×3, first 2 shown]
	s_mov_b32 s6, 0
	s_mov_b32 s5, 0
	s_mov_b32 s8, exec_lo
                                        ; implicit-def: $sgpr33
	s_waitcnt vmcnt(0)
	ds_write_b128 v54, v[1:4]
	s_waitcnt lgkmcnt(0)
	s_waitcnt_vscnt null, 0x0
	s_barrier
	buffer_gl0_inv
                                        ; implicit-def: $vgpr1_vgpr2
	v_cmpx_ne_u32_e32 0, v0
	s_cbranch_execz .LBB23_187
; %bb.180:
	ds_read_b128 v[1:4], v54
	s_andn2_b32 vcc_lo, exec_lo, s31
	s_cbranch_vccnz .LBB23_182
; %bb.181:
	s_clause 0x3
	buffer_load_dword v55, v53, s[0:3], 0 offen offset:8
	buffer_load_dword v56, v53, s[0:3], 0 offen offset:12
	buffer_load_dword v57, v53, s[0:3], 0 offen
	buffer_load_dword v58, v53, s[0:3], 0 offen offset:4
	s_waitcnt vmcnt(2) lgkmcnt(0)
	v_mul_f64 v[60:61], v[3:4], v[55:56]
	v_mul_f64 v[55:56], v[1:2], v[55:56]
	s_waitcnt vmcnt(0)
	v_fma_f64 v[1:2], v[1:2], v[57:58], -v[60:61]
	v_fma_f64 v[3:4], v[3:4], v[57:58], v[55:56]
.LBB23_182:
	s_and_saveexec_b32 s5, s4
	s_cbranch_execz .LBB23_186
; %bb.183:
	v_add_nc_u32_e32 v55, -1, v0
	s_movk_i32 s33, 0x190
	s_mov_b32 s4, 0
	s_mov_b32 s34, s29
	.p2align	6
.LBB23_184:                             ; =>This Inner Loop Header: Depth=1
	v_mov_b32_e32 v58, s34
	v_add_nc_u32_e32 v55, -1, v55
	s_add_i32 s34, s34, 16
	s_clause 0x3
	buffer_load_dword v56, v58, s[0:3], 0 offen offset:8
	buffer_load_dword v57, v58, s[0:3], 0 offen offset:12
	buffer_load_dword v64, v58, s[0:3], 0 offen
	buffer_load_dword v65, v58, s[0:3], 0 offen offset:4
	v_mov_b32_e32 v58, s33
	v_cmp_eq_u32_e32 vcc_lo, 0, v55
	s_add_i32 s33, s33, 16
	ds_read_b128 v[60:63], v58
	s_or_b32 s4, vcc_lo, s4
	s_waitcnt vmcnt(2) lgkmcnt(0)
	v_mul_f64 v[66:67], v[62:63], v[56:57]
	v_mul_f64 v[56:57], v[60:61], v[56:57]
	s_waitcnt vmcnt(0)
	v_fma_f64 v[60:61], v[60:61], v[64:65], -v[66:67]
	v_fma_f64 v[56:57], v[62:63], v[64:65], v[56:57]
	v_add_f64 v[1:2], v[1:2], v[60:61]
	v_add_f64 v[3:4], v[3:4], v[56:57]
	s_andn2_b32 exec_lo, exec_lo, s4
	s_cbranch_execnz .LBB23_184
; %bb.185:
	s_or_b32 exec_lo, exec_lo, s4
.LBB23_186:
	s_or_b32 exec_lo, exec_lo, s5
	v_mov_b32_e32 v55, 0
	s_mov_b32 s5, exec_lo
	s_or_b32 s33, 0, 8
	ds_read_b128 v[55:58], v55
	s_waitcnt lgkmcnt(0)
	v_mul_f64 v[60:61], v[3:4], v[57:58]
	v_mul_f64 v[57:58], v[1:2], v[57:58]
	v_fma_f64 v[60:61], v[1:2], v[55:56], -v[60:61]
	v_fma_f64 v[1:2], v[3:4], v[55:56], v[57:58]
	buffer_store_dword v61, off, s[0:3], 0 offset:4
	buffer_store_dword v60, off, s[0:3], 0
.LBB23_187:
	s_or_b32 exec_lo, exec_lo, s8
	s_and_b32 vcc_lo, exec_lo, s6
	s_cbranch_vccnz .LBB23_189
	s_branch .LBB23_368
.LBB23_188:
	s_mov_b32 s5, 0
                                        ; implicit-def: $vgpr1_vgpr2
                                        ; implicit-def: $sgpr33
	s_cbranch_execz .LBB23_368
.LBB23_189:
	v_mov_b32_e32 v4, s29
	v_cmp_eq_u32_e64 s4, 0, v0
	v_cndmask_b32_e64 v55, 0, 1, s31
	s_clause 0x3
	buffer_load_dword v1, v4, s[0:3], 0 offen
	buffer_load_dword v2, v4, s[0:3], 0 offen offset:4
	buffer_load_dword v3, v4, s[0:3], 0 offen offset:8
	;; [unrolled: 1-line block ×3, first 2 shown]
	s_waitcnt vmcnt(0)
	ds_write_b128 v54, v[1:4]
	s_waitcnt lgkmcnt(0)
	s_waitcnt_vscnt null, 0x0
	s_barrier
	buffer_gl0_inv
	s_and_saveexec_b32 s6, s4
	s_cbranch_execz .LBB23_193
; %bb.190:
	ds_read_b128 v[1:4], v54
	s_andn2_b32 vcc_lo, exec_lo, s31
	s_cbranch_vccnz .LBB23_192
; %bb.191:
	s_clause 0x3
	buffer_load_dword v56, v53, s[0:3], 0 offen offset:8
	buffer_load_dword v57, v53, s[0:3], 0 offen offset:12
	buffer_load_dword v60, v53, s[0:3], 0 offen
	buffer_load_dword v61, v53, s[0:3], 0 offen offset:4
	s_waitcnt vmcnt(2) lgkmcnt(0)
	v_mul_f64 v[62:63], v[3:4], v[56:57]
	v_mul_f64 v[56:57], v[1:2], v[56:57]
	s_waitcnt vmcnt(0)
	v_fma_f64 v[1:2], v[1:2], v[60:61], -v[62:63]
	v_fma_f64 v[3:4], v[3:4], v[60:61], v[56:57]
.LBB23_192:
	v_mov_b32_e32 v56, 0
	ds_read_b128 v[60:63], v56 offset:16
	s_waitcnt lgkmcnt(0)
	v_mul_f64 v[56:57], v[3:4], v[62:63]
	v_mul_f64 v[62:63], v[1:2], v[62:63]
	v_fma_f64 v[1:2], v[1:2], v[60:61], -v[56:57]
	v_fma_f64 v[3:4], v[3:4], v[60:61], v[62:63]
	buffer_store_dword v2, off, s[0:3], 0 offset:20
	buffer_store_dword v1, off, s[0:3], 0 offset:16
	;; [unrolled: 1-line block ×4, first 2 shown]
.LBB23_193:
	s_or_b32 exec_lo, exec_lo, s6
	v_mov_b32_e32 v4, s30
	s_mov_b32 s6, exec_lo
	s_clause 0x3
	buffer_load_dword v1, v4, s[0:3], 0 offen
	buffer_load_dword v2, v4, s[0:3], 0 offen offset:4
	buffer_load_dword v3, v4, s[0:3], 0 offen offset:8
	;; [unrolled: 1-line block ×3, first 2 shown]
	s_waitcnt vmcnt(0)
	ds_write_b128 v54, v[1:4]
	s_waitcnt lgkmcnt(0)
	s_waitcnt_vscnt null, 0x0
	s_barrier
	buffer_gl0_inv
	v_cmpx_gt_u32_e32 2, v0
	s_cbranch_execz .LBB23_199
; %bb.194:
	ds_read_b128 v[1:4], v54
	v_cmp_ne_u32_e32 vcc_lo, 1, v55
	s_cbranch_vccnz .LBB23_196
; %bb.195:
	s_clause 0x3
	buffer_load_dword v56, v53, s[0:3], 0 offen offset:8
	buffer_load_dword v57, v53, s[0:3], 0 offen offset:12
	buffer_load_dword v60, v53, s[0:3], 0 offen
	buffer_load_dword v61, v53, s[0:3], 0 offen offset:4
	s_waitcnt vmcnt(2) lgkmcnt(0)
	v_mul_f64 v[62:63], v[3:4], v[56:57]
	v_mul_f64 v[56:57], v[1:2], v[56:57]
	s_waitcnt vmcnt(0)
	v_fma_f64 v[1:2], v[1:2], v[60:61], -v[62:63]
	v_fma_f64 v[3:4], v[3:4], v[60:61], v[56:57]
.LBB23_196:
	s_and_saveexec_b32 s8, s4
	s_cbranch_execz .LBB23_198
; %bb.197:
	s_clause 0x3
	buffer_load_dword v56, off, s[0:3], 0 offset:24
	buffer_load_dword v57, off, s[0:3], 0 offset:28
	;; [unrolled: 1-line block ×4, first 2 shown]
	v_mov_b32_e32 v58, 0
	ds_read_b128 v[60:63], v58 offset:400
	s_waitcnt vmcnt(2) lgkmcnt(0)
	v_mul_f64 v[66:67], v[62:63], v[56:57]
	v_mul_f64 v[56:57], v[60:61], v[56:57]
	s_waitcnt vmcnt(0)
	v_fma_f64 v[60:61], v[60:61], v[64:65], -v[66:67]
	v_fma_f64 v[56:57], v[62:63], v[64:65], v[56:57]
	v_add_f64 v[1:2], v[1:2], v[60:61]
	v_add_f64 v[3:4], v[3:4], v[56:57]
.LBB23_198:
	s_or_b32 exec_lo, exec_lo, s8
	v_mov_b32_e32 v56, 0
	ds_read_b128 v[60:63], v56 offset:32
	s_waitcnt lgkmcnt(0)
	v_mul_f64 v[56:57], v[3:4], v[62:63]
	v_mul_f64 v[62:63], v[1:2], v[62:63]
	v_fma_f64 v[1:2], v[1:2], v[60:61], -v[56:57]
	v_fma_f64 v[3:4], v[3:4], v[60:61], v[62:63]
	buffer_store_dword v2, off, s[0:3], 0 offset:36
	buffer_store_dword v1, off, s[0:3], 0 offset:32
	;; [unrolled: 1-line block ×4, first 2 shown]
.LBB23_199:
	s_or_b32 exec_lo, exec_lo, s6
	v_mov_b32_e32 v4, s28
	s_mov_b32 s6, exec_lo
	s_clause 0x3
	buffer_load_dword v1, v4, s[0:3], 0 offen
	buffer_load_dword v2, v4, s[0:3], 0 offen offset:4
	buffer_load_dword v3, v4, s[0:3], 0 offen offset:8
	;; [unrolled: 1-line block ×3, first 2 shown]
	s_waitcnt vmcnt(0)
	ds_write_b128 v54, v[1:4]
	s_waitcnt lgkmcnt(0)
	s_waitcnt_vscnt null, 0x0
	s_barrier
	buffer_gl0_inv
	v_cmpx_gt_u32_e32 3, v0
	s_cbranch_execz .LBB23_207
; %bb.200:
	ds_read_b128 v[1:4], v54
	v_cmp_ne_u32_e32 vcc_lo, 1, v55
	s_cbranch_vccnz .LBB23_202
; %bb.201:
	s_clause 0x3
	buffer_load_dword v56, v53, s[0:3], 0 offen offset:8
	buffer_load_dword v57, v53, s[0:3], 0 offen offset:12
	buffer_load_dword v60, v53, s[0:3], 0 offen
	buffer_load_dword v61, v53, s[0:3], 0 offen offset:4
	s_waitcnt vmcnt(2) lgkmcnt(0)
	v_mul_f64 v[62:63], v[3:4], v[56:57]
	v_mul_f64 v[56:57], v[1:2], v[56:57]
	s_waitcnt vmcnt(0)
	v_fma_f64 v[1:2], v[1:2], v[60:61], -v[62:63]
	v_fma_f64 v[3:4], v[3:4], v[60:61], v[56:57]
.LBB23_202:
	s_mov_b32 s8, exec_lo
	v_cmpx_ne_u32_e32 2, v0
	s_cbranch_execz .LBB23_206
; %bb.203:
	s_clause 0x3
	buffer_load_dword v56, v53, s[0:3], 0 offen offset:24
	buffer_load_dword v57, v53, s[0:3], 0 offen offset:28
	;; [unrolled: 1-line block ×4, first 2 shown]
	ds_read_b128 v[60:63], v54 offset:16
	s_waitcnt vmcnt(2) lgkmcnt(0)
	v_mul_f64 v[66:67], v[62:63], v[56:57]
	v_mul_f64 v[56:57], v[60:61], v[56:57]
	s_waitcnt vmcnt(0)
	v_fma_f64 v[60:61], v[60:61], v[64:65], -v[66:67]
	v_fma_f64 v[56:57], v[62:63], v[64:65], v[56:57]
	v_add_f64 v[1:2], v[1:2], v[60:61]
	v_add_f64 v[3:4], v[3:4], v[56:57]
	s_and_saveexec_b32 s31, s4
	s_cbranch_execz .LBB23_205
; %bb.204:
	s_clause 0x3
	buffer_load_dword v56, off, s[0:3], 0 offset:40
	buffer_load_dword v57, off, s[0:3], 0 offset:44
	;; [unrolled: 1-line block ×4, first 2 shown]
	v_mov_b32_e32 v58, 0
	ds_read_b128 v[60:63], v58 offset:416
	s_waitcnt vmcnt(2) lgkmcnt(0)
	v_mul_f64 v[66:67], v[60:61], v[56:57]
	v_mul_f64 v[56:57], v[62:63], v[56:57]
	s_waitcnt vmcnt(0)
	v_fma_f64 v[62:63], v[62:63], v[64:65], v[66:67]
	v_fma_f64 v[56:57], v[60:61], v[64:65], -v[56:57]
	v_add_f64 v[3:4], v[3:4], v[62:63]
	v_add_f64 v[1:2], v[1:2], v[56:57]
.LBB23_205:
	s_or_b32 exec_lo, exec_lo, s31
.LBB23_206:
	s_or_b32 exec_lo, exec_lo, s8
	v_mov_b32_e32 v56, 0
	ds_read_b128 v[60:63], v56 offset:48
	s_waitcnt lgkmcnt(0)
	v_mul_f64 v[56:57], v[3:4], v[62:63]
	v_mul_f64 v[62:63], v[1:2], v[62:63]
	v_fma_f64 v[1:2], v[1:2], v[60:61], -v[56:57]
	v_fma_f64 v[3:4], v[3:4], v[60:61], v[62:63]
	buffer_store_dword v2, off, s[0:3], 0 offset:52
	buffer_store_dword v1, off, s[0:3], 0 offset:48
	;; [unrolled: 1-line block ×4, first 2 shown]
.LBB23_207:
	s_or_b32 exec_lo, exec_lo, s6
	v_mov_b32_e32 v4, s27
	s_mov_b32 s4, exec_lo
	s_clause 0x3
	buffer_load_dword v1, v4, s[0:3], 0 offen
	buffer_load_dword v2, v4, s[0:3], 0 offen offset:4
	buffer_load_dword v3, v4, s[0:3], 0 offen offset:8
	;; [unrolled: 1-line block ×3, first 2 shown]
	s_waitcnt vmcnt(0)
	ds_write_b128 v54, v[1:4]
	s_waitcnt lgkmcnt(0)
	s_waitcnt_vscnt null, 0x0
	s_barrier
	buffer_gl0_inv
	v_cmpx_gt_u32_e32 4, v0
	s_cbranch_execz .LBB23_215
; %bb.208:
	ds_read_b128 v[1:4], v54
	v_cmp_ne_u32_e32 vcc_lo, 1, v55
	s_cbranch_vccnz .LBB23_210
; %bb.209:
	s_clause 0x3
	buffer_load_dword v56, v53, s[0:3], 0 offen offset:8
	buffer_load_dword v57, v53, s[0:3], 0 offen offset:12
	buffer_load_dword v60, v53, s[0:3], 0 offen
	buffer_load_dword v61, v53, s[0:3], 0 offen offset:4
	s_waitcnt vmcnt(2) lgkmcnt(0)
	v_mul_f64 v[62:63], v[3:4], v[56:57]
	v_mul_f64 v[56:57], v[1:2], v[56:57]
	s_waitcnt vmcnt(0)
	v_fma_f64 v[1:2], v[1:2], v[60:61], -v[62:63]
	v_fma_f64 v[3:4], v[3:4], v[60:61], v[56:57]
.LBB23_210:
	s_mov_b32 s6, exec_lo
	v_cmpx_ne_u32_e32 3, v0
	s_cbranch_execz .LBB23_214
; %bb.211:
	v_add_nc_u32_e32 v56, 0x190, v59
	v_add3_u32 v57, 0, v59, 16
	v_mov_b32_e32 v58, v0
	s_mov_b32 s8, 0
	.p2align	6
.LBB23_212:                             ; =>This Inner Loop Header: Depth=1
	s_clause 0x3
	buffer_load_dword v64, v57, s[0:3], 0 offen offset:8
	buffer_load_dword v65, v57, s[0:3], 0 offen offset:12
	buffer_load_dword v66, v57, s[0:3], 0 offen
	buffer_load_dword v67, v57, s[0:3], 0 offen offset:4
	ds_read_b128 v[60:63], v56
	v_add_nc_u32_e32 v58, 1, v58
	v_add_nc_u32_e32 v56, 16, v56
	;; [unrolled: 1-line block ×3, first 2 shown]
	v_cmp_lt_u32_e32 vcc_lo, 2, v58
	s_or_b32 s8, vcc_lo, s8
	s_waitcnt vmcnt(2) lgkmcnt(0)
	v_mul_f64 v[68:69], v[62:63], v[64:65]
	v_mul_f64 v[64:65], v[60:61], v[64:65]
	s_waitcnt vmcnt(0)
	v_fma_f64 v[60:61], v[60:61], v[66:67], -v[68:69]
	v_fma_f64 v[62:63], v[62:63], v[66:67], v[64:65]
	v_add_f64 v[1:2], v[1:2], v[60:61]
	v_add_f64 v[3:4], v[3:4], v[62:63]
	s_andn2_b32 exec_lo, exec_lo, s8
	s_cbranch_execnz .LBB23_212
; %bb.213:
	s_or_b32 exec_lo, exec_lo, s8
.LBB23_214:
	s_or_b32 exec_lo, exec_lo, s6
	v_mov_b32_e32 v56, 0
	ds_read_b128 v[60:63], v56 offset:64
	s_waitcnt lgkmcnt(0)
	v_mul_f64 v[56:57], v[3:4], v[62:63]
	v_mul_f64 v[62:63], v[1:2], v[62:63]
	v_fma_f64 v[1:2], v[1:2], v[60:61], -v[56:57]
	v_fma_f64 v[3:4], v[3:4], v[60:61], v[62:63]
	buffer_store_dword v2, off, s[0:3], 0 offset:68
	buffer_store_dword v1, off, s[0:3], 0 offset:64
	;; [unrolled: 1-line block ×4, first 2 shown]
.LBB23_215:
	s_or_b32 exec_lo, exec_lo, s4
	v_mov_b32_e32 v4, s26
	s_mov_b32 s4, exec_lo
	s_clause 0x3
	buffer_load_dword v1, v4, s[0:3], 0 offen
	buffer_load_dword v2, v4, s[0:3], 0 offen offset:4
	buffer_load_dword v3, v4, s[0:3], 0 offen offset:8
	;; [unrolled: 1-line block ×3, first 2 shown]
	s_waitcnt vmcnt(0)
	ds_write_b128 v54, v[1:4]
	s_waitcnt lgkmcnt(0)
	s_waitcnt_vscnt null, 0x0
	s_barrier
	buffer_gl0_inv
	v_cmpx_gt_u32_e32 5, v0
	s_cbranch_execz .LBB23_223
; %bb.216:
	ds_read_b128 v[1:4], v54
	v_cmp_ne_u32_e32 vcc_lo, 1, v55
	s_cbranch_vccnz .LBB23_218
; %bb.217:
	s_clause 0x3
	buffer_load_dword v56, v53, s[0:3], 0 offen offset:8
	buffer_load_dword v57, v53, s[0:3], 0 offen offset:12
	buffer_load_dword v60, v53, s[0:3], 0 offen
	buffer_load_dword v61, v53, s[0:3], 0 offen offset:4
	s_waitcnt vmcnt(2) lgkmcnt(0)
	v_mul_f64 v[62:63], v[3:4], v[56:57]
	v_mul_f64 v[56:57], v[1:2], v[56:57]
	s_waitcnt vmcnt(0)
	v_fma_f64 v[1:2], v[1:2], v[60:61], -v[62:63]
	v_fma_f64 v[3:4], v[3:4], v[60:61], v[56:57]
.LBB23_218:
	s_mov_b32 s6, exec_lo
	v_cmpx_ne_u32_e32 4, v0
	s_cbranch_execz .LBB23_222
; %bb.219:
	v_add_nc_u32_e32 v56, 0x190, v59
	v_add3_u32 v57, 0, v59, 16
	v_mov_b32_e32 v58, v0
	s_mov_b32 s8, 0
	.p2align	6
.LBB23_220:                             ; =>This Inner Loop Header: Depth=1
	s_clause 0x3
	buffer_load_dword v64, v57, s[0:3], 0 offen offset:8
	buffer_load_dword v65, v57, s[0:3], 0 offen offset:12
	buffer_load_dword v66, v57, s[0:3], 0 offen
	buffer_load_dword v67, v57, s[0:3], 0 offen offset:4
	ds_read_b128 v[60:63], v56
	v_add_nc_u32_e32 v58, 1, v58
	v_add_nc_u32_e32 v56, 16, v56
	;; [unrolled: 1-line block ×3, first 2 shown]
	v_cmp_lt_u32_e32 vcc_lo, 3, v58
	s_or_b32 s8, vcc_lo, s8
	s_waitcnt vmcnt(2) lgkmcnt(0)
	v_mul_f64 v[68:69], v[62:63], v[64:65]
	v_mul_f64 v[64:65], v[60:61], v[64:65]
	s_waitcnt vmcnt(0)
	v_fma_f64 v[60:61], v[60:61], v[66:67], -v[68:69]
	v_fma_f64 v[62:63], v[62:63], v[66:67], v[64:65]
	v_add_f64 v[1:2], v[1:2], v[60:61]
	v_add_f64 v[3:4], v[3:4], v[62:63]
	s_andn2_b32 exec_lo, exec_lo, s8
	s_cbranch_execnz .LBB23_220
; %bb.221:
	s_or_b32 exec_lo, exec_lo, s8
.LBB23_222:
	s_or_b32 exec_lo, exec_lo, s6
	v_mov_b32_e32 v56, 0
	ds_read_b128 v[60:63], v56 offset:80
	s_waitcnt lgkmcnt(0)
	v_mul_f64 v[56:57], v[3:4], v[62:63]
	v_mul_f64 v[62:63], v[1:2], v[62:63]
	v_fma_f64 v[1:2], v[1:2], v[60:61], -v[56:57]
	v_fma_f64 v[3:4], v[3:4], v[60:61], v[62:63]
	buffer_store_dword v2, off, s[0:3], 0 offset:84
	buffer_store_dword v1, off, s[0:3], 0 offset:80
	;; [unrolled: 1-line block ×4, first 2 shown]
.LBB23_223:
	s_or_b32 exec_lo, exec_lo, s4
	v_mov_b32_e32 v4, s25
	s_mov_b32 s4, exec_lo
	s_clause 0x3
	buffer_load_dword v1, v4, s[0:3], 0 offen
	buffer_load_dword v2, v4, s[0:3], 0 offen offset:4
	buffer_load_dword v3, v4, s[0:3], 0 offen offset:8
	;; [unrolled: 1-line block ×3, first 2 shown]
	s_waitcnt vmcnt(0)
	ds_write_b128 v54, v[1:4]
	s_waitcnt lgkmcnt(0)
	s_waitcnt_vscnt null, 0x0
	s_barrier
	buffer_gl0_inv
	v_cmpx_gt_u32_e32 6, v0
	s_cbranch_execz .LBB23_231
; %bb.224:
	ds_read_b128 v[1:4], v54
	v_cmp_ne_u32_e32 vcc_lo, 1, v55
	s_cbranch_vccnz .LBB23_226
; %bb.225:
	s_clause 0x3
	buffer_load_dword v56, v53, s[0:3], 0 offen offset:8
	buffer_load_dword v57, v53, s[0:3], 0 offen offset:12
	buffer_load_dword v60, v53, s[0:3], 0 offen
	buffer_load_dword v61, v53, s[0:3], 0 offen offset:4
	s_waitcnt vmcnt(2) lgkmcnt(0)
	v_mul_f64 v[62:63], v[3:4], v[56:57]
	v_mul_f64 v[56:57], v[1:2], v[56:57]
	s_waitcnt vmcnt(0)
	v_fma_f64 v[1:2], v[1:2], v[60:61], -v[62:63]
	v_fma_f64 v[3:4], v[3:4], v[60:61], v[56:57]
.LBB23_226:
	s_mov_b32 s6, exec_lo
	v_cmpx_ne_u32_e32 5, v0
	s_cbranch_execz .LBB23_230
; %bb.227:
	v_add_nc_u32_e32 v56, 0x190, v59
	v_add3_u32 v57, 0, v59, 16
	v_mov_b32_e32 v58, v0
	s_mov_b32 s8, 0
	.p2align	6
.LBB23_228:                             ; =>This Inner Loop Header: Depth=1
	s_clause 0x3
	buffer_load_dword v64, v57, s[0:3], 0 offen offset:8
	buffer_load_dword v65, v57, s[0:3], 0 offen offset:12
	buffer_load_dword v66, v57, s[0:3], 0 offen
	buffer_load_dword v67, v57, s[0:3], 0 offen offset:4
	ds_read_b128 v[60:63], v56
	v_add_nc_u32_e32 v58, 1, v58
	v_add_nc_u32_e32 v56, 16, v56
	;; [unrolled: 1-line block ×3, first 2 shown]
	v_cmp_lt_u32_e32 vcc_lo, 4, v58
	s_or_b32 s8, vcc_lo, s8
	s_waitcnt vmcnt(2) lgkmcnt(0)
	v_mul_f64 v[68:69], v[62:63], v[64:65]
	v_mul_f64 v[64:65], v[60:61], v[64:65]
	s_waitcnt vmcnt(0)
	v_fma_f64 v[60:61], v[60:61], v[66:67], -v[68:69]
	v_fma_f64 v[62:63], v[62:63], v[66:67], v[64:65]
	v_add_f64 v[1:2], v[1:2], v[60:61]
	v_add_f64 v[3:4], v[3:4], v[62:63]
	s_andn2_b32 exec_lo, exec_lo, s8
	s_cbranch_execnz .LBB23_228
; %bb.229:
	s_or_b32 exec_lo, exec_lo, s8
.LBB23_230:
	s_or_b32 exec_lo, exec_lo, s6
	v_mov_b32_e32 v56, 0
	ds_read_b128 v[60:63], v56 offset:96
	s_waitcnt lgkmcnt(0)
	v_mul_f64 v[56:57], v[3:4], v[62:63]
	v_mul_f64 v[62:63], v[1:2], v[62:63]
	v_fma_f64 v[1:2], v[1:2], v[60:61], -v[56:57]
	v_fma_f64 v[3:4], v[3:4], v[60:61], v[62:63]
	buffer_store_dword v2, off, s[0:3], 0 offset:100
	buffer_store_dword v1, off, s[0:3], 0 offset:96
	;; [unrolled: 1-line block ×4, first 2 shown]
.LBB23_231:
	s_or_b32 exec_lo, exec_lo, s4
	v_mov_b32_e32 v4, s24
	s_mov_b32 s4, exec_lo
	s_clause 0x3
	buffer_load_dword v1, v4, s[0:3], 0 offen
	buffer_load_dword v2, v4, s[0:3], 0 offen offset:4
	buffer_load_dword v3, v4, s[0:3], 0 offen offset:8
	;; [unrolled: 1-line block ×3, first 2 shown]
	s_waitcnt vmcnt(0)
	ds_write_b128 v54, v[1:4]
	s_waitcnt lgkmcnt(0)
	s_waitcnt_vscnt null, 0x0
	s_barrier
	buffer_gl0_inv
	v_cmpx_gt_u32_e32 7, v0
	s_cbranch_execz .LBB23_239
; %bb.232:
	ds_read_b128 v[1:4], v54
	v_cmp_ne_u32_e32 vcc_lo, 1, v55
	s_cbranch_vccnz .LBB23_234
; %bb.233:
	s_clause 0x3
	buffer_load_dword v56, v53, s[0:3], 0 offen offset:8
	buffer_load_dword v57, v53, s[0:3], 0 offen offset:12
	buffer_load_dword v60, v53, s[0:3], 0 offen
	buffer_load_dword v61, v53, s[0:3], 0 offen offset:4
	s_waitcnt vmcnt(2) lgkmcnt(0)
	v_mul_f64 v[62:63], v[3:4], v[56:57]
	v_mul_f64 v[56:57], v[1:2], v[56:57]
	s_waitcnt vmcnt(0)
	v_fma_f64 v[1:2], v[1:2], v[60:61], -v[62:63]
	v_fma_f64 v[3:4], v[3:4], v[60:61], v[56:57]
.LBB23_234:
	s_mov_b32 s6, exec_lo
	v_cmpx_ne_u32_e32 6, v0
	s_cbranch_execz .LBB23_238
; %bb.235:
	v_add_nc_u32_e32 v56, 0x190, v59
	v_add3_u32 v57, 0, v59, 16
	v_mov_b32_e32 v58, v0
	s_mov_b32 s8, 0
	.p2align	6
.LBB23_236:                             ; =>This Inner Loop Header: Depth=1
	s_clause 0x3
	buffer_load_dword v64, v57, s[0:3], 0 offen offset:8
	buffer_load_dword v65, v57, s[0:3], 0 offen offset:12
	buffer_load_dword v66, v57, s[0:3], 0 offen
	buffer_load_dword v67, v57, s[0:3], 0 offen offset:4
	ds_read_b128 v[60:63], v56
	v_add_nc_u32_e32 v58, 1, v58
	v_add_nc_u32_e32 v56, 16, v56
	;; [unrolled: 1-line block ×3, first 2 shown]
	v_cmp_lt_u32_e32 vcc_lo, 5, v58
	s_or_b32 s8, vcc_lo, s8
	s_waitcnt vmcnt(2) lgkmcnt(0)
	v_mul_f64 v[68:69], v[62:63], v[64:65]
	v_mul_f64 v[64:65], v[60:61], v[64:65]
	s_waitcnt vmcnt(0)
	v_fma_f64 v[60:61], v[60:61], v[66:67], -v[68:69]
	v_fma_f64 v[62:63], v[62:63], v[66:67], v[64:65]
	v_add_f64 v[1:2], v[1:2], v[60:61]
	v_add_f64 v[3:4], v[3:4], v[62:63]
	s_andn2_b32 exec_lo, exec_lo, s8
	s_cbranch_execnz .LBB23_236
; %bb.237:
	s_or_b32 exec_lo, exec_lo, s8
.LBB23_238:
	s_or_b32 exec_lo, exec_lo, s6
	v_mov_b32_e32 v56, 0
	ds_read_b128 v[60:63], v56 offset:112
	s_waitcnt lgkmcnt(0)
	v_mul_f64 v[56:57], v[3:4], v[62:63]
	v_mul_f64 v[62:63], v[1:2], v[62:63]
	v_fma_f64 v[1:2], v[1:2], v[60:61], -v[56:57]
	v_fma_f64 v[3:4], v[3:4], v[60:61], v[62:63]
	buffer_store_dword v2, off, s[0:3], 0 offset:116
	buffer_store_dword v1, off, s[0:3], 0 offset:112
	;; [unrolled: 1-line block ×4, first 2 shown]
.LBB23_239:
	s_or_b32 exec_lo, exec_lo, s4
	v_mov_b32_e32 v4, s23
	s_mov_b32 s4, exec_lo
	s_clause 0x3
	buffer_load_dword v1, v4, s[0:3], 0 offen
	buffer_load_dword v2, v4, s[0:3], 0 offen offset:4
	buffer_load_dword v3, v4, s[0:3], 0 offen offset:8
	;; [unrolled: 1-line block ×3, first 2 shown]
	s_waitcnt vmcnt(0)
	ds_write_b128 v54, v[1:4]
	s_waitcnt lgkmcnt(0)
	s_waitcnt_vscnt null, 0x0
	s_barrier
	buffer_gl0_inv
	v_cmpx_gt_u32_e32 8, v0
	s_cbranch_execz .LBB23_247
; %bb.240:
	ds_read_b128 v[1:4], v54
	v_cmp_ne_u32_e32 vcc_lo, 1, v55
	s_cbranch_vccnz .LBB23_242
; %bb.241:
	s_clause 0x3
	buffer_load_dword v56, v53, s[0:3], 0 offen offset:8
	buffer_load_dword v57, v53, s[0:3], 0 offen offset:12
	buffer_load_dword v60, v53, s[0:3], 0 offen
	buffer_load_dword v61, v53, s[0:3], 0 offen offset:4
	s_waitcnt vmcnt(2) lgkmcnt(0)
	v_mul_f64 v[62:63], v[3:4], v[56:57]
	v_mul_f64 v[56:57], v[1:2], v[56:57]
	s_waitcnt vmcnt(0)
	v_fma_f64 v[1:2], v[1:2], v[60:61], -v[62:63]
	v_fma_f64 v[3:4], v[3:4], v[60:61], v[56:57]
.LBB23_242:
	s_mov_b32 s6, exec_lo
	v_cmpx_ne_u32_e32 7, v0
	s_cbranch_execz .LBB23_246
; %bb.243:
	v_add_nc_u32_e32 v56, 0x190, v59
	v_add3_u32 v57, 0, v59, 16
	v_mov_b32_e32 v58, v0
	s_mov_b32 s8, 0
	.p2align	6
.LBB23_244:                             ; =>This Inner Loop Header: Depth=1
	s_clause 0x3
	buffer_load_dword v64, v57, s[0:3], 0 offen offset:8
	buffer_load_dword v65, v57, s[0:3], 0 offen offset:12
	buffer_load_dword v66, v57, s[0:3], 0 offen
	buffer_load_dword v67, v57, s[0:3], 0 offen offset:4
	ds_read_b128 v[60:63], v56
	v_add_nc_u32_e32 v58, 1, v58
	v_add_nc_u32_e32 v56, 16, v56
	;; [unrolled: 1-line block ×3, first 2 shown]
	v_cmp_lt_u32_e32 vcc_lo, 6, v58
	s_or_b32 s8, vcc_lo, s8
	s_waitcnt vmcnt(2) lgkmcnt(0)
	v_mul_f64 v[68:69], v[62:63], v[64:65]
	v_mul_f64 v[64:65], v[60:61], v[64:65]
	s_waitcnt vmcnt(0)
	v_fma_f64 v[60:61], v[60:61], v[66:67], -v[68:69]
	v_fma_f64 v[62:63], v[62:63], v[66:67], v[64:65]
	v_add_f64 v[1:2], v[1:2], v[60:61]
	v_add_f64 v[3:4], v[3:4], v[62:63]
	s_andn2_b32 exec_lo, exec_lo, s8
	s_cbranch_execnz .LBB23_244
; %bb.245:
	s_or_b32 exec_lo, exec_lo, s8
.LBB23_246:
	s_or_b32 exec_lo, exec_lo, s6
	v_mov_b32_e32 v56, 0
	ds_read_b128 v[60:63], v56 offset:128
	s_waitcnt lgkmcnt(0)
	v_mul_f64 v[56:57], v[3:4], v[62:63]
	v_mul_f64 v[62:63], v[1:2], v[62:63]
	v_fma_f64 v[1:2], v[1:2], v[60:61], -v[56:57]
	v_fma_f64 v[3:4], v[3:4], v[60:61], v[62:63]
	buffer_store_dword v2, off, s[0:3], 0 offset:132
	buffer_store_dword v1, off, s[0:3], 0 offset:128
	;; [unrolled: 1-line block ×4, first 2 shown]
.LBB23_247:
	s_or_b32 exec_lo, exec_lo, s4
	v_mov_b32_e32 v4, s22
	s_mov_b32 s4, exec_lo
	s_clause 0x3
	buffer_load_dword v1, v4, s[0:3], 0 offen
	buffer_load_dword v2, v4, s[0:3], 0 offen offset:4
	buffer_load_dword v3, v4, s[0:3], 0 offen offset:8
	;; [unrolled: 1-line block ×3, first 2 shown]
	s_waitcnt vmcnt(0)
	ds_write_b128 v54, v[1:4]
	s_waitcnt lgkmcnt(0)
	s_waitcnt_vscnt null, 0x0
	s_barrier
	buffer_gl0_inv
	v_cmpx_gt_u32_e32 9, v0
	s_cbranch_execz .LBB23_255
; %bb.248:
	ds_read_b128 v[1:4], v54
	v_cmp_ne_u32_e32 vcc_lo, 1, v55
	s_cbranch_vccnz .LBB23_250
; %bb.249:
	s_clause 0x3
	buffer_load_dword v56, v53, s[0:3], 0 offen offset:8
	buffer_load_dword v57, v53, s[0:3], 0 offen offset:12
	buffer_load_dword v60, v53, s[0:3], 0 offen
	buffer_load_dword v61, v53, s[0:3], 0 offen offset:4
	s_waitcnt vmcnt(2) lgkmcnt(0)
	v_mul_f64 v[62:63], v[3:4], v[56:57]
	v_mul_f64 v[56:57], v[1:2], v[56:57]
	s_waitcnt vmcnt(0)
	v_fma_f64 v[1:2], v[1:2], v[60:61], -v[62:63]
	v_fma_f64 v[3:4], v[3:4], v[60:61], v[56:57]
.LBB23_250:
	s_mov_b32 s6, exec_lo
	v_cmpx_ne_u32_e32 8, v0
	s_cbranch_execz .LBB23_254
; %bb.251:
	v_add_nc_u32_e32 v56, 0x190, v59
	v_add3_u32 v57, 0, v59, 16
	v_mov_b32_e32 v58, v0
	s_mov_b32 s8, 0
	.p2align	6
.LBB23_252:                             ; =>This Inner Loop Header: Depth=1
	s_clause 0x3
	buffer_load_dword v64, v57, s[0:3], 0 offen offset:8
	buffer_load_dword v65, v57, s[0:3], 0 offen offset:12
	buffer_load_dword v66, v57, s[0:3], 0 offen
	buffer_load_dword v67, v57, s[0:3], 0 offen offset:4
	ds_read_b128 v[60:63], v56
	v_add_nc_u32_e32 v58, 1, v58
	v_add_nc_u32_e32 v56, 16, v56
	;; [unrolled: 1-line block ×3, first 2 shown]
	v_cmp_lt_u32_e32 vcc_lo, 7, v58
	s_or_b32 s8, vcc_lo, s8
	s_waitcnt vmcnt(2) lgkmcnt(0)
	v_mul_f64 v[68:69], v[62:63], v[64:65]
	v_mul_f64 v[64:65], v[60:61], v[64:65]
	s_waitcnt vmcnt(0)
	v_fma_f64 v[60:61], v[60:61], v[66:67], -v[68:69]
	v_fma_f64 v[62:63], v[62:63], v[66:67], v[64:65]
	v_add_f64 v[1:2], v[1:2], v[60:61]
	v_add_f64 v[3:4], v[3:4], v[62:63]
	s_andn2_b32 exec_lo, exec_lo, s8
	s_cbranch_execnz .LBB23_252
; %bb.253:
	s_or_b32 exec_lo, exec_lo, s8
.LBB23_254:
	s_or_b32 exec_lo, exec_lo, s6
	v_mov_b32_e32 v56, 0
	ds_read_b128 v[60:63], v56 offset:144
	s_waitcnt lgkmcnt(0)
	v_mul_f64 v[56:57], v[3:4], v[62:63]
	v_mul_f64 v[62:63], v[1:2], v[62:63]
	v_fma_f64 v[1:2], v[1:2], v[60:61], -v[56:57]
	v_fma_f64 v[3:4], v[3:4], v[60:61], v[62:63]
	buffer_store_dword v2, off, s[0:3], 0 offset:148
	buffer_store_dword v1, off, s[0:3], 0 offset:144
	;; [unrolled: 1-line block ×4, first 2 shown]
.LBB23_255:
	s_or_b32 exec_lo, exec_lo, s4
	v_mov_b32_e32 v4, s21
	s_mov_b32 s4, exec_lo
	s_clause 0x3
	buffer_load_dword v1, v4, s[0:3], 0 offen
	buffer_load_dword v2, v4, s[0:3], 0 offen offset:4
	buffer_load_dword v3, v4, s[0:3], 0 offen offset:8
	;; [unrolled: 1-line block ×3, first 2 shown]
	s_waitcnt vmcnt(0)
	ds_write_b128 v54, v[1:4]
	s_waitcnt lgkmcnt(0)
	s_waitcnt_vscnt null, 0x0
	s_barrier
	buffer_gl0_inv
	v_cmpx_gt_u32_e32 10, v0
	s_cbranch_execz .LBB23_263
; %bb.256:
	ds_read_b128 v[1:4], v54
	v_cmp_ne_u32_e32 vcc_lo, 1, v55
	s_cbranch_vccnz .LBB23_258
; %bb.257:
	s_clause 0x3
	buffer_load_dword v56, v53, s[0:3], 0 offen offset:8
	buffer_load_dword v57, v53, s[0:3], 0 offen offset:12
	buffer_load_dword v60, v53, s[0:3], 0 offen
	buffer_load_dword v61, v53, s[0:3], 0 offen offset:4
	s_waitcnt vmcnt(2) lgkmcnt(0)
	v_mul_f64 v[62:63], v[3:4], v[56:57]
	v_mul_f64 v[56:57], v[1:2], v[56:57]
	s_waitcnt vmcnt(0)
	v_fma_f64 v[1:2], v[1:2], v[60:61], -v[62:63]
	v_fma_f64 v[3:4], v[3:4], v[60:61], v[56:57]
.LBB23_258:
	s_mov_b32 s6, exec_lo
	v_cmpx_ne_u32_e32 9, v0
	s_cbranch_execz .LBB23_262
; %bb.259:
	v_add_nc_u32_e32 v56, 0x190, v59
	v_add3_u32 v57, 0, v59, 16
	v_mov_b32_e32 v58, v0
	s_mov_b32 s8, 0
	.p2align	6
.LBB23_260:                             ; =>This Inner Loop Header: Depth=1
	s_clause 0x3
	buffer_load_dword v64, v57, s[0:3], 0 offen offset:8
	buffer_load_dword v65, v57, s[0:3], 0 offen offset:12
	buffer_load_dword v66, v57, s[0:3], 0 offen
	buffer_load_dword v67, v57, s[0:3], 0 offen offset:4
	ds_read_b128 v[60:63], v56
	v_add_nc_u32_e32 v58, 1, v58
	v_add_nc_u32_e32 v56, 16, v56
	;; [unrolled: 1-line block ×3, first 2 shown]
	v_cmp_lt_u32_e32 vcc_lo, 8, v58
	s_or_b32 s8, vcc_lo, s8
	s_waitcnt vmcnt(2) lgkmcnt(0)
	v_mul_f64 v[68:69], v[62:63], v[64:65]
	v_mul_f64 v[64:65], v[60:61], v[64:65]
	s_waitcnt vmcnt(0)
	v_fma_f64 v[60:61], v[60:61], v[66:67], -v[68:69]
	v_fma_f64 v[62:63], v[62:63], v[66:67], v[64:65]
	v_add_f64 v[1:2], v[1:2], v[60:61]
	v_add_f64 v[3:4], v[3:4], v[62:63]
	s_andn2_b32 exec_lo, exec_lo, s8
	s_cbranch_execnz .LBB23_260
; %bb.261:
	s_or_b32 exec_lo, exec_lo, s8
.LBB23_262:
	s_or_b32 exec_lo, exec_lo, s6
	v_mov_b32_e32 v56, 0
	ds_read_b128 v[60:63], v56 offset:160
	s_waitcnt lgkmcnt(0)
	v_mul_f64 v[56:57], v[3:4], v[62:63]
	v_mul_f64 v[62:63], v[1:2], v[62:63]
	v_fma_f64 v[1:2], v[1:2], v[60:61], -v[56:57]
	v_fma_f64 v[3:4], v[3:4], v[60:61], v[62:63]
	buffer_store_dword v2, off, s[0:3], 0 offset:164
	buffer_store_dword v1, off, s[0:3], 0 offset:160
	;; [unrolled: 1-line block ×4, first 2 shown]
.LBB23_263:
	s_or_b32 exec_lo, exec_lo, s4
	v_mov_b32_e32 v4, s20
	s_mov_b32 s4, exec_lo
	s_clause 0x3
	buffer_load_dword v1, v4, s[0:3], 0 offen
	buffer_load_dword v2, v4, s[0:3], 0 offen offset:4
	buffer_load_dword v3, v4, s[0:3], 0 offen offset:8
	;; [unrolled: 1-line block ×3, first 2 shown]
	s_waitcnt vmcnt(0)
	ds_write_b128 v54, v[1:4]
	s_waitcnt lgkmcnt(0)
	s_waitcnt_vscnt null, 0x0
	s_barrier
	buffer_gl0_inv
	v_cmpx_gt_u32_e32 11, v0
	s_cbranch_execz .LBB23_271
; %bb.264:
	ds_read_b128 v[1:4], v54
	v_cmp_ne_u32_e32 vcc_lo, 1, v55
	s_cbranch_vccnz .LBB23_266
; %bb.265:
	s_clause 0x3
	buffer_load_dword v56, v53, s[0:3], 0 offen offset:8
	buffer_load_dword v57, v53, s[0:3], 0 offen offset:12
	buffer_load_dword v60, v53, s[0:3], 0 offen
	buffer_load_dword v61, v53, s[0:3], 0 offen offset:4
	s_waitcnt vmcnt(2) lgkmcnt(0)
	v_mul_f64 v[62:63], v[3:4], v[56:57]
	v_mul_f64 v[56:57], v[1:2], v[56:57]
	s_waitcnt vmcnt(0)
	v_fma_f64 v[1:2], v[1:2], v[60:61], -v[62:63]
	v_fma_f64 v[3:4], v[3:4], v[60:61], v[56:57]
.LBB23_266:
	s_mov_b32 s6, exec_lo
	v_cmpx_ne_u32_e32 10, v0
	s_cbranch_execz .LBB23_270
; %bb.267:
	v_add_nc_u32_e32 v56, 0x190, v59
	v_add3_u32 v57, 0, v59, 16
	v_mov_b32_e32 v58, v0
	s_mov_b32 s8, 0
	.p2align	6
.LBB23_268:                             ; =>This Inner Loop Header: Depth=1
	s_clause 0x3
	buffer_load_dword v64, v57, s[0:3], 0 offen offset:8
	buffer_load_dword v65, v57, s[0:3], 0 offen offset:12
	buffer_load_dword v66, v57, s[0:3], 0 offen
	buffer_load_dword v67, v57, s[0:3], 0 offen offset:4
	ds_read_b128 v[60:63], v56
	v_add_nc_u32_e32 v58, 1, v58
	v_add_nc_u32_e32 v56, 16, v56
	;; [unrolled: 1-line block ×3, first 2 shown]
	v_cmp_lt_u32_e32 vcc_lo, 9, v58
	s_or_b32 s8, vcc_lo, s8
	s_waitcnt vmcnt(2) lgkmcnt(0)
	v_mul_f64 v[68:69], v[62:63], v[64:65]
	v_mul_f64 v[64:65], v[60:61], v[64:65]
	s_waitcnt vmcnt(0)
	v_fma_f64 v[60:61], v[60:61], v[66:67], -v[68:69]
	v_fma_f64 v[62:63], v[62:63], v[66:67], v[64:65]
	v_add_f64 v[1:2], v[1:2], v[60:61]
	v_add_f64 v[3:4], v[3:4], v[62:63]
	s_andn2_b32 exec_lo, exec_lo, s8
	s_cbranch_execnz .LBB23_268
; %bb.269:
	s_or_b32 exec_lo, exec_lo, s8
.LBB23_270:
	s_or_b32 exec_lo, exec_lo, s6
	v_mov_b32_e32 v56, 0
	ds_read_b128 v[60:63], v56 offset:176
	s_waitcnt lgkmcnt(0)
	v_mul_f64 v[56:57], v[3:4], v[62:63]
	v_mul_f64 v[62:63], v[1:2], v[62:63]
	v_fma_f64 v[1:2], v[1:2], v[60:61], -v[56:57]
	v_fma_f64 v[3:4], v[3:4], v[60:61], v[62:63]
	buffer_store_dword v2, off, s[0:3], 0 offset:180
	buffer_store_dword v1, off, s[0:3], 0 offset:176
	;; [unrolled: 1-line block ×4, first 2 shown]
.LBB23_271:
	s_or_b32 exec_lo, exec_lo, s4
	v_mov_b32_e32 v4, s19
	s_mov_b32 s4, exec_lo
	s_clause 0x3
	buffer_load_dword v1, v4, s[0:3], 0 offen
	buffer_load_dword v2, v4, s[0:3], 0 offen offset:4
	buffer_load_dword v3, v4, s[0:3], 0 offen offset:8
	;; [unrolled: 1-line block ×3, first 2 shown]
	s_waitcnt vmcnt(0)
	ds_write_b128 v54, v[1:4]
	s_waitcnt lgkmcnt(0)
	s_waitcnt_vscnt null, 0x0
	s_barrier
	buffer_gl0_inv
	v_cmpx_gt_u32_e32 12, v0
	s_cbranch_execz .LBB23_279
; %bb.272:
	ds_read_b128 v[1:4], v54
	v_cmp_ne_u32_e32 vcc_lo, 1, v55
	s_cbranch_vccnz .LBB23_274
; %bb.273:
	s_clause 0x3
	buffer_load_dword v56, v53, s[0:3], 0 offen offset:8
	buffer_load_dword v57, v53, s[0:3], 0 offen offset:12
	buffer_load_dword v60, v53, s[0:3], 0 offen
	buffer_load_dword v61, v53, s[0:3], 0 offen offset:4
	s_waitcnt vmcnt(2) lgkmcnt(0)
	v_mul_f64 v[62:63], v[3:4], v[56:57]
	v_mul_f64 v[56:57], v[1:2], v[56:57]
	s_waitcnt vmcnt(0)
	v_fma_f64 v[1:2], v[1:2], v[60:61], -v[62:63]
	v_fma_f64 v[3:4], v[3:4], v[60:61], v[56:57]
.LBB23_274:
	s_mov_b32 s6, exec_lo
	v_cmpx_ne_u32_e32 11, v0
	s_cbranch_execz .LBB23_278
; %bb.275:
	v_add_nc_u32_e32 v56, 0x190, v59
	v_add3_u32 v57, 0, v59, 16
	v_mov_b32_e32 v58, v0
	s_mov_b32 s8, 0
	.p2align	6
.LBB23_276:                             ; =>This Inner Loop Header: Depth=1
	s_clause 0x3
	buffer_load_dword v64, v57, s[0:3], 0 offen offset:8
	buffer_load_dword v65, v57, s[0:3], 0 offen offset:12
	buffer_load_dword v66, v57, s[0:3], 0 offen
	buffer_load_dword v67, v57, s[0:3], 0 offen offset:4
	ds_read_b128 v[60:63], v56
	v_add_nc_u32_e32 v58, 1, v58
	v_add_nc_u32_e32 v56, 16, v56
	;; [unrolled: 1-line block ×3, first 2 shown]
	v_cmp_lt_u32_e32 vcc_lo, 10, v58
	s_or_b32 s8, vcc_lo, s8
	s_waitcnt vmcnt(2) lgkmcnt(0)
	v_mul_f64 v[68:69], v[62:63], v[64:65]
	v_mul_f64 v[64:65], v[60:61], v[64:65]
	s_waitcnt vmcnt(0)
	v_fma_f64 v[60:61], v[60:61], v[66:67], -v[68:69]
	v_fma_f64 v[62:63], v[62:63], v[66:67], v[64:65]
	v_add_f64 v[1:2], v[1:2], v[60:61]
	v_add_f64 v[3:4], v[3:4], v[62:63]
	s_andn2_b32 exec_lo, exec_lo, s8
	s_cbranch_execnz .LBB23_276
; %bb.277:
	s_or_b32 exec_lo, exec_lo, s8
.LBB23_278:
	s_or_b32 exec_lo, exec_lo, s6
	v_mov_b32_e32 v56, 0
	ds_read_b128 v[60:63], v56 offset:192
	s_waitcnt lgkmcnt(0)
	v_mul_f64 v[56:57], v[3:4], v[62:63]
	v_mul_f64 v[62:63], v[1:2], v[62:63]
	v_fma_f64 v[1:2], v[1:2], v[60:61], -v[56:57]
	v_fma_f64 v[3:4], v[3:4], v[60:61], v[62:63]
	buffer_store_dword v2, off, s[0:3], 0 offset:196
	buffer_store_dword v1, off, s[0:3], 0 offset:192
	;; [unrolled: 1-line block ×4, first 2 shown]
.LBB23_279:
	s_or_b32 exec_lo, exec_lo, s4
	v_mov_b32_e32 v4, s18
	s_mov_b32 s4, exec_lo
	s_clause 0x3
	buffer_load_dword v1, v4, s[0:3], 0 offen
	buffer_load_dword v2, v4, s[0:3], 0 offen offset:4
	buffer_load_dword v3, v4, s[0:3], 0 offen offset:8
	;; [unrolled: 1-line block ×3, first 2 shown]
	s_waitcnt vmcnt(0)
	ds_write_b128 v54, v[1:4]
	s_waitcnt lgkmcnt(0)
	s_waitcnt_vscnt null, 0x0
	s_barrier
	buffer_gl0_inv
	v_cmpx_gt_u32_e32 13, v0
	s_cbranch_execz .LBB23_287
; %bb.280:
	ds_read_b128 v[1:4], v54
	v_cmp_ne_u32_e32 vcc_lo, 1, v55
	s_cbranch_vccnz .LBB23_282
; %bb.281:
	s_clause 0x3
	buffer_load_dword v56, v53, s[0:3], 0 offen offset:8
	buffer_load_dword v57, v53, s[0:3], 0 offen offset:12
	buffer_load_dword v60, v53, s[0:3], 0 offen
	buffer_load_dword v61, v53, s[0:3], 0 offen offset:4
	s_waitcnt vmcnt(2) lgkmcnt(0)
	v_mul_f64 v[62:63], v[3:4], v[56:57]
	v_mul_f64 v[56:57], v[1:2], v[56:57]
	s_waitcnt vmcnt(0)
	v_fma_f64 v[1:2], v[1:2], v[60:61], -v[62:63]
	v_fma_f64 v[3:4], v[3:4], v[60:61], v[56:57]
.LBB23_282:
	s_mov_b32 s6, exec_lo
	v_cmpx_ne_u32_e32 12, v0
	s_cbranch_execz .LBB23_286
; %bb.283:
	v_add_nc_u32_e32 v56, 0x190, v59
	v_add3_u32 v57, 0, v59, 16
	v_mov_b32_e32 v58, v0
	s_mov_b32 s8, 0
	.p2align	6
.LBB23_284:                             ; =>This Inner Loop Header: Depth=1
	s_clause 0x3
	buffer_load_dword v64, v57, s[0:3], 0 offen offset:8
	buffer_load_dword v65, v57, s[0:3], 0 offen offset:12
	buffer_load_dword v66, v57, s[0:3], 0 offen
	buffer_load_dword v67, v57, s[0:3], 0 offen offset:4
	ds_read_b128 v[60:63], v56
	v_add_nc_u32_e32 v58, 1, v58
	v_add_nc_u32_e32 v56, 16, v56
	;; [unrolled: 1-line block ×3, first 2 shown]
	v_cmp_lt_u32_e32 vcc_lo, 11, v58
	s_or_b32 s8, vcc_lo, s8
	s_waitcnt vmcnt(2) lgkmcnt(0)
	v_mul_f64 v[68:69], v[62:63], v[64:65]
	v_mul_f64 v[64:65], v[60:61], v[64:65]
	s_waitcnt vmcnt(0)
	v_fma_f64 v[60:61], v[60:61], v[66:67], -v[68:69]
	v_fma_f64 v[62:63], v[62:63], v[66:67], v[64:65]
	v_add_f64 v[1:2], v[1:2], v[60:61]
	v_add_f64 v[3:4], v[3:4], v[62:63]
	s_andn2_b32 exec_lo, exec_lo, s8
	s_cbranch_execnz .LBB23_284
; %bb.285:
	s_or_b32 exec_lo, exec_lo, s8
.LBB23_286:
	s_or_b32 exec_lo, exec_lo, s6
	v_mov_b32_e32 v56, 0
	ds_read_b128 v[60:63], v56 offset:208
	s_waitcnt lgkmcnt(0)
	v_mul_f64 v[56:57], v[3:4], v[62:63]
	v_mul_f64 v[62:63], v[1:2], v[62:63]
	v_fma_f64 v[1:2], v[1:2], v[60:61], -v[56:57]
	v_fma_f64 v[3:4], v[3:4], v[60:61], v[62:63]
	buffer_store_dword v2, off, s[0:3], 0 offset:212
	buffer_store_dword v1, off, s[0:3], 0 offset:208
	;; [unrolled: 1-line block ×4, first 2 shown]
.LBB23_287:
	s_or_b32 exec_lo, exec_lo, s4
	v_mov_b32_e32 v4, s17
	s_mov_b32 s4, exec_lo
	s_clause 0x3
	buffer_load_dword v1, v4, s[0:3], 0 offen
	buffer_load_dword v2, v4, s[0:3], 0 offen offset:4
	buffer_load_dword v3, v4, s[0:3], 0 offen offset:8
	;; [unrolled: 1-line block ×3, first 2 shown]
	s_waitcnt vmcnt(0)
	ds_write_b128 v54, v[1:4]
	s_waitcnt lgkmcnt(0)
	s_waitcnt_vscnt null, 0x0
	s_barrier
	buffer_gl0_inv
	v_cmpx_gt_u32_e32 14, v0
	s_cbranch_execz .LBB23_295
; %bb.288:
	ds_read_b128 v[1:4], v54
	v_cmp_ne_u32_e32 vcc_lo, 1, v55
	s_cbranch_vccnz .LBB23_290
; %bb.289:
	s_clause 0x3
	buffer_load_dword v56, v53, s[0:3], 0 offen offset:8
	buffer_load_dword v57, v53, s[0:3], 0 offen offset:12
	buffer_load_dword v60, v53, s[0:3], 0 offen
	buffer_load_dword v61, v53, s[0:3], 0 offen offset:4
	s_waitcnt vmcnt(2) lgkmcnt(0)
	v_mul_f64 v[62:63], v[3:4], v[56:57]
	v_mul_f64 v[56:57], v[1:2], v[56:57]
	s_waitcnt vmcnt(0)
	v_fma_f64 v[1:2], v[1:2], v[60:61], -v[62:63]
	v_fma_f64 v[3:4], v[3:4], v[60:61], v[56:57]
.LBB23_290:
	s_mov_b32 s6, exec_lo
	v_cmpx_ne_u32_e32 13, v0
	s_cbranch_execz .LBB23_294
; %bb.291:
	v_add_nc_u32_e32 v56, 0x190, v59
	v_add3_u32 v57, 0, v59, 16
	v_mov_b32_e32 v58, v0
	s_mov_b32 s8, 0
	.p2align	6
.LBB23_292:                             ; =>This Inner Loop Header: Depth=1
	s_clause 0x3
	buffer_load_dword v64, v57, s[0:3], 0 offen offset:8
	buffer_load_dword v65, v57, s[0:3], 0 offen offset:12
	buffer_load_dword v66, v57, s[0:3], 0 offen
	buffer_load_dword v67, v57, s[0:3], 0 offen offset:4
	ds_read_b128 v[60:63], v56
	v_add_nc_u32_e32 v58, 1, v58
	v_add_nc_u32_e32 v56, 16, v56
	;; [unrolled: 1-line block ×3, first 2 shown]
	v_cmp_lt_u32_e32 vcc_lo, 12, v58
	s_or_b32 s8, vcc_lo, s8
	s_waitcnt vmcnt(2) lgkmcnt(0)
	v_mul_f64 v[68:69], v[62:63], v[64:65]
	v_mul_f64 v[64:65], v[60:61], v[64:65]
	s_waitcnt vmcnt(0)
	v_fma_f64 v[60:61], v[60:61], v[66:67], -v[68:69]
	v_fma_f64 v[62:63], v[62:63], v[66:67], v[64:65]
	v_add_f64 v[1:2], v[1:2], v[60:61]
	v_add_f64 v[3:4], v[3:4], v[62:63]
	s_andn2_b32 exec_lo, exec_lo, s8
	s_cbranch_execnz .LBB23_292
; %bb.293:
	s_or_b32 exec_lo, exec_lo, s8
.LBB23_294:
	s_or_b32 exec_lo, exec_lo, s6
	v_mov_b32_e32 v56, 0
	ds_read_b128 v[60:63], v56 offset:224
	s_waitcnt lgkmcnt(0)
	v_mul_f64 v[56:57], v[3:4], v[62:63]
	v_mul_f64 v[62:63], v[1:2], v[62:63]
	v_fma_f64 v[1:2], v[1:2], v[60:61], -v[56:57]
	v_fma_f64 v[3:4], v[3:4], v[60:61], v[62:63]
	buffer_store_dword v2, off, s[0:3], 0 offset:228
	buffer_store_dword v1, off, s[0:3], 0 offset:224
	;; [unrolled: 1-line block ×4, first 2 shown]
.LBB23_295:
	s_or_b32 exec_lo, exec_lo, s4
	v_mov_b32_e32 v4, s16
	s_mov_b32 s4, exec_lo
	s_clause 0x3
	buffer_load_dword v1, v4, s[0:3], 0 offen
	buffer_load_dword v2, v4, s[0:3], 0 offen offset:4
	buffer_load_dword v3, v4, s[0:3], 0 offen offset:8
	;; [unrolled: 1-line block ×3, first 2 shown]
	s_waitcnt vmcnt(0)
	ds_write_b128 v54, v[1:4]
	s_waitcnt lgkmcnt(0)
	s_waitcnt_vscnt null, 0x0
	s_barrier
	buffer_gl0_inv
	v_cmpx_gt_u32_e32 15, v0
	s_cbranch_execz .LBB23_303
; %bb.296:
	ds_read_b128 v[1:4], v54
	v_cmp_ne_u32_e32 vcc_lo, 1, v55
	s_cbranch_vccnz .LBB23_298
; %bb.297:
	s_clause 0x3
	buffer_load_dword v56, v53, s[0:3], 0 offen offset:8
	buffer_load_dword v57, v53, s[0:3], 0 offen offset:12
	buffer_load_dword v60, v53, s[0:3], 0 offen
	buffer_load_dword v61, v53, s[0:3], 0 offen offset:4
	s_waitcnt vmcnt(2) lgkmcnt(0)
	v_mul_f64 v[62:63], v[3:4], v[56:57]
	v_mul_f64 v[56:57], v[1:2], v[56:57]
	s_waitcnt vmcnt(0)
	v_fma_f64 v[1:2], v[1:2], v[60:61], -v[62:63]
	v_fma_f64 v[3:4], v[3:4], v[60:61], v[56:57]
.LBB23_298:
	s_mov_b32 s6, exec_lo
	v_cmpx_ne_u32_e32 14, v0
	s_cbranch_execz .LBB23_302
; %bb.299:
	v_add_nc_u32_e32 v56, 0x190, v59
	v_add3_u32 v57, 0, v59, 16
	v_mov_b32_e32 v58, v0
	s_mov_b32 s8, 0
	.p2align	6
.LBB23_300:                             ; =>This Inner Loop Header: Depth=1
	s_clause 0x3
	buffer_load_dword v64, v57, s[0:3], 0 offen offset:8
	buffer_load_dword v65, v57, s[0:3], 0 offen offset:12
	buffer_load_dword v66, v57, s[0:3], 0 offen
	buffer_load_dword v67, v57, s[0:3], 0 offen offset:4
	ds_read_b128 v[60:63], v56
	v_add_nc_u32_e32 v58, 1, v58
	v_add_nc_u32_e32 v56, 16, v56
	;; [unrolled: 1-line block ×3, first 2 shown]
	v_cmp_lt_u32_e32 vcc_lo, 13, v58
	s_or_b32 s8, vcc_lo, s8
	s_waitcnt vmcnt(2) lgkmcnt(0)
	v_mul_f64 v[68:69], v[62:63], v[64:65]
	v_mul_f64 v[64:65], v[60:61], v[64:65]
	s_waitcnt vmcnt(0)
	v_fma_f64 v[60:61], v[60:61], v[66:67], -v[68:69]
	v_fma_f64 v[62:63], v[62:63], v[66:67], v[64:65]
	v_add_f64 v[1:2], v[1:2], v[60:61]
	v_add_f64 v[3:4], v[3:4], v[62:63]
	s_andn2_b32 exec_lo, exec_lo, s8
	s_cbranch_execnz .LBB23_300
; %bb.301:
	s_or_b32 exec_lo, exec_lo, s8
.LBB23_302:
	s_or_b32 exec_lo, exec_lo, s6
	v_mov_b32_e32 v56, 0
	ds_read_b128 v[60:63], v56 offset:240
	s_waitcnt lgkmcnt(0)
	v_mul_f64 v[56:57], v[3:4], v[62:63]
	v_mul_f64 v[62:63], v[1:2], v[62:63]
	v_fma_f64 v[1:2], v[1:2], v[60:61], -v[56:57]
	v_fma_f64 v[3:4], v[3:4], v[60:61], v[62:63]
	buffer_store_dword v2, off, s[0:3], 0 offset:244
	buffer_store_dword v1, off, s[0:3], 0 offset:240
	;; [unrolled: 1-line block ×4, first 2 shown]
.LBB23_303:
	s_or_b32 exec_lo, exec_lo, s4
	v_mov_b32_e32 v4, s15
	s_mov_b32 s4, exec_lo
	s_clause 0x3
	buffer_load_dword v1, v4, s[0:3], 0 offen
	buffer_load_dword v2, v4, s[0:3], 0 offen offset:4
	buffer_load_dword v3, v4, s[0:3], 0 offen offset:8
	;; [unrolled: 1-line block ×3, first 2 shown]
	s_waitcnt vmcnt(0)
	ds_write_b128 v54, v[1:4]
	s_waitcnt lgkmcnt(0)
	s_waitcnt_vscnt null, 0x0
	s_barrier
	buffer_gl0_inv
	v_cmpx_gt_u32_e32 16, v0
	s_cbranch_execz .LBB23_311
; %bb.304:
	ds_read_b128 v[1:4], v54
	v_cmp_ne_u32_e32 vcc_lo, 1, v55
	s_cbranch_vccnz .LBB23_306
; %bb.305:
	s_clause 0x3
	buffer_load_dword v56, v53, s[0:3], 0 offen offset:8
	buffer_load_dword v57, v53, s[0:3], 0 offen offset:12
	buffer_load_dword v60, v53, s[0:3], 0 offen
	buffer_load_dword v61, v53, s[0:3], 0 offen offset:4
	s_waitcnt vmcnt(2) lgkmcnt(0)
	v_mul_f64 v[62:63], v[3:4], v[56:57]
	v_mul_f64 v[56:57], v[1:2], v[56:57]
	s_waitcnt vmcnt(0)
	v_fma_f64 v[1:2], v[1:2], v[60:61], -v[62:63]
	v_fma_f64 v[3:4], v[3:4], v[60:61], v[56:57]
.LBB23_306:
	s_mov_b32 s6, exec_lo
	v_cmpx_ne_u32_e32 15, v0
	s_cbranch_execz .LBB23_310
; %bb.307:
	v_add_nc_u32_e32 v56, 0x190, v59
	v_add3_u32 v57, 0, v59, 16
	v_mov_b32_e32 v58, v0
	s_mov_b32 s8, 0
	.p2align	6
.LBB23_308:                             ; =>This Inner Loop Header: Depth=1
	s_clause 0x3
	buffer_load_dword v64, v57, s[0:3], 0 offen offset:8
	buffer_load_dword v65, v57, s[0:3], 0 offen offset:12
	buffer_load_dword v66, v57, s[0:3], 0 offen
	buffer_load_dword v67, v57, s[0:3], 0 offen offset:4
	ds_read_b128 v[60:63], v56
	v_add_nc_u32_e32 v58, 1, v58
	v_add_nc_u32_e32 v56, 16, v56
	;; [unrolled: 1-line block ×3, first 2 shown]
	v_cmp_lt_u32_e32 vcc_lo, 14, v58
	s_or_b32 s8, vcc_lo, s8
	s_waitcnt vmcnt(2) lgkmcnt(0)
	v_mul_f64 v[68:69], v[62:63], v[64:65]
	v_mul_f64 v[64:65], v[60:61], v[64:65]
	s_waitcnt vmcnt(0)
	v_fma_f64 v[60:61], v[60:61], v[66:67], -v[68:69]
	v_fma_f64 v[62:63], v[62:63], v[66:67], v[64:65]
	v_add_f64 v[1:2], v[1:2], v[60:61]
	v_add_f64 v[3:4], v[3:4], v[62:63]
	s_andn2_b32 exec_lo, exec_lo, s8
	s_cbranch_execnz .LBB23_308
; %bb.309:
	s_or_b32 exec_lo, exec_lo, s8
.LBB23_310:
	s_or_b32 exec_lo, exec_lo, s6
	v_mov_b32_e32 v56, 0
	ds_read_b128 v[60:63], v56 offset:256
	s_waitcnt lgkmcnt(0)
	v_mul_f64 v[56:57], v[3:4], v[62:63]
	v_mul_f64 v[62:63], v[1:2], v[62:63]
	v_fma_f64 v[1:2], v[1:2], v[60:61], -v[56:57]
	v_fma_f64 v[3:4], v[3:4], v[60:61], v[62:63]
	buffer_store_dword v2, off, s[0:3], 0 offset:260
	buffer_store_dword v1, off, s[0:3], 0 offset:256
	buffer_store_dword v4, off, s[0:3], 0 offset:268
	buffer_store_dword v3, off, s[0:3], 0 offset:264
.LBB23_311:
	s_or_b32 exec_lo, exec_lo, s4
	v_mov_b32_e32 v4, s14
	s_mov_b32 s4, exec_lo
	s_clause 0x3
	buffer_load_dword v1, v4, s[0:3], 0 offen
	buffer_load_dword v2, v4, s[0:3], 0 offen offset:4
	buffer_load_dword v3, v4, s[0:3], 0 offen offset:8
	;; [unrolled: 1-line block ×3, first 2 shown]
	s_waitcnt vmcnt(0)
	ds_write_b128 v54, v[1:4]
	s_waitcnt lgkmcnt(0)
	s_waitcnt_vscnt null, 0x0
	s_barrier
	buffer_gl0_inv
	v_cmpx_gt_u32_e32 17, v0
	s_cbranch_execz .LBB23_319
; %bb.312:
	ds_read_b128 v[1:4], v54
	v_cmp_ne_u32_e32 vcc_lo, 1, v55
	s_cbranch_vccnz .LBB23_314
; %bb.313:
	s_clause 0x3
	buffer_load_dword v56, v53, s[0:3], 0 offen offset:8
	buffer_load_dword v57, v53, s[0:3], 0 offen offset:12
	buffer_load_dword v60, v53, s[0:3], 0 offen
	buffer_load_dword v61, v53, s[0:3], 0 offen offset:4
	s_waitcnt vmcnt(2) lgkmcnt(0)
	v_mul_f64 v[62:63], v[3:4], v[56:57]
	v_mul_f64 v[56:57], v[1:2], v[56:57]
	s_waitcnt vmcnt(0)
	v_fma_f64 v[1:2], v[1:2], v[60:61], -v[62:63]
	v_fma_f64 v[3:4], v[3:4], v[60:61], v[56:57]
.LBB23_314:
	s_mov_b32 s6, exec_lo
	v_cmpx_ne_u32_e32 16, v0
	s_cbranch_execz .LBB23_318
; %bb.315:
	v_add_nc_u32_e32 v56, 0x190, v59
	v_add3_u32 v57, 0, v59, 16
	v_mov_b32_e32 v58, v0
	s_mov_b32 s8, 0
	.p2align	6
.LBB23_316:                             ; =>This Inner Loop Header: Depth=1
	s_clause 0x3
	buffer_load_dword v64, v57, s[0:3], 0 offen offset:8
	buffer_load_dword v65, v57, s[0:3], 0 offen offset:12
	buffer_load_dword v66, v57, s[0:3], 0 offen
	buffer_load_dword v67, v57, s[0:3], 0 offen offset:4
	ds_read_b128 v[60:63], v56
	v_add_nc_u32_e32 v58, 1, v58
	v_add_nc_u32_e32 v56, 16, v56
	;; [unrolled: 1-line block ×3, first 2 shown]
	v_cmp_lt_u32_e32 vcc_lo, 15, v58
	s_or_b32 s8, vcc_lo, s8
	s_waitcnt vmcnt(2) lgkmcnt(0)
	v_mul_f64 v[68:69], v[62:63], v[64:65]
	v_mul_f64 v[64:65], v[60:61], v[64:65]
	s_waitcnt vmcnt(0)
	v_fma_f64 v[60:61], v[60:61], v[66:67], -v[68:69]
	v_fma_f64 v[62:63], v[62:63], v[66:67], v[64:65]
	v_add_f64 v[1:2], v[1:2], v[60:61]
	v_add_f64 v[3:4], v[3:4], v[62:63]
	s_andn2_b32 exec_lo, exec_lo, s8
	s_cbranch_execnz .LBB23_316
; %bb.317:
	s_or_b32 exec_lo, exec_lo, s8
.LBB23_318:
	s_or_b32 exec_lo, exec_lo, s6
	v_mov_b32_e32 v56, 0
	ds_read_b128 v[60:63], v56 offset:272
	s_waitcnt lgkmcnt(0)
	v_mul_f64 v[56:57], v[3:4], v[62:63]
	v_mul_f64 v[62:63], v[1:2], v[62:63]
	v_fma_f64 v[1:2], v[1:2], v[60:61], -v[56:57]
	v_fma_f64 v[3:4], v[3:4], v[60:61], v[62:63]
	buffer_store_dword v2, off, s[0:3], 0 offset:276
	buffer_store_dword v1, off, s[0:3], 0 offset:272
	;; [unrolled: 1-line block ×4, first 2 shown]
.LBB23_319:
	s_or_b32 exec_lo, exec_lo, s4
	v_mov_b32_e32 v4, s13
	s_mov_b32 s4, exec_lo
	s_clause 0x3
	buffer_load_dword v1, v4, s[0:3], 0 offen
	buffer_load_dword v2, v4, s[0:3], 0 offen offset:4
	buffer_load_dword v3, v4, s[0:3], 0 offen offset:8
	;; [unrolled: 1-line block ×3, first 2 shown]
	s_waitcnt vmcnt(0)
	ds_write_b128 v54, v[1:4]
	s_waitcnt lgkmcnt(0)
	s_waitcnt_vscnt null, 0x0
	s_barrier
	buffer_gl0_inv
	v_cmpx_gt_u32_e32 18, v0
	s_cbranch_execz .LBB23_327
; %bb.320:
	ds_read_b128 v[1:4], v54
	v_cmp_ne_u32_e32 vcc_lo, 1, v55
	s_cbranch_vccnz .LBB23_322
; %bb.321:
	s_clause 0x3
	buffer_load_dword v56, v53, s[0:3], 0 offen offset:8
	buffer_load_dword v57, v53, s[0:3], 0 offen offset:12
	buffer_load_dword v60, v53, s[0:3], 0 offen
	buffer_load_dword v61, v53, s[0:3], 0 offen offset:4
	s_waitcnt vmcnt(2) lgkmcnt(0)
	v_mul_f64 v[62:63], v[3:4], v[56:57]
	v_mul_f64 v[56:57], v[1:2], v[56:57]
	s_waitcnt vmcnt(0)
	v_fma_f64 v[1:2], v[1:2], v[60:61], -v[62:63]
	v_fma_f64 v[3:4], v[3:4], v[60:61], v[56:57]
.LBB23_322:
	s_mov_b32 s6, exec_lo
	v_cmpx_ne_u32_e32 17, v0
	s_cbranch_execz .LBB23_326
; %bb.323:
	v_add_nc_u32_e32 v56, 0x190, v59
	v_add3_u32 v57, 0, v59, 16
	v_mov_b32_e32 v58, v0
	s_mov_b32 s8, 0
	.p2align	6
.LBB23_324:                             ; =>This Inner Loop Header: Depth=1
	s_clause 0x3
	buffer_load_dword v64, v57, s[0:3], 0 offen offset:8
	buffer_load_dword v65, v57, s[0:3], 0 offen offset:12
	buffer_load_dword v66, v57, s[0:3], 0 offen
	buffer_load_dword v67, v57, s[0:3], 0 offen offset:4
	ds_read_b128 v[60:63], v56
	v_add_nc_u32_e32 v58, 1, v58
	v_add_nc_u32_e32 v56, 16, v56
	;; [unrolled: 1-line block ×3, first 2 shown]
	v_cmp_lt_u32_e32 vcc_lo, 16, v58
	s_or_b32 s8, vcc_lo, s8
	s_waitcnt vmcnt(2) lgkmcnt(0)
	v_mul_f64 v[68:69], v[62:63], v[64:65]
	v_mul_f64 v[64:65], v[60:61], v[64:65]
	s_waitcnt vmcnt(0)
	v_fma_f64 v[60:61], v[60:61], v[66:67], -v[68:69]
	v_fma_f64 v[62:63], v[62:63], v[66:67], v[64:65]
	v_add_f64 v[1:2], v[1:2], v[60:61]
	v_add_f64 v[3:4], v[3:4], v[62:63]
	s_andn2_b32 exec_lo, exec_lo, s8
	s_cbranch_execnz .LBB23_324
; %bb.325:
	s_or_b32 exec_lo, exec_lo, s8
.LBB23_326:
	s_or_b32 exec_lo, exec_lo, s6
	v_mov_b32_e32 v56, 0
	ds_read_b128 v[60:63], v56 offset:288
	s_waitcnt lgkmcnt(0)
	v_mul_f64 v[56:57], v[3:4], v[62:63]
	v_mul_f64 v[62:63], v[1:2], v[62:63]
	v_fma_f64 v[1:2], v[1:2], v[60:61], -v[56:57]
	v_fma_f64 v[3:4], v[3:4], v[60:61], v[62:63]
	buffer_store_dword v2, off, s[0:3], 0 offset:292
	buffer_store_dword v1, off, s[0:3], 0 offset:288
	;; [unrolled: 1-line block ×4, first 2 shown]
.LBB23_327:
	s_or_b32 exec_lo, exec_lo, s4
	v_mov_b32_e32 v4, s12
	s_mov_b32 s4, exec_lo
	s_clause 0x3
	buffer_load_dword v1, v4, s[0:3], 0 offen
	buffer_load_dword v2, v4, s[0:3], 0 offen offset:4
	buffer_load_dword v3, v4, s[0:3], 0 offen offset:8
	;; [unrolled: 1-line block ×3, first 2 shown]
	s_waitcnt vmcnt(0)
	ds_write_b128 v54, v[1:4]
	s_waitcnt lgkmcnt(0)
	s_waitcnt_vscnt null, 0x0
	s_barrier
	buffer_gl0_inv
	v_cmpx_gt_u32_e32 19, v0
	s_cbranch_execz .LBB23_335
; %bb.328:
	ds_read_b128 v[1:4], v54
	v_cmp_ne_u32_e32 vcc_lo, 1, v55
	s_cbranch_vccnz .LBB23_330
; %bb.329:
	s_clause 0x3
	buffer_load_dword v56, v53, s[0:3], 0 offen offset:8
	buffer_load_dword v57, v53, s[0:3], 0 offen offset:12
	buffer_load_dword v60, v53, s[0:3], 0 offen
	buffer_load_dword v61, v53, s[0:3], 0 offen offset:4
	s_waitcnt vmcnt(2) lgkmcnt(0)
	v_mul_f64 v[62:63], v[3:4], v[56:57]
	v_mul_f64 v[56:57], v[1:2], v[56:57]
	s_waitcnt vmcnt(0)
	v_fma_f64 v[1:2], v[1:2], v[60:61], -v[62:63]
	v_fma_f64 v[3:4], v[3:4], v[60:61], v[56:57]
.LBB23_330:
	s_mov_b32 s6, exec_lo
	v_cmpx_ne_u32_e32 18, v0
	s_cbranch_execz .LBB23_334
; %bb.331:
	v_add_nc_u32_e32 v56, 0x190, v59
	v_add3_u32 v57, 0, v59, 16
	v_mov_b32_e32 v58, v0
	s_mov_b32 s8, 0
	.p2align	6
.LBB23_332:                             ; =>This Inner Loop Header: Depth=1
	s_clause 0x3
	buffer_load_dword v64, v57, s[0:3], 0 offen offset:8
	buffer_load_dword v65, v57, s[0:3], 0 offen offset:12
	buffer_load_dword v66, v57, s[0:3], 0 offen
	buffer_load_dword v67, v57, s[0:3], 0 offen offset:4
	ds_read_b128 v[60:63], v56
	v_add_nc_u32_e32 v58, 1, v58
	v_add_nc_u32_e32 v56, 16, v56
	;; [unrolled: 1-line block ×3, first 2 shown]
	v_cmp_lt_u32_e32 vcc_lo, 17, v58
	s_or_b32 s8, vcc_lo, s8
	s_waitcnt vmcnt(2) lgkmcnt(0)
	v_mul_f64 v[68:69], v[62:63], v[64:65]
	v_mul_f64 v[64:65], v[60:61], v[64:65]
	s_waitcnt vmcnt(0)
	v_fma_f64 v[60:61], v[60:61], v[66:67], -v[68:69]
	v_fma_f64 v[62:63], v[62:63], v[66:67], v[64:65]
	v_add_f64 v[1:2], v[1:2], v[60:61]
	v_add_f64 v[3:4], v[3:4], v[62:63]
	s_andn2_b32 exec_lo, exec_lo, s8
	s_cbranch_execnz .LBB23_332
; %bb.333:
	s_or_b32 exec_lo, exec_lo, s8
.LBB23_334:
	s_or_b32 exec_lo, exec_lo, s6
	v_mov_b32_e32 v56, 0
	ds_read_b128 v[60:63], v56 offset:304
	s_waitcnt lgkmcnt(0)
	v_mul_f64 v[56:57], v[3:4], v[62:63]
	v_mul_f64 v[62:63], v[1:2], v[62:63]
	v_fma_f64 v[1:2], v[1:2], v[60:61], -v[56:57]
	v_fma_f64 v[3:4], v[3:4], v[60:61], v[62:63]
	buffer_store_dword v2, off, s[0:3], 0 offset:308
	buffer_store_dword v1, off, s[0:3], 0 offset:304
	;; [unrolled: 1-line block ×4, first 2 shown]
.LBB23_335:
	s_or_b32 exec_lo, exec_lo, s4
	v_mov_b32_e32 v4, s11
	s_mov_b32 s4, exec_lo
	s_clause 0x3
	buffer_load_dword v1, v4, s[0:3], 0 offen
	buffer_load_dword v2, v4, s[0:3], 0 offen offset:4
	buffer_load_dword v3, v4, s[0:3], 0 offen offset:8
	;; [unrolled: 1-line block ×3, first 2 shown]
	s_waitcnt vmcnt(0)
	ds_write_b128 v54, v[1:4]
	s_waitcnt lgkmcnt(0)
	s_waitcnt_vscnt null, 0x0
	s_barrier
	buffer_gl0_inv
	v_cmpx_gt_u32_e32 20, v0
	s_cbranch_execz .LBB23_343
; %bb.336:
	ds_read_b128 v[1:4], v54
	v_cmp_ne_u32_e32 vcc_lo, 1, v55
	s_cbranch_vccnz .LBB23_338
; %bb.337:
	s_clause 0x3
	buffer_load_dword v56, v53, s[0:3], 0 offen offset:8
	buffer_load_dword v57, v53, s[0:3], 0 offen offset:12
	buffer_load_dword v60, v53, s[0:3], 0 offen
	buffer_load_dword v61, v53, s[0:3], 0 offen offset:4
	s_waitcnt vmcnt(2) lgkmcnt(0)
	v_mul_f64 v[62:63], v[3:4], v[56:57]
	v_mul_f64 v[56:57], v[1:2], v[56:57]
	s_waitcnt vmcnt(0)
	v_fma_f64 v[1:2], v[1:2], v[60:61], -v[62:63]
	v_fma_f64 v[3:4], v[3:4], v[60:61], v[56:57]
.LBB23_338:
	s_mov_b32 s6, exec_lo
	v_cmpx_ne_u32_e32 19, v0
	s_cbranch_execz .LBB23_342
; %bb.339:
	v_add_nc_u32_e32 v56, 0x190, v59
	v_add3_u32 v57, 0, v59, 16
	v_mov_b32_e32 v58, v0
	s_mov_b32 s8, 0
	.p2align	6
.LBB23_340:                             ; =>This Inner Loop Header: Depth=1
	s_clause 0x3
	buffer_load_dword v64, v57, s[0:3], 0 offen offset:8
	buffer_load_dword v65, v57, s[0:3], 0 offen offset:12
	buffer_load_dword v66, v57, s[0:3], 0 offen
	buffer_load_dword v67, v57, s[0:3], 0 offen offset:4
	ds_read_b128 v[60:63], v56
	v_add_nc_u32_e32 v58, 1, v58
	v_add_nc_u32_e32 v56, 16, v56
	;; [unrolled: 1-line block ×3, first 2 shown]
	v_cmp_lt_u32_e32 vcc_lo, 18, v58
	s_or_b32 s8, vcc_lo, s8
	s_waitcnt vmcnt(2) lgkmcnt(0)
	v_mul_f64 v[68:69], v[62:63], v[64:65]
	v_mul_f64 v[64:65], v[60:61], v[64:65]
	s_waitcnt vmcnt(0)
	v_fma_f64 v[60:61], v[60:61], v[66:67], -v[68:69]
	v_fma_f64 v[62:63], v[62:63], v[66:67], v[64:65]
	v_add_f64 v[1:2], v[1:2], v[60:61]
	v_add_f64 v[3:4], v[3:4], v[62:63]
	s_andn2_b32 exec_lo, exec_lo, s8
	s_cbranch_execnz .LBB23_340
; %bb.341:
	s_or_b32 exec_lo, exec_lo, s8
.LBB23_342:
	s_or_b32 exec_lo, exec_lo, s6
	v_mov_b32_e32 v56, 0
	ds_read_b128 v[60:63], v56 offset:320
	s_waitcnt lgkmcnt(0)
	v_mul_f64 v[56:57], v[3:4], v[62:63]
	v_mul_f64 v[62:63], v[1:2], v[62:63]
	v_fma_f64 v[1:2], v[1:2], v[60:61], -v[56:57]
	v_fma_f64 v[3:4], v[3:4], v[60:61], v[62:63]
	buffer_store_dword v2, off, s[0:3], 0 offset:324
	buffer_store_dword v1, off, s[0:3], 0 offset:320
	;; [unrolled: 1-line block ×4, first 2 shown]
.LBB23_343:
	s_or_b32 exec_lo, exec_lo, s4
	v_mov_b32_e32 v4, s10
	s_mov_b32 s4, exec_lo
	s_clause 0x3
	buffer_load_dword v1, v4, s[0:3], 0 offen
	buffer_load_dword v2, v4, s[0:3], 0 offen offset:4
	buffer_load_dword v3, v4, s[0:3], 0 offen offset:8
	;; [unrolled: 1-line block ×3, first 2 shown]
	s_waitcnt vmcnt(0)
	ds_write_b128 v54, v[1:4]
	s_waitcnt lgkmcnt(0)
	s_waitcnt_vscnt null, 0x0
	s_barrier
	buffer_gl0_inv
	v_cmpx_gt_u32_e32 21, v0
	s_cbranch_execz .LBB23_351
; %bb.344:
	ds_read_b128 v[1:4], v54
	v_cmp_ne_u32_e32 vcc_lo, 1, v55
	s_cbranch_vccnz .LBB23_346
; %bb.345:
	s_clause 0x3
	buffer_load_dword v56, v53, s[0:3], 0 offen offset:8
	buffer_load_dword v57, v53, s[0:3], 0 offen offset:12
	buffer_load_dword v60, v53, s[0:3], 0 offen
	buffer_load_dword v61, v53, s[0:3], 0 offen offset:4
	s_waitcnt vmcnt(2) lgkmcnt(0)
	v_mul_f64 v[62:63], v[3:4], v[56:57]
	v_mul_f64 v[56:57], v[1:2], v[56:57]
	s_waitcnt vmcnt(0)
	v_fma_f64 v[1:2], v[1:2], v[60:61], -v[62:63]
	v_fma_f64 v[3:4], v[3:4], v[60:61], v[56:57]
.LBB23_346:
	s_mov_b32 s6, exec_lo
	v_cmpx_ne_u32_e32 20, v0
	s_cbranch_execz .LBB23_350
; %bb.347:
	v_add_nc_u32_e32 v56, 0x190, v59
	v_add3_u32 v57, 0, v59, 16
	v_mov_b32_e32 v58, v0
	s_mov_b32 s8, 0
	.p2align	6
.LBB23_348:                             ; =>This Inner Loop Header: Depth=1
	s_clause 0x3
	buffer_load_dword v64, v57, s[0:3], 0 offen offset:8
	buffer_load_dword v65, v57, s[0:3], 0 offen offset:12
	buffer_load_dword v66, v57, s[0:3], 0 offen
	buffer_load_dword v67, v57, s[0:3], 0 offen offset:4
	ds_read_b128 v[60:63], v56
	v_add_nc_u32_e32 v58, 1, v58
	v_add_nc_u32_e32 v56, 16, v56
	;; [unrolled: 1-line block ×3, first 2 shown]
	v_cmp_lt_u32_e32 vcc_lo, 19, v58
	s_or_b32 s8, vcc_lo, s8
	s_waitcnt vmcnt(2) lgkmcnt(0)
	v_mul_f64 v[68:69], v[62:63], v[64:65]
	v_mul_f64 v[64:65], v[60:61], v[64:65]
	s_waitcnt vmcnt(0)
	v_fma_f64 v[60:61], v[60:61], v[66:67], -v[68:69]
	v_fma_f64 v[62:63], v[62:63], v[66:67], v[64:65]
	v_add_f64 v[1:2], v[1:2], v[60:61]
	v_add_f64 v[3:4], v[3:4], v[62:63]
	s_andn2_b32 exec_lo, exec_lo, s8
	s_cbranch_execnz .LBB23_348
; %bb.349:
	s_or_b32 exec_lo, exec_lo, s8
.LBB23_350:
	s_or_b32 exec_lo, exec_lo, s6
	v_mov_b32_e32 v56, 0
	ds_read_b128 v[60:63], v56 offset:336
	s_waitcnt lgkmcnt(0)
	v_mul_f64 v[56:57], v[3:4], v[62:63]
	v_mul_f64 v[62:63], v[1:2], v[62:63]
	v_fma_f64 v[1:2], v[1:2], v[60:61], -v[56:57]
	v_fma_f64 v[3:4], v[3:4], v[60:61], v[62:63]
	buffer_store_dword v2, off, s[0:3], 0 offset:340
	buffer_store_dword v1, off, s[0:3], 0 offset:336
	;; [unrolled: 1-line block ×4, first 2 shown]
.LBB23_351:
	s_or_b32 exec_lo, exec_lo, s4
	v_mov_b32_e32 v4, s9
	v_cmp_gt_u32_e64 s4, 22, v0
	s_clause 0x3
	buffer_load_dword v1, v4, s[0:3], 0 offen
	buffer_load_dword v2, v4, s[0:3], 0 offen offset:4
	buffer_load_dword v3, v4, s[0:3], 0 offen offset:8
	;; [unrolled: 1-line block ×3, first 2 shown]
	s_waitcnt vmcnt(0)
	ds_write_b128 v54, v[1:4]
	s_waitcnt lgkmcnt(0)
	s_waitcnt_vscnt null, 0x0
	s_barrier
	buffer_gl0_inv
	s_and_saveexec_b32 s6, s4
	s_cbranch_execz .LBB23_359
; %bb.352:
	ds_read_b128 v[1:4], v54
	v_cmp_ne_u32_e32 vcc_lo, 1, v55
	s_cbranch_vccnz .LBB23_354
; %bb.353:
	s_clause 0x3
	buffer_load_dword v56, v53, s[0:3], 0 offen offset:8
	buffer_load_dword v57, v53, s[0:3], 0 offen offset:12
	buffer_load_dword v60, v53, s[0:3], 0 offen
	buffer_load_dword v61, v53, s[0:3], 0 offen offset:4
	s_waitcnt vmcnt(2) lgkmcnt(0)
	v_mul_f64 v[62:63], v[3:4], v[56:57]
	v_mul_f64 v[56:57], v[1:2], v[56:57]
	s_waitcnt vmcnt(0)
	v_fma_f64 v[1:2], v[1:2], v[60:61], -v[62:63]
	v_fma_f64 v[3:4], v[3:4], v[60:61], v[56:57]
.LBB23_354:
	s_mov_b32 s8, exec_lo
	v_cmpx_ne_u32_e32 21, v0
	s_cbranch_execz .LBB23_358
; %bb.355:
	v_add_nc_u32_e32 v56, 0x190, v59
	v_add3_u32 v57, 0, v59, 16
	v_mov_b32_e32 v58, v0
	s_mov_b32 s31, 0
	.p2align	6
.LBB23_356:                             ; =>This Inner Loop Header: Depth=1
	s_clause 0x3
	buffer_load_dword v64, v57, s[0:3], 0 offen offset:8
	buffer_load_dword v65, v57, s[0:3], 0 offen offset:12
	buffer_load_dword v66, v57, s[0:3], 0 offen
	buffer_load_dword v67, v57, s[0:3], 0 offen offset:4
	ds_read_b128 v[60:63], v56
	v_add_nc_u32_e32 v58, 1, v58
	v_add_nc_u32_e32 v56, 16, v56
	;; [unrolled: 1-line block ×3, first 2 shown]
	v_cmp_lt_u32_e32 vcc_lo, 20, v58
	s_or_b32 s31, vcc_lo, s31
	s_waitcnt vmcnt(2) lgkmcnt(0)
	v_mul_f64 v[68:69], v[62:63], v[64:65]
	v_mul_f64 v[64:65], v[60:61], v[64:65]
	s_waitcnt vmcnt(0)
	v_fma_f64 v[60:61], v[60:61], v[66:67], -v[68:69]
	v_fma_f64 v[62:63], v[62:63], v[66:67], v[64:65]
	v_add_f64 v[1:2], v[1:2], v[60:61]
	v_add_f64 v[3:4], v[3:4], v[62:63]
	s_andn2_b32 exec_lo, exec_lo, s31
	s_cbranch_execnz .LBB23_356
; %bb.357:
	s_or_b32 exec_lo, exec_lo, s31
.LBB23_358:
	s_or_b32 exec_lo, exec_lo, s8
	v_mov_b32_e32 v56, 0
	ds_read_b128 v[60:63], v56 offset:352
	s_waitcnt lgkmcnt(0)
	v_mul_f64 v[56:57], v[3:4], v[62:63]
	v_mul_f64 v[62:63], v[1:2], v[62:63]
	v_fma_f64 v[1:2], v[1:2], v[60:61], -v[56:57]
	v_fma_f64 v[3:4], v[3:4], v[60:61], v[62:63]
	buffer_store_dword v2, off, s[0:3], 0 offset:356
	buffer_store_dword v1, off, s[0:3], 0 offset:352
	;; [unrolled: 1-line block ×4, first 2 shown]
.LBB23_359:
	s_or_b32 exec_lo, exec_lo, s6
	v_mov_b32_e32 v4, s7
	s_mov_b32 s6, exec_lo
                                        ; implicit-def: $sgpr33
	s_clause 0x3
	buffer_load_dword v1, v4, s[0:3], 0 offen
	buffer_load_dword v2, v4, s[0:3], 0 offen offset:4
	buffer_load_dword v3, v4, s[0:3], 0 offen offset:8
	;; [unrolled: 1-line block ×3, first 2 shown]
	s_waitcnt vmcnt(0)
	ds_write_b128 v54, v[1:4]
	s_waitcnt lgkmcnt(0)
	s_waitcnt_vscnt null, 0x0
	s_barrier
	buffer_gl0_inv
                                        ; implicit-def: $vgpr1_vgpr2
	v_cmpx_ne_u32_e32 23, v0
	s_cbranch_execz .LBB23_367
; %bb.360:
	ds_read_b128 v[1:4], v54
	v_cmp_ne_u32_e32 vcc_lo, 1, v55
	s_cbranch_vccnz .LBB23_362
; %bb.361:
	s_clause 0x3
	buffer_load_dword v54, v53, s[0:3], 0 offen offset:8
	buffer_load_dword v55, v53, s[0:3], 0 offen offset:12
	buffer_load_dword v56, v53, s[0:3], 0 offen
	buffer_load_dword v57, v53, s[0:3], 0 offen offset:4
	s_waitcnt vmcnt(2) lgkmcnt(0)
	v_mul_f64 v[60:61], v[3:4], v[54:55]
	v_mul_f64 v[53:54], v[1:2], v[54:55]
	s_waitcnt vmcnt(0)
	v_fma_f64 v[1:2], v[1:2], v[56:57], -v[60:61]
	v_fma_f64 v[3:4], v[3:4], v[56:57], v[53:54]
.LBB23_362:
	s_and_saveexec_b32 s8, s4
	s_cbranch_execz .LBB23_366
; %bb.363:
	v_add_nc_u32_e32 v53, 0x190, v59
	v_add3_u32 v54, 0, v59, 16
	s_mov_b32 s4, 0
	.p2align	6
.LBB23_364:                             ; =>This Inner Loop Header: Depth=1
	s_clause 0x3
	buffer_load_dword v59, v54, s[0:3], 0 offen offset:8
	buffer_load_dword v60, v54, s[0:3], 0 offen offset:12
	buffer_load_dword v61, v54, s[0:3], 0 offen
	buffer_load_dword v62, v54, s[0:3], 0 offen offset:4
	ds_read_b128 v[55:58], v53
	v_add_nc_u32_e32 v0, 1, v0
	v_add_nc_u32_e32 v53, 16, v53
	;; [unrolled: 1-line block ×3, first 2 shown]
	v_cmp_lt_u32_e32 vcc_lo, 21, v0
	s_or_b32 s4, vcc_lo, s4
	s_waitcnt vmcnt(2) lgkmcnt(0)
	v_mul_f64 v[63:64], v[57:58], v[59:60]
	v_mul_f64 v[59:60], v[55:56], v[59:60]
	s_waitcnt vmcnt(0)
	v_fma_f64 v[55:56], v[55:56], v[61:62], -v[63:64]
	v_fma_f64 v[57:58], v[57:58], v[61:62], v[59:60]
	v_add_f64 v[1:2], v[1:2], v[55:56]
	v_add_f64 v[3:4], v[3:4], v[57:58]
	s_andn2_b32 exec_lo, exec_lo, s4
	s_cbranch_execnz .LBB23_364
; %bb.365:
	s_or_b32 exec_lo, exec_lo, s4
.LBB23_366:
	s_or_b32 exec_lo, exec_lo, s8
	v_mov_b32_e32 v0, 0
	s_movk_i32 s33, 0x178
	s_or_b32 s5, s5, exec_lo
	ds_read_b128 v[53:56], v0 offset:368
	s_waitcnt lgkmcnt(0)
	v_mul_f64 v[57:58], v[3:4], v[55:56]
	v_mul_f64 v[55:56], v[1:2], v[55:56]
	v_fma_f64 v[57:58], v[1:2], v[53:54], -v[57:58]
	v_fma_f64 v[1:2], v[3:4], v[53:54], v[55:56]
	buffer_store_dword v58, off, s[0:3], 0 offset:372
	buffer_store_dword v57, off, s[0:3], 0 offset:368
.LBB23_367:
	s_or_b32 exec_lo, exec_lo, s6
.LBB23_368:
	s_and_saveexec_b32 s4, s5
	s_cbranch_execz .LBB23_370
; %bb.369:
	v_mov_b32_e32 v0, s33
	buffer_store_dword v2, v0, s[0:3], 0 offen offset:4
	buffer_store_dword v1, v0, s[0:3], 0 offen
.LBB23_370:
	s_or_b32 exec_lo, exec_lo, s4
	v_mov_b32_e32 v3, s30
	v_mov_b32_e32 v60, s27
	;; [unrolled: 1-line block ×6, first 2 shown]
	s_clause 0x1b
	buffer_load_dword v0, v3, s[0:3], 0 offen
	buffer_load_dword v1, v3, s[0:3], 0 offen offset:4
	buffer_load_dword v2, v3, s[0:3], 0 offen offset:8
	buffer_load_dword v3, v3, s[0:3], 0 offen offset:12
	buffer_load_dword v53, v56, s[0:3], 0 offen
	buffer_load_dword v54, v56, s[0:3], 0 offen offset:4
	buffer_load_dword v55, v56, s[0:3], 0 offen offset:8
	buffer_load_dword v56, v56, s[0:3], 0 offen offset:12
	;; [unrolled: 4-line block ×6, first 2 shown]
	buffer_load_dword v73, off, s[0:3], 0
	buffer_load_dword v74, off, s[0:3], 0 offset:4
	buffer_load_dword v75, off, s[0:3], 0 offset:8
	buffer_load_dword v76, off, s[0:3], 0 offset:12
	v_mov_b32_e32 v4, s24
	v_mov_b32_e32 v82, s11
	;; [unrolled: 1-line block ×6, first 2 shown]
	s_waitcnt vmcnt(0)
	global_store_dwordx4 v[35:36], v[73:76], off
	s_clause 0x3
	buffer_load_dword v73, v4, s[0:3], 0 offen
	buffer_load_dword v74, v4, s[0:3], 0 offen offset:4
	buffer_load_dword v75, v4, s[0:3], 0 offen offset:8
	;; [unrolled: 1-line block ×3, first 2 shown]
	v_mov_b32_e32 v4, s23
	v_mov_b32_e32 v35, s22
	global_store_dwordx4 v[25:26], v[69:72], off
	s_clause 0x7
	buffer_load_dword v69, v4, s[0:3], 0 offen
	buffer_load_dword v70, v4, s[0:3], 0 offen offset:4
	buffer_load_dword v71, v4, s[0:3], 0 offen offset:8
	;; [unrolled: 1-line block ×3, first 2 shown]
	buffer_load_dword v77, v35, s[0:3], 0 offen
	buffer_load_dword v78, v35, s[0:3], 0 offen offset:4
	buffer_load_dword v79, v35, s[0:3], 0 offen offset:8
	;; [unrolled: 1-line block ×3, first 2 shown]
	global_store_dwordx4 v[27:28], v[0:3], off
	v_mov_b32_e32 v3, s21
	v_mov_b32_e32 v4, s20
	s_clause 0x3
	buffer_load_dword v0, v3, s[0:3], 0 offen
	buffer_load_dword v1, v3, s[0:3], 0 offen offset:4
	buffer_load_dword v2, v3, s[0:3], 0 offen offset:8
	;; [unrolled: 1-line block ×3, first 2 shown]
	global_store_dwordx4 v[31:32], v[53:56], off
	s_clause 0x3
	buffer_load_dword v25, v4, s[0:3], 0 offen
	buffer_load_dword v26, v4, s[0:3], 0 offen offset:4
	buffer_load_dword v27, v4, s[0:3], 0 offen offset:8
	;; [unrolled: 1-line block ×3, first 2 shown]
	v_mov_b32_e32 v4, s19
	v_mov_b32_e32 v32, s17
	global_store_dwordx4 v[23:24], v[57:60], off
	v_mov_b32_e32 v23, s15
	v_mov_b32_e32 v36, s13
	;; [unrolled: 1-line block ×3, first 2 shown]
	global_store_dwordx4 v[11:12], v[61:64], off
	global_store_dwordx4 v[9:10], v[65:68], off
	v_mov_b32_e32 v35, s16
	s_clause 0x7
	buffer_load_dword v9, v4, s[0:3], 0 offen
	buffer_load_dword v10, v4, s[0:3], 0 offen offset:4
	buffer_load_dword v11, v4, s[0:3], 0 offen offset:8
	;; [unrolled: 1-line block ×3, first 2 shown]
	buffer_load_dword v53, v31, s[0:3], 0 offen
	buffer_load_dword v54, v31, s[0:3], 0 offen offset:4
	buffer_load_dword v55, v31, s[0:3], 0 offen offset:8
	;; [unrolled: 1-line block ×3, first 2 shown]
	v_mov_b32_e32 v24, s14
	s_waitcnt vmcnt(24)
	global_store_dwordx4 v[7:8], v[73:76], off
	s_clause 0x7
	buffer_load_dword v57, v32, s[0:3], 0 offen
	buffer_load_dword v58, v32, s[0:3], 0 offen offset:4
	buffer_load_dword v59, v32, s[0:3], 0 offen offset:8
	buffer_load_dword v60, v32, s[0:3], 0 offen offset:12
	buffer_load_dword v61, v35, s[0:3], 0 offen
	buffer_load_dword v62, v35, s[0:3], 0 offen offset:4
	buffer_load_dword v63, v35, s[0:3], 0 offen offset:8
	buffer_load_dword v64, v35, s[0:3], 0 offen offset:12
	s_waitcnt vmcnt(28)
	global_store_dwordx4 v[13:14], v[69:72], off
	s_clause 0x7
	buffer_load_dword v65, v23, s[0:3], 0 offen
	buffer_load_dword v66, v23, s[0:3], 0 offen offset:4
	buffer_load_dword v67, v23, s[0:3], 0 offen offset:8
	buffer_load_dword v68, v23, s[0:3], 0 offen offset:12
	buffer_load_dword v69, v24, s[0:3], 0 offen
	buffer_load_dword v70, v24, s[0:3], 0 offen offset:4
	buffer_load_dword v71, v24, s[0:3], 0 offen offset:8
	buffer_load_dword v72, v24, s[0:3], 0 offen offset:12
	;; [unrolled: 11-line block ×5, first 2 shown]
	s_waitcnt vmcnt(44)
	global_store_dwordx4 v[19:20], v[9:12], off
	s_waitcnt vmcnt(40)
	global_store_dwordx4 v[29:30], v[53:56], off
	;; [unrolled: 2-line block ×12, first 2 shown]
.LBB23_371:
	s_endpgm
	.section	.rodata,"a",@progbits
	.p2align	6, 0x0
	.amdhsa_kernel _ZN9rocsolver6v33100L18trti2_kernel_smallILi24E19rocblas_complex_numIdEPS3_EEv13rocblas_fill_17rocblas_diagonal_T1_iil
		.amdhsa_group_segment_fixed_size 768
		.amdhsa_private_segment_fixed_size 400
		.amdhsa_kernarg_size 32
		.amdhsa_user_sgpr_count 6
		.amdhsa_user_sgpr_private_segment_buffer 1
		.amdhsa_user_sgpr_dispatch_ptr 0
		.amdhsa_user_sgpr_queue_ptr 0
		.amdhsa_user_sgpr_kernarg_segment_ptr 1
		.amdhsa_user_sgpr_dispatch_id 0
		.amdhsa_user_sgpr_flat_scratch_init 0
		.amdhsa_user_sgpr_private_segment_size 0
		.amdhsa_wavefront_size32 1
		.amdhsa_uses_dynamic_stack 0
		.amdhsa_system_sgpr_private_segment_wavefront_offset 1
		.amdhsa_system_sgpr_workgroup_id_x 1
		.amdhsa_system_sgpr_workgroup_id_y 0
		.amdhsa_system_sgpr_workgroup_id_z 0
		.amdhsa_system_sgpr_workgroup_info 0
		.amdhsa_system_vgpr_workitem_id 0
		.amdhsa_next_free_vgpr 86
		.amdhsa_next_free_sgpr 41
		.amdhsa_reserve_vcc 1
		.amdhsa_reserve_flat_scratch 0
		.amdhsa_float_round_mode_32 0
		.amdhsa_float_round_mode_16_64 0
		.amdhsa_float_denorm_mode_32 3
		.amdhsa_float_denorm_mode_16_64 3
		.amdhsa_dx10_clamp 1
		.amdhsa_ieee_mode 1
		.amdhsa_fp16_overflow 0
		.amdhsa_workgroup_processor_mode 1
		.amdhsa_memory_ordered 1
		.amdhsa_forward_progress 1
		.amdhsa_shared_vgpr_count 0
		.amdhsa_exception_fp_ieee_invalid_op 0
		.amdhsa_exception_fp_denorm_src 0
		.amdhsa_exception_fp_ieee_div_zero 0
		.amdhsa_exception_fp_ieee_overflow 0
		.amdhsa_exception_fp_ieee_underflow 0
		.amdhsa_exception_fp_ieee_inexact 0
		.amdhsa_exception_int_div_zero 0
	.end_amdhsa_kernel
	.section	.text._ZN9rocsolver6v33100L18trti2_kernel_smallILi24E19rocblas_complex_numIdEPS3_EEv13rocblas_fill_17rocblas_diagonal_T1_iil,"axG",@progbits,_ZN9rocsolver6v33100L18trti2_kernel_smallILi24E19rocblas_complex_numIdEPS3_EEv13rocblas_fill_17rocblas_diagonal_T1_iil,comdat
.Lfunc_end23:
	.size	_ZN9rocsolver6v33100L18trti2_kernel_smallILi24E19rocblas_complex_numIdEPS3_EEv13rocblas_fill_17rocblas_diagonal_T1_iil, .Lfunc_end23-_ZN9rocsolver6v33100L18trti2_kernel_smallILi24E19rocblas_complex_numIdEPS3_EEv13rocblas_fill_17rocblas_diagonal_T1_iil
                                        ; -- End function
	.set _ZN9rocsolver6v33100L18trti2_kernel_smallILi24E19rocblas_complex_numIdEPS3_EEv13rocblas_fill_17rocblas_diagonal_T1_iil.num_vgpr, 86
	.set _ZN9rocsolver6v33100L18trti2_kernel_smallILi24E19rocblas_complex_numIdEPS3_EEv13rocblas_fill_17rocblas_diagonal_T1_iil.num_agpr, 0
	.set _ZN9rocsolver6v33100L18trti2_kernel_smallILi24E19rocblas_complex_numIdEPS3_EEv13rocblas_fill_17rocblas_diagonal_T1_iil.numbered_sgpr, 41
	.set _ZN9rocsolver6v33100L18trti2_kernel_smallILi24E19rocblas_complex_numIdEPS3_EEv13rocblas_fill_17rocblas_diagonal_T1_iil.num_named_barrier, 0
	.set _ZN9rocsolver6v33100L18trti2_kernel_smallILi24E19rocblas_complex_numIdEPS3_EEv13rocblas_fill_17rocblas_diagonal_T1_iil.private_seg_size, 400
	.set _ZN9rocsolver6v33100L18trti2_kernel_smallILi24E19rocblas_complex_numIdEPS3_EEv13rocblas_fill_17rocblas_diagonal_T1_iil.uses_vcc, 1
	.set _ZN9rocsolver6v33100L18trti2_kernel_smallILi24E19rocblas_complex_numIdEPS3_EEv13rocblas_fill_17rocblas_diagonal_T1_iil.uses_flat_scratch, 0
	.set _ZN9rocsolver6v33100L18trti2_kernel_smallILi24E19rocblas_complex_numIdEPS3_EEv13rocblas_fill_17rocblas_diagonal_T1_iil.has_dyn_sized_stack, 0
	.set _ZN9rocsolver6v33100L18trti2_kernel_smallILi24E19rocblas_complex_numIdEPS3_EEv13rocblas_fill_17rocblas_diagonal_T1_iil.has_recursion, 0
	.set _ZN9rocsolver6v33100L18trti2_kernel_smallILi24E19rocblas_complex_numIdEPS3_EEv13rocblas_fill_17rocblas_diagonal_T1_iil.has_indirect_call, 0
	.section	.AMDGPU.csdata,"",@progbits
; Kernel info:
; codeLenInByte = 24008
; TotalNumSgprs: 43
; NumVgprs: 86
; ScratchSize: 400
; MemoryBound: 0
; FloatMode: 240
; IeeeMode: 1
; LDSByteSize: 768 bytes/workgroup (compile time only)
; SGPRBlocks: 0
; VGPRBlocks: 10
; NumSGPRsForWavesPerEU: 43
; NumVGPRsForWavesPerEU: 86
; Occupancy: 10
; WaveLimiterHint : 0
; COMPUTE_PGM_RSRC2:SCRATCH_EN: 1
; COMPUTE_PGM_RSRC2:USER_SGPR: 6
; COMPUTE_PGM_RSRC2:TRAP_HANDLER: 0
; COMPUTE_PGM_RSRC2:TGID_X_EN: 1
; COMPUTE_PGM_RSRC2:TGID_Y_EN: 0
; COMPUTE_PGM_RSRC2:TGID_Z_EN: 0
; COMPUTE_PGM_RSRC2:TIDIG_COMP_CNT: 0
	.section	.text._ZN9rocsolver6v33100L18trti2_kernel_smallILi25E19rocblas_complex_numIdEPS3_EEv13rocblas_fill_17rocblas_diagonal_T1_iil,"axG",@progbits,_ZN9rocsolver6v33100L18trti2_kernel_smallILi25E19rocblas_complex_numIdEPS3_EEv13rocblas_fill_17rocblas_diagonal_T1_iil,comdat
	.globl	_ZN9rocsolver6v33100L18trti2_kernel_smallILi25E19rocblas_complex_numIdEPS3_EEv13rocblas_fill_17rocblas_diagonal_T1_iil ; -- Begin function _ZN9rocsolver6v33100L18trti2_kernel_smallILi25E19rocblas_complex_numIdEPS3_EEv13rocblas_fill_17rocblas_diagonal_T1_iil
	.p2align	8
	.type	_ZN9rocsolver6v33100L18trti2_kernel_smallILi25E19rocblas_complex_numIdEPS3_EEv13rocblas_fill_17rocblas_diagonal_T1_iil,@function
_ZN9rocsolver6v33100L18trti2_kernel_smallILi25E19rocblas_complex_numIdEPS3_EEv13rocblas_fill_17rocblas_diagonal_T1_iil: ; @_ZN9rocsolver6v33100L18trti2_kernel_smallILi25E19rocblas_complex_numIdEPS3_EEv13rocblas_fill_17rocblas_diagonal_T1_iil
; %bb.0:
	s_add_u32 s0, s0, s7
	s_addc_u32 s1, s1, 0
	s_mov_b32 s7, exec_lo
	v_cmpx_gt_u32_e32 25, v0
	s_cbranch_execz .LBB24_387
; %bb.1:
	s_load_dwordx8 s[8:15], s[4:5], 0x0
	s_ashr_i32 s4, s6, 31
	v_lshlrev_b32_e32 v61, 4, v0
	s_movk_i32 s16, 0xf0
	s_movk_i32 s33, 0x100
	;; [unrolled: 1-line block ×10, first 2 shown]
	s_waitcnt lgkmcnt(0)
	s_mul_hi_u32 s5, s14, s6
	s_mul_i32 s4, s14, s4
	s_mul_i32 s7, s15, s6
	s_add_i32 s5, s5, s4
	s_mul_i32 s4, s14, s6
	s_add_i32 s5, s5, s7
	s_ashr_i32 s7, s12, 31
	s_lshl_b64 s[4:5], s[4:5], 4
	s_mov_b32 s6, s12
	s_add_u32 s10, s10, s4
	s_addc_u32 s11, s11, s5
	s_lshl_b64 s[4:5], s[6:7], 4
	v_add3_u32 v5, s13, s13, v0
	s_add_u32 s4, s10, s4
	s_addc_u32 s5, s11, s5
	v_add_co_u32 v9, s10, s4, v61
	global_load_dwordx4 v[1:4], v61, s[4:5]
	v_ashrrev_i32_e32 v6, 31, v5
	v_add_nc_u32_e32 v7, s13, v5
	s_mov_b32 s6, s13
	s_ashr_i32 s7, s13, 31
	v_add_co_ci_u32_e64 v10, null, s5, 0, s10
	v_lshlrev_b64 v[5:6], 4, v[5:6]
	v_add_nc_u32_e32 v13, s13, v7
	v_ashrrev_i32_e32 v8, 31, v7
	s_lshl_b64 s[6:7], s[6:7], 4
	s_cmpk_lg_i32 s9, 0x84
	s_movk_i32 s10, 0x90
	v_ashrrev_i32_e32 v14, 31, v13
	v_add_nc_u32_e32 v15, s13, v13
	v_add_co_u32 v5, vcc_lo, s4, v5
	v_add_co_ci_u32_e64 v6, null, s5, v6, vcc_lo
	v_add_co_u32 v11, vcc_lo, v9, s6
	v_lshlrev_b64 v[7:8], 4, v[7:8]
	v_add_co_ci_u32_e64 v12, null, s7, v10, vcc_lo
	v_lshlrev_b64 v[13:14], 4, v[13:14]
	v_add_nc_u32_e32 v17, s13, v15
	v_ashrrev_i32_e32 v16, 31, v15
	v_add_co_u32 v7, vcc_lo, s4, v7
	s_clause 0x1
	global_load_dwordx4 v[55:58], v[11:12], off
	global_load_dwordx4 v[62:65], v[5:6], off
	v_ashrrev_i32_e32 v18, 31, v17
	v_add_co_ci_u32_e64 v8, null, s5, v8, vcc_lo
	v_lshlrev_b64 v[15:16], 4, v[15:16]
	v_add_co_u32 v53, vcc_lo, s4, v13
	v_add_co_ci_u32_e64 v54, null, s5, v14, vcc_lo
	v_lshlrev_b64 v[13:14], 4, v[17:18]
	v_add_co_u32 v51, vcc_lo, s4, v15
	s_clause 0x1
	global_load_dwordx4 v[66:69], v[7:8], off
	global_load_dwordx4 v[70:73], v[53:54], off
	v_add_co_ci_u32_e64 v52, null, s5, v16, vcc_lo
	v_add_co_u32 v49, vcc_lo, s4, v13
	v_add_co_ci_u32_e64 v50, null, s5, v14, vcc_lo
	global_load_dwordx4 v[74:77], v[51:52], off
	v_add_nc_u32_e32 v19, s13, v17
	s_movk_i32 s6, 0x70
	s_movk_i32 s7, 0x80
	;; [unrolled: 1-line block ×4, first 2 shown]
	v_ashrrev_i32_e32 v20, 31, v19
	v_add_nc_u32_e32 v17, s13, v19
	s_movk_i32 s14, 0xd0
	s_movk_i32 s15, 0xe0
	s_cselect_b32 s31, -1, 0
	v_lshlrev_b64 v[15:16], 4, v[19:20]
	v_ashrrev_i32_e32 v18, 31, v17
	v_add_nc_u32_e32 v19, s13, v17
	s_cmpk_eq_i32 s9, 0x84
	s_waitcnt vmcnt(5)
	buffer_store_dword v4, off, s[0:3], 0 offset:12
	buffer_store_dword v3, off, s[0:3], 0 offset:8
	;; [unrolled: 1-line block ×3, first 2 shown]
	buffer_store_dword v1, off, s[0:3], 0
	global_load_dwordx4 v[1:4], v[49:50], off
	v_lshlrev_b64 v[13:14], 4, v[17:18]
	v_ashrrev_i32_e32 v20, 31, v19
	v_add_nc_u32_e32 v17, s13, v19
	v_add_co_u32 v33, vcc_lo, s4, v15
	v_add_co_ci_u32_e64 v34, null, s5, v16, vcc_lo
	v_lshlrev_b64 v[15:16], 4, v[19:20]
	v_ashrrev_i32_e32 v18, 31, v17
	v_add_nc_u32_e32 v19, s13, v17
	v_add_co_u32 v29, vcc_lo, s4, v13
	v_add_co_ci_u32_e64 v30, null, s5, v14, vcc_lo
	v_lshlrev_b64 v[13:14], 4, v[17:18]
	v_add_nc_u32_e32 v17, s13, v19
	v_ashrrev_i32_e32 v20, 31, v19
	s_waitcnt vmcnt(5)
	buffer_store_dword v58, off, s[0:3], 0 offset:28
	buffer_store_dword v57, off, s[0:3], 0 offset:24
	;; [unrolled: 1-line block ×4, first 2 shown]
	global_load_dwordx4 v[55:58], v[33:34], off
	v_add_co_u32 v25, vcc_lo, s4, v15
	v_ashrrev_i32_e32 v18, 31, v17
	v_add_co_ci_u32_e64 v26, null, s5, v16, vcc_lo
	v_lshlrev_b64 v[15:16], 4, v[19:20]
	s_waitcnt vmcnt(5)
	buffer_store_dword v65, off, s[0:3], 0 offset:44
	buffer_store_dword v64, off, s[0:3], 0 offset:40
	;; [unrolled: 1-line block ×4, first 2 shown]
	global_load_dwordx4 v[62:65], v[29:30], off
	v_add_co_u32 v21, vcc_lo, s4, v13
	v_add_co_ci_u32_e64 v22, null, s5, v14, vcc_lo
	v_lshlrev_b64 v[13:14], 4, v[17:18]
	s_waitcnt vmcnt(5)
	buffer_store_dword v69, off, s[0:3], 0 offset:60
	buffer_store_dword v68, off, s[0:3], 0 offset:56
	;; [unrolled: 1-line block ×4, first 2 shown]
	global_load_dwordx4 v[66:69], v[25:26], off
	v_add_nc_u32_e32 v19, s13, v17
	v_add_co_u32 v17, vcc_lo, s4, v15
	v_add_co_ci_u32_e64 v18, null, s5, v16, vcc_lo
	s_waitcnt vmcnt(5)
	buffer_store_dword v73, off, s[0:3], 0 offset:76
	buffer_store_dword v72, off, s[0:3], 0 offset:72
	;; [unrolled: 1-line block ×4, first 2 shown]
	global_load_dwordx4 v[70:73], v[21:22], off
	v_add_co_u32 v13, vcc_lo, s4, v13
	v_add_co_ci_u32_e64 v14, null, s5, v14, vcc_lo
	s_waitcnt vmcnt(5)
	buffer_store_dword v77, off, s[0:3], 0 offset:92
	buffer_store_dword v76, off, s[0:3], 0 offset:88
	;; [unrolled: 1-line block ×4, first 2 shown]
	global_load_dwordx4 v[74:77], v[17:18], off
	v_ashrrev_i32_e32 v20, 31, v19
	v_add_nc_u32_e32 v23, s13, v19
	s_waitcnt vmcnt(5)
	buffer_store_dword v4, off, s[0:3], 0 offset:108
	buffer_store_dword v3, off, s[0:3], 0 offset:104
	;; [unrolled: 1-line block ×4, first 2 shown]
	global_load_dwordx4 v[1:4], v[13:14], off
	v_lshlrev_b64 v[15:16], 4, v[19:20]
	v_add_nc_u32_e32 v19, s13, v23
	v_ashrrev_i32_e32 v24, 31, v23
	s_waitcnt vmcnt(5)
	buffer_store_dword v58, off, s[0:3], 0 offset:124
	buffer_store_dword v57, off, s[0:3], 0 offset:120
	;; [unrolled: 1-line block ×4, first 2 shown]
	v_add_nc_u32_e32 v27, s13, v19
	v_ashrrev_i32_e32 v20, 31, v19
	v_lshlrev_b64 v[23:24], 4, v[23:24]
	v_add_co_u32 v15, vcc_lo, s4, v15
	v_add_nc_u32_e32 v35, s13, v27
	v_ashrrev_i32_e32 v28, 31, v27
	v_add_co_ci_u32_e64 v16, null, s5, v16, vcc_lo
	v_lshlrev_b64 v[31:32], 4, v[19:20]
	v_add_co_u32 v19, vcc_lo, s4, v23
	v_add_nc_u32_e32 v37, s13, v35
	v_ashrrev_i32_e32 v36, 31, v35
	v_add_co_ci_u32_e64 v20, null, s5, v24, vcc_lo
	v_lshlrev_b64 v[27:28], 4, v[27:28]
	global_load_dwordx4 v[55:58], v[15:16], off
	v_add_co_u32 v23, vcc_lo, s4, v31
	v_ashrrev_i32_e32 v38, 31, v37
	v_add_co_ci_u32_e64 v24, null, s5, v32, vcc_lo
	v_lshlrev_b64 v[31:32], 4, v[35:36]
	v_add_nc_u32_e32 v35, s13, v37
	s_waitcnt vmcnt(5)
	buffer_store_dword v65, off, s[0:3], 0 offset:140
	buffer_store_dword v64, off, s[0:3], 0 offset:136
	;; [unrolled: 1-line block ×4, first 2 shown]
	global_load_dwordx4 v[62:65], v[19:20], off
	v_add_co_u32 v27, vcc_lo, s4, v27
	v_add_co_ci_u32_e64 v28, null, s5, v28, vcc_lo
	v_lshlrev_b64 v[37:38], 4, v[37:38]
	s_waitcnt vmcnt(5)
	buffer_store_dword v66, off, s[0:3], 0 offset:144
	buffer_store_dword v67, off, s[0:3], 0 offset:148
	;; [unrolled: 1-line block ×4, first 2 shown]
	v_ashrrev_i32_e32 v36, 31, v35
	global_load_dwordx4 v[66:69], v[23:24], off
	v_add_co_u32 v31, vcc_lo, s4, v31
	v_add_co_ci_u32_e64 v32, null, s5, v32, vcc_lo
	s_waitcnt vmcnt(5)
	buffer_store_dword v70, off, s[0:3], 0 offset:160
	buffer_store_dword v71, off, s[0:3], 0 offset:164
	;; [unrolled: 1-line block ×4, first 2 shown]
	global_load_dwordx4 v[70:73], v[27:28], off
	v_add_nc_u32_e32 v39, s13, v35
	v_lshlrev_b64 v[41:42], 4, v[35:36]
	v_add_co_u32 v35, vcc_lo, s4, v37
	v_add_co_ci_u32_e64 v36, null, s5, v38, vcc_lo
	s_waitcnt vmcnt(5)
	buffer_store_dword v74, off, s[0:3], 0 offset:176
	buffer_store_dword v75, off, s[0:3], 0 offset:180
	;; [unrolled: 1-line block ×4, first 2 shown]
	global_load_dwordx4 v[74:77], v[31:32], off
	v_add_nc_u32_e32 v43, s13, v39
	v_ashrrev_i32_e32 v40, 31, v39
	v_add_co_u32 v37, vcc_lo, s4, v41
	v_add_co_ci_u32_e64 v38, null, s5, v42, vcc_lo
	v_ashrrev_i32_e32 v44, 31, v43
	v_add_nc_u32_e32 v45, s13, v43
	v_lshlrev_b64 v[39:40], 4, v[39:40]
	s_waitcnt vmcnt(5)
	buffer_store_dword v4, off, s[0:3], 0 offset:204
	buffer_store_dword v3, off, s[0:3], 0 offset:200
	;; [unrolled: 1-line block ×4, first 2 shown]
	global_load_dwordx4 v[1:4], v[35:36], off
	v_lshlrev_b64 v[41:42], 4, v[43:44]
	v_add_nc_u32_e32 v43, s13, v45
	v_ashrrev_i32_e32 v46, 31, v45
	v_add_co_u32 v39, vcc_lo, s4, v39
	v_add_co_ci_u32_e64 v40, null, s5, v40, vcc_lo
	v_add_nc_u32_e32 v47, s13, v43
	v_ashrrev_i32_e32 v44, 31, v43
	v_lshlrev_b64 v[45:46], 4, v[45:46]
	s_waitcnt vmcnt(5)
	buffer_store_dword v58, off, s[0:3], 0 offset:220
	buffer_store_dword v57, off, s[0:3], 0 offset:216
	;; [unrolled: 1-line block ×4, first 2 shown]
	s_waitcnt vmcnt(4)
	buffer_store_dword v65, off, s[0:3], 0 offset:236
	buffer_store_dword v64, off, s[0:3], 0 offset:232
	;; [unrolled: 1-line block ×4, first 2 shown]
	s_clause 0x1
	global_load_dwordx4 v[55:58], v[37:38], off
	global_load_dwordx4 v[62:65], v[39:40], off
	v_add_co_u32 v41, vcc_lo, s4, v41
	v_ashrrev_i32_e32 v48, 31, v47
	v_add_co_ci_u32_e64 v42, null, s5, v42, vcc_lo
	v_lshlrev_b64 v[43:44], 4, v[43:44]
	v_add_co_u32 v45, vcc_lo, s4, v45
	v_add_co_ci_u32_e64 v46, null, s5, v46, vcc_lo
	v_lshlrev_b64 v[59:60], 4, v[47:48]
	s_waitcnt vmcnt(5)
	buffer_store_dword v69, off, s[0:3], 0 offset:252
	buffer_store_dword v68, off, s[0:3], 0 offset:248
	;; [unrolled: 1-line block ×4, first 2 shown]
	global_load_dwordx4 v[66:69], v[41:42], off
	v_add_co_u32 v47, vcc_lo, s4, v43
	v_add_co_ci_u32_e64 v48, null, s5, v44, vcc_lo
	s_waitcnt vmcnt(5)
	buffer_store_dword v73, off, s[0:3], 0 offset:268
	buffer_store_dword v72, off, s[0:3], 0 offset:264
	;; [unrolled: 1-line block ×4, first 2 shown]
	global_load_dwordx4 v[70:73], v[45:46], off
	v_add_co_u32 v43, vcc_lo, s4, v59
	v_add_co_ci_u32_e64 v44, null, s5, v60, vcc_lo
	s_waitcnt vmcnt(5)
	buffer_store_dword v77, off, s[0:3], 0 offset:284
	buffer_store_dword v76, off, s[0:3], 0 offset:280
	buffer_store_dword v75, off, s[0:3], 0 offset:276
	buffer_store_dword v74, off, s[0:3], 0 offset:272
	global_load_dwordx4 v[74:77], v[47:48], off
	s_movk_i32 s4, 0x50
	s_movk_i32 s5, 0x60
	;; [unrolled: 1-line block ×3, first 2 shown]
	s_waitcnt vmcnt(5)
	buffer_store_dword v4, off, s[0:3], 0 offset:300
	buffer_store_dword v3, off, s[0:3], 0 offset:296
	;; [unrolled: 1-line block ×4, first 2 shown]
	global_load_dwordx4 v[1:4], v[43:44], off
	s_waitcnt vmcnt(5)
	buffer_store_dword v58, off, s[0:3], 0 offset:316
	buffer_store_dword v57, off, s[0:3], 0 offset:312
	buffer_store_dword v56, off, s[0:3], 0 offset:308
	buffer_store_dword v55, off, s[0:3], 0 offset:304
	s_waitcnt vmcnt(4)
	buffer_store_dword v65, off, s[0:3], 0 offset:332
	buffer_store_dword v64, off, s[0:3], 0 offset:328
	buffer_store_dword v63, off, s[0:3], 0 offset:324
	buffer_store_dword v62, off, s[0:3], 0 offset:320
	;; [unrolled: 5-line block ×6, first 2 shown]
	s_cbranch_scc1 .LBB24_7
; %bb.2:
	v_lshl_add_u32 v62, v0, 4, 0
                                        ; implicit-def: $vgpr57_vgpr58
                                        ; implicit-def: $vgpr3_vgpr4
	s_clause 0x3
	buffer_load_dword v55, v62, s[0:3], 0 offen
	buffer_load_dword v56, v62, s[0:3], 0 offen offset:4
	buffer_load_dword v59, v62, s[0:3], 0 offen offset:8
	;; [unrolled: 1-line block ×3, first 2 shown]
	s_waitcnt vmcnt(0)
	v_cmp_ngt_f64_e64 s9, |v[55:56]|, |v[59:60]|
	s_and_saveexec_b32 s17, s9
	s_xor_b32 s9, exec_lo, s17
	s_cbranch_execz .LBB24_4
; %bb.3:
	v_div_scale_f64 v[1:2], null, v[59:60], v[59:60], v[55:56]
	v_div_scale_f64 v[63:64], vcc_lo, v[55:56], v[59:60], v[55:56]
	v_rcp_f64_e32 v[3:4], v[1:2]
	v_fma_f64 v[57:58], -v[1:2], v[3:4], 1.0
	v_fma_f64 v[3:4], v[3:4], v[57:58], v[3:4]
	v_fma_f64 v[57:58], -v[1:2], v[3:4], 1.0
	v_fma_f64 v[3:4], v[3:4], v[57:58], v[3:4]
	v_mul_f64 v[57:58], v[63:64], v[3:4]
	v_fma_f64 v[1:2], -v[1:2], v[57:58], v[63:64]
	v_div_fmas_f64 v[1:2], v[1:2], v[3:4], v[57:58]
	v_div_fixup_f64 v[1:2], v[1:2], v[59:60], v[55:56]
	v_fma_f64 v[3:4], v[55:56], v[1:2], v[59:60]
	v_div_scale_f64 v[55:56], null, v[3:4], v[3:4], 1.0
	v_div_scale_f64 v[63:64], vcc_lo, 1.0, v[3:4], 1.0
	v_rcp_f64_e32 v[57:58], v[55:56]
	v_fma_f64 v[59:60], -v[55:56], v[57:58], 1.0
	v_fma_f64 v[57:58], v[57:58], v[59:60], v[57:58]
	v_fma_f64 v[59:60], -v[55:56], v[57:58], 1.0
	v_fma_f64 v[57:58], v[57:58], v[59:60], v[57:58]
	v_mul_f64 v[59:60], v[63:64], v[57:58]
	v_fma_f64 v[55:56], -v[55:56], v[59:60], v[63:64]
	v_div_fmas_f64 v[55:56], v[55:56], v[57:58], v[59:60]
                                        ; implicit-def: $vgpr59_vgpr60
	v_div_fixup_f64 v[3:4], v[55:56], v[3:4], 1.0
                                        ; implicit-def: $vgpr55_vgpr56
	v_mul_f64 v[57:58], v[1:2], v[3:4]
	v_xor_b32_e32 v4, 0x80000000, v4
	v_xor_b32_e32 v2, 0x80000000, v58
	v_mov_b32_e32 v1, v57
.LBB24_4:
	s_andn2_saveexec_b32 s9, s9
	s_cbranch_execz .LBB24_6
; %bb.5:
	v_div_scale_f64 v[1:2], null, v[55:56], v[55:56], v[59:60]
	v_div_scale_f64 v[63:64], vcc_lo, v[59:60], v[55:56], v[59:60]
	v_rcp_f64_e32 v[3:4], v[1:2]
	v_fma_f64 v[57:58], -v[1:2], v[3:4], 1.0
	v_fma_f64 v[3:4], v[3:4], v[57:58], v[3:4]
	v_fma_f64 v[57:58], -v[1:2], v[3:4], 1.0
	v_fma_f64 v[3:4], v[3:4], v[57:58], v[3:4]
	v_mul_f64 v[57:58], v[63:64], v[3:4]
	v_fma_f64 v[1:2], -v[1:2], v[57:58], v[63:64]
	v_div_fmas_f64 v[1:2], v[1:2], v[3:4], v[57:58]
	v_div_fixup_f64 v[1:2], v[1:2], v[55:56], v[59:60]
	v_fma_f64 v[3:4], v[59:60], v[1:2], v[55:56]
	v_div_scale_f64 v[55:56], null, v[3:4], v[3:4], 1.0
	v_rcp_f64_e32 v[57:58], v[55:56]
	v_fma_f64 v[59:60], -v[55:56], v[57:58], 1.0
	v_fma_f64 v[57:58], v[57:58], v[59:60], v[57:58]
	v_fma_f64 v[59:60], -v[55:56], v[57:58], 1.0
	v_fma_f64 v[57:58], v[57:58], v[59:60], v[57:58]
	v_div_scale_f64 v[59:60], vcc_lo, 1.0, v[3:4], 1.0
	v_mul_f64 v[63:64], v[59:60], v[57:58]
	v_fma_f64 v[55:56], -v[55:56], v[63:64], v[59:60]
	v_div_fmas_f64 v[55:56], v[55:56], v[57:58], v[63:64]
	v_div_fixup_f64 v[57:58], v[55:56], v[3:4], 1.0
	v_mul_f64 v[3:4], v[1:2], -v[57:58]
	v_xor_b32_e32 v2, 0x80000000, v58
	v_mov_b32_e32 v1, v57
.LBB24_6:
	s_or_b32 exec_lo, exec_lo, s9
	buffer_store_dword v4, v62, s[0:3], 0 offen offset:12
	v_xor_b32_e32 v4, 0x80000000, v4
	buffer_store_dword v58, v62, s[0:3], 0 offen offset:4
	buffer_store_dword v57, v62, s[0:3], 0 offen
	buffer_store_dword v3, v62, s[0:3], 0 offen offset:8
	s_branch .LBB24_8
.LBB24_7:
	v_mov_b32_e32 v1, 0
	v_mov_b32_e32 v3, 0
	;; [unrolled: 1-line block ×4, first 2 shown]
.LBB24_8:
	v_add_nc_u32_e32 v56, 0x190, v61
	v_mov_b32_e32 v55, v61
	s_mov_b32 s30, 16
	s_mov_b32 s29, 32
	;; [unrolled: 1-line block ×23, first 2 shown]
	s_cmpk_eq_i32 s8, 0x79
	ds_write_b128 v61, v[1:4]
	s_cbranch_scc1 .LBB24_196
; %bb.9:
	v_mov_b32_e32 v4, s7
	v_cmp_eq_u32_e64 s4, 24, v0
	s_clause 0x3
	buffer_load_dword v1, v4, s[0:3], 0 offen
	buffer_load_dword v2, v4, s[0:3], 0 offen offset:4
	buffer_load_dword v3, v4, s[0:3], 0 offen offset:8
	;; [unrolled: 1-line block ×3, first 2 shown]
	s_waitcnt vmcnt(0)
	ds_write_b128 v56, v[1:4]
	s_waitcnt lgkmcnt(0)
	s_waitcnt_vscnt null, 0x0
	s_barrier
	buffer_gl0_inv
	s_and_saveexec_b32 s5, s4
	s_cbranch_execz .LBB24_13
; %bb.10:
	ds_read_b128 v[1:4], v56
	s_andn2_b32 vcc_lo, exec_lo, s31
	s_cbranch_vccnz .LBB24_12
; %bb.11:
	s_clause 0x3
	buffer_load_dword v57, v55, s[0:3], 0 offen offset:8
	buffer_load_dword v58, v55, s[0:3], 0 offen offset:12
	buffer_load_dword v59, v55, s[0:3], 0 offen
	buffer_load_dword v60, v55, s[0:3], 0 offen offset:4
	s_waitcnt vmcnt(2) lgkmcnt(0)
	v_mul_f64 v[62:63], v[3:4], v[57:58]
	v_mul_f64 v[57:58], v[1:2], v[57:58]
	s_waitcnt vmcnt(0)
	v_fma_f64 v[1:2], v[1:2], v[59:60], -v[62:63]
	v_fma_f64 v[3:4], v[3:4], v[59:60], v[57:58]
.LBB24_12:
	v_mov_b32_e32 v57, 0
	ds_read_b128 v[57:60], v57 offset:368
	s_waitcnt lgkmcnt(0)
	v_mul_f64 v[62:63], v[3:4], v[59:60]
	v_mul_f64 v[59:60], v[1:2], v[59:60]
	v_fma_f64 v[1:2], v[1:2], v[57:58], -v[62:63]
	v_fma_f64 v[3:4], v[3:4], v[57:58], v[59:60]
	buffer_store_dword v2, off, s[0:3], 0 offset:372
	buffer_store_dword v1, off, s[0:3], 0 offset:368
	;; [unrolled: 1-line block ×4, first 2 shown]
.LBB24_13:
	s_or_b32 exec_lo, exec_lo, s5
	v_mov_b32_e32 v4, s9
	v_cmp_lt_u32_e64 s5, 22, v0
	s_clause 0x3
	buffer_load_dword v1, v4, s[0:3], 0 offen
	buffer_load_dword v2, v4, s[0:3], 0 offen offset:4
	buffer_load_dword v3, v4, s[0:3], 0 offen offset:8
	buffer_load_dword v4, v4, s[0:3], 0 offen offset:12
	s_waitcnt vmcnt(0)
	ds_write_b128 v56, v[1:4]
	s_waitcnt lgkmcnt(0)
	s_waitcnt_vscnt null, 0x0
	s_barrier
	buffer_gl0_inv
	s_and_saveexec_b32 s8, s5
	s_cbranch_execz .LBB24_19
; %bb.14:
	ds_read_b128 v[1:4], v56
	s_andn2_b32 vcc_lo, exec_lo, s31
	s_cbranch_vccnz .LBB24_16
; %bb.15:
	s_clause 0x3
	buffer_load_dword v57, v55, s[0:3], 0 offen offset:8
	buffer_load_dword v58, v55, s[0:3], 0 offen offset:12
	buffer_load_dword v59, v55, s[0:3], 0 offen
	buffer_load_dword v60, v55, s[0:3], 0 offen offset:4
	s_waitcnt vmcnt(2) lgkmcnt(0)
	v_mul_f64 v[62:63], v[3:4], v[57:58]
	v_mul_f64 v[57:58], v[1:2], v[57:58]
	s_waitcnt vmcnt(0)
	v_fma_f64 v[1:2], v[1:2], v[59:60], -v[62:63]
	v_fma_f64 v[3:4], v[3:4], v[59:60], v[57:58]
.LBB24_16:
	s_and_saveexec_b32 s33, s4
	s_cbranch_execz .LBB24_18
; %bb.17:
	s_clause 0x3
	buffer_load_dword v62, off, s[0:3], 0 offset:376
	buffer_load_dword v63, off, s[0:3], 0 offset:380
	buffer_load_dword v64, off, s[0:3], 0 offset:368
	buffer_load_dword v65, off, s[0:3], 0 offset:372
	v_mov_b32_e32 v57, 0
	ds_read_b128 v[57:60], v57 offset:768
	s_waitcnt vmcnt(2) lgkmcnt(0)
	v_mul_f64 v[66:67], v[57:58], v[62:63]
	v_mul_f64 v[62:63], v[59:60], v[62:63]
	s_waitcnt vmcnt(0)
	v_fma_f64 v[59:60], v[59:60], v[64:65], v[66:67]
	v_fma_f64 v[57:58], v[57:58], v[64:65], -v[62:63]
	v_add_f64 v[3:4], v[3:4], v[59:60]
	v_add_f64 v[1:2], v[1:2], v[57:58]
.LBB24_18:
	s_or_b32 exec_lo, exec_lo, s33
	v_mov_b32_e32 v57, 0
	ds_read_b128 v[57:60], v57 offset:352
	s_waitcnt lgkmcnt(0)
	v_mul_f64 v[62:63], v[3:4], v[59:60]
	v_mul_f64 v[59:60], v[1:2], v[59:60]
	v_fma_f64 v[1:2], v[1:2], v[57:58], -v[62:63]
	v_fma_f64 v[3:4], v[3:4], v[57:58], v[59:60]
	buffer_store_dword v2, off, s[0:3], 0 offset:356
	buffer_store_dword v1, off, s[0:3], 0 offset:352
	;; [unrolled: 1-line block ×4, first 2 shown]
.LBB24_19:
	s_or_b32 exec_lo, exec_lo, s8
	v_mov_b32_e32 v4, s10
	v_cmp_lt_u32_e64 s4, 21, v0
	s_clause 0x3
	buffer_load_dword v1, v4, s[0:3], 0 offen
	buffer_load_dword v2, v4, s[0:3], 0 offen offset:4
	buffer_load_dword v3, v4, s[0:3], 0 offen offset:8
	;; [unrolled: 1-line block ×3, first 2 shown]
	s_waitcnt vmcnt(0)
	ds_write_b128 v56, v[1:4]
	s_waitcnt lgkmcnt(0)
	s_waitcnt_vscnt null, 0x0
	s_barrier
	buffer_gl0_inv
	s_and_saveexec_b32 s8, s4
	s_cbranch_execz .LBB24_27
; %bb.20:
	ds_read_b128 v[1:4], v56
	s_andn2_b32 vcc_lo, exec_lo, s31
	s_cbranch_vccnz .LBB24_22
; %bb.21:
	s_clause 0x3
	buffer_load_dword v57, v55, s[0:3], 0 offen offset:8
	buffer_load_dword v58, v55, s[0:3], 0 offen offset:12
	buffer_load_dword v59, v55, s[0:3], 0 offen
	buffer_load_dword v60, v55, s[0:3], 0 offen offset:4
	s_waitcnt vmcnt(2) lgkmcnt(0)
	v_mul_f64 v[62:63], v[3:4], v[57:58]
	v_mul_f64 v[57:58], v[1:2], v[57:58]
	s_waitcnt vmcnt(0)
	v_fma_f64 v[1:2], v[1:2], v[59:60], -v[62:63]
	v_fma_f64 v[3:4], v[3:4], v[59:60], v[57:58]
.LBB24_22:
	s_and_saveexec_b32 s33, s5
	s_cbranch_execz .LBB24_26
; %bb.23:
	v_subrev_nc_u32_e32 v57, 22, v0
	s_movk_i32 s34, 0x2f0
	s_mov_b32 s5, 0
	s_mov_b32 s35, s9
	.p2align	6
.LBB24_24:                              ; =>This Inner Loop Header: Depth=1
	v_mov_b32_e32 v60, s35
	v_add_nc_u32_e32 v57, -1, v57
	s_add_i32 s35, s35, 16
	s_clause 0x3
	buffer_load_dword v58, v60, s[0:3], 0 offen offset:8
	buffer_load_dword v59, v60, s[0:3], 0 offen offset:12
	buffer_load_dword v66, v60, s[0:3], 0 offen
	buffer_load_dword v67, v60, s[0:3], 0 offen offset:4
	v_mov_b32_e32 v60, s34
	v_cmp_eq_u32_e32 vcc_lo, 0, v57
	s_add_i32 s34, s34, 16
	ds_read_b128 v[62:65], v60
	s_or_b32 s5, vcc_lo, s5
	s_waitcnt vmcnt(2) lgkmcnt(0)
	v_mul_f64 v[68:69], v[64:65], v[58:59]
	v_mul_f64 v[58:59], v[62:63], v[58:59]
	s_waitcnt vmcnt(0)
	v_fma_f64 v[62:63], v[62:63], v[66:67], -v[68:69]
	v_fma_f64 v[58:59], v[64:65], v[66:67], v[58:59]
	v_add_f64 v[1:2], v[1:2], v[62:63]
	v_add_f64 v[3:4], v[3:4], v[58:59]
	s_andn2_b32 exec_lo, exec_lo, s5
	s_cbranch_execnz .LBB24_24
; %bb.25:
	s_or_b32 exec_lo, exec_lo, s5
.LBB24_26:
	s_or_b32 exec_lo, exec_lo, s33
	v_mov_b32_e32 v57, 0
	ds_read_b128 v[57:60], v57 offset:336
	s_waitcnt lgkmcnt(0)
	v_mul_f64 v[62:63], v[3:4], v[59:60]
	v_mul_f64 v[59:60], v[1:2], v[59:60]
	v_fma_f64 v[1:2], v[1:2], v[57:58], -v[62:63]
	v_fma_f64 v[3:4], v[3:4], v[57:58], v[59:60]
	buffer_store_dword v2, off, s[0:3], 0 offset:340
	buffer_store_dword v1, off, s[0:3], 0 offset:336
	;; [unrolled: 1-line block ×4, first 2 shown]
.LBB24_27:
	s_or_b32 exec_lo, exec_lo, s8
	v_mov_b32_e32 v4, s11
	v_cmp_lt_u32_e64 s5, 20, v0
	s_clause 0x3
	buffer_load_dword v1, v4, s[0:3], 0 offen
	buffer_load_dword v2, v4, s[0:3], 0 offen offset:4
	buffer_load_dword v3, v4, s[0:3], 0 offen offset:8
	;; [unrolled: 1-line block ×3, first 2 shown]
	s_waitcnt vmcnt(0)
	ds_write_b128 v56, v[1:4]
	s_waitcnt lgkmcnt(0)
	s_waitcnt_vscnt null, 0x0
	s_barrier
	buffer_gl0_inv
	s_and_saveexec_b32 s8, s5
	s_cbranch_execz .LBB24_35
; %bb.28:
	ds_read_b128 v[1:4], v56
	s_andn2_b32 vcc_lo, exec_lo, s31
	s_cbranch_vccnz .LBB24_30
; %bb.29:
	s_clause 0x3
	buffer_load_dword v57, v55, s[0:3], 0 offen offset:8
	buffer_load_dword v58, v55, s[0:3], 0 offen offset:12
	buffer_load_dword v59, v55, s[0:3], 0 offen
	buffer_load_dword v60, v55, s[0:3], 0 offen offset:4
	s_waitcnt vmcnt(2) lgkmcnt(0)
	v_mul_f64 v[62:63], v[3:4], v[57:58]
	v_mul_f64 v[57:58], v[1:2], v[57:58]
	s_waitcnt vmcnt(0)
	v_fma_f64 v[1:2], v[1:2], v[59:60], -v[62:63]
	v_fma_f64 v[3:4], v[3:4], v[59:60], v[57:58]
.LBB24_30:
	s_and_saveexec_b32 s33, s4
	s_cbranch_execz .LBB24_34
; %bb.31:
	v_subrev_nc_u32_e32 v57, 21, v0
	s_movk_i32 s34, 0x2e0
	s_mov_b32 s4, 0
	s_mov_b32 s35, s10
	.p2align	6
.LBB24_32:                              ; =>This Inner Loop Header: Depth=1
	v_mov_b32_e32 v60, s35
	v_add_nc_u32_e32 v57, -1, v57
	s_add_i32 s35, s35, 16
	s_clause 0x3
	buffer_load_dword v58, v60, s[0:3], 0 offen offset:8
	buffer_load_dword v59, v60, s[0:3], 0 offen offset:12
	buffer_load_dword v66, v60, s[0:3], 0 offen
	buffer_load_dword v67, v60, s[0:3], 0 offen offset:4
	v_mov_b32_e32 v60, s34
	v_cmp_eq_u32_e32 vcc_lo, 0, v57
	s_add_i32 s34, s34, 16
	ds_read_b128 v[62:65], v60
	s_or_b32 s4, vcc_lo, s4
	s_waitcnt vmcnt(2) lgkmcnt(0)
	v_mul_f64 v[68:69], v[64:65], v[58:59]
	v_mul_f64 v[58:59], v[62:63], v[58:59]
	s_waitcnt vmcnt(0)
	v_fma_f64 v[62:63], v[62:63], v[66:67], -v[68:69]
	v_fma_f64 v[58:59], v[64:65], v[66:67], v[58:59]
	v_add_f64 v[1:2], v[1:2], v[62:63]
	v_add_f64 v[3:4], v[3:4], v[58:59]
	s_andn2_b32 exec_lo, exec_lo, s4
	s_cbranch_execnz .LBB24_32
; %bb.33:
	s_or_b32 exec_lo, exec_lo, s4
.LBB24_34:
	s_or_b32 exec_lo, exec_lo, s33
	v_mov_b32_e32 v57, 0
	ds_read_b128 v[57:60], v57 offset:320
	s_waitcnt lgkmcnt(0)
	v_mul_f64 v[62:63], v[3:4], v[59:60]
	v_mul_f64 v[59:60], v[1:2], v[59:60]
	v_fma_f64 v[1:2], v[1:2], v[57:58], -v[62:63]
	v_fma_f64 v[3:4], v[3:4], v[57:58], v[59:60]
	buffer_store_dword v2, off, s[0:3], 0 offset:324
	buffer_store_dword v1, off, s[0:3], 0 offset:320
	;; [unrolled: 1-line block ×4, first 2 shown]
.LBB24_35:
	s_or_b32 exec_lo, exec_lo, s8
	v_mov_b32_e32 v4, s12
	v_cmp_lt_u32_e64 s4, 19, v0
	s_clause 0x3
	buffer_load_dword v1, v4, s[0:3], 0 offen
	buffer_load_dword v2, v4, s[0:3], 0 offen offset:4
	buffer_load_dword v3, v4, s[0:3], 0 offen offset:8
	;; [unrolled: 1-line block ×3, first 2 shown]
	s_waitcnt vmcnt(0)
	ds_write_b128 v56, v[1:4]
	s_waitcnt lgkmcnt(0)
	s_waitcnt_vscnt null, 0x0
	s_barrier
	buffer_gl0_inv
	s_and_saveexec_b32 s8, s4
	s_cbranch_execz .LBB24_43
; %bb.36:
	ds_read_b128 v[1:4], v56
	s_andn2_b32 vcc_lo, exec_lo, s31
	s_cbranch_vccnz .LBB24_38
; %bb.37:
	s_clause 0x3
	buffer_load_dword v57, v55, s[0:3], 0 offen offset:8
	buffer_load_dword v58, v55, s[0:3], 0 offen offset:12
	buffer_load_dword v59, v55, s[0:3], 0 offen
	buffer_load_dword v60, v55, s[0:3], 0 offen offset:4
	s_waitcnt vmcnt(2) lgkmcnt(0)
	v_mul_f64 v[62:63], v[3:4], v[57:58]
	v_mul_f64 v[57:58], v[1:2], v[57:58]
	s_waitcnt vmcnt(0)
	v_fma_f64 v[1:2], v[1:2], v[59:60], -v[62:63]
	v_fma_f64 v[3:4], v[3:4], v[59:60], v[57:58]
.LBB24_38:
	s_and_saveexec_b32 s33, s5
	s_cbranch_execz .LBB24_42
; %bb.39:
	v_subrev_nc_u32_e32 v57, 20, v0
	s_movk_i32 s34, 0x2d0
	s_mov_b32 s5, 0
	s_mov_b32 s35, s11
	.p2align	6
.LBB24_40:                              ; =>This Inner Loop Header: Depth=1
	v_mov_b32_e32 v60, s35
	v_add_nc_u32_e32 v57, -1, v57
	s_add_i32 s35, s35, 16
	s_clause 0x3
	buffer_load_dword v58, v60, s[0:3], 0 offen offset:8
	buffer_load_dword v59, v60, s[0:3], 0 offen offset:12
	buffer_load_dword v66, v60, s[0:3], 0 offen
	buffer_load_dword v67, v60, s[0:3], 0 offen offset:4
	v_mov_b32_e32 v60, s34
	v_cmp_eq_u32_e32 vcc_lo, 0, v57
	s_add_i32 s34, s34, 16
	ds_read_b128 v[62:65], v60
	s_or_b32 s5, vcc_lo, s5
	s_waitcnt vmcnt(2) lgkmcnt(0)
	v_mul_f64 v[68:69], v[64:65], v[58:59]
	v_mul_f64 v[58:59], v[62:63], v[58:59]
	s_waitcnt vmcnt(0)
	v_fma_f64 v[62:63], v[62:63], v[66:67], -v[68:69]
	v_fma_f64 v[58:59], v[64:65], v[66:67], v[58:59]
	v_add_f64 v[1:2], v[1:2], v[62:63]
	v_add_f64 v[3:4], v[3:4], v[58:59]
	s_andn2_b32 exec_lo, exec_lo, s5
	s_cbranch_execnz .LBB24_40
; %bb.41:
	s_or_b32 exec_lo, exec_lo, s5
.LBB24_42:
	s_or_b32 exec_lo, exec_lo, s33
	v_mov_b32_e32 v57, 0
	ds_read_b128 v[57:60], v57 offset:304
	s_waitcnt lgkmcnt(0)
	v_mul_f64 v[62:63], v[3:4], v[59:60]
	v_mul_f64 v[59:60], v[1:2], v[59:60]
	v_fma_f64 v[1:2], v[1:2], v[57:58], -v[62:63]
	v_fma_f64 v[3:4], v[3:4], v[57:58], v[59:60]
	buffer_store_dword v2, off, s[0:3], 0 offset:308
	buffer_store_dword v1, off, s[0:3], 0 offset:304
	;; [unrolled: 1-line block ×4, first 2 shown]
.LBB24_43:
	s_or_b32 exec_lo, exec_lo, s8
	v_mov_b32_e32 v4, s13
	v_cmp_lt_u32_e64 s5, 18, v0
	s_clause 0x3
	buffer_load_dword v1, v4, s[0:3], 0 offen
	buffer_load_dword v2, v4, s[0:3], 0 offen offset:4
	buffer_load_dword v3, v4, s[0:3], 0 offen offset:8
	;; [unrolled: 1-line block ×3, first 2 shown]
	s_waitcnt vmcnt(0)
	ds_write_b128 v56, v[1:4]
	s_waitcnt lgkmcnt(0)
	s_waitcnt_vscnt null, 0x0
	s_barrier
	buffer_gl0_inv
	s_and_saveexec_b32 s8, s5
	s_cbranch_execz .LBB24_51
; %bb.44:
	ds_read_b128 v[1:4], v56
	s_andn2_b32 vcc_lo, exec_lo, s31
	s_cbranch_vccnz .LBB24_46
; %bb.45:
	s_clause 0x3
	buffer_load_dword v57, v55, s[0:3], 0 offen offset:8
	buffer_load_dword v58, v55, s[0:3], 0 offen offset:12
	buffer_load_dword v59, v55, s[0:3], 0 offen
	buffer_load_dword v60, v55, s[0:3], 0 offen offset:4
	s_waitcnt vmcnt(2) lgkmcnt(0)
	v_mul_f64 v[62:63], v[3:4], v[57:58]
	v_mul_f64 v[57:58], v[1:2], v[57:58]
	s_waitcnt vmcnt(0)
	v_fma_f64 v[1:2], v[1:2], v[59:60], -v[62:63]
	v_fma_f64 v[3:4], v[3:4], v[59:60], v[57:58]
.LBB24_46:
	s_and_saveexec_b32 s33, s4
	s_cbranch_execz .LBB24_50
; %bb.47:
	v_subrev_nc_u32_e32 v57, 19, v0
	s_movk_i32 s34, 0x2c0
	s_mov_b32 s4, 0
	s_mov_b32 s35, s12
	.p2align	6
.LBB24_48:                              ; =>This Inner Loop Header: Depth=1
	v_mov_b32_e32 v60, s35
	v_add_nc_u32_e32 v57, -1, v57
	s_add_i32 s35, s35, 16
	s_clause 0x3
	buffer_load_dword v58, v60, s[0:3], 0 offen offset:8
	buffer_load_dword v59, v60, s[0:3], 0 offen offset:12
	buffer_load_dword v66, v60, s[0:3], 0 offen
	buffer_load_dword v67, v60, s[0:3], 0 offen offset:4
	v_mov_b32_e32 v60, s34
	v_cmp_eq_u32_e32 vcc_lo, 0, v57
	s_add_i32 s34, s34, 16
	ds_read_b128 v[62:65], v60
	s_or_b32 s4, vcc_lo, s4
	s_waitcnt vmcnt(2) lgkmcnt(0)
	v_mul_f64 v[68:69], v[64:65], v[58:59]
	v_mul_f64 v[58:59], v[62:63], v[58:59]
	s_waitcnt vmcnt(0)
	v_fma_f64 v[62:63], v[62:63], v[66:67], -v[68:69]
	v_fma_f64 v[58:59], v[64:65], v[66:67], v[58:59]
	v_add_f64 v[1:2], v[1:2], v[62:63]
	v_add_f64 v[3:4], v[3:4], v[58:59]
	s_andn2_b32 exec_lo, exec_lo, s4
	s_cbranch_execnz .LBB24_48
; %bb.49:
	s_or_b32 exec_lo, exec_lo, s4
.LBB24_50:
	s_or_b32 exec_lo, exec_lo, s33
	v_mov_b32_e32 v57, 0
	ds_read_b128 v[57:60], v57 offset:288
	s_waitcnt lgkmcnt(0)
	v_mul_f64 v[62:63], v[3:4], v[59:60]
	v_mul_f64 v[59:60], v[1:2], v[59:60]
	v_fma_f64 v[1:2], v[1:2], v[57:58], -v[62:63]
	v_fma_f64 v[3:4], v[3:4], v[57:58], v[59:60]
	buffer_store_dword v2, off, s[0:3], 0 offset:292
	buffer_store_dword v1, off, s[0:3], 0 offset:288
	;; [unrolled: 1-line block ×4, first 2 shown]
.LBB24_51:
	s_or_b32 exec_lo, exec_lo, s8
	v_mov_b32_e32 v4, s14
	v_cmp_lt_u32_e64 s4, 17, v0
	s_clause 0x3
	buffer_load_dword v1, v4, s[0:3], 0 offen
	buffer_load_dword v2, v4, s[0:3], 0 offen offset:4
	buffer_load_dword v3, v4, s[0:3], 0 offen offset:8
	;; [unrolled: 1-line block ×3, first 2 shown]
	s_waitcnt vmcnt(0)
	ds_write_b128 v56, v[1:4]
	s_waitcnt lgkmcnt(0)
	s_waitcnt_vscnt null, 0x0
	s_barrier
	buffer_gl0_inv
	s_and_saveexec_b32 s8, s4
	s_cbranch_execz .LBB24_59
; %bb.52:
	ds_read_b128 v[1:4], v56
	s_andn2_b32 vcc_lo, exec_lo, s31
	s_cbranch_vccnz .LBB24_54
; %bb.53:
	s_clause 0x3
	buffer_load_dword v57, v55, s[0:3], 0 offen offset:8
	buffer_load_dword v58, v55, s[0:3], 0 offen offset:12
	buffer_load_dword v59, v55, s[0:3], 0 offen
	buffer_load_dword v60, v55, s[0:3], 0 offen offset:4
	s_waitcnt vmcnt(2) lgkmcnt(0)
	v_mul_f64 v[62:63], v[3:4], v[57:58]
	v_mul_f64 v[57:58], v[1:2], v[57:58]
	s_waitcnt vmcnt(0)
	v_fma_f64 v[1:2], v[1:2], v[59:60], -v[62:63]
	v_fma_f64 v[3:4], v[3:4], v[59:60], v[57:58]
.LBB24_54:
	s_and_saveexec_b32 s33, s5
	s_cbranch_execz .LBB24_58
; %bb.55:
	v_subrev_nc_u32_e32 v57, 18, v0
	s_movk_i32 s34, 0x2b0
	s_mov_b32 s5, 0
	s_mov_b32 s35, s13
	.p2align	6
.LBB24_56:                              ; =>This Inner Loop Header: Depth=1
	v_mov_b32_e32 v60, s35
	v_add_nc_u32_e32 v57, -1, v57
	s_add_i32 s35, s35, 16
	s_clause 0x3
	buffer_load_dword v58, v60, s[0:3], 0 offen offset:8
	buffer_load_dword v59, v60, s[0:3], 0 offen offset:12
	buffer_load_dword v66, v60, s[0:3], 0 offen
	buffer_load_dword v67, v60, s[0:3], 0 offen offset:4
	v_mov_b32_e32 v60, s34
	v_cmp_eq_u32_e32 vcc_lo, 0, v57
	s_add_i32 s34, s34, 16
	ds_read_b128 v[62:65], v60
	s_or_b32 s5, vcc_lo, s5
	s_waitcnt vmcnt(2) lgkmcnt(0)
	v_mul_f64 v[68:69], v[64:65], v[58:59]
	v_mul_f64 v[58:59], v[62:63], v[58:59]
	s_waitcnt vmcnt(0)
	v_fma_f64 v[62:63], v[62:63], v[66:67], -v[68:69]
	v_fma_f64 v[58:59], v[64:65], v[66:67], v[58:59]
	v_add_f64 v[1:2], v[1:2], v[62:63]
	v_add_f64 v[3:4], v[3:4], v[58:59]
	s_andn2_b32 exec_lo, exec_lo, s5
	s_cbranch_execnz .LBB24_56
; %bb.57:
	s_or_b32 exec_lo, exec_lo, s5
.LBB24_58:
	s_or_b32 exec_lo, exec_lo, s33
	v_mov_b32_e32 v57, 0
	ds_read_b128 v[57:60], v57 offset:272
	s_waitcnt lgkmcnt(0)
	v_mul_f64 v[62:63], v[3:4], v[59:60]
	v_mul_f64 v[59:60], v[1:2], v[59:60]
	v_fma_f64 v[1:2], v[1:2], v[57:58], -v[62:63]
	v_fma_f64 v[3:4], v[3:4], v[57:58], v[59:60]
	buffer_store_dword v2, off, s[0:3], 0 offset:276
	buffer_store_dword v1, off, s[0:3], 0 offset:272
	;; [unrolled: 1-line block ×4, first 2 shown]
.LBB24_59:
	s_or_b32 exec_lo, exec_lo, s8
	v_mov_b32_e32 v4, s15
	v_cmp_lt_u32_e64 s5, 16, v0
	s_clause 0x3
	buffer_load_dword v1, v4, s[0:3], 0 offen
	buffer_load_dword v2, v4, s[0:3], 0 offen offset:4
	buffer_load_dword v3, v4, s[0:3], 0 offen offset:8
	;; [unrolled: 1-line block ×3, first 2 shown]
	s_waitcnt vmcnt(0)
	ds_write_b128 v56, v[1:4]
	s_waitcnt lgkmcnt(0)
	s_waitcnt_vscnt null, 0x0
	s_barrier
	buffer_gl0_inv
	s_and_saveexec_b32 s8, s5
	s_cbranch_execz .LBB24_67
; %bb.60:
	ds_read_b128 v[1:4], v56
	s_andn2_b32 vcc_lo, exec_lo, s31
	s_cbranch_vccnz .LBB24_62
; %bb.61:
	s_clause 0x3
	buffer_load_dword v57, v55, s[0:3], 0 offen offset:8
	buffer_load_dword v58, v55, s[0:3], 0 offen offset:12
	buffer_load_dword v59, v55, s[0:3], 0 offen
	buffer_load_dword v60, v55, s[0:3], 0 offen offset:4
	s_waitcnt vmcnt(2) lgkmcnt(0)
	v_mul_f64 v[62:63], v[3:4], v[57:58]
	v_mul_f64 v[57:58], v[1:2], v[57:58]
	s_waitcnt vmcnt(0)
	v_fma_f64 v[1:2], v[1:2], v[59:60], -v[62:63]
	v_fma_f64 v[3:4], v[3:4], v[59:60], v[57:58]
.LBB24_62:
	s_and_saveexec_b32 s33, s4
	s_cbranch_execz .LBB24_66
; %bb.63:
	v_subrev_nc_u32_e32 v57, 17, v0
	s_movk_i32 s34, 0x2a0
	s_mov_b32 s4, 0
	s_mov_b32 s35, s14
	.p2align	6
.LBB24_64:                              ; =>This Inner Loop Header: Depth=1
	v_mov_b32_e32 v60, s35
	v_add_nc_u32_e32 v57, -1, v57
	s_add_i32 s35, s35, 16
	s_clause 0x3
	buffer_load_dword v58, v60, s[0:3], 0 offen offset:8
	buffer_load_dword v59, v60, s[0:3], 0 offen offset:12
	buffer_load_dword v66, v60, s[0:3], 0 offen
	buffer_load_dword v67, v60, s[0:3], 0 offen offset:4
	v_mov_b32_e32 v60, s34
	v_cmp_eq_u32_e32 vcc_lo, 0, v57
	s_add_i32 s34, s34, 16
	ds_read_b128 v[62:65], v60
	s_or_b32 s4, vcc_lo, s4
	s_waitcnt vmcnt(2) lgkmcnt(0)
	v_mul_f64 v[68:69], v[64:65], v[58:59]
	v_mul_f64 v[58:59], v[62:63], v[58:59]
	s_waitcnt vmcnt(0)
	v_fma_f64 v[62:63], v[62:63], v[66:67], -v[68:69]
	v_fma_f64 v[58:59], v[64:65], v[66:67], v[58:59]
	v_add_f64 v[1:2], v[1:2], v[62:63]
	v_add_f64 v[3:4], v[3:4], v[58:59]
	s_andn2_b32 exec_lo, exec_lo, s4
	s_cbranch_execnz .LBB24_64
; %bb.65:
	s_or_b32 exec_lo, exec_lo, s4
.LBB24_66:
	s_or_b32 exec_lo, exec_lo, s33
	v_mov_b32_e32 v57, 0
	ds_read_b128 v[57:60], v57 offset:256
	s_waitcnt lgkmcnt(0)
	v_mul_f64 v[62:63], v[3:4], v[59:60]
	v_mul_f64 v[59:60], v[1:2], v[59:60]
	v_fma_f64 v[1:2], v[1:2], v[57:58], -v[62:63]
	v_fma_f64 v[3:4], v[3:4], v[57:58], v[59:60]
	buffer_store_dword v2, off, s[0:3], 0 offset:260
	buffer_store_dword v1, off, s[0:3], 0 offset:256
	;; [unrolled: 1-line block ×4, first 2 shown]
.LBB24_67:
	s_or_b32 exec_lo, exec_lo, s8
	v_mov_b32_e32 v4, s16
	v_cmp_lt_u32_e64 s4, 15, v0
	s_clause 0x3
	buffer_load_dword v1, v4, s[0:3], 0 offen
	buffer_load_dword v2, v4, s[0:3], 0 offen offset:4
	buffer_load_dword v3, v4, s[0:3], 0 offen offset:8
	;; [unrolled: 1-line block ×3, first 2 shown]
	s_waitcnt vmcnt(0)
	ds_write_b128 v56, v[1:4]
	s_waitcnt lgkmcnt(0)
	s_waitcnt_vscnt null, 0x0
	s_barrier
	buffer_gl0_inv
	s_and_saveexec_b32 s8, s4
	s_cbranch_execz .LBB24_75
; %bb.68:
	ds_read_b128 v[1:4], v56
	s_andn2_b32 vcc_lo, exec_lo, s31
	s_cbranch_vccnz .LBB24_70
; %bb.69:
	s_clause 0x3
	buffer_load_dword v57, v55, s[0:3], 0 offen offset:8
	buffer_load_dword v58, v55, s[0:3], 0 offen offset:12
	buffer_load_dword v59, v55, s[0:3], 0 offen
	buffer_load_dword v60, v55, s[0:3], 0 offen offset:4
	s_waitcnt vmcnt(2) lgkmcnt(0)
	v_mul_f64 v[62:63], v[3:4], v[57:58]
	v_mul_f64 v[57:58], v[1:2], v[57:58]
	s_waitcnt vmcnt(0)
	v_fma_f64 v[1:2], v[1:2], v[59:60], -v[62:63]
	v_fma_f64 v[3:4], v[3:4], v[59:60], v[57:58]
.LBB24_70:
	s_and_saveexec_b32 s33, s5
	s_cbranch_execz .LBB24_74
; %bb.71:
	v_add_nc_u32_e32 v57, -16, v0
	s_movk_i32 s34, 0x290
	s_mov_b32 s5, 0
	s_mov_b32 s35, s15
	.p2align	6
.LBB24_72:                              ; =>This Inner Loop Header: Depth=1
	v_mov_b32_e32 v60, s35
	v_add_nc_u32_e32 v57, -1, v57
	s_add_i32 s35, s35, 16
	s_clause 0x3
	buffer_load_dword v58, v60, s[0:3], 0 offen offset:8
	buffer_load_dword v59, v60, s[0:3], 0 offen offset:12
	buffer_load_dword v66, v60, s[0:3], 0 offen
	buffer_load_dword v67, v60, s[0:3], 0 offen offset:4
	v_mov_b32_e32 v60, s34
	v_cmp_eq_u32_e32 vcc_lo, 0, v57
	s_add_i32 s34, s34, 16
	ds_read_b128 v[62:65], v60
	s_or_b32 s5, vcc_lo, s5
	s_waitcnt vmcnt(2) lgkmcnt(0)
	v_mul_f64 v[68:69], v[64:65], v[58:59]
	v_mul_f64 v[58:59], v[62:63], v[58:59]
	s_waitcnt vmcnt(0)
	v_fma_f64 v[62:63], v[62:63], v[66:67], -v[68:69]
	v_fma_f64 v[58:59], v[64:65], v[66:67], v[58:59]
	v_add_f64 v[1:2], v[1:2], v[62:63]
	v_add_f64 v[3:4], v[3:4], v[58:59]
	s_andn2_b32 exec_lo, exec_lo, s5
	s_cbranch_execnz .LBB24_72
; %bb.73:
	s_or_b32 exec_lo, exec_lo, s5
.LBB24_74:
	s_or_b32 exec_lo, exec_lo, s33
	v_mov_b32_e32 v57, 0
	ds_read_b128 v[57:60], v57 offset:240
	s_waitcnt lgkmcnt(0)
	v_mul_f64 v[62:63], v[3:4], v[59:60]
	v_mul_f64 v[59:60], v[1:2], v[59:60]
	v_fma_f64 v[1:2], v[1:2], v[57:58], -v[62:63]
	v_fma_f64 v[3:4], v[3:4], v[57:58], v[59:60]
	buffer_store_dword v2, off, s[0:3], 0 offset:244
	buffer_store_dword v1, off, s[0:3], 0 offset:240
	;; [unrolled: 1-line block ×4, first 2 shown]
.LBB24_75:
	s_or_b32 exec_lo, exec_lo, s8
	v_mov_b32_e32 v4, s17
	v_cmp_lt_u32_e64 s5, 14, v0
	s_clause 0x3
	buffer_load_dword v1, v4, s[0:3], 0 offen
	buffer_load_dword v2, v4, s[0:3], 0 offen offset:4
	buffer_load_dword v3, v4, s[0:3], 0 offen offset:8
	;; [unrolled: 1-line block ×3, first 2 shown]
	s_waitcnt vmcnt(0)
	ds_write_b128 v56, v[1:4]
	s_waitcnt lgkmcnt(0)
	s_waitcnt_vscnt null, 0x0
	s_barrier
	buffer_gl0_inv
	s_and_saveexec_b32 s8, s5
	s_cbranch_execz .LBB24_83
; %bb.76:
	ds_read_b128 v[1:4], v56
	s_andn2_b32 vcc_lo, exec_lo, s31
	s_cbranch_vccnz .LBB24_78
; %bb.77:
	s_clause 0x3
	buffer_load_dword v57, v55, s[0:3], 0 offen offset:8
	buffer_load_dword v58, v55, s[0:3], 0 offen offset:12
	buffer_load_dword v59, v55, s[0:3], 0 offen
	buffer_load_dword v60, v55, s[0:3], 0 offen offset:4
	s_waitcnt vmcnt(2) lgkmcnt(0)
	v_mul_f64 v[62:63], v[3:4], v[57:58]
	v_mul_f64 v[57:58], v[1:2], v[57:58]
	s_waitcnt vmcnt(0)
	v_fma_f64 v[1:2], v[1:2], v[59:60], -v[62:63]
	v_fma_f64 v[3:4], v[3:4], v[59:60], v[57:58]
.LBB24_78:
	s_and_saveexec_b32 s33, s4
	s_cbranch_execz .LBB24_82
; %bb.79:
	v_add_nc_u32_e32 v57, -15, v0
	s_movk_i32 s34, 0x280
	s_mov_b32 s4, 0
	s_mov_b32 s35, s16
	.p2align	6
.LBB24_80:                              ; =>This Inner Loop Header: Depth=1
	v_mov_b32_e32 v60, s35
	v_add_nc_u32_e32 v57, -1, v57
	s_add_i32 s35, s35, 16
	s_clause 0x3
	buffer_load_dword v58, v60, s[0:3], 0 offen offset:8
	buffer_load_dword v59, v60, s[0:3], 0 offen offset:12
	buffer_load_dword v66, v60, s[0:3], 0 offen
	buffer_load_dword v67, v60, s[0:3], 0 offen offset:4
	v_mov_b32_e32 v60, s34
	v_cmp_eq_u32_e32 vcc_lo, 0, v57
	s_add_i32 s34, s34, 16
	ds_read_b128 v[62:65], v60
	s_or_b32 s4, vcc_lo, s4
	s_waitcnt vmcnt(2) lgkmcnt(0)
	v_mul_f64 v[68:69], v[64:65], v[58:59]
	v_mul_f64 v[58:59], v[62:63], v[58:59]
	s_waitcnt vmcnt(0)
	v_fma_f64 v[62:63], v[62:63], v[66:67], -v[68:69]
	v_fma_f64 v[58:59], v[64:65], v[66:67], v[58:59]
	v_add_f64 v[1:2], v[1:2], v[62:63]
	v_add_f64 v[3:4], v[3:4], v[58:59]
	s_andn2_b32 exec_lo, exec_lo, s4
	s_cbranch_execnz .LBB24_80
; %bb.81:
	s_or_b32 exec_lo, exec_lo, s4
.LBB24_82:
	s_or_b32 exec_lo, exec_lo, s33
	v_mov_b32_e32 v57, 0
	ds_read_b128 v[57:60], v57 offset:224
	s_waitcnt lgkmcnt(0)
	v_mul_f64 v[62:63], v[3:4], v[59:60]
	v_mul_f64 v[59:60], v[1:2], v[59:60]
	v_fma_f64 v[1:2], v[1:2], v[57:58], -v[62:63]
	v_fma_f64 v[3:4], v[3:4], v[57:58], v[59:60]
	buffer_store_dword v2, off, s[0:3], 0 offset:228
	buffer_store_dword v1, off, s[0:3], 0 offset:224
	;; [unrolled: 1-line block ×4, first 2 shown]
.LBB24_83:
	s_or_b32 exec_lo, exec_lo, s8
	v_mov_b32_e32 v4, s18
	v_cmp_lt_u32_e64 s4, 13, v0
	s_clause 0x3
	buffer_load_dword v1, v4, s[0:3], 0 offen
	buffer_load_dword v2, v4, s[0:3], 0 offen offset:4
	buffer_load_dword v3, v4, s[0:3], 0 offen offset:8
	;; [unrolled: 1-line block ×3, first 2 shown]
	s_waitcnt vmcnt(0)
	ds_write_b128 v56, v[1:4]
	s_waitcnt lgkmcnt(0)
	s_waitcnt_vscnt null, 0x0
	s_barrier
	buffer_gl0_inv
	s_and_saveexec_b32 s8, s4
	s_cbranch_execz .LBB24_91
; %bb.84:
	ds_read_b128 v[1:4], v56
	s_andn2_b32 vcc_lo, exec_lo, s31
	s_cbranch_vccnz .LBB24_86
; %bb.85:
	s_clause 0x3
	buffer_load_dword v57, v55, s[0:3], 0 offen offset:8
	buffer_load_dword v58, v55, s[0:3], 0 offen offset:12
	buffer_load_dword v59, v55, s[0:3], 0 offen
	buffer_load_dword v60, v55, s[0:3], 0 offen offset:4
	s_waitcnt vmcnt(2) lgkmcnt(0)
	v_mul_f64 v[62:63], v[3:4], v[57:58]
	v_mul_f64 v[57:58], v[1:2], v[57:58]
	s_waitcnt vmcnt(0)
	v_fma_f64 v[1:2], v[1:2], v[59:60], -v[62:63]
	v_fma_f64 v[3:4], v[3:4], v[59:60], v[57:58]
.LBB24_86:
	s_and_saveexec_b32 s33, s5
	s_cbranch_execz .LBB24_90
; %bb.87:
	v_add_nc_u32_e32 v57, -14, v0
	s_movk_i32 s34, 0x270
	s_mov_b32 s5, 0
	s_mov_b32 s35, s17
	.p2align	6
.LBB24_88:                              ; =>This Inner Loop Header: Depth=1
	v_mov_b32_e32 v60, s35
	v_add_nc_u32_e32 v57, -1, v57
	s_add_i32 s35, s35, 16
	s_clause 0x3
	buffer_load_dword v58, v60, s[0:3], 0 offen offset:8
	buffer_load_dword v59, v60, s[0:3], 0 offen offset:12
	buffer_load_dword v66, v60, s[0:3], 0 offen
	buffer_load_dword v67, v60, s[0:3], 0 offen offset:4
	v_mov_b32_e32 v60, s34
	v_cmp_eq_u32_e32 vcc_lo, 0, v57
	s_add_i32 s34, s34, 16
	ds_read_b128 v[62:65], v60
	s_or_b32 s5, vcc_lo, s5
	s_waitcnt vmcnt(2) lgkmcnt(0)
	v_mul_f64 v[68:69], v[64:65], v[58:59]
	v_mul_f64 v[58:59], v[62:63], v[58:59]
	s_waitcnt vmcnt(0)
	v_fma_f64 v[62:63], v[62:63], v[66:67], -v[68:69]
	v_fma_f64 v[58:59], v[64:65], v[66:67], v[58:59]
	v_add_f64 v[1:2], v[1:2], v[62:63]
	v_add_f64 v[3:4], v[3:4], v[58:59]
	s_andn2_b32 exec_lo, exec_lo, s5
	s_cbranch_execnz .LBB24_88
; %bb.89:
	s_or_b32 exec_lo, exec_lo, s5
.LBB24_90:
	s_or_b32 exec_lo, exec_lo, s33
	v_mov_b32_e32 v57, 0
	ds_read_b128 v[57:60], v57 offset:208
	s_waitcnt lgkmcnt(0)
	v_mul_f64 v[62:63], v[3:4], v[59:60]
	v_mul_f64 v[59:60], v[1:2], v[59:60]
	v_fma_f64 v[1:2], v[1:2], v[57:58], -v[62:63]
	v_fma_f64 v[3:4], v[3:4], v[57:58], v[59:60]
	buffer_store_dword v2, off, s[0:3], 0 offset:212
	buffer_store_dword v1, off, s[0:3], 0 offset:208
	;; [unrolled: 1-line block ×4, first 2 shown]
.LBB24_91:
	s_or_b32 exec_lo, exec_lo, s8
	v_mov_b32_e32 v4, s19
	v_cmp_lt_u32_e64 s5, 12, v0
	s_clause 0x3
	buffer_load_dword v1, v4, s[0:3], 0 offen
	buffer_load_dword v2, v4, s[0:3], 0 offen offset:4
	buffer_load_dword v3, v4, s[0:3], 0 offen offset:8
	;; [unrolled: 1-line block ×3, first 2 shown]
	s_waitcnt vmcnt(0)
	ds_write_b128 v56, v[1:4]
	s_waitcnt lgkmcnt(0)
	s_waitcnt_vscnt null, 0x0
	s_barrier
	buffer_gl0_inv
	s_and_saveexec_b32 s8, s5
	s_cbranch_execz .LBB24_99
; %bb.92:
	ds_read_b128 v[1:4], v56
	s_andn2_b32 vcc_lo, exec_lo, s31
	s_cbranch_vccnz .LBB24_94
; %bb.93:
	s_clause 0x3
	buffer_load_dword v57, v55, s[0:3], 0 offen offset:8
	buffer_load_dword v58, v55, s[0:3], 0 offen offset:12
	buffer_load_dword v59, v55, s[0:3], 0 offen
	buffer_load_dword v60, v55, s[0:3], 0 offen offset:4
	s_waitcnt vmcnt(2) lgkmcnt(0)
	v_mul_f64 v[62:63], v[3:4], v[57:58]
	v_mul_f64 v[57:58], v[1:2], v[57:58]
	s_waitcnt vmcnt(0)
	v_fma_f64 v[1:2], v[1:2], v[59:60], -v[62:63]
	v_fma_f64 v[3:4], v[3:4], v[59:60], v[57:58]
.LBB24_94:
	s_and_saveexec_b32 s33, s4
	s_cbranch_execz .LBB24_98
; %bb.95:
	v_add_nc_u32_e32 v57, -13, v0
	s_movk_i32 s34, 0x260
	s_mov_b32 s4, 0
	s_mov_b32 s35, s18
	.p2align	6
.LBB24_96:                              ; =>This Inner Loop Header: Depth=1
	v_mov_b32_e32 v60, s35
	v_add_nc_u32_e32 v57, -1, v57
	s_add_i32 s35, s35, 16
	s_clause 0x3
	buffer_load_dword v58, v60, s[0:3], 0 offen offset:8
	buffer_load_dword v59, v60, s[0:3], 0 offen offset:12
	buffer_load_dword v66, v60, s[0:3], 0 offen
	buffer_load_dword v67, v60, s[0:3], 0 offen offset:4
	v_mov_b32_e32 v60, s34
	v_cmp_eq_u32_e32 vcc_lo, 0, v57
	s_add_i32 s34, s34, 16
	ds_read_b128 v[62:65], v60
	s_or_b32 s4, vcc_lo, s4
	s_waitcnt vmcnt(2) lgkmcnt(0)
	v_mul_f64 v[68:69], v[64:65], v[58:59]
	v_mul_f64 v[58:59], v[62:63], v[58:59]
	s_waitcnt vmcnt(0)
	v_fma_f64 v[62:63], v[62:63], v[66:67], -v[68:69]
	v_fma_f64 v[58:59], v[64:65], v[66:67], v[58:59]
	v_add_f64 v[1:2], v[1:2], v[62:63]
	v_add_f64 v[3:4], v[3:4], v[58:59]
	s_andn2_b32 exec_lo, exec_lo, s4
	s_cbranch_execnz .LBB24_96
; %bb.97:
	s_or_b32 exec_lo, exec_lo, s4
.LBB24_98:
	s_or_b32 exec_lo, exec_lo, s33
	v_mov_b32_e32 v57, 0
	ds_read_b128 v[57:60], v57 offset:192
	s_waitcnt lgkmcnt(0)
	v_mul_f64 v[62:63], v[3:4], v[59:60]
	v_mul_f64 v[59:60], v[1:2], v[59:60]
	v_fma_f64 v[1:2], v[1:2], v[57:58], -v[62:63]
	v_fma_f64 v[3:4], v[3:4], v[57:58], v[59:60]
	buffer_store_dword v2, off, s[0:3], 0 offset:196
	buffer_store_dword v1, off, s[0:3], 0 offset:192
	;; [unrolled: 1-line block ×4, first 2 shown]
.LBB24_99:
	s_or_b32 exec_lo, exec_lo, s8
	v_mov_b32_e32 v4, s20
	v_cmp_lt_u32_e64 s4, 11, v0
	s_clause 0x3
	buffer_load_dword v1, v4, s[0:3], 0 offen
	buffer_load_dword v2, v4, s[0:3], 0 offen offset:4
	buffer_load_dword v3, v4, s[0:3], 0 offen offset:8
	;; [unrolled: 1-line block ×3, first 2 shown]
	s_waitcnt vmcnt(0)
	ds_write_b128 v56, v[1:4]
	s_waitcnt lgkmcnt(0)
	s_waitcnt_vscnt null, 0x0
	s_barrier
	buffer_gl0_inv
	s_and_saveexec_b32 s8, s4
	s_cbranch_execz .LBB24_107
; %bb.100:
	ds_read_b128 v[1:4], v56
	s_andn2_b32 vcc_lo, exec_lo, s31
	s_cbranch_vccnz .LBB24_102
; %bb.101:
	s_clause 0x3
	buffer_load_dword v57, v55, s[0:3], 0 offen offset:8
	buffer_load_dword v58, v55, s[0:3], 0 offen offset:12
	buffer_load_dword v59, v55, s[0:3], 0 offen
	buffer_load_dword v60, v55, s[0:3], 0 offen offset:4
	s_waitcnt vmcnt(2) lgkmcnt(0)
	v_mul_f64 v[62:63], v[3:4], v[57:58]
	v_mul_f64 v[57:58], v[1:2], v[57:58]
	s_waitcnt vmcnt(0)
	v_fma_f64 v[1:2], v[1:2], v[59:60], -v[62:63]
	v_fma_f64 v[3:4], v[3:4], v[59:60], v[57:58]
.LBB24_102:
	s_and_saveexec_b32 s33, s5
	s_cbranch_execz .LBB24_106
; %bb.103:
	v_add_nc_u32_e32 v57, -12, v0
	s_movk_i32 s34, 0x250
	s_mov_b32 s5, 0
	s_mov_b32 s35, s19
	.p2align	6
.LBB24_104:                             ; =>This Inner Loop Header: Depth=1
	v_mov_b32_e32 v60, s35
	v_add_nc_u32_e32 v57, -1, v57
	s_add_i32 s35, s35, 16
	s_clause 0x3
	buffer_load_dword v58, v60, s[0:3], 0 offen offset:8
	buffer_load_dword v59, v60, s[0:3], 0 offen offset:12
	buffer_load_dword v66, v60, s[0:3], 0 offen
	buffer_load_dword v67, v60, s[0:3], 0 offen offset:4
	v_mov_b32_e32 v60, s34
	v_cmp_eq_u32_e32 vcc_lo, 0, v57
	s_add_i32 s34, s34, 16
	ds_read_b128 v[62:65], v60
	s_or_b32 s5, vcc_lo, s5
	s_waitcnt vmcnt(2) lgkmcnt(0)
	v_mul_f64 v[68:69], v[64:65], v[58:59]
	v_mul_f64 v[58:59], v[62:63], v[58:59]
	s_waitcnt vmcnt(0)
	v_fma_f64 v[62:63], v[62:63], v[66:67], -v[68:69]
	v_fma_f64 v[58:59], v[64:65], v[66:67], v[58:59]
	v_add_f64 v[1:2], v[1:2], v[62:63]
	v_add_f64 v[3:4], v[3:4], v[58:59]
	s_andn2_b32 exec_lo, exec_lo, s5
	s_cbranch_execnz .LBB24_104
; %bb.105:
	s_or_b32 exec_lo, exec_lo, s5
.LBB24_106:
	s_or_b32 exec_lo, exec_lo, s33
	v_mov_b32_e32 v57, 0
	ds_read_b128 v[57:60], v57 offset:176
	s_waitcnt lgkmcnt(0)
	v_mul_f64 v[62:63], v[3:4], v[59:60]
	v_mul_f64 v[59:60], v[1:2], v[59:60]
	v_fma_f64 v[1:2], v[1:2], v[57:58], -v[62:63]
	v_fma_f64 v[3:4], v[3:4], v[57:58], v[59:60]
	buffer_store_dword v2, off, s[0:3], 0 offset:180
	buffer_store_dword v1, off, s[0:3], 0 offset:176
	;; [unrolled: 1-line block ×4, first 2 shown]
.LBB24_107:
	s_or_b32 exec_lo, exec_lo, s8
	v_mov_b32_e32 v4, s21
	v_cmp_lt_u32_e64 s5, 10, v0
	s_clause 0x3
	buffer_load_dword v1, v4, s[0:3], 0 offen
	buffer_load_dword v2, v4, s[0:3], 0 offen offset:4
	buffer_load_dword v3, v4, s[0:3], 0 offen offset:8
	;; [unrolled: 1-line block ×3, first 2 shown]
	s_waitcnt vmcnt(0)
	ds_write_b128 v56, v[1:4]
	s_waitcnt lgkmcnt(0)
	s_waitcnt_vscnt null, 0x0
	s_barrier
	buffer_gl0_inv
	s_and_saveexec_b32 s8, s5
	s_cbranch_execz .LBB24_115
; %bb.108:
	ds_read_b128 v[1:4], v56
	s_andn2_b32 vcc_lo, exec_lo, s31
	s_cbranch_vccnz .LBB24_110
; %bb.109:
	s_clause 0x3
	buffer_load_dword v57, v55, s[0:3], 0 offen offset:8
	buffer_load_dword v58, v55, s[0:3], 0 offen offset:12
	buffer_load_dword v59, v55, s[0:3], 0 offen
	buffer_load_dword v60, v55, s[0:3], 0 offen offset:4
	s_waitcnt vmcnt(2) lgkmcnt(0)
	v_mul_f64 v[62:63], v[3:4], v[57:58]
	v_mul_f64 v[57:58], v[1:2], v[57:58]
	s_waitcnt vmcnt(0)
	v_fma_f64 v[1:2], v[1:2], v[59:60], -v[62:63]
	v_fma_f64 v[3:4], v[3:4], v[59:60], v[57:58]
.LBB24_110:
	s_and_saveexec_b32 s33, s4
	s_cbranch_execz .LBB24_114
; %bb.111:
	v_add_nc_u32_e32 v57, -11, v0
	s_movk_i32 s34, 0x240
	s_mov_b32 s4, 0
	s_mov_b32 s35, s20
	.p2align	6
.LBB24_112:                             ; =>This Inner Loop Header: Depth=1
	v_mov_b32_e32 v60, s35
	v_add_nc_u32_e32 v57, -1, v57
	s_add_i32 s35, s35, 16
	s_clause 0x3
	buffer_load_dword v58, v60, s[0:3], 0 offen offset:8
	buffer_load_dword v59, v60, s[0:3], 0 offen offset:12
	buffer_load_dword v66, v60, s[0:3], 0 offen
	buffer_load_dword v67, v60, s[0:3], 0 offen offset:4
	v_mov_b32_e32 v60, s34
	v_cmp_eq_u32_e32 vcc_lo, 0, v57
	s_add_i32 s34, s34, 16
	ds_read_b128 v[62:65], v60
	s_or_b32 s4, vcc_lo, s4
	s_waitcnt vmcnt(2) lgkmcnt(0)
	v_mul_f64 v[68:69], v[64:65], v[58:59]
	v_mul_f64 v[58:59], v[62:63], v[58:59]
	s_waitcnt vmcnt(0)
	v_fma_f64 v[62:63], v[62:63], v[66:67], -v[68:69]
	v_fma_f64 v[58:59], v[64:65], v[66:67], v[58:59]
	v_add_f64 v[1:2], v[1:2], v[62:63]
	v_add_f64 v[3:4], v[3:4], v[58:59]
	s_andn2_b32 exec_lo, exec_lo, s4
	s_cbranch_execnz .LBB24_112
; %bb.113:
	s_or_b32 exec_lo, exec_lo, s4
.LBB24_114:
	s_or_b32 exec_lo, exec_lo, s33
	v_mov_b32_e32 v57, 0
	ds_read_b128 v[57:60], v57 offset:160
	s_waitcnt lgkmcnt(0)
	v_mul_f64 v[62:63], v[3:4], v[59:60]
	v_mul_f64 v[59:60], v[1:2], v[59:60]
	v_fma_f64 v[1:2], v[1:2], v[57:58], -v[62:63]
	v_fma_f64 v[3:4], v[3:4], v[57:58], v[59:60]
	buffer_store_dword v2, off, s[0:3], 0 offset:164
	buffer_store_dword v1, off, s[0:3], 0 offset:160
	;; [unrolled: 1-line block ×4, first 2 shown]
.LBB24_115:
	s_or_b32 exec_lo, exec_lo, s8
	v_mov_b32_e32 v4, s22
	v_cmp_lt_u32_e64 s4, 9, v0
	s_clause 0x3
	buffer_load_dword v1, v4, s[0:3], 0 offen
	buffer_load_dword v2, v4, s[0:3], 0 offen offset:4
	buffer_load_dword v3, v4, s[0:3], 0 offen offset:8
	;; [unrolled: 1-line block ×3, first 2 shown]
	s_waitcnt vmcnt(0)
	ds_write_b128 v56, v[1:4]
	s_waitcnt lgkmcnt(0)
	s_waitcnt_vscnt null, 0x0
	s_barrier
	buffer_gl0_inv
	s_and_saveexec_b32 s8, s4
	s_cbranch_execz .LBB24_123
; %bb.116:
	ds_read_b128 v[1:4], v56
	s_andn2_b32 vcc_lo, exec_lo, s31
	s_cbranch_vccnz .LBB24_118
; %bb.117:
	s_clause 0x3
	buffer_load_dword v57, v55, s[0:3], 0 offen offset:8
	buffer_load_dword v58, v55, s[0:3], 0 offen offset:12
	buffer_load_dword v59, v55, s[0:3], 0 offen
	buffer_load_dword v60, v55, s[0:3], 0 offen offset:4
	s_waitcnt vmcnt(2) lgkmcnt(0)
	v_mul_f64 v[62:63], v[3:4], v[57:58]
	v_mul_f64 v[57:58], v[1:2], v[57:58]
	s_waitcnt vmcnt(0)
	v_fma_f64 v[1:2], v[1:2], v[59:60], -v[62:63]
	v_fma_f64 v[3:4], v[3:4], v[59:60], v[57:58]
.LBB24_118:
	s_and_saveexec_b32 s33, s5
	s_cbranch_execz .LBB24_122
; %bb.119:
	v_add_nc_u32_e32 v57, -10, v0
	s_movk_i32 s34, 0x230
	s_mov_b32 s5, 0
	s_mov_b32 s35, s21
	.p2align	6
.LBB24_120:                             ; =>This Inner Loop Header: Depth=1
	v_mov_b32_e32 v60, s35
	v_add_nc_u32_e32 v57, -1, v57
	s_add_i32 s35, s35, 16
	s_clause 0x3
	buffer_load_dword v58, v60, s[0:3], 0 offen offset:8
	buffer_load_dword v59, v60, s[0:3], 0 offen offset:12
	buffer_load_dword v66, v60, s[0:3], 0 offen
	buffer_load_dword v67, v60, s[0:3], 0 offen offset:4
	v_mov_b32_e32 v60, s34
	v_cmp_eq_u32_e32 vcc_lo, 0, v57
	s_add_i32 s34, s34, 16
	ds_read_b128 v[62:65], v60
	s_or_b32 s5, vcc_lo, s5
	s_waitcnt vmcnt(2) lgkmcnt(0)
	v_mul_f64 v[68:69], v[64:65], v[58:59]
	v_mul_f64 v[58:59], v[62:63], v[58:59]
	s_waitcnt vmcnt(0)
	v_fma_f64 v[62:63], v[62:63], v[66:67], -v[68:69]
	v_fma_f64 v[58:59], v[64:65], v[66:67], v[58:59]
	v_add_f64 v[1:2], v[1:2], v[62:63]
	v_add_f64 v[3:4], v[3:4], v[58:59]
	s_andn2_b32 exec_lo, exec_lo, s5
	s_cbranch_execnz .LBB24_120
; %bb.121:
	s_or_b32 exec_lo, exec_lo, s5
.LBB24_122:
	s_or_b32 exec_lo, exec_lo, s33
	v_mov_b32_e32 v57, 0
	ds_read_b128 v[57:60], v57 offset:144
	s_waitcnt lgkmcnt(0)
	v_mul_f64 v[62:63], v[3:4], v[59:60]
	v_mul_f64 v[59:60], v[1:2], v[59:60]
	v_fma_f64 v[1:2], v[1:2], v[57:58], -v[62:63]
	v_fma_f64 v[3:4], v[3:4], v[57:58], v[59:60]
	buffer_store_dword v2, off, s[0:3], 0 offset:148
	buffer_store_dword v1, off, s[0:3], 0 offset:144
	buffer_store_dword v4, off, s[0:3], 0 offset:156
	buffer_store_dword v3, off, s[0:3], 0 offset:152
.LBB24_123:
	s_or_b32 exec_lo, exec_lo, s8
	v_mov_b32_e32 v4, s23
	v_cmp_lt_u32_e64 s5, 8, v0
	s_clause 0x3
	buffer_load_dword v1, v4, s[0:3], 0 offen
	buffer_load_dword v2, v4, s[0:3], 0 offen offset:4
	buffer_load_dword v3, v4, s[0:3], 0 offen offset:8
	;; [unrolled: 1-line block ×3, first 2 shown]
	s_waitcnt vmcnt(0)
	ds_write_b128 v56, v[1:4]
	s_waitcnt lgkmcnt(0)
	s_waitcnt_vscnt null, 0x0
	s_barrier
	buffer_gl0_inv
	s_and_saveexec_b32 s8, s5
	s_cbranch_execz .LBB24_131
; %bb.124:
	ds_read_b128 v[1:4], v56
	s_andn2_b32 vcc_lo, exec_lo, s31
	s_cbranch_vccnz .LBB24_126
; %bb.125:
	s_clause 0x3
	buffer_load_dword v57, v55, s[0:3], 0 offen offset:8
	buffer_load_dword v58, v55, s[0:3], 0 offen offset:12
	buffer_load_dword v59, v55, s[0:3], 0 offen
	buffer_load_dword v60, v55, s[0:3], 0 offen offset:4
	s_waitcnt vmcnt(2) lgkmcnt(0)
	v_mul_f64 v[62:63], v[3:4], v[57:58]
	v_mul_f64 v[57:58], v[1:2], v[57:58]
	s_waitcnt vmcnt(0)
	v_fma_f64 v[1:2], v[1:2], v[59:60], -v[62:63]
	v_fma_f64 v[3:4], v[3:4], v[59:60], v[57:58]
.LBB24_126:
	s_and_saveexec_b32 s33, s4
	s_cbranch_execz .LBB24_130
; %bb.127:
	v_add_nc_u32_e32 v57, -9, v0
	s_movk_i32 s34, 0x220
	s_mov_b32 s4, 0
	s_mov_b32 s35, s22
	.p2align	6
.LBB24_128:                             ; =>This Inner Loop Header: Depth=1
	v_mov_b32_e32 v60, s35
	v_add_nc_u32_e32 v57, -1, v57
	s_add_i32 s35, s35, 16
	s_clause 0x3
	buffer_load_dword v58, v60, s[0:3], 0 offen offset:8
	buffer_load_dword v59, v60, s[0:3], 0 offen offset:12
	buffer_load_dword v66, v60, s[0:3], 0 offen
	buffer_load_dword v67, v60, s[0:3], 0 offen offset:4
	v_mov_b32_e32 v60, s34
	v_cmp_eq_u32_e32 vcc_lo, 0, v57
	s_add_i32 s34, s34, 16
	ds_read_b128 v[62:65], v60
	s_or_b32 s4, vcc_lo, s4
	s_waitcnt vmcnt(2) lgkmcnt(0)
	v_mul_f64 v[68:69], v[64:65], v[58:59]
	v_mul_f64 v[58:59], v[62:63], v[58:59]
	s_waitcnt vmcnt(0)
	v_fma_f64 v[62:63], v[62:63], v[66:67], -v[68:69]
	v_fma_f64 v[58:59], v[64:65], v[66:67], v[58:59]
	v_add_f64 v[1:2], v[1:2], v[62:63]
	v_add_f64 v[3:4], v[3:4], v[58:59]
	s_andn2_b32 exec_lo, exec_lo, s4
	s_cbranch_execnz .LBB24_128
; %bb.129:
	s_or_b32 exec_lo, exec_lo, s4
.LBB24_130:
	s_or_b32 exec_lo, exec_lo, s33
	v_mov_b32_e32 v57, 0
	ds_read_b128 v[57:60], v57 offset:128
	s_waitcnt lgkmcnt(0)
	v_mul_f64 v[62:63], v[3:4], v[59:60]
	v_mul_f64 v[59:60], v[1:2], v[59:60]
	v_fma_f64 v[1:2], v[1:2], v[57:58], -v[62:63]
	v_fma_f64 v[3:4], v[3:4], v[57:58], v[59:60]
	buffer_store_dword v2, off, s[0:3], 0 offset:132
	buffer_store_dword v1, off, s[0:3], 0 offset:128
	;; [unrolled: 1-line block ×4, first 2 shown]
.LBB24_131:
	s_or_b32 exec_lo, exec_lo, s8
	v_mov_b32_e32 v4, s24
	v_cmp_lt_u32_e64 s4, 7, v0
	s_clause 0x3
	buffer_load_dword v1, v4, s[0:3], 0 offen
	buffer_load_dword v2, v4, s[0:3], 0 offen offset:4
	buffer_load_dword v3, v4, s[0:3], 0 offen offset:8
	;; [unrolled: 1-line block ×3, first 2 shown]
	s_waitcnt vmcnt(0)
	ds_write_b128 v56, v[1:4]
	s_waitcnt lgkmcnt(0)
	s_waitcnt_vscnt null, 0x0
	s_barrier
	buffer_gl0_inv
	s_and_saveexec_b32 s8, s4
	s_cbranch_execz .LBB24_139
; %bb.132:
	ds_read_b128 v[1:4], v56
	s_andn2_b32 vcc_lo, exec_lo, s31
	s_cbranch_vccnz .LBB24_134
; %bb.133:
	s_clause 0x3
	buffer_load_dword v57, v55, s[0:3], 0 offen offset:8
	buffer_load_dword v58, v55, s[0:3], 0 offen offset:12
	buffer_load_dword v59, v55, s[0:3], 0 offen
	buffer_load_dword v60, v55, s[0:3], 0 offen offset:4
	s_waitcnt vmcnt(2) lgkmcnt(0)
	v_mul_f64 v[62:63], v[3:4], v[57:58]
	v_mul_f64 v[57:58], v[1:2], v[57:58]
	s_waitcnt vmcnt(0)
	v_fma_f64 v[1:2], v[1:2], v[59:60], -v[62:63]
	v_fma_f64 v[3:4], v[3:4], v[59:60], v[57:58]
.LBB24_134:
	s_and_saveexec_b32 s33, s5
	s_cbranch_execz .LBB24_138
; %bb.135:
	v_add_nc_u32_e32 v57, -8, v0
	s_movk_i32 s34, 0x210
	s_mov_b32 s5, 0
	s_mov_b32 s35, s23
	.p2align	6
.LBB24_136:                             ; =>This Inner Loop Header: Depth=1
	v_mov_b32_e32 v60, s35
	v_add_nc_u32_e32 v57, -1, v57
	s_add_i32 s35, s35, 16
	s_clause 0x3
	buffer_load_dword v58, v60, s[0:3], 0 offen offset:8
	buffer_load_dword v59, v60, s[0:3], 0 offen offset:12
	buffer_load_dword v66, v60, s[0:3], 0 offen
	buffer_load_dword v67, v60, s[0:3], 0 offen offset:4
	v_mov_b32_e32 v60, s34
	v_cmp_eq_u32_e32 vcc_lo, 0, v57
	s_add_i32 s34, s34, 16
	ds_read_b128 v[62:65], v60
	s_or_b32 s5, vcc_lo, s5
	s_waitcnt vmcnt(2) lgkmcnt(0)
	v_mul_f64 v[68:69], v[64:65], v[58:59]
	v_mul_f64 v[58:59], v[62:63], v[58:59]
	s_waitcnt vmcnt(0)
	v_fma_f64 v[62:63], v[62:63], v[66:67], -v[68:69]
	v_fma_f64 v[58:59], v[64:65], v[66:67], v[58:59]
	v_add_f64 v[1:2], v[1:2], v[62:63]
	v_add_f64 v[3:4], v[3:4], v[58:59]
	s_andn2_b32 exec_lo, exec_lo, s5
	s_cbranch_execnz .LBB24_136
; %bb.137:
	s_or_b32 exec_lo, exec_lo, s5
.LBB24_138:
	s_or_b32 exec_lo, exec_lo, s33
	v_mov_b32_e32 v57, 0
	ds_read_b128 v[57:60], v57 offset:112
	s_waitcnt lgkmcnt(0)
	v_mul_f64 v[62:63], v[3:4], v[59:60]
	v_mul_f64 v[59:60], v[1:2], v[59:60]
	v_fma_f64 v[1:2], v[1:2], v[57:58], -v[62:63]
	v_fma_f64 v[3:4], v[3:4], v[57:58], v[59:60]
	buffer_store_dword v2, off, s[0:3], 0 offset:116
	buffer_store_dword v1, off, s[0:3], 0 offset:112
	;; [unrolled: 1-line block ×4, first 2 shown]
.LBB24_139:
	s_or_b32 exec_lo, exec_lo, s8
	v_mov_b32_e32 v4, s25
	v_cmp_lt_u32_e64 s5, 6, v0
	s_clause 0x3
	buffer_load_dword v1, v4, s[0:3], 0 offen
	buffer_load_dword v2, v4, s[0:3], 0 offen offset:4
	buffer_load_dword v3, v4, s[0:3], 0 offen offset:8
	;; [unrolled: 1-line block ×3, first 2 shown]
	s_waitcnt vmcnt(0)
	ds_write_b128 v56, v[1:4]
	s_waitcnt lgkmcnt(0)
	s_waitcnt_vscnt null, 0x0
	s_barrier
	buffer_gl0_inv
	s_and_saveexec_b32 s8, s5
	s_cbranch_execz .LBB24_147
; %bb.140:
	ds_read_b128 v[1:4], v56
	s_andn2_b32 vcc_lo, exec_lo, s31
	s_cbranch_vccnz .LBB24_142
; %bb.141:
	s_clause 0x3
	buffer_load_dword v57, v55, s[0:3], 0 offen offset:8
	buffer_load_dword v58, v55, s[0:3], 0 offen offset:12
	buffer_load_dword v59, v55, s[0:3], 0 offen
	buffer_load_dword v60, v55, s[0:3], 0 offen offset:4
	s_waitcnt vmcnt(2) lgkmcnt(0)
	v_mul_f64 v[62:63], v[3:4], v[57:58]
	v_mul_f64 v[57:58], v[1:2], v[57:58]
	s_waitcnt vmcnt(0)
	v_fma_f64 v[1:2], v[1:2], v[59:60], -v[62:63]
	v_fma_f64 v[3:4], v[3:4], v[59:60], v[57:58]
.LBB24_142:
	s_and_saveexec_b32 s33, s4
	s_cbranch_execz .LBB24_146
; %bb.143:
	v_add_nc_u32_e32 v57, -7, v0
	s_movk_i32 s34, 0x200
	s_mov_b32 s4, 0
	s_mov_b32 s35, s24
	.p2align	6
.LBB24_144:                             ; =>This Inner Loop Header: Depth=1
	v_mov_b32_e32 v60, s35
	v_add_nc_u32_e32 v57, -1, v57
	s_add_i32 s35, s35, 16
	s_clause 0x3
	buffer_load_dword v58, v60, s[0:3], 0 offen offset:8
	buffer_load_dword v59, v60, s[0:3], 0 offen offset:12
	buffer_load_dword v66, v60, s[0:3], 0 offen
	buffer_load_dword v67, v60, s[0:3], 0 offen offset:4
	v_mov_b32_e32 v60, s34
	v_cmp_eq_u32_e32 vcc_lo, 0, v57
	s_add_i32 s34, s34, 16
	ds_read_b128 v[62:65], v60
	s_or_b32 s4, vcc_lo, s4
	s_waitcnt vmcnt(2) lgkmcnt(0)
	v_mul_f64 v[68:69], v[64:65], v[58:59]
	v_mul_f64 v[58:59], v[62:63], v[58:59]
	s_waitcnt vmcnt(0)
	v_fma_f64 v[62:63], v[62:63], v[66:67], -v[68:69]
	v_fma_f64 v[58:59], v[64:65], v[66:67], v[58:59]
	v_add_f64 v[1:2], v[1:2], v[62:63]
	v_add_f64 v[3:4], v[3:4], v[58:59]
	s_andn2_b32 exec_lo, exec_lo, s4
	s_cbranch_execnz .LBB24_144
; %bb.145:
	s_or_b32 exec_lo, exec_lo, s4
.LBB24_146:
	s_or_b32 exec_lo, exec_lo, s33
	v_mov_b32_e32 v57, 0
	ds_read_b128 v[57:60], v57 offset:96
	s_waitcnt lgkmcnt(0)
	v_mul_f64 v[62:63], v[3:4], v[59:60]
	v_mul_f64 v[59:60], v[1:2], v[59:60]
	v_fma_f64 v[1:2], v[1:2], v[57:58], -v[62:63]
	v_fma_f64 v[3:4], v[3:4], v[57:58], v[59:60]
	buffer_store_dword v2, off, s[0:3], 0 offset:100
	buffer_store_dword v1, off, s[0:3], 0 offset:96
	;; [unrolled: 1-line block ×4, first 2 shown]
.LBB24_147:
	s_or_b32 exec_lo, exec_lo, s8
	v_mov_b32_e32 v4, s26
	v_cmp_lt_u32_e64 s4, 5, v0
	s_clause 0x3
	buffer_load_dword v1, v4, s[0:3], 0 offen
	buffer_load_dword v2, v4, s[0:3], 0 offen offset:4
	buffer_load_dword v3, v4, s[0:3], 0 offen offset:8
	;; [unrolled: 1-line block ×3, first 2 shown]
	s_waitcnt vmcnt(0)
	ds_write_b128 v56, v[1:4]
	s_waitcnt lgkmcnt(0)
	s_waitcnt_vscnt null, 0x0
	s_barrier
	buffer_gl0_inv
	s_and_saveexec_b32 s8, s4
	s_cbranch_execz .LBB24_155
; %bb.148:
	ds_read_b128 v[1:4], v56
	s_andn2_b32 vcc_lo, exec_lo, s31
	s_cbranch_vccnz .LBB24_150
; %bb.149:
	s_clause 0x3
	buffer_load_dword v57, v55, s[0:3], 0 offen offset:8
	buffer_load_dword v58, v55, s[0:3], 0 offen offset:12
	buffer_load_dword v59, v55, s[0:3], 0 offen
	buffer_load_dword v60, v55, s[0:3], 0 offen offset:4
	s_waitcnt vmcnt(2) lgkmcnt(0)
	v_mul_f64 v[62:63], v[3:4], v[57:58]
	v_mul_f64 v[57:58], v[1:2], v[57:58]
	s_waitcnt vmcnt(0)
	v_fma_f64 v[1:2], v[1:2], v[59:60], -v[62:63]
	v_fma_f64 v[3:4], v[3:4], v[59:60], v[57:58]
.LBB24_150:
	s_and_saveexec_b32 s33, s5
	s_cbranch_execz .LBB24_154
; %bb.151:
	v_add_nc_u32_e32 v57, -6, v0
	s_movk_i32 s34, 0x1f0
	s_mov_b32 s5, 0
	s_mov_b32 s35, s25
	.p2align	6
.LBB24_152:                             ; =>This Inner Loop Header: Depth=1
	v_mov_b32_e32 v60, s35
	v_add_nc_u32_e32 v57, -1, v57
	s_add_i32 s35, s35, 16
	s_clause 0x3
	buffer_load_dword v58, v60, s[0:3], 0 offen offset:8
	buffer_load_dword v59, v60, s[0:3], 0 offen offset:12
	buffer_load_dword v66, v60, s[0:3], 0 offen
	buffer_load_dword v67, v60, s[0:3], 0 offen offset:4
	v_mov_b32_e32 v60, s34
	v_cmp_eq_u32_e32 vcc_lo, 0, v57
	s_add_i32 s34, s34, 16
	ds_read_b128 v[62:65], v60
	s_or_b32 s5, vcc_lo, s5
	s_waitcnt vmcnt(2) lgkmcnt(0)
	v_mul_f64 v[68:69], v[64:65], v[58:59]
	v_mul_f64 v[58:59], v[62:63], v[58:59]
	s_waitcnt vmcnt(0)
	v_fma_f64 v[62:63], v[62:63], v[66:67], -v[68:69]
	v_fma_f64 v[58:59], v[64:65], v[66:67], v[58:59]
	v_add_f64 v[1:2], v[1:2], v[62:63]
	v_add_f64 v[3:4], v[3:4], v[58:59]
	s_andn2_b32 exec_lo, exec_lo, s5
	s_cbranch_execnz .LBB24_152
; %bb.153:
	s_or_b32 exec_lo, exec_lo, s5
.LBB24_154:
	s_or_b32 exec_lo, exec_lo, s33
	v_mov_b32_e32 v57, 0
	ds_read_b128 v[57:60], v57 offset:80
	s_waitcnt lgkmcnt(0)
	v_mul_f64 v[62:63], v[3:4], v[59:60]
	v_mul_f64 v[59:60], v[1:2], v[59:60]
	v_fma_f64 v[1:2], v[1:2], v[57:58], -v[62:63]
	v_fma_f64 v[3:4], v[3:4], v[57:58], v[59:60]
	buffer_store_dword v2, off, s[0:3], 0 offset:84
	buffer_store_dword v1, off, s[0:3], 0 offset:80
	;; [unrolled: 1-line block ×4, first 2 shown]
.LBB24_155:
	s_or_b32 exec_lo, exec_lo, s8
	v_mov_b32_e32 v4, s27
	v_cmp_lt_u32_e64 s5, 4, v0
	s_clause 0x3
	buffer_load_dword v1, v4, s[0:3], 0 offen
	buffer_load_dword v2, v4, s[0:3], 0 offen offset:4
	buffer_load_dword v3, v4, s[0:3], 0 offen offset:8
	buffer_load_dword v4, v4, s[0:3], 0 offen offset:12
	s_waitcnt vmcnt(0)
	ds_write_b128 v56, v[1:4]
	s_waitcnt lgkmcnt(0)
	s_waitcnt_vscnt null, 0x0
	s_barrier
	buffer_gl0_inv
	s_and_saveexec_b32 s8, s5
	s_cbranch_execz .LBB24_163
; %bb.156:
	ds_read_b128 v[1:4], v56
	s_andn2_b32 vcc_lo, exec_lo, s31
	s_cbranch_vccnz .LBB24_158
; %bb.157:
	s_clause 0x3
	buffer_load_dword v57, v55, s[0:3], 0 offen offset:8
	buffer_load_dword v58, v55, s[0:3], 0 offen offset:12
	buffer_load_dword v59, v55, s[0:3], 0 offen
	buffer_load_dword v60, v55, s[0:3], 0 offen offset:4
	s_waitcnt vmcnt(2) lgkmcnt(0)
	v_mul_f64 v[62:63], v[3:4], v[57:58]
	v_mul_f64 v[57:58], v[1:2], v[57:58]
	s_waitcnt vmcnt(0)
	v_fma_f64 v[1:2], v[1:2], v[59:60], -v[62:63]
	v_fma_f64 v[3:4], v[3:4], v[59:60], v[57:58]
.LBB24_158:
	s_and_saveexec_b32 s33, s4
	s_cbranch_execz .LBB24_162
; %bb.159:
	v_add_nc_u32_e32 v57, -5, v0
	s_movk_i32 s34, 0x1e0
	s_mov_b32 s4, 0
	s_mov_b32 s35, s26
	.p2align	6
.LBB24_160:                             ; =>This Inner Loop Header: Depth=1
	v_mov_b32_e32 v60, s35
	v_add_nc_u32_e32 v57, -1, v57
	s_add_i32 s35, s35, 16
	s_clause 0x3
	buffer_load_dword v58, v60, s[0:3], 0 offen offset:8
	buffer_load_dword v59, v60, s[0:3], 0 offen offset:12
	buffer_load_dword v66, v60, s[0:3], 0 offen
	buffer_load_dword v67, v60, s[0:3], 0 offen offset:4
	v_mov_b32_e32 v60, s34
	v_cmp_eq_u32_e32 vcc_lo, 0, v57
	s_add_i32 s34, s34, 16
	ds_read_b128 v[62:65], v60
	s_or_b32 s4, vcc_lo, s4
	s_waitcnt vmcnt(2) lgkmcnt(0)
	v_mul_f64 v[68:69], v[64:65], v[58:59]
	v_mul_f64 v[58:59], v[62:63], v[58:59]
	s_waitcnt vmcnt(0)
	v_fma_f64 v[62:63], v[62:63], v[66:67], -v[68:69]
	v_fma_f64 v[58:59], v[64:65], v[66:67], v[58:59]
	v_add_f64 v[1:2], v[1:2], v[62:63]
	v_add_f64 v[3:4], v[3:4], v[58:59]
	s_andn2_b32 exec_lo, exec_lo, s4
	s_cbranch_execnz .LBB24_160
; %bb.161:
	s_or_b32 exec_lo, exec_lo, s4
.LBB24_162:
	s_or_b32 exec_lo, exec_lo, s33
	v_mov_b32_e32 v57, 0
	ds_read_b128 v[57:60], v57 offset:64
	s_waitcnt lgkmcnt(0)
	v_mul_f64 v[62:63], v[3:4], v[59:60]
	v_mul_f64 v[59:60], v[1:2], v[59:60]
	v_fma_f64 v[1:2], v[1:2], v[57:58], -v[62:63]
	v_fma_f64 v[3:4], v[3:4], v[57:58], v[59:60]
	buffer_store_dword v2, off, s[0:3], 0 offset:68
	buffer_store_dword v1, off, s[0:3], 0 offset:64
	;; [unrolled: 1-line block ×4, first 2 shown]
.LBB24_163:
	s_or_b32 exec_lo, exec_lo, s8
	v_mov_b32_e32 v4, s28
	v_cmp_lt_u32_e64 s4, 3, v0
	s_clause 0x3
	buffer_load_dword v1, v4, s[0:3], 0 offen
	buffer_load_dword v2, v4, s[0:3], 0 offen offset:4
	buffer_load_dword v3, v4, s[0:3], 0 offen offset:8
	;; [unrolled: 1-line block ×3, first 2 shown]
	s_waitcnt vmcnt(0)
	ds_write_b128 v56, v[1:4]
	s_waitcnt lgkmcnt(0)
	s_waitcnt_vscnt null, 0x0
	s_barrier
	buffer_gl0_inv
	s_and_saveexec_b32 s8, s4
	s_cbranch_execz .LBB24_171
; %bb.164:
	ds_read_b128 v[1:4], v56
	s_andn2_b32 vcc_lo, exec_lo, s31
	s_cbranch_vccnz .LBB24_166
; %bb.165:
	s_clause 0x3
	buffer_load_dword v57, v55, s[0:3], 0 offen offset:8
	buffer_load_dword v58, v55, s[0:3], 0 offen offset:12
	buffer_load_dword v59, v55, s[0:3], 0 offen
	buffer_load_dword v60, v55, s[0:3], 0 offen offset:4
	s_waitcnt vmcnt(2) lgkmcnt(0)
	v_mul_f64 v[62:63], v[3:4], v[57:58]
	v_mul_f64 v[57:58], v[1:2], v[57:58]
	s_waitcnt vmcnt(0)
	v_fma_f64 v[1:2], v[1:2], v[59:60], -v[62:63]
	v_fma_f64 v[3:4], v[3:4], v[59:60], v[57:58]
.LBB24_166:
	s_and_saveexec_b32 s33, s5
	s_cbranch_execz .LBB24_170
; %bb.167:
	v_add_nc_u32_e32 v57, -4, v0
	s_movk_i32 s34, 0x1d0
	s_mov_b32 s5, 0
	s_mov_b32 s35, s27
	.p2align	6
.LBB24_168:                             ; =>This Inner Loop Header: Depth=1
	v_mov_b32_e32 v60, s35
	v_add_nc_u32_e32 v57, -1, v57
	s_add_i32 s35, s35, 16
	s_clause 0x3
	buffer_load_dword v58, v60, s[0:3], 0 offen offset:8
	buffer_load_dword v59, v60, s[0:3], 0 offen offset:12
	buffer_load_dword v66, v60, s[0:3], 0 offen
	buffer_load_dword v67, v60, s[0:3], 0 offen offset:4
	v_mov_b32_e32 v60, s34
	v_cmp_eq_u32_e32 vcc_lo, 0, v57
	s_add_i32 s34, s34, 16
	ds_read_b128 v[62:65], v60
	s_or_b32 s5, vcc_lo, s5
	s_waitcnt vmcnt(2) lgkmcnt(0)
	v_mul_f64 v[68:69], v[64:65], v[58:59]
	v_mul_f64 v[58:59], v[62:63], v[58:59]
	s_waitcnt vmcnt(0)
	v_fma_f64 v[62:63], v[62:63], v[66:67], -v[68:69]
	v_fma_f64 v[58:59], v[64:65], v[66:67], v[58:59]
	v_add_f64 v[1:2], v[1:2], v[62:63]
	v_add_f64 v[3:4], v[3:4], v[58:59]
	s_andn2_b32 exec_lo, exec_lo, s5
	s_cbranch_execnz .LBB24_168
; %bb.169:
	s_or_b32 exec_lo, exec_lo, s5
.LBB24_170:
	s_or_b32 exec_lo, exec_lo, s33
	v_mov_b32_e32 v57, 0
	ds_read_b128 v[57:60], v57 offset:48
	s_waitcnt lgkmcnt(0)
	v_mul_f64 v[62:63], v[3:4], v[59:60]
	v_mul_f64 v[59:60], v[1:2], v[59:60]
	v_fma_f64 v[1:2], v[1:2], v[57:58], -v[62:63]
	v_fma_f64 v[3:4], v[3:4], v[57:58], v[59:60]
	buffer_store_dword v2, off, s[0:3], 0 offset:52
	buffer_store_dword v1, off, s[0:3], 0 offset:48
	;; [unrolled: 1-line block ×4, first 2 shown]
.LBB24_171:
	s_or_b32 exec_lo, exec_lo, s8
	v_mov_b32_e32 v4, s29
	v_cmp_lt_u32_e64 s5, 2, v0
	s_clause 0x3
	buffer_load_dword v1, v4, s[0:3], 0 offen
	buffer_load_dword v2, v4, s[0:3], 0 offen offset:4
	buffer_load_dword v3, v4, s[0:3], 0 offen offset:8
	;; [unrolled: 1-line block ×3, first 2 shown]
	s_waitcnt vmcnt(0)
	ds_write_b128 v56, v[1:4]
	s_waitcnt lgkmcnt(0)
	s_waitcnt_vscnt null, 0x0
	s_barrier
	buffer_gl0_inv
	s_and_saveexec_b32 s8, s5
	s_cbranch_execz .LBB24_179
; %bb.172:
	ds_read_b128 v[1:4], v56
	s_andn2_b32 vcc_lo, exec_lo, s31
	s_cbranch_vccnz .LBB24_174
; %bb.173:
	s_clause 0x3
	buffer_load_dword v57, v55, s[0:3], 0 offen offset:8
	buffer_load_dword v58, v55, s[0:3], 0 offen offset:12
	buffer_load_dword v59, v55, s[0:3], 0 offen
	buffer_load_dword v60, v55, s[0:3], 0 offen offset:4
	s_waitcnt vmcnt(2) lgkmcnt(0)
	v_mul_f64 v[62:63], v[3:4], v[57:58]
	v_mul_f64 v[57:58], v[1:2], v[57:58]
	s_waitcnt vmcnt(0)
	v_fma_f64 v[1:2], v[1:2], v[59:60], -v[62:63]
	v_fma_f64 v[3:4], v[3:4], v[59:60], v[57:58]
.LBB24_174:
	s_and_saveexec_b32 s33, s4
	s_cbranch_execz .LBB24_178
; %bb.175:
	v_add_nc_u32_e32 v57, -3, v0
	s_movk_i32 s34, 0x1c0
	s_mov_b32 s4, 0
	s_mov_b32 s35, s28
	.p2align	6
.LBB24_176:                             ; =>This Inner Loop Header: Depth=1
	v_mov_b32_e32 v60, s35
	v_add_nc_u32_e32 v57, -1, v57
	s_add_i32 s35, s35, 16
	s_clause 0x3
	buffer_load_dword v58, v60, s[0:3], 0 offen offset:8
	buffer_load_dword v59, v60, s[0:3], 0 offen offset:12
	buffer_load_dword v66, v60, s[0:3], 0 offen
	buffer_load_dword v67, v60, s[0:3], 0 offen offset:4
	v_mov_b32_e32 v60, s34
	v_cmp_eq_u32_e32 vcc_lo, 0, v57
	s_add_i32 s34, s34, 16
	ds_read_b128 v[62:65], v60
	s_or_b32 s4, vcc_lo, s4
	s_waitcnt vmcnt(2) lgkmcnt(0)
	v_mul_f64 v[68:69], v[64:65], v[58:59]
	v_mul_f64 v[58:59], v[62:63], v[58:59]
	s_waitcnt vmcnt(0)
	v_fma_f64 v[62:63], v[62:63], v[66:67], -v[68:69]
	v_fma_f64 v[58:59], v[64:65], v[66:67], v[58:59]
	v_add_f64 v[1:2], v[1:2], v[62:63]
	v_add_f64 v[3:4], v[3:4], v[58:59]
	s_andn2_b32 exec_lo, exec_lo, s4
	s_cbranch_execnz .LBB24_176
; %bb.177:
	s_or_b32 exec_lo, exec_lo, s4
.LBB24_178:
	s_or_b32 exec_lo, exec_lo, s33
	v_mov_b32_e32 v57, 0
	ds_read_b128 v[57:60], v57 offset:32
	s_waitcnt lgkmcnt(0)
	v_mul_f64 v[62:63], v[3:4], v[59:60]
	v_mul_f64 v[59:60], v[1:2], v[59:60]
	v_fma_f64 v[1:2], v[1:2], v[57:58], -v[62:63]
	v_fma_f64 v[3:4], v[3:4], v[57:58], v[59:60]
	buffer_store_dword v2, off, s[0:3], 0 offset:36
	buffer_store_dword v1, off, s[0:3], 0 offset:32
	;; [unrolled: 1-line block ×4, first 2 shown]
.LBB24_179:
	s_or_b32 exec_lo, exec_lo, s8
	v_mov_b32_e32 v4, s30
	v_cmp_lt_u32_e64 s4, 1, v0
	s_clause 0x3
	buffer_load_dword v1, v4, s[0:3], 0 offen
	buffer_load_dword v2, v4, s[0:3], 0 offen offset:4
	buffer_load_dword v3, v4, s[0:3], 0 offen offset:8
	buffer_load_dword v4, v4, s[0:3], 0 offen offset:12
	s_waitcnt vmcnt(0)
	ds_write_b128 v56, v[1:4]
	s_waitcnt lgkmcnt(0)
	s_waitcnt_vscnt null, 0x0
	s_barrier
	buffer_gl0_inv
	s_and_saveexec_b32 s8, s4
	s_cbranch_execz .LBB24_187
; %bb.180:
	ds_read_b128 v[1:4], v56
	s_andn2_b32 vcc_lo, exec_lo, s31
	s_cbranch_vccnz .LBB24_182
; %bb.181:
	s_clause 0x3
	buffer_load_dword v57, v55, s[0:3], 0 offen offset:8
	buffer_load_dword v58, v55, s[0:3], 0 offen offset:12
	buffer_load_dword v59, v55, s[0:3], 0 offen
	buffer_load_dword v60, v55, s[0:3], 0 offen offset:4
	s_waitcnt vmcnt(2) lgkmcnt(0)
	v_mul_f64 v[62:63], v[3:4], v[57:58]
	v_mul_f64 v[57:58], v[1:2], v[57:58]
	s_waitcnt vmcnt(0)
	v_fma_f64 v[1:2], v[1:2], v[59:60], -v[62:63]
	v_fma_f64 v[3:4], v[3:4], v[59:60], v[57:58]
.LBB24_182:
	s_and_saveexec_b32 s33, s5
	s_cbranch_execz .LBB24_186
; %bb.183:
	v_add_nc_u32_e32 v57, -2, v0
	s_movk_i32 s34, 0x1b0
	s_mov_b32 s5, 0
	s_mov_b32 s35, s29
	.p2align	6
.LBB24_184:                             ; =>This Inner Loop Header: Depth=1
	v_mov_b32_e32 v60, s35
	v_add_nc_u32_e32 v57, -1, v57
	s_add_i32 s35, s35, 16
	s_clause 0x3
	buffer_load_dword v58, v60, s[0:3], 0 offen offset:8
	buffer_load_dword v59, v60, s[0:3], 0 offen offset:12
	buffer_load_dword v66, v60, s[0:3], 0 offen
	buffer_load_dword v67, v60, s[0:3], 0 offen offset:4
	v_mov_b32_e32 v60, s34
	v_cmp_eq_u32_e32 vcc_lo, 0, v57
	s_add_i32 s34, s34, 16
	ds_read_b128 v[62:65], v60
	s_or_b32 s5, vcc_lo, s5
	s_waitcnt vmcnt(2) lgkmcnt(0)
	v_mul_f64 v[68:69], v[64:65], v[58:59]
	v_mul_f64 v[58:59], v[62:63], v[58:59]
	s_waitcnt vmcnt(0)
	v_fma_f64 v[62:63], v[62:63], v[66:67], -v[68:69]
	v_fma_f64 v[58:59], v[64:65], v[66:67], v[58:59]
	v_add_f64 v[1:2], v[1:2], v[62:63]
	v_add_f64 v[3:4], v[3:4], v[58:59]
	s_andn2_b32 exec_lo, exec_lo, s5
	s_cbranch_execnz .LBB24_184
; %bb.185:
	s_or_b32 exec_lo, exec_lo, s5
.LBB24_186:
	s_or_b32 exec_lo, exec_lo, s33
	v_mov_b32_e32 v57, 0
	ds_read_b128 v[57:60], v57 offset:16
	s_waitcnt lgkmcnt(0)
	v_mul_f64 v[62:63], v[3:4], v[59:60]
	v_mul_f64 v[59:60], v[1:2], v[59:60]
	v_fma_f64 v[1:2], v[1:2], v[57:58], -v[62:63]
	v_fma_f64 v[3:4], v[3:4], v[57:58], v[59:60]
	buffer_store_dword v2, off, s[0:3], 0 offset:20
	buffer_store_dword v1, off, s[0:3], 0 offset:16
	;; [unrolled: 1-line block ×4, first 2 shown]
.LBB24_187:
	s_or_b32 exec_lo, exec_lo, s8
	s_clause 0x3
	buffer_load_dword v1, off, s[0:3], 0
	buffer_load_dword v2, off, s[0:3], 0 offset:4
	buffer_load_dword v3, off, s[0:3], 0 offset:8
	;; [unrolled: 1-line block ×3, first 2 shown]
	s_mov_b32 s8, 0
	s_mov_b32 s5, 0
	s_mov_b32 s33, exec_lo
                                        ; implicit-def: $sgpr34
	s_waitcnt vmcnt(0)
	ds_write_b128 v56, v[1:4]
	s_waitcnt lgkmcnt(0)
	s_waitcnt_vscnt null, 0x0
	s_barrier
	buffer_gl0_inv
                                        ; implicit-def: $vgpr1_vgpr2
	v_cmpx_ne_u32_e32 0, v0
	s_cbranch_execz .LBB24_195
; %bb.188:
	ds_read_b128 v[1:4], v56
	s_andn2_b32 vcc_lo, exec_lo, s31
	s_cbranch_vccnz .LBB24_190
; %bb.189:
	s_clause 0x3
	buffer_load_dword v57, v55, s[0:3], 0 offen offset:8
	buffer_load_dword v58, v55, s[0:3], 0 offen offset:12
	buffer_load_dword v59, v55, s[0:3], 0 offen
	buffer_load_dword v60, v55, s[0:3], 0 offen offset:4
	s_waitcnt vmcnt(2) lgkmcnt(0)
	v_mul_f64 v[62:63], v[3:4], v[57:58]
	v_mul_f64 v[57:58], v[1:2], v[57:58]
	s_waitcnt vmcnt(0)
	v_fma_f64 v[1:2], v[1:2], v[59:60], -v[62:63]
	v_fma_f64 v[3:4], v[3:4], v[59:60], v[57:58]
.LBB24_190:
	s_and_saveexec_b32 s5, s4
	s_cbranch_execz .LBB24_194
; %bb.191:
	v_add_nc_u32_e32 v57, -1, v0
	s_movk_i32 s34, 0x1a0
	s_mov_b32 s4, 0
	s_mov_b32 s35, s30
	.p2align	6
.LBB24_192:                             ; =>This Inner Loop Header: Depth=1
	v_mov_b32_e32 v60, s35
	v_add_nc_u32_e32 v57, -1, v57
	s_add_i32 s35, s35, 16
	s_clause 0x3
	buffer_load_dword v58, v60, s[0:3], 0 offen offset:8
	buffer_load_dword v59, v60, s[0:3], 0 offen offset:12
	buffer_load_dword v66, v60, s[0:3], 0 offen
	buffer_load_dword v67, v60, s[0:3], 0 offen offset:4
	v_mov_b32_e32 v60, s34
	v_cmp_eq_u32_e32 vcc_lo, 0, v57
	s_add_i32 s34, s34, 16
	ds_read_b128 v[62:65], v60
	s_or_b32 s4, vcc_lo, s4
	s_waitcnt vmcnt(2) lgkmcnt(0)
	v_mul_f64 v[68:69], v[64:65], v[58:59]
	v_mul_f64 v[58:59], v[62:63], v[58:59]
	s_waitcnt vmcnt(0)
	v_fma_f64 v[62:63], v[62:63], v[66:67], -v[68:69]
	v_fma_f64 v[58:59], v[64:65], v[66:67], v[58:59]
	v_add_f64 v[1:2], v[1:2], v[62:63]
	v_add_f64 v[3:4], v[3:4], v[58:59]
	s_andn2_b32 exec_lo, exec_lo, s4
	s_cbranch_execnz .LBB24_192
; %bb.193:
	s_or_b32 exec_lo, exec_lo, s4
.LBB24_194:
	s_or_b32 exec_lo, exec_lo, s5
	v_mov_b32_e32 v57, 0
	s_mov_b32 s5, exec_lo
	s_or_b32 s34, 0, 8
	ds_read_b128 v[57:60], v57
	s_waitcnt lgkmcnt(0)
	v_mul_f64 v[62:63], v[3:4], v[59:60]
	v_mul_f64 v[59:60], v[1:2], v[59:60]
	v_fma_f64 v[62:63], v[1:2], v[57:58], -v[62:63]
	v_fma_f64 v[1:2], v[3:4], v[57:58], v[59:60]
	buffer_store_dword v63, off, s[0:3], 0 offset:4
	buffer_store_dword v62, off, s[0:3], 0
.LBB24_195:
	s_or_b32 exec_lo, exec_lo, s33
	s_and_b32 vcc_lo, exec_lo, s8
	s_cbranch_vccnz .LBB24_197
	s_branch .LBB24_384
.LBB24_196:
	s_mov_b32 s5, 0
                                        ; implicit-def: $vgpr1_vgpr2
                                        ; implicit-def: $sgpr34
	s_cbranch_execz .LBB24_384
.LBB24_197:
	v_mov_b32_e32 v4, s30
	v_cmp_eq_u32_e64 s4, 0, v0
	v_cndmask_b32_e64 v57, 0, 1, s31
	s_clause 0x3
	buffer_load_dword v1, v4, s[0:3], 0 offen
	buffer_load_dword v2, v4, s[0:3], 0 offen offset:4
	buffer_load_dword v3, v4, s[0:3], 0 offen offset:8
	;; [unrolled: 1-line block ×3, first 2 shown]
	s_waitcnt vmcnt(0)
	ds_write_b128 v56, v[1:4]
	s_waitcnt lgkmcnt(0)
	s_waitcnt_vscnt null, 0x0
	s_barrier
	buffer_gl0_inv
	s_and_saveexec_b32 s8, s4
	s_cbranch_execz .LBB24_201
; %bb.198:
	ds_read_b128 v[1:4], v56
	s_andn2_b32 vcc_lo, exec_lo, s31
	s_cbranch_vccnz .LBB24_200
; %bb.199:
	s_clause 0x3
	buffer_load_dword v58, v55, s[0:3], 0 offen offset:8
	buffer_load_dword v59, v55, s[0:3], 0 offen offset:12
	buffer_load_dword v62, v55, s[0:3], 0 offen
	buffer_load_dword v63, v55, s[0:3], 0 offen offset:4
	s_waitcnt vmcnt(2) lgkmcnt(0)
	v_mul_f64 v[64:65], v[3:4], v[58:59]
	v_mul_f64 v[58:59], v[1:2], v[58:59]
	s_waitcnt vmcnt(0)
	v_fma_f64 v[1:2], v[1:2], v[62:63], -v[64:65]
	v_fma_f64 v[3:4], v[3:4], v[62:63], v[58:59]
.LBB24_200:
	v_mov_b32_e32 v58, 0
	ds_read_b128 v[62:65], v58 offset:16
	s_waitcnt lgkmcnt(0)
	v_mul_f64 v[58:59], v[3:4], v[64:65]
	v_mul_f64 v[64:65], v[1:2], v[64:65]
	v_fma_f64 v[1:2], v[1:2], v[62:63], -v[58:59]
	v_fma_f64 v[3:4], v[3:4], v[62:63], v[64:65]
	buffer_store_dword v2, off, s[0:3], 0 offset:20
	buffer_store_dword v1, off, s[0:3], 0 offset:16
	buffer_store_dword v4, off, s[0:3], 0 offset:28
	buffer_store_dword v3, off, s[0:3], 0 offset:24
.LBB24_201:
	s_or_b32 exec_lo, exec_lo, s8
	v_mov_b32_e32 v4, s29
	s_mov_b32 s8, exec_lo
	s_clause 0x3
	buffer_load_dword v1, v4, s[0:3], 0 offen
	buffer_load_dword v2, v4, s[0:3], 0 offen offset:4
	buffer_load_dword v3, v4, s[0:3], 0 offen offset:8
	;; [unrolled: 1-line block ×3, first 2 shown]
	s_waitcnt vmcnt(0)
	ds_write_b128 v56, v[1:4]
	s_waitcnt lgkmcnt(0)
	s_waitcnt_vscnt null, 0x0
	s_barrier
	buffer_gl0_inv
	v_cmpx_gt_u32_e32 2, v0
	s_cbranch_execz .LBB24_207
; %bb.202:
	ds_read_b128 v[1:4], v56
	v_cmp_ne_u32_e32 vcc_lo, 1, v57
	s_cbranch_vccnz .LBB24_204
; %bb.203:
	s_clause 0x3
	buffer_load_dword v58, v55, s[0:3], 0 offen offset:8
	buffer_load_dword v59, v55, s[0:3], 0 offen offset:12
	buffer_load_dword v62, v55, s[0:3], 0 offen
	buffer_load_dword v63, v55, s[0:3], 0 offen offset:4
	s_waitcnt vmcnt(2) lgkmcnt(0)
	v_mul_f64 v[64:65], v[3:4], v[58:59]
	v_mul_f64 v[58:59], v[1:2], v[58:59]
	s_waitcnt vmcnt(0)
	v_fma_f64 v[1:2], v[1:2], v[62:63], -v[64:65]
	v_fma_f64 v[3:4], v[3:4], v[62:63], v[58:59]
.LBB24_204:
	s_and_saveexec_b32 s31, s4
	s_cbranch_execz .LBB24_206
; %bb.205:
	s_clause 0x3
	buffer_load_dword v58, off, s[0:3], 0 offset:24
	buffer_load_dword v59, off, s[0:3], 0 offset:28
	;; [unrolled: 1-line block ×4, first 2 shown]
	v_mov_b32_e32 v60, 0
	ds_read_b128 v[62:65], v60 offset:416
	s_waitcnt vmcnt(2) lgkmcnt(0)
	v_mul_f64 v[68:69], v[64:65], v[58:59]
	v_mul_f64 v[58:59], v[62:63], v[58:59]
	s_waitcnt vmcnt(0)
	v_fma_f64 v[62:63], v[62:63], v[66:67], -v[68:69]
	v_fma_f64 v[58:59], v[64:65], v[66:67], v[58:59]
	v_add_f64 v[1:2], v[1:2], v[62:63]
	v_add_f64 v[3:4], v[3:4], v[58:59]
.LBB24_206:
	s_or_b32 exec_lo, exec_lo, s31
	v_mov_b32_e32 v58, 0
	ds_read_b128 v[62:65], v58 offset:32
	s_waitcnt lgkmcnt(0)
	v_mul_f64 v[58:59], v[3:4], v[64:65]
	v_mul_f64 v[64:65], v[1:2], v[64:65]
	v_fma_f64 v[1:2], v[1:2], v[62:63], -v[58:59]
	v_fma_f64 v[3:4], v[3:4], v[62:63], v[64:65]
	buffer_store_dword v2, off, s[0:3], 0 offset:36
	buffer_store_dword v1, off, s[0:3], 0 offset:32
	;; [unrolled: 1-line block ×4, first 2 shown]
.LBB24_207:
	s_or_b32 exec_lo, exec_lo, s8
	v_mov_b32_e32 v4, s28
	s_mov_b32 s8, exec_lo
	s_clause 0x3
	buffer_load_dword v1, v4, s[0:3], 0 offen
	buffer_load_dword v2, v4, s[0:3], 0 offen offset:4
	buffer_load_dword v3, v4, s[0:3], 0 offen offset:8
	;; [unrolled: 1-line block ×3, first 2 shown]
	s_waitcnt vmcnt(0)
	ds_write_b128 v56, v[1:4]
	s_waitcnt lgkmcnt(0)
	s_waitcnt_vscnt null, 0x0
	s_barrier
	buffer_gl0_inv
	v_cmpx_gt_u32_e32 3, v0
	s_cbranch_execz .LBB24_215
; %bb.208:
	ds_read_b128 v[1:4], v56
	v_cmp_ne_u32_e32 vcc_lo, 1, v57
	s_cbranch_vccnz .LBB24_210
; %bb.209:
	s_clause 0x3
	buffer_load_dword v58, v55, s[0:3], 0 offen offset:8
	buffer_load_dword v59, v55, s[0:3], 0 offen offset:12
	buffer_load_dword v62, v55, s[0:3], 0 offen
	buffer_load_dword v63, v55, s[0:3], 0 offen offset:4
	s_waitcnt vmcnt(2) lgkmcnt(0)
	v_mul_f64 v[64:65], v[3:4], v[58:59]
	v_mul_f64 v[58:59], v[1:2], v[58:59]
	s_waitcnt vmcnt(0)
	v_fma_f64 v[1:2], v[1:2], v[62:63], -v[64:65]
	v_fma_f64 v[3:4], v[3:4], v[62:63], v[58:59]
.LBB24_210:
	s_mov_b32 s31, exec_lo
	v_cmpx_ne_u32_e32 2, v0
	s_cbranch_execz .LBB24_214
; %bb.211:
	s_clause 0x3
	buffer_load_dword v58, v55, s[0:3], 0 offen offset:24
	buffer_load_dword v59, v55, s[0:3], 0 offen offset:28
	;; [unrolled: 1-line block ×4, first 2 shown]
	ds_read_b128 v[62:65], v56 offset:16
	s_waitcnt vmcnt(2) lgkmcnt(0)
	v_mul_f64 v[68:69], v[64:65], v[58:59]
	v_mul_f64 v[58:59], v[62:63], v[58:59]
	s_waitcnt vmcnt(0)
	v_fma_f64 v[62:63], v[62:63], v[66:67], -v[68:69]
	v_fma_f64 v[58:59], v[64:65], v[66:67], v[58:59]
	v_add_f64 v[1:2], v[1:2], v[62:63]
	v_add_f64 v[3:4], v[3:4], v[58:59]
	s_and_saveexec_b32 s33, s4
	s_cbranch_execz .LBB24_213
; %bb.212:
	s_clause 0x3
	buffer_load_dword v58, off, s[0:3], 0 offset:40
	buffer_load_dword v59, off, s[0:3], 0 offset:44
	;; [unrolled: 1-line block ×4, first 2 shown]
	v_mov_b32_e32 v60, 0
	ds_read_b128 v[62:65], v60 offset:432
	s_waitcnt vmcnt(2) lgkmcnt(0)
	v_mul_f64 v[68:69], v[62:63], v[58:59]
	v_mul_f64 v[58:59], v[64:65], v[58:59]
	s_waitcnt vmcnt(0)
	v_fma_f64 v[64:65], v[64:65], v[66:67], v[68:69]
	v_fma_f64 v[58:59], v[62:63], v[66:67], -v[58:59]
	v_add_f64 v[3:4], v[3:4], v[64:65]
	v_add_f64 v[1:2], v[1:2], v[58:59]
.LBB24_213:
	s_or_b32 exec_lo, exec_lo, s33
.LBB24_214:
	s_or_b32 exec_lo, exec_lo, s31
	v_mov_b32_e32 v58, 0
	ds_read_b128 v[62:65], v58 offset:48
	s_waitcnt lgkmcnt(0)
	v_mul_f64 v[58:59], v[3:4], v[64:65]
	v_mul_f64 v[64:65], v[1:2], v[64:65]
	v_fma_f64 v[1:2], v[1:2], v[62:63], -v[58:59]
	v_fma_f64 v[3:4], v[3:4], v[62:63], v[64:65]
	buffer_store_dword v2, off, s[0:3], 0 offset:52
	buffer_store_dword v1, off, s[0:3], 0 offset:48
	;; [unrolled: 1-line block ×4, first 2 shown]
.LBB24_215:
	s_or_b32 exec_lo, exec_lo, s8
	v_mov_b32_e32 v4, s27
	s_mov_b32 s4, exec_lo
	s_clause 0x3
	buffer_load_dword v1, v4, s[0:3], 0 offen
	buffer_load_dword v2, v4, s[0:3], 0 offen offset:4
	buffer_load_dword v3, v4, s[0:3], 0 offen offset:8
	;; [unrolled: 1-line block ×3, first 2 shown]
	s_waitcnt vmcnt(0)
	ds_write_b128 v56, v[1:4]
	s_waitcnt lgkmcnt(0)
	s_waitcnt_vscnt null, 0x0
	s_barrier
	buffer_gl0_inv
	v_cmpx_gt_u32_e32 4, v0
	s_cbranch_execz .LBB24_223
; %bb.216:
	ds_read_b128 v[1:4], v56
	v_cmp_ne_u32_e32 vcc_lo, 1, v57
	s_cbranch_vccnz .LBB24_218
; %bb.217:
	s_clause 0x3
	buffer_load_dword v58, v55, s[0:3], 0 offen offset:8
	buffer_load_dword v59, v55, s[0:3], 0 offen offset:12
	buffer_load_dword v62, v55, s[0:3], 0 offen
	buffer_load_dword v63, v55, s[0:3], 0 offen offset:4
	s_waitcnt vmcnt(2) lgkmcnt(0)
	v_mul_f64 v[64:65], v[3:4], v[58:59]
	v_mul_f64 v[58:59], v[1:2], v[58:59]
	s_waitcnt vmcnt(0)
	v_fma_f64 v[1:2], v[1:2], v[62:63], -v[64:65]
	v_fma_f64 v[3:4], v[3:4], v[62:63], v[58:59]
.LBB24_218:
	s_mov_b32 s8, exec_lo
	v_cmpx_ne_u32_e32 3, v0
	s_cbranch_execz .LBB24_222
; %bb.219:
	v_add_nc_u32_e32 v58, 0x1a0, v61
	v_add3_u32 v59, 0, v61, 16
	v_mov_b32_e32 v60, v0
	s_mov_b32 s31, 0
	.p2align	6
.LBB24_220:                             ; =>This Inner Loop Header: Depth=1
	s_clause 0x3
	buffer_load_dword v66, v59, s[0:3], 0 offen offset:8
	buffer_load_dword v67, v59, s[0:3], 0 offen offset:12
	buffer_load_dword v68, v59, s[0:3], 0 offen
	buffer_load_dword v69, v59, s[0:3], 0 offen offset:4
	ds_read_b128 v[62:65], v58
	v_add_nc_u32_e32 v60, 1, v60
	v_add_nc_u32_e32 v58, 16, v58
	;; [unrolled: 1-line block ×3, first 2 shown]
	v_cmp_lt_u32_e32 vcc_lo, 2, v60
	s_or_b32 s31, vcc_lo, s31
	s_waitcnt vmcnt(2) lgkmcnt(0)
	v_mul_f64 v[70:71], v[64:65], v[66:67]
	v_mul_f64 v[66:67], v[62:63], v[66:67]
	s_waitcnt vmcnt(0)
	v_fma_f64 v[62:63], v[62:63], v[68:69], -v[70:71]
	v_fma_f64 v[64:65], v[64:65], v[68:69], v[66:67]
	v_add_f64 v[1:2], v[1:2], v[62:63]
	v_add_f64 v[3:4], v[3:4], v[64:65]
	s_andn2_b32 exec_lo, exec_lo, s31
	s_cbranch_execnz .LBB24_220
; %bb.221:
	s_or_b32 exec_lo, exec_lo, s31
.LBB24_222:
	s_or_b32 exec_lo, exec_lo, s8
	v_mov_b32_e32 v58, 0
	ds_read_b128 v[62:65], v58 offset:64
	s_waitcnt lgkmcnt(0)
	v_mul_f64 v[58:59], v[3:4], v[64:65]
	v_mul_f64 v[64:65], v[1:2], v[64:65]
	v_fma_f64 v[1:2], v[1:2], v[62:63], -v[58:59]
	v_fma_f64 v[3:4], v[3:4], v[62:63], v[64:65]
	buffer_store_dword v2, off, s[0:3], 0 offset:68
	buffer_store_dword v1, off, s[0:3], 0 offset:64
	buffer_store_dword v4, off, s[0:3], 0 offset:76
	buffer_store_dword v3, off, s[0:3], 0 offset:72
.LBB24_223:
	s_or_b32 exec_lo, exec_lo, s4
	v_mov_b32_e32 v4, s26
	s_mov_b32 s4, exec_lo
	s_clause 0x3
	buffer_load_dword v1, v4, s[0:3], 0 offen
	buffer_load_dword v2, v4, s[0:3], 0 offen offset:4
	buffer_load_dword v3, v4, s[0:3], 0 offen offset:8
	;; [unrolled: 1-line block ×3, first 2 shown]
	s_waitcnt vmcnt(0)
	ds_write_b128 v56, v[1:4]
	s_waitcnt lgkmcnt(0)
	s_waitcnt_vscnt null, 0x0
	s_barrier
	buffer_gl0_inv
	v_cmpx_gt_u32_e32 5, v0
	s_cbranch_execz .LBB24_231
; %bb.224:
	ds_read_b128 v[1:4], v56
	v_cmp_ne_u32_e32 vcc_lo, 1, v57
	s_cbranch_vccnz .LBB24_226
; %bb.225:
	s_clause 0x3
	buffer_load_dword v58, v55, s[0:3], 0 offen offset:8
	buffer_load_dword v59, v55, s[0:3], 0 offen offset:12
	buffer_load_dword v62, v55, s[0:3], 0 offen
	buffer_load_dword v63, v55, s[0:3], 0 offen offset:4
	s_waitcnt vmcnt(2) lgkmcnt(0)
	v_mul_f64 v[64:65], v[3:4], v[58:59]
	v_mul_f64 v[58:59], v[1:2], v[58:59]
	s_waitcnt vmcnt(0)
	v_fma_f64 v[1:2], v[1:2], v[62:63], -v[64:65]
	v_fma_f64 v[3:4], v[3:4], v[62:63], v[58:59]
.LBB24_226:
	s_mov_b32 s8, exec_lo
	v_cmpx_ne_u32_e32 4, v0
	s_cbranch_execz .LBB24_230
; %bb.227:
	v_add_nc_u32_e32 v58, 0x1a0, v61
	v_add3_u32 v59, 0, v61, 16
	v_mov_b32_e32 v60, v0
	s_mov_b32 s31, 0
	.p2align	6
.LBB24_228:                             ; =>This Inner Loop Header: Depth=1
	s_clause 0x3
	buffer_load_dword v66, v59, s[0:3], 0 offen offset:8
	buffer_load_dword v67, v59, s[0:3], 0 offen offset:12
	buffer_load_dword v68, v59, s[0:3], 0 offen
	buffer_load_dword v69, v59, s[0:3], 0 offen offset:4
	ds_read_b128 v[62:65], v58
	v_add_nc_u32_e32 v60, 1, v60
	v_add_nc_u32_e32 v58, 16, v58
	;; [unrolled: 1-line block ×3, first 2 shown]
	v_cmp_lt_u32_e32 vcc_lo, 3, v60
	s_or_b32 s31, vcc_lo, s31
	s_waitcnt vmcnt(2) lgkmcnt(0)
	v_mul_f64 v[70:71], v[64:65], v[66:67]
	v_mul_f64 v[66:67], v[62:63], v[66:67]
	s_waitcnt vmcnt(0)
	v_fma_f64 v[62:63], v[62:63], v[68:69], -v[70:71]
	v_fma_f64 v[64:65], v[64:65], v[68:69], v[66:67]
	v_add_f64 v[1:2], v[1:2], v[62:63]
	v_add_f64 v[3:4], v[3:4], v[64:65]
	s_andn2_b32 exec_lo, exec_lo, s31
	s_cbranch_execnz .LBB24_228
; %bb.229:
	s_or_b32 exec_lo, exec_lo, s31
.LBB24_230:
	s_or_b32 exec_lo, exec_lo, s8
	v_mov_b32_e32 v58, 0
	ds_read_b128 v[62:65], v58 offset:80
	s_waitcnt lgkmcnt(0)
	v_mul_f64 v[58:59], v[3:4], v[64:65]
	v_mul_f64 v[64:65], v[1:2], v[64:65]
	v_fma_f64 v[1:2], v[1:2], v[62:63], -v[58:59]
	v_fma_f64 v[3:4], v[3:4], v[62:63], v[64:65]
	buffer_store_dword v2, off, s[0:3], 0 offset:84
	buffer_store_dword v1, off, s[0:3], 0 offset:80
	buffer_store_dword v4, off, s[0:3], 0 offset:92
	buffer_store_dword v3, off, s[0:3], 0 offset:88
.LBB24_231:
	s_or_b32 exec_lo, exec_lo, s4
	v_mov_b32_e32 v4, s25
	s_mov_b32 s4, exec_lo
	s_clause 0x3
	buffer_load_dword v1, v4, s[0:3], 0 offen
	buffer_load_dword v2, v4, s[0:3], 0 offen offset:4
	buffer_load_dword v3, v4, s[0:3], 0 offen offset:8
	;; [unrolled: 1-line block ×3, first 2 shown]
	s_waitcnt vmcnt(0)
	ds_write_b128 v56, v[1:4]
	s_waitcnt lgkmcnt(0)
	s_waitcnt_vscnt null, 0x0
	s_barrier
	buffer_gl0_inv
	v_cmpx_gt_u32_e32 6, v0
	s_cbranch_execz .LBB24_239
; %bb.232:
	ds_read_b128 v[1:4], v56
	v_cmp_ne_u32_e32 vcc_lo, 1, v57
	s_cbranch_vccnz .LBB24_234
; %bb.233:
	s_clause 0x3
	buffer_load_dword v58, v55, s[0:3], 0 offen offset:8
	buffer_load_dword v59, v55, s[0:3], 0 offen offset:12
	buffer_load_dword v62, v55, s[0:3], 0 offen
	buffer_load_dword v63, v55, s[0:3], 0 offen offset:4
	s_waitcnt vmcnt(2) lgkmcnt(0)
	v_mul_f64 v[64:65], v[3:4], v[58:59]
	v_mul_f64 v[58:59], v[1:2], v[58:59]
	s_waitcnt vmcnt(0)
	v_fma_f64 v[1:2], v[1:2], v[62:63], -v[64:65]
	v_fma_f64 v[3:4], v[3:4], v[62:63], v[58:59]
.LBB24_234:
	s_mov_b32 s8, exec_lo
	v_cmpx_ne_u32_e32 5, v0
	s_cbranch_execz .LBB24_238
; %bb.235:
	v_add_nc_u32_e32 v58, 0x1a0, v61
	v_add3_u32 v59, 0, v61, 16
	v_mov_b32_e32 v60, v0
	s_mov_b32 s31, 0
	.p2align	6
.LBB24_236:                             ; =>This Inner Loop Header: Depth=1
	s_clause 0x3
	buffer_load_dword v66, v59, s[0:3], 0 offen offset:8
	buffer_load_dword v67, v59, s[0:3], 0 offen offset:12
	buffer_load_dword v68, v59, s[0:3], 0 offen
	buffer_load_dword v69, v59, s[0:3], 0 offen offset:4
	ds_read_b128 v[62:65], v58
	v_add_nc_u32_e32 v60, 1, v60
	v_add_nc_u32_e32 v58, 16, v58
	;; [unrolled: 1-line block ×3, first 2 shown]
	v_cmp_lt_u32_e32 vcc_lo, 4, v60
	s_or_b32 s31, vcc_lo, s31
	s_waitcnt vmcnt(2) lgkmcnt(0)
	v_mul_f64 v[70:71], v[64:65], v[66:67]
	v_mul_f64 v[66:67], v[62:63], v[66:67]
	s_waitcnt vmcnt(0)
	v_fma_f64 v[62:63], v[62:63], v[68:69], -v[70:71]
	v_fma_f64 v[64:65], v[64:65], v[68:69], v[66:67]
	v_add_f64 v[1:2], v[1:2], v[62:63]
	v_add_f64 v[3:4], v[3:4], v[64:65]
	s_andn2_b32 exec_lo, exec_lo, s31
	s_cbranch_execnz .LBB24_236
; %bb.237:
	s_or_b32 exec_lo, exec_lo, s31
.LBB24_238:
	s_or_b32 exec_lo, exec_lo, s8
	v_mov_b32_e32 v58, 0
	ds_read_b128 v[62:65], v58 offset:96
	s_waitcnt lgkmcnt(0)
	v_mul_f64 v[58:59], v[3:4], v[64:65]
	v_mul_f64 v[64:65], v[1:2], v[64:65]
	v_fma_f64 v[1:2], v[1:2], v[62:63], -v[58:59]
	v_fma_f64 v[3:4], v[3:4], v[62:63], v[64:65]
	buffer_store_dword v2, off, s[0:3], 0 offset:100
	buffer_store_dword v1, off, s[0:3], 0 offset:96
	;; [unrolled: 1-line block ×4, first 2 shown]
.LBB24_239:
	s_or_b32 exec_lo, exec_lo, s4
	v_mov_b32_e32 v4, s24
	s_mov_b32 s4, exec_lo
	s_clause 0x3
	buffer_load_dword v1, v4, s[0:3], 0 offen
	buffer_load_dword v2, v4, s[0:3], 0 offen offset:4
	buffer_load_dword v3, v4, s[0:3], 0 offen offset:8
	;; [unrolled: 1-line block ×3, first 2 shown]
	s_waitcnt vmcnt(0)
	ds_write_b128 v56, v[1:4]
	s_waitcnt lgkmcnt(0)
	s_waitcnt_vscnt null, 0x0
	s_barrier
	buffer_gl0_inv
	v_cmpx_gt_u32_e32 7, v0
	s_cbranch_execz .LBB24_247
; %bb.240:
	ds_read_b128 v[1:4], v56
	v_cmp_ne_u32_e32 vcc_lo, 1, v57
	s_cbranch_vccnz .LBB24_242
; %bb.241:
	s_clause 0x3
	buffer_load_dword v58, v55, s[0:3], 0 offen offset:8
	buffer_load_dword v59, v55, s[0:3], 0 offen offset:12
	buffer_load_dword v62, v55, s[0:3], 0 offen
	buffer_load_dword v63, v55, s[0:3], 0 offen offset:4
	s_waitcnt vmcnt(2) lgkmcnt(0)
	v_mul_f64 v[64:65], v[3:4], v[58:59]
	v_mul_f64 v[58:59], v[1:2], v[58:59]
	s_waitcnt vmcnt(0)
	v_fma_f64 v[1:2], v[1:2], v[62:63], -v[64:65]
	v_fma_f64 v[3:4], v[3:4], v[62:63], v[58:59]
.LBB24_242:
	s_mov_b32 s8, exec_lo
	v_cmpx_ne_u32_e32 6, v0
	s_cbranch_execz .LBB24_246
; %bb.243:
	v_add_nc_u32_e32 v58, 0x1a0, v61
	v_add3_u32 v59, 0, v61, 16
	v_mov_b32_e32 v60, v0
	s_mov_b32 s31, 0
	.p2align	6
.LBB24_244:                             ; =>This Inner Loop Header: Depth=1
	s_clause 0x3
	buffer_load_dword v66, v59, s[0:3], 0 offen offset:8
	buffer_load_dword v67, v59, s[0:3], 0 offen offset:12
	buffer_load_dword v68, v59, s[0:3], 0 offen
	buffer_load_dword v69, v59, s[0:3], 0 offen offset:4
	ds_read_b128 v[62:65], v58
	v_add_nc_u32_e32 v60, 1, v60
	v_add_nc_u32_e32 v58, 16, v58
	;; [unrolled: 1-line block ×3, first 2 shown]
	v_cmp_lt_u32_e32 vcc_lo, 5, v60
	s_or_b32 s31, vcc_lo, s31
	s_waitcnt vmcnt(2) lgkmcnt(0)
	v_mul_f64 v[70:71], v[64:65], v[66:67]
	v_mul_f64 v[66:67], v[62:63], v[66:67]
	s_waitcnt vmcnt(0)
	v_fma_f64 v[62:63], v[62:63], v[68:69], -v[70:71]
	v_fma_f64 v[64:65], v[64:65], v[68:69], v[66:67]
	v_add_f64 v[1:2], v[1:2], v[62:63]
	v_add_f64 v[3:4], v[3:4], v[64:65]
	s_andn2_b32 exec_lo, exec_lo, s31
	s_cbranch_execnz .LBB24_244
; %bb.245:
	s_or_b32 exec_lo, exec_lo, s31
.LBB24_246:
	s_or_b32 exec_lo, exec_lo, s8
	v_mov_b32_e32 v58, 0
	ds_read_b128 v[62:65], v58 offset:112
	s_waitcnt lgkmcnt(0)
	v_mul_f64 v[58:59], v[3:4], v[64:65]
	v_mul_f64 v[64:65], v[1:2], v[64:65]
	v_fma_f64 v[1:2], v[1:2], v[62:63], -v[58:59]
	v_fma_f64 v[3:4], v[3:4], v[62:63], v[64:65]
	buffer_store_dword v2, off, s[0:3], 0 offset:116
	buffer_store_dword v1, off, s[0:3], 0 offset:112
	;; [unrolled: 1-line block ×4, first 2 shown]
.LBB24_247:
	s_or_b32 exec_lo, exec_lo, s4
	v_mov_b32_e32 v4, s23
	s_mov_b32 s4, exec_lo
	s_clause 0x3
	buffer_load_dword v1, v4, s[0:3], 0 offen
	buffer_load_dword v2, v4, s[0:3], 0 offen offset:4
	buffer_load_dword v3, v4, s[0:3], 0 offen offset:8
	;; [unrolled: 1-line block ×3, first 2 shown]
	s_waitcnt vmcnt(0)
	ds_write_b128 v56, v[1:4]
	s_waitcnt lgkmcnt(0)
	s_waitcnt_vscnt null, 0x0
	s_barrier
	buffer_gl0_inv
	v_cmpx_gt_u32_e32 8, v0
	s_cbranch_execz .LBB24_255
; %bb.248:
	ds_read_b128 v[1:4], v56
	v_cmp_ne_u32_e32 vcc_lo, 1, v57
	s_cbranch_vccnz .LBB24_250
; %bb.249:
	s_clause 0x3
	buffer_load_dword v58, v55, s[0:3], 0 offen offset:8
	buffer_load_dword v59, v55, s[0:3], 0 offen offset:12
	buffer_load_dword v62, v55, s[0:3], 0 offen
	buffer_load_dword v63, v55, s[0:3], 0 offen offset:4
	s_waitcnt vmcnt(2) lgkmcnt(0)
	v_mul_f64 v[64:65], v[3:4], v[58:59]
	v_mul_f64 v[58:59], v[1:2], v[58:59]
	s_waitcnt vmcnt(0)
	v_fma_f64 v[1:2], v[1:2], v[62:63], -v[64:65]
	v_fma_f64 v[3:4], v[3:4], v[62:63], v[58:59]
.LBB24_250:
	s_mov_b32 s8, exec_lo
	v_cmpx_ne_u32_e32 7, v0
	s_cbranch_execz .LBB24_254
; %bb.251:
	v_add_nc_u32_e32 v58, 0x1a0, v61
	v_add3_u32 v59, 0, v61, 16
	v_mov_b32_e32 v60, v0
	s_mov_b32 s31, 0
	.p2align	6
.LBB24_252:                             ; =>This Inner Loop Header: Depth=1
	s_clause 0x3
	buffer_load_dword v66, v59, s[0:3], 0 offen offset:8
	buffer_load_dword v67, v59, s[0:3], 0 offen offset:12
	buffer_load_dword v68, v59, s[0:3], 0 offen
	buffer_load_dword v69, v59, s[0:3], 0 offen offset:4
	ds_read_b128 v[62:65], v58
	v_add_nc_u32_e32 v60, 1, v60
	v_add_nc_u32_e32 v58, 16, v58
	;; [unrolled: 1-line block ×3, first 2 shown]
	v_cmp_lt_u32_e32 vcc_lo, 6, v60
	s_or_b32 s31, vcc_lo, s31
	s_waitcnt vmcnt(2) lgkmcnt(0)
	v_mul_f64 v[70:71], v[64:65], v[66:67]
	v_mul_f64 v[66:67], v[62:63], v[66:67]
	s_waitcnt vmcnt(0)
	v_fma_f64 v[62:63], v[62:63], v[68:69], -v[70:71]
	v_fma_f64 v[64:65], v[64:65], v[68:69], v[66:67]
	v_add_f64 v[1:2], v[1:2], v[62:63]
	v_add_f64 v[3:4], v[3:4], v[64:65]
	s_andn2_b32 exec_lo, exec_lo, s31
	s_cbranch_execnz .LBB24_252
; %bb.253:
	s_or_b32 exec_lo, exec_lo, s31
.LBB24_254:
	s_or_b32 exec_lo, exec_lo, s8
	v_mov_b32_e32 v58, 0
	ds_read_b128 v[62:65], v58 offset:128
	s_waitcnt lgkmcnt(0)
	v_mul_f64 v[58:59], v[3:4], v[64:65]
	v_mul_f64 v[64:65], v[1:2], v[64:65]
	v_fma_f64 v[1:2], v[1:2], v[62:63], -v[58:59]
	v_fma_f64 v[3:4], v[3:4], v[62:63], v[64:65]
	buffer_store_dword v2, off, s[0:3], 0 offset:132
	buffer_store_dword v1, off, s[0:3], 0 offset:128
	;; [unrolled: 1-line block ×4, first 2 shown]
.LBB24_255:
	s_or_b32 exec_lo, exec_lo, s4
	v_mov_b32_e32 v4, s22
	s_mov_b32 s4, exec_lo
	s_clause 0x3
	buffer_load_dword v1, v4, s[0:3], 0 offen
	buffer_load_dword v2, v4, s[0:3], 0 offen offset:4
	buffer_load_dword v3, v4, s[0:3], 0 offen offset:8
	;; [unrolled: 1-line block ×3, first 2 shown]
	s_waitcnt vmcnt(0)
	ds_write_b128 v56, v[1:4]
	s_waitcnt lgkmcnt(0)
	s_waitcnt_vscnt null, 0x0
	s_barrier
	buffer_gl0_inv
	v_cmpx_gt_u32_e32 9, v0
	s_cbranch_execz .LBB24_263
; %bb.256:
	ds_read_b128 v[1:4], v56
	v_cmp_ne_u32_e32 vcc_lo, 1, v57
	s_cbranch_vccnz .LBB24_258
; %bb.257:
	s_clause 0x3
	buffer_load_dword v58, v55, s[0:3], 0 offen offset:8
	buffer_load_dword v59, v55, s[0:3], 0 offen offset:12
	buffer_load_dword v62, v55, s[0:3], 0 offen
	buffer_load_dword v63, v55, s[0:3], 0 offen offset:4
	s_waitcnt vmcnt(2) lgkmcnt(0)
	v_mul_f64 v[64:65], v[3:4], v[58:59]
	v_mul_f64 v[58:59], v[1:2], v[58:59]
	s_waitcnt vmcnt(0)
	v_fma_f64 v[1:2], v[1:2], v[62:63], -v[64:65]
	v_fma_f64 v[3:4], v[3:4], v[62:63], v[58:59]
.LBB24_258:
	s_mov_b32 s8, exec_lo
	v_cmpx_ne_u32_e32 8, v0
	s_cbranch_execz .LBB24_262
; %bb.259:
	v_add_nc_u32_e32 v58, 0x1a0, v61
	v_add3_u32 v59, 0, v61, 16
	v_mov_b32_e32 v60, v0
	s_mov_b32 s31, 0
	.p2align	6
.LBB24_260:                             ; =>This Inner Loop Header: Depth=1
	s_clause 0x3
	buffer_load_dword v66, v59, s[0:3], 0 offen offset:8
	buffer_load_dword v67, v59, s[0:3], 0 offen offset:12
	buffer_load_dword v68, v59, s[0:3], 0 offen
	buffer_load_dword v69, v59, s[0:3], 0 offen offset:4
	ds_read_b128 v[62:65], v58
	v_add_nc_u32_e32 v60, 1, v60
	v_add_nc_u32_e32 v58, 16, v58
	;; [unrolled: 1-line block ×3, first 2 shown]
	v_cmp_lt_u32_e32 vcc_lo, 7, v60
	s_or_b32 s31, vcc_lo, s31
	s_waitcnt vmcnt(2) lgkmcnt(0)
	v_mul_f64 v[70:71], v[64:65], v[66:67]
	v_mul_f64 v[66:67], v[62:63], v[66:67]
	s_waitcnt vmcnt(0)
	v_fma_f64 v[62:63], v[62:63], v[68:69], -v[70:71]
	v_fma_f64 v[64:65], v[64:65], v[68:69], v[66:67]
	v_add_f64 v[1:2], v[1:2], v[62:63]
	v_add_f64 v[3:4], v[3:4], v[64:65]
	s_andn2_b32 exec_lo, exec_lo, s31
	s_cbranch_execnz .LBB24_260
; %bb.261:
	s_or_b32 exec_lo, exec_lo, s31
.LBB24_262:
	s_or_b32 exec_lo, exec_lo, s8
	v_mov_b32_e32 v58, 0
	ds_read_b128 v[62:65], v58 offset:144
	s_waitcnt lgkmcnt(0)
	v_mul_f64 v[58:59], v[3:4], v[64:65]
	v_mul_f64 v[64:65], v[1:2], v[64:65]
	v_fma_f64 v[1:2], v[1:2], v[62:63], -v[58:59]
	v_fma_f64 v[3:4], v[3:4], v[62:63], v[64:65]
	buffer_store_dword v2, off, s[0:3], 0 offset:148
	buffer_store_dword v1, off, s[0:3], 0 offset:144
	;; [unrolled: 1-line block ×4, first 2 shown]
.LBB24_263:
	s_or_b32 exec_lo, exec_lo, s4
	v_mov_b32_e32 v4, s21
	s_mov_b32 s4, exec_lo
	s_clause 0x3
	buffer_load_dword v1, v4, s[0:3], 0 offen
	buffer_load_dword v2, v4, s[0:3], 0 offen offset:4
	buffer_load_dword v3, v4, s[0:3], 0 offen offset:8
	;; [unrolled: 1-line block ×3, first 2 shown]
	s_waitcnt vmcnt(0)
	ds_write_b128 v56, v[1:4]
	s_waitcnt lgkmcnt(0)
	s_waitcnt_vscnt null, 0x0
	s_barrier
	buffer_gl0_inv
	v_cmpx_gt_u32_e32 10, v0
	s_cbranch_execz .LBB24_271
; %bb.264:
	ds_read_b128 v[1:4], v56
	v_cmp_ne_u32_e32 vcc_lo, 1, v57
	s_cbranch_vccnz .LBB24_266
; %bb.265:
	s_clause 0x3
	buffer_load_dword v58, v55, s[0:3], 0 offen offset:8
	buffer_load_dword v59, v55, s[0:3], 0 offen offset:12
	buffer_load_dword v62, v55, s[0:3], 0 offen
	buffer_load_dword v63, v55, s[0:3], 0 offen offset:4
	s_waitcnt vmcnt(2) lgkmcnt(0)
	v_mul_f64 v[64:65], v[3:4], v[58:59]
	v_mul_f64 v[58:59], v[1:2], v[58:59]
	s_waitcnt vmcnt(0)
	v_fma_f64 v[1:2], v[1:2], v[62:63], -v[64:65]
	v_fma_f64 v[3:4], v[3:4], v[62:63], v[58:59]
.LBB24_266:
	s_mov_b32 s8, exec_lo
	v_cmpx_ne_u32_e32 9, v0
	s_cbranch_execz .LBB24_270
; %bb.267:
	v_add_nc_u32_e32 v58, 0x1a0, v61
	v_add3_u32 v59, 0, v61, 16
	v_mov_b32_e32 v60, v0
	s_mov_b32 s31, 0
	.p2align	6
.LBB24_268:                             ; =>This Inner Loop Header: Depth=1
	s_clause 0x3
	buffer_load_dword v66, v59, s[0:3], 0 offen offset:8
	buffer_load_dword v67, v59, s[0:3], 0 offen offset:12
	buffer_load_dword v68, v59, s[0:3], 0 offen
	buffer_load_dword v69, v59, s[0:3], 0 offen offset:4
	ds_read_b128 v[62:65], v58
	v_add_nc_u32_e32 v60, 1, v60
	v_add_nc_u32_e32 v58, 16, v58
	;; [unrolled: 1-line block ×3, first 2 shown]
	v_cmp_lt_u32_e32 vcc_lo, 8, v60
	s_or_b32 s31, vcc_lo, s31
	s_waitcnt vmcnt(2) lgkmcnt(0)
	v_mul_f64 v[70:71], v[64:65], v[66:67]
	v_mul_f64 v[66:67], v[62:63], v[66:67]
	s_waitcnt vmcnt(0)
	v_fma_f64 v[62:63], v[62:63], v[68:69], -v[70:71]
	v_fma_f64 v[64:65], v[64:65], v[68:69], v[66:67]
	v_add_f64 v[1:2], v[1:2], v[62:63]
	v_add_f64 v[3:4], v[3:4], v[64:65]
	s_andn2_b32 exec_lo, exec_lo, s31
	s_cbranch_execnz .LBB24_268
; %bb.269:
	s_or_b32 exec_lo, exec_lo, s31
.LBB24_270:
	s_or_b32 exec_lo, exec_lo, s8
	v_mov_b32_e32 v58, 0
	ds_read_b128 v[62:65], v58 offset:160
	s_waitcnt lgkmcnt(0)
	v_mul_f64 v[58:59], v[3:4], v[64:65]
	v_mul_f64 v[64:65], v[1:2], v[64:65]
	v_fma_f64 v[1:2], v[1:2], v[62:63], -v[58:59]
	v_fma_f64 v[3:4], v[3:4], v[62:63], v[64:65]
	buffer_store_dword v2, off, s[0:3], 0 offset:164
	buffer_store_dword v1, off, s[0:3], 0 offset:160
	;; [unrolled: 1-line block ×4, first 2 shown]
.LBB24_271:
	s_or_b32 exec_lo, exec_lo, s4
	v_mov_b32_e32 v4, s20
	s_mov_b32 s4, exec_lo
	s_clause 0x3
	buffer_load_dword v1, v4, s[0:3], 0 offen
	buffer_load_dword v2, v4, s[0:3], 0 offen offset:4
	buffer_load_dword v3, v4, s[0:3], 0 offen offset:8
	buffer_load_dword v4, v4, s[0:3], 0 offen offset:12
	s_waitcnt vmcnt(0)
	ds_write_b128 v56, v[1:4]
	s_waitcnt lgkmcnt(0)
	s_waitcnt_vscnt null, 0x0
	s_barrier
	buffer_gl0_inv
	v_cmpx_gt_u32_e32 11, v0
	s_cbranch_execz .LBB24_279
; %bb.272:
	ds_read_b128 v[1:4], v56
	v_cmp_ne_u32_e32 vcc_lo, 1, v57
	s_cbranch_vccnz .LBB24_274
; %bb.273:
	s_clause 0x3
	buffer_load_dword v58, v55, s[0:3], 0 offen offset:8
	buffer_load_dword v59, v55, s[0:3], 0 offen offset:12
	buffer_load_dword v62, v55, s[0:3], 0 offen
	buffer_load_dword v63, v55, s[0:3], 0 offen offset:4
	s_waitcnt vmcnt(2) lgkmcnt(0)
	v_mul_f64 v[64:65], v[3:4], v[58:59]
	v_mul_f64 v[58:59], v[1:2], v[58:59]
	s_waitcnt vmcnt(0)
	v_fma_f64 v[1:2], v[1:2], v[62:63], -v[64:65]
	v_fma_f64 v[3:4], v[3:4], v[62:63], v[58:59]
.LBB24_274:
	s_mov_b32 s8, exec_lo
	v_cmpx_ne_u32_e32 10, v0
	s_cbranch_execz .LBB24_278
; %bb.275:
	v_add_nc_u32_e32 v58, 0x1a0, v61
	v_add3_u32 v59, 0, v61, 16
	v_mov_b32_e32 v60, v0
	s_mov_b32 s31, 0
	.p2align	6
.LBB24_276:                             ; =>This Inner Loop Header: Depth=1
	s_clause 0x3
	buffer_load_dword v66, v59, s[0:3], 0 offen offset:8
	buffer_load_dword v67, v59, s[0:3], 0 offen offset:12
	buffer_load_dword v68, v59, s[0:3], 0 offen
	buffer_load_dword v69, v59, s[0:3], 0 offen offset:4
	ds_read_b128 v[62:65], v58
	v_add_nc_u32_e32 v60, 1, v60
	v_add_nc_u32_e32 v58, 16, v58
	;; [unrolled: 1-line block ×3, first 2 shown]
	v_cmp_lt_u32_e32 vcc_lo, 9, v60
	s_or_b32 s31, vcc_lo, s31
	s_waitcnt vmcnt(2) lgkmcnt(0)
	v_mul_f64 v[70:71], v[64:65], v[66:67]
	v_mul_f64 v[66:67], v[62:63], v[66:67]
	s_waitcnt vmcnt(0)
	v_fma_f64 v[62:63], v[62:63], v[68:69], -v[70:71]
	v_fma_f64 v[64:65], v[64:65], v[68:69], v[66:67]
	v_add_f64 v[1:2], v[1:2], v[62:63]
	v_add_f64 v[3:4], v[3:4], v[64:65]
	s_andn2_b32 exec_lo, exec_lo, s31
	s_cbranch_execnz .LBB24_276
; %bb.277:
	s_or_b32 exec_lo, exec_lo, s31
.LBB24_278:
	s_or_b32 exec_lo, exec_lo, s8
	v_mov_b32_e32 v58, 0
	ds_read_b128 v[62:65], v58 offset:176
	s_waitcnt lgkmcnt(0)
	v_mul_f64 v[58:59], v[3:4], v[64:65]
	v_mul_f64 v[64:65], v[1:2], v[64:65]
	v_fma_f64 v[1:2], v[1:2], v[62:63], -v[58:59]
	v_fma_f64 v[3:4], v[3:4], v[62:63], v[64:65]
	buffer_store_dword v2, off, s[0:3], 0 offset:180
	buffer_store_dword v1, off, s[0:3], 0 offset:176
	;; [unrolled: 1-line block ×4, first 2 shown]
.LBB24_279:
	s_or_b32 exec_lo, exec_lo, s4
	v_mov_b32_e32 v4, s19
	s_mov_b32 s4, exec_lo
	s_clause 0x3
	buffer_load_dword v1, v4, s[0:3], 0 offen
	buffer_load_dword v2, v4, s[0:3], 0 offen offset:4
	buffer_load_dword v3, v4, s[0:3], 0 offen offset:8
	;; [unrolled: 1-line block ×3, first 2 shown]
	s_waitcnt vmcnt(0)
	ds_write_b128 v56, v[1:4]
	s_waitcnt lgkmcnt(0)
	s_waitcnt_vscnt null, 0x0
	s_barrier
	buffer_gl0_inv
	v_cmpx_gt_u32_e32 12, v0
	s_cbranch_execz .LBB24_287
; %bb.280:
	ds_read_b128 v[1:4], v56
	v_cmp_ne_u32_e32 vcc_lo, 1, v57
	s_cbranch_vccnz .LBB24_282
; %bb.281:
	s_clause 0x3
	buffer_load_dword v58, v55, s[0:3], 0 offen offset:8
	buffer_load_dword v59, v55, s[0:3], 0 offen offset:12
	buffer_load_dword v62, v55, s[0:3], 0 offen
	buffer_load_dword v63, v55, s[0:3], 0 offen offset:4
	s_waitcnt vmcnt(2) lgkmcnt(0)
	v_mul_f64 v[64:65], v[3:4], v[58:59]
	v_mul_f64 v[58:59], v[1:2], v[58:59]
	s_waitcnt vmcnt(0)
	v_fma_f64 v[1:2], v[1:2], v[62:63], -v[64:65]
	v_fma_f64 v[3:4], v[3:4], v[62:63], v[58:59]
.LBB24_282:
	s_mov_b32 s8, exec_lo
	v_cmpx_ne_u32_e32 11, v0
	s_cbranch_execz .LBB24_286
; %bb.283:
	v_add_nc_u32_e32 v58, 0x1a0, v61
	v_add3_u32 v59, 0, v61, 16
	v_mov_b32_e32 v60, v0
	s_mov_b32 s31, 0
	.p2align	6
.LBB24_284:                             ; =>This Inner Loop Header: Depth=1
	s_clause 0x3
	buffer_load_dword v66, v59, s[0:3], 0 offen offset:8
	buffer_load_dword v67, v59, s[0:3], 0 offen offset:12
	buffer_load_dword v68, v59, s[0:3], 0 offen
	buffer_load_dword v69, v59, s[0:3], 0 offen offset:4
	ds_read_b128 v[62:65], v58
	v_add_nc_u32_e32 v60, 1, v60
	v_add_nc_u32_e32 v58, 16, v58
	;; [unrolled: 1-line block ×3, first 2 shown]
	v_cmp_lt_u32_e32 vcc_lo, 10, v60
	s_or_b32 s31, vcc_lo, s31
	s_waitcnt vmcnt(2) lgkmcnt(0)
	v_mul_f64 v[70:71], v[64:65], v[66:67]
	v_mul_f64 v[66:67], v[62:63], v[66:67]
	s_waitcnt vmcnt(0)
	v_fma_f64 v[62:63], v[62:63], v[68:69], -v[70:71]
	v_fma_f64 v[64:65], v[64:65], v[68:69], v[66:67]
	v_add_f64 v[1:2], v[1:2], v[62:63]
	v_add_f64 v[3:4], v[3:4], v[64:65]
	s_andn2_b32 exec_lo, exec_lo, s31
	s_cbranch_execnz .LBB24_284
; %bb.285:
	s_or_b32 exec_lo, exec_lo, s31
.LBB24_286:
	s_or_b32 exec_lo, exec_lo, s8
	v_mov_b32_e32 v58, 0
	ds_read_b128 v[62:65], v58 offset:192
	s_waitcnt lgkmcnt(0)
	v_mul_f64 v[58:59], v[3:4], v[64:65]
	v_mul_f64 v[64:65], v[1:2], v[64:65]
	v_fma_f64 v[1:2], v[1:2], v[62:63], -v[58:59]
	v_fma_f64 v[3:4], v[3:4], v[62:63], v[64:65]
	buffer_store_dword v2, off, s[0:3], 0 offset:196
	buffer_store_dword v1, off, s[0:3], 0 offset:192
	;; [unrolled: 1-line block ×4, first 2 shown]
.LBB24_287:
	s_or_b32 exec_lo, exec_lo, s4
	v_mov_b32_e32 v4, s18
	s_mov_b32 s4, exec_lo
	s_clause 0x3
	buffer_load_dword v1, v4, s[0:3], 0 offen
	buffer_load_dword v2, v4, s[0:3], 0 offen offset:4
	buffer_load_dword v3, v4, s[0:3], 0 offen offset:8
	;; [unrolled: 1-line block ×3, first 2 shown]
	s_waitcnt vmcnt(0)
	ds_write_b128 v56, v[1:4]
	s_waitcnt lgkmcnt(0)
	s_waitcnt_vscnt null, 0x0
	s_barrier
	buffer_gl0_inv
	v_cmpx_gt_u32_e32 13, v0
	s_cbranch_execz .LBB24_295
; %bb.288:
	ds_read_b128 v[1:4], v56
	v_cmp_ne_u32_e32 vcc_lo, 1, v57
	s_cbranch_vccnz .LBB24_290
; %bb.289:
	s_clause 0x3
	buffer_load_dword v58, v55, s[0:3], 0 offen offset:8
	buffer_load_dword v59, v55, s[0:3], 0 offen offset:12
	buffer_load_dword v62, v55, s[0:3], 0 offen
	buffer_load_dword v63, v55, s[0:3], 0 offen offset:4
	s_waitcnt vmcnt(2) lgkmcnt(0)
	v_mul_f64 v[64:65], v[3:4], v[58:59]
	v_mul_f64 v[58:59], v[1:2], v[58:59]
	s_waitcnt vmcnt(0)
	v_fma_f64 v[1:2], v[1:2], v[62:63], -v[64:65]
	v_fma_f64 v[3:4], v[3:4], v[62:63], v[58:59]
.LBB24_290:
	s_mov_b32 s8, exec_lo
	v_cmpx_ne_u32_e32 12, v0
	s_cbranch_execz .LBB24_294
; %bb.291:
	v_add_nc_u32_e32 v58, 0x1a0, v61
	v_add3_u32 v59, 0, v61, 16
	v_mov_b32_e32 v60, v0
	s_mov_b32 s31, 0
	.p2align	6
.LBB24_292:                             ; =>This Inner Loop Header: Depth=1
	s_clause 0x3
	buffer_load_dword v66, v59, s[0:3], 0 offen offset:8
	buffer_load_dword v67, v59, s[0:3], 0 offen offset:12
	buffer_load_dword v68, v59, s[0:3], 0 offen
	buffer_load_dword v69, v59, s[0:3], 0 offen offset:4
	ds_read_b128 v[62:65], v58
	v_add_nc_u32_e32 v60, 1, v60
	v_add_nc_u32_e32 v58, 16, v58
	;; [unrolled: 1-line block ×3, first 2 shown]
	v_cmp_lt_u32_e32 vcc_lo, 11, v60
	s_or_b32 s31, vcc_lo, s31
	s_waitcnt vmcnt(2) lgkmcnt(0)
	v_mul_f64 v[70:71], v[64:65], v[66:67]
	v_mul_f64 v[66:67], v[62:63], v[66:67]
	s_waitcnt vmcnt(0)
	v_fma_f64 v[62:63], v[62:63], v[68:69], -v[70:71]
	v_fma_f64 v[64:65], v[64:65], v[68:69], v[66:67]
	v_add_f64 v[1:2], v[1:2], v[62:63]
	v_add_f64 v[3:4], v[3:4], v[64:65]
	s_andn2_b32 exec_lo, exec_lo, s31
	s_cbranch_execnz .LBB24_292
; %bb.293:
	s_or_b32 exec_lo, exec_lo, s31
.LBB24_294:
	s_or_b32 exec_lo, exec_lo, s8
	v_mov_b32_e32 v58, 0
	ds_read_b128 v[62:65], v58 offset:208
	s_waitcnt lgkmcnt(0)
	v_mul_f64 v[58:59], v[3:4], v[64:65]
	v_mul_f64 v[64:65], v[1:2], v[64:65]
	v_fma_f64 v[1:2], v[1:2], v[62:63], -v[58:59]
	v_fma_f64 v[3:4], v[3:4], v[62:63], v[64:65]
	buffer_store_dword v2, off, s[0:3], 0 offset:212
	buffer_store_dword v1, off, s[0:3], 0 offset:208
	buffer_store_dword v4, off, s[0:3], 0 offset:220
	buffer_store_dword v3, off, s[0:3], 0 offset:216
.LBB24_295:
	s_or_b32 exec_lo, exec_lo, s4
	v_mov_b32_e32 v4, s17
	s_mov_b32 s4, exec_lo
	s_clause 0x3
	buffer_load_dword v1, v4, s[0:3], 0 offen
	buffer_load_dword v2, v4, s[0:3], 0 offen offset:4
	buffer_load_dword v3, v4, s[0:3], 0 offen offset:8
	;; [unrolled: 1-line block ×3, first 2 shown]
	s_waitcnt vmcnt(0)
	ds_write_b128 v56, v[1:4]
	s_waitcnt lgkmcnt(0)
	s_waitcnt_vscnt null, 0x0
	s_barrier
	buffer_gl0_inv
	v_cmpx_gt_u32_e32 14, v0
	s_cbranch_execz .LBB24_303
; %bb.296:
	ds_read_b128 v[1:4], v56
	v_cmp_ne_u32_e32 vcc_lo, 1, v57
	s_cbranch_vccnz .LBB24_298
; %bb.297:
	s_clause 0x3
	buffer_load_dword v58, v55, s[0:3], 0 offen offset:8
	buffer_load_dword v59, v55, s[0:3], 0 offen offset:12
	buffer_load_dword v62, v55, s[0:3], 0 offen
	buffer_load_dword v63, v55, s[0:3], 0 offen offset:4
	s_waitcnt vmcnt(2) lgkmcnt(0)
	v_mul_f64 v[64:65], v[3:4], v[58:59]
	v_mul_f64 v[58:59], v[1:2], v[58:59]
	s_waitcnt vmcnt(0)
	v_fma_f64 v[1:2], v[1:2], v[62:63], -v[64:65]
	v_fma_f64 v[3:4], v[3:4], v[62:63], v[58:59]
.LBB24_298:
	s_mov_b32 s8, exec_lo
	v_cmpx_ne_u32_e32 13, v0
	s_cbranch_execz .LBB24_302
; %bb.299:
	v_add_nc_u32_e32 v58, 0x1a0, v61
	v_add3_u32 v59, 0, v61, 16
	v_mov_b32_e32 v60, v0
	s_mov_b32 s31, 0
	.p2align	6
.LBB24_300:                             ; =>This Inner Loop Header: Depth=1
	s_clause 0x3
	buffer_load_dword v66, v59, s[0:3], 0 offen offset:8
	buffer_load_dword v67, v59, s[0:3], 0 offen offset:12
	buffer_load_dword v68, v59, s[0:3], 0 offen
	buffer_load_dword v69, v59, s[0:3], 0 offen offset:4
	ds_read_b128 v[62:65], v58
	v_add_nc_u32_e32 v60, 1, v60
	v_add_nc_u32_e32 v58, 16, v58
	;; [unrolled: 1-line block ×3, first 2 shown]
	v_cmp_lt_u32_e32 vcc_lo, 12, v60
	s_or_b32 s31, vcc_lo, s31
	s_waitcnt vmcnt(2) lgkmcnt(0)
	v_mul_f64 v[70:71], v[64:65], v[66:67]
	v_mul_f64 v[66:67], v[62:63], v[66:67]
	s_waitcnt vmcnt(0)
	v_fma_f64 v[62:63], v[62:63], v[68:69], -v[70:71]
	v_fma_f64 v[64:65], v[64:65], v[68:69], v[66:67]
	v_add_f64 v[1:2], v[1:2], v[62:63]
	v_add_f64 v[3:4], v[3:4], v[64:65]
	s_andn2_b32 exec_lo, exec_lo, s31
	s_cbranch_execnz .LBB24_300
; %bb.301:
	s_or_b32 exec_lo, exec_lo, s31
.LBB24_302:
	s_or_b32 exec_lo, exec_lo, s8
	v_mov_b32_e32 v58, 0
	ds_read_b128 v[62:65], v58 offset:224
	s_waitcnt lgkmcnt(0)
	v_mul_f64 v[58:59], v[3:4], v[64:65]
	v_mul_f64 v[64:65], v[1:2], v[64:65]
	v_fma_f64 v[1:2], v[1:2], v[62:63], -v[58:59]
	v_fma_f64 v[3:4], v[3:4], v[62:63], v[64:65]
	buffer_store_dword v2, off, s[0:3], 0 offset:228
	buffer_store_dword v1, off, s[0:3], 0 offset:224
	;; [unrolled: 1-line block ×4, first 2 shown]
.LBB24_303:
	s_or_b32 exec_lo, exec_lo, s4
	v_mov_b32_e32 v4, s16
	s_mov_b32 s4, exec_lo
	s_clause 0x3
	buffer_load_dword v1, v4, s[0:3], 0 offen
	buffer_load_dword v2, v4, s[0:3], 0 offen offset:4
	buffer_load_dword v3, v4, s[0:3], 0 offen offset:8
	;; [unrolled: 1-line block ×3, first 2 shown]
	s_waitcnt vmcnt(0)
	ds_write_b128 v56, v[1:4]
	s_waitcnt lgkmcnt(0)
	s_waitcnt_vscnt null, 0x0
	s_barrier
	buffer_gl0_inv
	v_cmpx_gt_u32_e32 15, v0
	s_cbranch_execz .LBB24_311
; %bb.304:
	ds_read_b128 v[1:4], v56
	v_cmp_ne_u32_e32 vcc_lo, 1, v57
	s_cbranch_vccnz .LBB24_306
; %bb.305:
	s_clause 0x3
	buffer_load_dword v58, v55, s[0:3], 0 offen offset:8
	buffer_load_dword v59, v55, s[0:3], 0 offen offset:12
	buffer_load_dword v62, v55, s[0:3], 0 offen
	buffer_load_dword v63, v55, s[0:3], 0 offen offset:4
	s_waitcnt vmcnt(2) lgkmcnt(0)
	v_mul_f64 v[64:65], v[3:4], v[58:59]
	v_mul_f64 v[58:59], v[1:2], v[58:59]
	s_waitcnt vmcnt(0)
	v_fma_f64 v[1:2], v[1:2], v[62:63], -v[64:65]
	v_fma_f64 v[3:4], v[3:4], v[62:63], v[58:59]
.LBB24_306:
	s_mov_b32 s8, exec_lo
	v_cmpx_ne_u32_e32 14, v0
	s_cbranch_execz .LBB24_310
; %bb.307:
	v_add_nc_u32_e32 v58, 0x1a0, v61
	v_add3_u32 v59, 0, v61, 16
	v_mov_b32_e32 v60, v0
	s_mov_b32 s31, 0
	.p2align	6
.LBB24_308:                             ; =>This Inner Loop Header: Depth=1
	s_clause 0x3
	buffer_load_dword v66, v59, s[0:3], 0 offen offset:8
	buffer_load_dword v67, v59, s[0:3], 0 offen offset:12
	buffer_load_dword v68, v59, s[0:3], 0 offen
	buffer_load_dword v69, v59, s[0:3], 0 offen offset:4
	ds_read_b128 v[62:65], v58
	v_add_nc_u32_e32 v60, 1, v60
	v_add_nc_u32_e32 v58, 16, v58
	v_add_nc_u32_e32 v59, 16, v59
	v_cmp_lt_u32_e32 vcc_lo, 13, v60
	s_or_b32 s31, vcc_lo, s31
	s_waitcnt vmcnt(2) lgkmcnt(0)
	v_mul_f64 v[70:71], v[64:65], v[66:67]
	v_mul_f64 v[66:67], v[62:63], v[66:67]
	s_waitcnt vmcnt(0)
	v_fma_f64 v[62:63], v[62:63], v[68:69], -v[70:71]
	v_fma_f64 v[64:65], v[64:65], v[68:69], v[66:67]
	v_add_f64 v[1:2], v[1:2], v[62:63]
	v_add_f64 v[3:4], v[3:4], v[64:65]
	s_andn2_b32 exec_lo, exec_lo, s31
	s_cbranch_execnz .LBB24_308
; %bb.309:
	s_or_b32 exec_lo, exec_lo, s31
.LBB24_310:
	s_or_b32 exec_lo, exec_lo, s8
	v_mov_b32_e32 v58, 0
	ds_read_b128 v[62:65], v58 offset:240
	s_waitcnt lgkmcnt(0)
	v_mul_f64 v[58:59], v[3:4], v[64:65]
	v_mul_f64 v[64:65], v[1:2], v[64:65]
	v_fma_f64 v[1:2], v[1:2], v[62:63], -v[58:59]
	v_fma_f64 v[3:4], v[3:4], v[62:63], v[64:65]
	buffer_store_dword v2, off, s[0:3], 0 offset:244
	buffer_store_dword v1, off, s[0:3], 0 offset:240
	buffer_store_dword v4, off, s[0:3], 0 offset:252
	buffer_store_dword v3, off, s[0:3], 0 offset:248
.LBB24_311:
	s_or_b32 exec_lo, exec_lo, s4
	v_mov_b32_e32 v4, s15
	s_mov_b32 s4, exec_lo
	s_clause 0x3
	buffer_load_dword v1, v4, s[0:3], 0 offen
	buffer_load_dword v2, v4, s[0:3], 0 offen offset:4
	buffer_load_dword v3, v4, s[0:3], 0 offen offset:8
	;; [unrolled: 1-line block ×3, first 2 shown]
	s_waitcnt vmcnt(0)
	ds_write_b128 v56, v[1:4]
	s_waitcnt lgkmcnt(0)
	s_waitcnt_vscnt null, 0x0
	s_barrier
	buffer_gl0_inv
	v_cmpx_gt_u32_e32 16, v0
	s_cbranch_execz .LBB24_319
; %bb.312:
	ds_read_b128 v[1:4], v56
	v_cmp_ne_u32_e32 vcc_lo, 1, v57
	s_cbranch_vccnz .LBB24_314
; %bb.313:
	s_clause 0x3
	buffer_load_dword v58, v55, s[0:3], 0 offen offset:8
	buffer_load_dword v59, v55, s[0:3], 0 offen offset:12
	buffer_load_dword v62, v55, s[0:3], 0 offen
	buffer_load_dword v63, v55, s[0:3], 0 offen offset:4
	s_waitcnt vmcnt(2) lgkmcnt(0)
	v_mul_f64 v[64:65], v[3:4], v[58:59]
	v_mul_f64 v[58:59], v[1:2], v[58:59]
	s_waitcnt vmcnt(0)
	v_fma_f64 v[1:2], v[1:2], v[62:63], -v[64:65]
	v_fma_f64 v[3:4], v[3:4], v[62:63], v[58:59]
.LBB24_314:
	s_mov_b32 s8, exec_lo
	v_cmpx_ne_u32_e32 15, v0
	s_cbranch_execz .LBB24_318
; %bb.315:
	v_add_nc_u32_e32 v58, 0x1a0, v61
	v_add3_u32 v59, 0, v61, 16
	v_mov_b32_e32 v60, v0
	s_mov_b32 s31, 0
	.p2align	6
.LBB24_316:                             ; =>This Inner Loop Header: Depth=1
	s_clause 0x3
	buffer_load_dword v66, v59, s[0:3], 0 offen offset:8
	buffer_load_dword v67, v59, s[0:3], 0 offen offset:12
	buffer_load_dword v68, v59, s[0:3], 0 offen
	buffer_load_dword v69, v59, s[0:3], 0 offen offset:4
	ds_read_b128 v[62:65], v58
	v_add_nc_u32_e32 v60, 1, v60
	v_add_nc_u32_e32 v58, 16, v58
	;; [unrolled: 1-line block ×3, first 2 shown]
	v_cmp_lt_u32_e32 vcc_lo, 14, v60
	s_or_b32 s31, vcc_lo, s31
	s_waitcnt vmcnt(2) lgkmcnt(0)
	v_mul_f64 v[70:71], v[64:65], v[66:67]
	v_mul_f64 v[66:67], v[62:63], v[66:67]
	s_waitcnt vmcnt(0)
	v_fma_f64 v[62:63], v[62:63], v[68:69], -v[70:71]
	v_fma_f64 v[64:65], v[64:65], v[68:69], v[66:67]
	v_add_f64 v[1:2], v[1:2], v[62:63]
	v_add_f64 v[3:4], v[3:4], v[64:65]
	s_andn2_b32 exec_lo, exec_lo, s31
	s_cbranch_execnz .LBB24_316
; %bb.317:
	s_or_b32 exec_lo, exec_lo, s31
.LBB24_318:
	s_or_b32 exec_lo, exec_lo, s8
	v_mov_b32_e32 v58, 0
	ds_read_b128 v[62:65], v58 offset:256
	s_waitcnt lgkmcnt(0)
	v_mul_f64 v[58:59], v[3:4], v[64:65]
	v_mul_f64 v[64:65], v[1:2], v[64:65]
	v_fma_f64 v[1:2], v[1:2], v[62:63], -v[58:59]
	v_fma_f64 v[3:4], v[3:4], v[62:63], v[64:65]
	buffer_store_dword v2, off, s[0:3], 0 offset:260
	buffer_store_dword v1, off, s[0:3], 0 offset:256
	;; [unrolled: 1-line block ×4, first 2 shown]
.LBB24_319:
	s_or_b32 exec_lo, exec_lo, s4
	v_mov_b32_e32 v4, s14
	s_mov_b32 s4, exec_lo
	s_clause 0x3
	buffer_load_dword v1, v4, s[0:3], 0 offen
	buffer_load_dword v2, v4, s[0:3], 0 offen offset:4
	buffer_load_dword v3, v4, s[0:3], 0 offen offset:8
	;; [unrolled: 1-line block ×3, first 2 shown]
	s_waitcnt vmcnt(0)
	ds_write_b128 v56, v[1:4]
	s_waitcnt lgkmcnt(0)
	s_waitcnt_vscnt null, 0x0
	s_barrier
	buffer_gl0_inv
	v_cmpx_gt_u32_e32 17, v0
	s_cbranch_execz .LBB24_327
; %bb.320:
	ds_read_b128 v[1:4], v56
	v_cmp_ne_u32_e32 vcc_lo, 1, v57
	s_cbranch_vccnz .LBB24_322
; %bb.321:
	s_clause 0x3
	buffer_load_dword v58, v55, s[0:3], 0 offen offset:8
	buffer_load_dword v59, v55, s[0:3], 0 offen offset:12
	buffer_load_dword v62, v55, s[0:3], 0 offen
	buffer_load_dword v63, v55, s[0:3], 0 offen offset:4
	s_waitcnt vmcnt(2) lgkmcnt(0)
	v_mul_f64 v[64:65], v[3:4], v[58:59]
	v_mul_f64 v[58:59], v[1:2], v[58:59]
	s_waitcnt vmcnt(0)
	v_fma_f64 v[1:2], v[1:2], v[62:63], -v[64:65]
	v_fma_f64 v[3:4], v[3:4], v[62:63], v[58:59]
.LBB24_322:
	s_mov_b32 s8, exec_lo
	v_cmpx_ne_u32_e32 16, v0
	s_cbranch_execz .LBB24_326
; %bb.323:
	v_add_nc_u32_e32 v58, 0x1a0, v61
	v_add3_u32 v59, 0, v61, 16
	v_mov_b32_e32 v60, v0
	s_mov_b32 s31, 0
	.p2align	6
.LBB24_324:                             ; =>This Inner Loop Header: Depth=1
	s_clause 0x3
	buffer_load_dword v66, v59, s[0:3], 0 offen offset:8
	buffer_load_dword v67, v59, s[0:3], 0 offen offset:12
	buffer_load_dword v68, v59, s[0:3], 0 offen
	buffer_load_dword v69, v59, s[0:3], 0 offen offset:4
	ds_read_b128 v[62:65], v58
	v_add_nc_u32_e32 v60, 1, v60
	v_add_nc_u32_e32 v58, 16, v58
	;; [unrolled: 1-line block ×3, first 2 shown]
	v_cmp_lt_u32_e32 vcc_lo, 15, v60
	s_or_b32 s31, vcc_lo, s31
	s_waitcnt vmcnt(2) lgkmcnt(0)
	v_mul_f64 v[70:71], v[64:65], v[66:67]
	v_mul_f64 v[66:67], v[62:63], v[66:67]
	s_waitcnt vmcnt(0)
	v_fma_f64 v[62:63], v[62:63], v[68:69], -v[70:71]
	v_fma_f64 v[64:65], v[64:65], v[68:69], v[66:67]
	v_add_f64 v[1:2], v[1:2], v[62:63]
	v_add_f64 v[3:4], v[3:4], v[64:65]
	s_andn2_b32 exec_lo, exec_lo, s31
	s_cbranch_execnz .LBB24_324
; %bb.325:
	s_or_b32 exec_lo, exec_lo, s31
.LBB24_326:
	s_or_b32 exec_lo, exec_lo, s8
	v_mov_b32_e32 v58, 0
	ds_read_b128 v[62:65], v58 offset:272
	s_waitcnt lgkmcnt(0)
	v_mul_f64 v[58:59], v[3:4], v[64:65]
	v_mul_f64 v[64:65], v[1:2], v[64:65]
	v_fma_f64 v[1:2], v[1:2], v[62:63], -v[58:59]
	v_fma_f64 v[3:4], v[3:4], v[62:63], v[64:65]
	buffer_store_dword v2, off, s[0:3], 0 offset:276
	buffer_store_dword v1, off, s[0:3], 0 offset:272
	;; [unrolled: 1-line block ×4, first 2 shown]
.LBB24_327:
	s_or_b32 exec_lo, exec_lo, s4
	v_mov_b32_e32 v4, s13
	s_mov_b32 s4, exec_lo
	s_clause 0x3
	buffer_load_dword v1, v4, s[0:3], 0 offen
	buffer_load_dword v2, v4, s[0:3], 0 offen offset:4
	buffer_load_dword v3, v4, s[0:3], 0 offen offset:8
	;; [unrolled: 1-line block ×3, first 2 shown]
	s_waitcnt vmcnt(0)
	ds_write_b128 v56, v[1:4]
	s_waitcnt lgkmcnt(0)
	s_waitcnt_vscnt null, 0x0
	s_barrier
	buffer_gl0_inv
	v_cmpx_gt_u32_e32 18, v0
	s_cbranch_execz .LBB24_335
; %bb.328:
	ds_read_b128 v[1:4], v56
	v_cmp_ne_u32_e32 vcc_lo, 1, v57
	s_cbranch_vccnz .LBB24_330
; %bb.329:
	s_clause 0x3
	buffer_load_dword v58, v55, s[0:3], 0 offen offset:8
	buffer_load_dword v59, v55, s[0:3], 0 offen offset:12
	buffer_load_dword v62, v55, s[0:3], 0 offen
	buffer_load_dword v63, v55, s[0:3], 0 offen offset:4
	s_waitcnt vmcnt(2) lgkmcnt(0)
	v_mul_f64 v[64:65], v[3:4], v[58:59]
	v_mul_f64 v[58:59], v[1:2], v[58:59]
	s_waitcnt vmcnt(0)
	v_fma_f64 v[1:2], v[1:2], v[62:63], -v[64:65]
	v_fma_f64 v[3:4], v[3:4], v[62:63], v[58:59]
.LBB24_330:
	s_mov_b32 s8, exec_lo
	v_cmpx_ne_u32_e32 17, v0
	s_cbranch_execz .LBB24_334
; %bb.331:
	v_add_nc_u32_e32 v58, 0x1a0, v61
	v_add3_u32 v59, 0, v61, 16
	v_mov_b32_e32 v60, v0
	s_mov_b32 s31, 0
	.p2align	6
.LBB24_332:                             ; =>This Inner Loop Header: Depth=1
	s_clause 0x3
	buffer_load_dword v66, v59, s[0:3], 0 offen offset:8
	buffer_load_dword v67, v59, s[0:3], 0 offen offset:12
	buffer_load_dword v68, v59, s[0:3], 0 offen
	buffer_load_dword v69, v59, s[0:3], 0 offen offset:4
	ds_read_b128 v[62:65], v58
	v_add_nc_u32_e32 v60, 1, v60
	v_add_nc_u32_e32 v58, 16, v58
	;; [unrolled: 1-line block ×3, first 2 shown]
	v_cmp_lt_u32_e32 vcc_lo, 16, v60
	s_or_b32 s31, vcc_lo, s31
	s_waitcnt vmcnt(2) lgkmcnt(0)
	v_mul_f64 v[70:71], v[64:65], v[66:67]
	v_mul_f64 v[66:67], v[62:63], v[66:67]
	s_waitcnt vmcnt(0)
	v_fma_f64 v[62:63], v[62:63], v[68:69], -v[70:71]
	v_fma_f64 v[64:65], v[64:65], v[68:69], v[66:67]
	v_add_f64 v[1:2], v[1:2], v[62:63]
	v_add_f64 v[3:4], v[3:4], v[64:65]
	s_andn2_b32 exec_lo, exec_lo, s31
	s_cbranch_execnz .LBB24_332
; %bb.333:
	s_or_b32 exec_lo, exec_lo, s31
.LBB24_334:
	s_or_b32 exec_lo, exec_lo, s8
	v_mov_b32_e32 v58, 0
	ds_read_b128 v[62:65], v58 offset:288
	s_waitcnt lgkmcnt(0)
	v_mul_f64 v[58:59], v[3:4], v[64:65]
	v_mul_f64 v[64:65], v[1:2], v[64:65]
	v_fma_f64 v[1:2], v[1:2], v[62:63], -v[58:59]
	v_fma_f64 v[3:4], v[3:4], v[62:63], v[64:65]
	buffer_store_dword v2, off, s[0:3], 0 offset:292
	buffer_store_dword v1, off, s[0:3], 0 offset:288
	;; [unrolled: 1-line block ×4, first 2 shown]
.LBB24_335:
	s_or_b32 exec_lo, exec_lo, s4
	v_mov_b32_e32 v4, s12
	s_mov_b32 s4, exec_lo
	s_clause 0x3
	buffer_load_dword v1, v4, s[0:3], 0 offen
	buffer_load_dword v2, v4, s[0:3], 0 offen offset:4
	buffer_load_dword v3, v4, s[0:3], 0 offen offset:8
	;; [unrolled: 1-line block ×3, first 2 shown]
	s_waitcnt vmcnt(0)
	ds_write_b128 v56, v[1:4]
	s_waitcnt lgkmcnt(0)
	s_waitcnt_vscnt null, 0x0
	s_barrier
	buffer_gl0_inv
	v_cmpx_gt_u32_e32 19, v0
	s_cbranch_execz .LBB24_343
; %bb.336:
	ds_read_b128 v[1:4], v56
	v_cmp_ne_u32_e32 vcc_lo, 1, v57
	s_cbranch_vccnz .LBB24_338
; %bb.337:
	s_clause 0x3
	buffer_load_dword v58, v55, s[0:3], 0 offen offset:8
	buffer_load_dword v59, v55, s[0:3], 0 offen offset:12
	buffer_load_dword v62, v55, s[0:3], 0 offen
	buffer_load_dword v63, v55, s[0:3], 0 offen offset:4
	s_waitcnt vmcnt(2) lgkmcnt(0)
	v_mul_f64 v[64:65], v[3:4], v[58:59]
	v_mul_f64 v[58:59], v[1:2], v[58:59]
	s_waitcnt vmcnt(0)
	v_fma_f64 v[1:2], v[1:2], v[62:63], -v[64:65]
	v_fma_f64 v[3:4], v[3:4], v[62:63], v[58:59]
.LBB24_338:
	s_mov_b32 s8, exec_lo
	v_cmpx_ne_u32_e32 18, v0
	s_cbranch_execz .LBB24_342
; %bb.339:
	v_add_nc_u32_e32 v58, 0x1a0, v61
	v_add3_u32 v59, 0, v61, 16
	v_mov_b32_e32 v60, v0
	s_mov_b32 s31, 0
	.p2align	6
.LBB24_340:                             ; =>This Inner Loop Header: Depth=1
	s_clause 0x3
	buffer_load_dword v66, v59, s[0:3], 0 offen offset:8
	buffer_load_dword v67, v59, s[0:3], 0 offen offset:12
	buffer_load_dword v68, v59, s[0:3], 0 offen
	buffer_load_dword v69, v59, s[0:3], 0 offen offset:4
	ds_read_b128 v[62:65], v58
	v_add_nc_u32_e32 v60, 1, v60
	v_add_nc_u32_e32 v58, 16, v58
	;; [unrolled: 1-line block ×3, first 2 shown]
	v_cmp_lt_u32_e32 vcc_lo, 17, v60
	s_or_b32 s31, vcc_lo, s31
	s_waitcnt vmcnt(2) lgkmcnt(0)
	v_mul_f64 v[70:71], v[64:65], v[66:67]
	v_mul_f64 v[66:67], v[62:63], v[66:67]
	s_waitcnt vmcnt(0)
	v_fma_f64 v[62:63], v[62:63], v[68:69], -v[70:71]
	v_fma_f64 v[64:65], v[64:65], v[68:69], v[66:67]
	v_add_f64 v[1:2], v[1:2], v[62:63]
	v_add_f64 v[3:4], v[3:4], v[64:65]
	s_andn2_b32 exec_lo, exec_lo, s31
	s_cbranch_execnz .LBB24_340
; %bb.341:
	s_or_b32 exec_lo, exec_lo, s31
.LBB24_342:
	s_or_b32 exec_lo, exec_lo, s8
	v_mov_b32_e32 v58, 0
	ds_read_b128 v[62:65], v58 offset:304
	s_waitcnt lgkmcnt(0)
	v_mul_f64 v[58:59], v[3:4], v[64:65]
	v_mul_f64 v[64:65], v[1:2], v[64:65]
	v_fma_f64 v[1:2], v[1:2], v[62:63], -v[58:59]
	v_fma_f64 v[3:4], v[3:4], v[62:63], v[64:65]
	buffer_store_dword v2, off, s[0:3], 0 offset:308
	buffer_store_dword v1, off, s[0:3], 0 offset:304
	;; [unrolled: 1-line block ×4, first 2 shown]
.LBB24_343:
	s_or_b32 exec_lo, exec_lo, s4
	v_mov_b32_e32 v4, s11
	s_mov_b32 s4, exec_lo
	s_clause 0x3
	buffer_load_dword v1, v4, s[0:3], 0 offen
	buffer_load_dword v2, v4, s[0:3], 0 offen offset:4
	buffer_load_dword v3, v4, s[0:3], 0 offen offset:8
	;; [unrolled: 1-line block ×3, first 2 shown]
	s_waitcnt vmcnt(0)
	ds_write_b128 v56, v[1:4]
	s_waitcnt lgkmcnt(0)
	s_waitcnt_vscnt null, 0x0
	s_barrier
	buffer_gl0_inv
	v_cmpx_gt_u32_e32 20, v0
	s_cbranch_execz .LBB24_351
; %bb.344:
	ds_read_b128 v[1:4], v56
	v_cmp_ne_u32_e32 vcc_lo, 1, v57
	s_cbranch_vccnz .LBB24_346
; %bb.345:
	s_clause 0x3
	buffer_load_dword v58, v55, s[0:3], 0 offen offset:8
	buffer_load_dword v59, v55, s[0:3], 0 offen offset:12
	buffer_load_dword v62, v55, s[0:3], 0 offen
	buffer_load_dword v63, v55, s[0:3], 0 offen offset:4
	s_waitcnt vmcnt(2) lgkmcnt(0)
	v_mul_f64 v[64:65], v[3:4], v[58:59]
	v_mul_f64 v[58:59], v[1:2], v[58:59]
	s_waitcnt vmcnt(0)
	v_fma_f64 v[1:2], v[1:2], v[62:63], -v[64:65]
	v_fma_f64 v[3:4], v[3:4], v[62:63], v[58:59]
.LBB24_346:
	s_mov_b32 s8, exec_lo
	v_cmpx_ne_u32_e32 19, v0
	s_cbranch_execz .LBB24_350
; %bb.347:
	v_add_nc_u32_e32 v58, 0x1a0, v61
	v_add3_u32 v59, 0, v61, 16
	v_mov_b32_e32 v60, v0
	s_mov_b32 s31, 0
	.p2align	6
.LBB24_348:                             ; =>This Inner Loop Header: Depth=1
	s_clause 0x3
	buffer_load_dword v66, v59, s[0:3], 0 offen offset:8
	buffer_load_dword v67, v59, s[0:3], 0 offen offset:12
	buffer_load_dword v68, v59, s[0:3], 0 offen
	buffer_load_dword v69, v59, s[0:3], 0 offen offset:4
	ds_read_b128 v[62:65], v58
	v_add_nc_u32_e32 v60, 1, v60
	v_add_nc_u32_e32 v58, 16, v58
	;; [unrolled: 1-line block ×3, first 2 shown]
	v_cmp_lt_u32_e32 vcc_lo, 18, v60
	s_or_b32 s31, vcc_lo, s31
	s_waitcnt vmcnt(2) lgkmcnt(0)
	v_mul_f64 v[70:71], v[64:65], v[66:67]
	v_mul_f64 v[66:67], v[62:63], v[66:67]
	s_waitcnt vmcnt(0)
	v_fma_f64 v[62:63], v[62:63], v[68:69], -v[70:71]
	v_fma_f64 v[64:65], v[64:65], v[68:69], v[66:67]
	v_add_f64 v[1:2], v[1:2], v[62:63]
	v_add_f64 v[3:4], v[3:4], v[64:65]
	s_andn2_b32 exec_lo, exec_lo, s31
	s_cbranch_execnz .LBB24_348
; %bb.349:
	s_or_b32 exec_lo, exec_lo, s31
.LBB24_350:
	s_or_b32 exec_lo, exec_lo, s8
	v_mov_b32_e32 v58, 0
	ds_read_b128 v[62:65], v58 offset:320
	s_waitcnt lgkmcnt(0)
	v_mul_f64 v[58:59], v[3:4], v[64:65]
	v_mul_f64 v[64:65], v[1:2], v[64:65]
	v_fma_f64 v[1:2], v[1:2], v[62:63], -v[58:59]
	v_fma_f64 v[3:4], v[3:4], v[62:63], v[64:65]
	buffer_store_dword v2, off, s[0:3], 0 offset:324
	buffer_store_dword v1, off, s[0:3], 0 offset:320
	;; [unrolled: 1-line block ×4, first 2 shown]
.LBB24_351:
	s_or_b32 exec_lo, exec_lo, s4
	v_mov_b32_e32 v4, s10
	s_mov_b32 s4, exec_lo
	s_clause 0x3
	buffer_load_dword v1, v4, s[0:3], 0 offen
	buffer_load_dword v2, v4, s[0:3], 0 offen offset:4
	buffer_load_dword v3, v4, s[0:3], 0 offen offset:8
	;; [unrolled: 1-line block ×3, first 2 shown]
	s_waitcnt vmcnt(0)
	ds_write_b128 v56, v[1:4]
	s_waitcnt lgkmcnt(0)
	s_waitcnt_vscnt null, 0x0
	s_barrier
	buffer_gl0_inv
	v_cmpx_gt_u32_e32 21, v0
	s_cbranch_execz .LBB24_359
; %bb.352:
	ds_read_b128 v[1:4], v56
	v_cmp_ne_u32_e32 vcc_lo, 1, v57
	s_cbranch_vccnz .LBB24_354
; %bb.353:
	s_clause 0x3
	buffer_load_dword v58, v55, s[0:3], 0 offen offset:8
	buffer_load_dword v59, v55, s[0:3], 0 offen offset:12
	buffer_load_dword v62, v55, s[0:3], 0 offen
	buffer_load_dword v63, v55, s[0:3], 0 offen offset:4
	s_waitcnt vmcnt(2) lgkmcnt(0)
	v_mul_f64 v[64:65], v[3:4], v[58:59]
	v_mul_f64 v[58:59], v[1:2], v[58:59]
	s_waitcnt vmcnt(0)
	v_fma_f64 v[1:2], v[1:2], v[62:63], -v[64:65]
	v_fma_f64 v[3:4], v[3:4], v[62:63], v[58:59]
.LBB24_354:
	s_mov_b32 s8, exec_lo
	v_cmpx_ne_u32_e32 20, v0
	s_cbranch_execz .LBB24_358
; %bb.355:
	v_add_nc_u32_e32 v58, 0x1a0, v61
	v_add3_u32 v59, 0, v61, 16
	v_mov_b32_e32 v60, v0
	s_mov_b32 s31, 0
	.p2align	6
.LBB24_356:                             ; =>This Inner Loop Header: Depth=1
	s_clause 0x3
	buffer_load_dword v66, v59, s[0:3], 0 offen offset:8
	buffer_load_dword v67, v59, s[0:3], 0 offen offset:12
	buffer_load_dword v68, v59, s[0:3], 0 offen
	buffer_load_dword v69, v59, s[0:3], 0 offen offset:4
	ds_read_b128 v[62:65], v58
	v_add_nc_u32_e32 v60, 1, v60
	v_add_nc_u32_e32 v58, 16, v58
	;; [unrolled: 1-line block ×3, first 2 shown]
	v_cmp_lt_u32_e32 vcc_lo, 19, v60
	s_or_b32 s31, vcc_lo, s31
	s_waitcnt vmcnt(2) lgkmcnt(0)
	v_mul_f64 v[70:71], v[64:65], v[66:67]
	v_mul_f64 v[66:67], v[62:63], v[66:67]
	s_waitcnt vmcnt(0)
	v_fma_f64 v[62:63], v[62:63], v[68:69], -v[70:71]
	v_fma_f64 v[64:65], v[64:65], v[68:69], v[66:67]
	v_add_f64 v[1:2], v[1:2], v[62:63]
	v_add_f64 v[3:4], v[3:4], v[64:65]
	s_andn2_b32 exec_lo, exec_lo, s31
	s_cbranch_execnz .LBB24_356
; %bb.357:
	s_or_b32 exec_lo, exec_lo, s31
.LBB24_358:
	s_or_b32 exec_lo, exec_lo, s8
	v_mov_b32_e32 v58, 0
	ds_read_b128 v[62:65], v58 offset:336
	s_waitcnt lgkmcnt(0)
	v_mul_f64 v[58:59], v[3:4], v[64:65]
	v_mul_f64 v[64:65], v[1:2], v[64:65]
	v_fma_f64 v[1:2], v[1:2], v[62:63], -v[58:59]
	v_fma_f64 v[3:4], v[3:4], v[62:63], v[64:65]
	buffer_store_dword v2, off, s[0:3], 0 offset:340
	buffer_store_dword v1, off, s[0:3], 0 offset:336
	;; [unrolled: 1-line block ×4, first 2 shown]
.LBB24_359:
	s_or_b32 exec_lo, exec_lo, s4
	v_mov_b32_e32 v4, s9
	s_mov_b32 s4, exec_lo
	s_clause 0x3
	buffer_load_dword v1, v4, s[0:3], 0 offen
	buffer_load_dword v2, v4, s[0:3], 0 offen offset:4
	buffer_load_dword v3, v4, s[0:3], 0 offen offset:8
	;; [unrolled: 1-line block ×3, first 2 shown]
	s_waitcnt vmcnt(0)
	ds_write_b128 v56, v[1:4]
	s_waitcnt lgkmcnt(0)
	s_waitcnt_vscnt null, 0x0
	s_barrier
	buffer_gl0_inv
	v_cmpx_gt_u32_e32 22, v0
	s_cbranch_execz .LBB24_367
; %bb.360:
	ds_read_b128 v[1:4], v56
	v_cmp_ne_u32_e32 vcc_lo, 1, v57
	s_cbranch_vccnz .LBB24_362
; %bb.361:
	s_clause 0x3
	buffer_load_dword v58, v55, s[0:3], 0 offen offset:8
	buffer_load_dword v59, v55, s[0:3], 0 offen offset:12
	buffer_load_dword v62, v55, s[0:3], 0 offen
	buffer_load_dword v63, v55, s[0:3], 0 offen offset:4
	s_waitcnt vmcnt(2) lgkmcnt(0)
	v_mul_f64 v[64:65], v[3:4], v[58:59]
	v_mul_f64 v[58:59], v[1:2], v[58:59]
	s_waitcnt vmcnt(0)
	v_fma_f64 v[1:2], v[1:2], v[62:63], -v[64:65]
	v_fma_f64 v[3:4], v[3:4], v[62:63], v[58:59]
.LBB24_362:
	s_mov_b32 s8, exec_lo
	v_cmpx_ne_u32_e32 21, v0
	s_cbranch_execz .LBB24_366
; %bb.363:
	v_add_nc_u32_e32 v58, 0x1a0, v61
	v_add3_u32 v59, 0, v61, 16
	v_mov_b32_e32 v60, v0
	s_mov_b32 s31, 0
	.p2align	6
.LBB24_364:                             ; =>This Inner Loop Header: Depth=1
	s_clause 0x3
	buffer_load_dword v66, v59, s[0:3], 0 offen offset:8
	buffer_load_dword v67, v59, s[0:3], 0 offen offset:12
	buffer_load_dword v68, v59, s[0:3], 0 offen
	buffer_load_dword v69, v59, s[0:3], 0 offen offset:4
	ds_read_b128 v[62:65], v58
	v_add_nc_u32_e32 v60, 1, v60
	v_add_nc_u32_e32 v58, 16, v58
	;; [unrolled: 1-line block ×3, first 2 shown]
	v_cmp_lt_u32_e32 vcc_lo, 20, v60
	s_or_b32 s31, vcc_lo, s31
	s_waitcnt vmcnt(2) lgkmcnt(0)
	v_mul_f64 v[70:71], v[64:65], v[66:67]
	v_mul_f64 v[66:67], v[62:63], v[66:67]
	s_waitcnt vmcnt(0)
	v_fma_f64 v[62:63], v[62:63], v[68:69], -v[70:71]
	v_fma_f64 v[64:65], v[64:65], v[68:69], v[66:67]
	v_add_f64 v[1:2], v[1:2], v[62:63]
	v_add_f64 v[3:4], v[3:4], v[64:65]
	s_andn2_b32 exec_lo, exec_lo, s31
	s_cbranch_execnz .LBB24_364
; %bb.365:
	s_or_b32 exec_lo, exec_lo, s31
.LBB24_366:
	s_or_b32 exec_lo, exec_lo, s8
	v_mov_b32_e32 v58, 0
	ds_read_b128 v[62:65], v58 offset:352
	s_waitcnt lgkmcnt(0)
	v_mul_f64 v[58:59], v[3:4], v[64:65]
	v_mul_f64 v[64:65], v[1:2], v[64:65]
	v_fma_f64 v[1:2], v[1:2], v[62:63], -v[58:59]
	v_fma_f64 v[3:4], v[3:4], v[62:63], v[64:65]
	buffer_store_dword v2, off, s[0:3], 0 offset:356
	buffer_store_dword v1, off, s[0:3], 0 offset:352
	;; [unrolled: 1-line block ×4, first 2 shown]
.LBB24_367:
	s_or_b32 exec_lo, exec_lo, s4
	v_mov_b32_e32 v4, s7
	v_cmp_gt_u32_e64 s4, 23, v0
	s_clause 0x3
	buffer_load_dword v1, v4, s[0:3], 0 offen
	buffer_load_dword v2, v4, s[0:3], 0 offen offset:4
	buffer_load_dword v3, v4, s[0:3], 0 offen offset:8
	;; [unrolled: 1-line block ×3, first 2 shown]
	s_waitcnt vmcnt(0)
	ds_write_b128 v56, v[1:4]
	s_waitcnt lgkmcnt(0)
	s_waitcnt_vscnt null, 0x0
	s_barrier
	buffer_gl0_inv
	s_and_saveexec_b32 s8, s4
	s_cbranch_execz .LBB24_375
; %bb.368:
	ds_read_b128 v[1:4], v56
	v_cmp_ne_u32_e32 vcc_lo, 1, v57
	s_cbranch_vccnz .LBB24_370
; %bb.369:
	s_clause 0x3
	buffer_load_dword v58, v55, s[0:3], 0 offen offset:8
	buffer_load_dword v59, v55, s[0:3], 0 offen offset:12
	buffer_load_dword v62, v55, s[0:3], 0 offen
	buffer_load_dword v63, v55, s[0:3], 0 offen offset:4
	s_waitcnt vmcnt(2) lgkmcnt(0)
	v_mul_f64 v[64:65], v[3:4], v[58:59]
	v_mul_f64 v[58:59], v[1:2], v[58:59]
	s_waitcnt vmcnt(0)
	v_fma_f64 v[1:2], v[1:2], v[62:63], -v[64:65]
	v_fma_f64 v[3:4], v[3:4], v[62:63], v[58:59]
.LBB24_370:
	s_mov_b32 s31, exec_lo
	v_cmpx_ne_u32_e32 22, v0
	s_cbranch_execz .LBB24_374
; %bb.371:
	v_add_nc_u32_e32 v58, 0x1a0, v61
	v_add3_u32 v59, 0, v61, 16
	v_mov_b32_e32 v60, v0
	s_mov_b32 s33, 0
	.p2align	6
.LBB24_372:                             ; =>This Inner Loop Header: Depth=1
	s_clause 0x3
	buffer_load_dword v66, v59, s[0:3], 0 offen offset:8
	buffer_load_dword v67, v59, s[0:3], 0 offen offset:12
	buffer_load_dword v68, v59, s[0:3], 0 offen
	buffer_load_dword v69, v59, s[0:3], 0 offen offset:4
	ds_read_b128 v[62:65], v58
	v_add_nc_u32_e32 v60, 1, v60
	v_add_nc_u32_e32 v58, 16, v58
	;; [unrolled: 1-line block ×3, first 2 shown]
	v_cmp_lt_u32_e32 vcc_lo, 21, v60
	s_or_b32 s33, vcc_lo, s33
	s_waitcnt vmcnt(2) lgkmcnt(0)
	v_mul_f64 v[70:71], v[64:65], v[66:67]
	v_mul_f64 v[66:67], v[62:63], v[66:67]
	s_waitcnt vmcnt(0)
	v_fma_f64 v[62:63], v[62:63], v[68:69], -v[70:71]
	v_fma_f64 v[64:65], v[64:65], v[68:69], v[66:67]
	v_add_f64 v[1:2], v[1:2], v[62:63]
	v_add_f64 v[3:4], v[3:4], v[64:65]
	s_andn2_b32 exec_lo, exec_lo, s33
	s_cbranch_execnz .LBB24_372
; %bb.373:
	s_or_b32 exec_lo, exec_lo, s33
.LBB24_374:
	s_or_b32 exec_lo, exec_lo, s31
	v_mov_b32_e32 v58, 0
	ds_read_b128 v[62:65], v58 offset:368
	s_waitcnt lgkmcnt(0)
	v_mul_f64 v[58:59], v[3:4], v[64:65]
	v_mul_f64 v[64:65], v[1:2], v[64:65]
	v_fma_f64 v[1:2], v[1:2], v[62:63], -v[58:59]
	v_fma_f64 v[3:4], v[3:4], v[62:63], v[64:65]
	buffer_store_dword v2, off, s[0:3], 0 offset:372
	buffer_store_dword v1, off, s[0:3], 0 offset:368
	;; [unrolled: 1-line block ×4, first 2 shown]
.LBB24_375:
	s_or_b32 exec_lo, exec_lo, s8
	v_mov_b32_e32 v4, s6
	s_mov_b32 s8, exec_lo
                                        ; implicit-def: $sgpr34
	s_clause 0x3
	buffer_load_dword v1, v4, s[0:3], 0 offen
	buffer_load_dword v2, v4, s[0:3], 0 offen offset:4
	buffer_load_dword v3, v4, s[0:3], 0 offen offset:8
	;; [unrolled: 1-line block ×3, first 2 shown]
	s_waitcnt vmcnt(0)
	ds_write_b128 v56, v[1:4]
	s_waitcnt lgkmcnt(0)
	s_waitcnt_vscnt null, 0x0
	s_barrier
	buffer_gl0_inv
                                        ; implicit-def: $vgpr1_vgpr2
	v_cmpx_ne_u32_e32 24, v0
	s_cbranch_execz .LBB24_383
; %bb.376:
	ds_read_b128 v[1:4], v56
	v_cmp_ne_u32_e32 vcc_lo, 1, v57
	s_cbranch_vccnz .LBB24_378
; %bb.377:
	s_clause 0x3
	buffer_load_dword v56, v55, s[0:3], 0 offen offset:8
	buffer_load_dword v57, v55, s[0:3], 0 offen offset:12
	buffer_load_dword v58, v55, s[0:3], 0 offen
	buffer_load_dword v59, v55, s[0:3], 0 offen offset:4
	s_waitcnt vmcnt(2) lgkmcnt(0)
	v_mul_f64 v[62:63], v[3:4], v[56:57]
	v_mul_f64 v[55:56], v[1:2], v[56:57]
	s_waitcnt vmcnt(0)
	v_fma_f64 v[1:2], v[1:2], v[58:59], -v[62:63]
	v_fma_f64 v[3:4], v[3:4], v[58:59], v[55:56]
.LBB24_378:
	s_and_saveexec_b32 s31, s4
	s_cbranch_execz .LBB24_382
; %bb.379:
	v_add_nc_u32_e32 v55, 0x1a0, v61
	v_add3_u32 v56, 0, v61, 16
	s_mov_b32 s4, 0
	.p2align	6
.LBB24_380:                             ; =>This Inner Loop Header: Depth=1
	s_clause 0x3
	buffer_load_dword v61, v56, s[0:3], 0 offen offset:8
	buffer_load_dword v62, v56, s[0:3], 0 offen offset:12
	buffer_load_dword v63, v56, s[0:3], 0 offen
	buffer_load_dword v64, v56, s[0:3], 0 offen offset:4
	ds_read_b128 v[57:60], v55
	v_add_nc_u32_e32 v0, 1, v0
	v_add_nc_u32_e32 v55, 16, v55
	;; [unrolled: 1-line block ×3, first 2 shown]
	v_cmp_lt_u32_e32 vcc_lo, 22, v0
	s_or_b32 s4, vcc_lo, s4
	s_waitcnt vmcnt(2) lgkmcnt(0)
	v_mul_f64 v[65:66], v[59:60], v[61:62]
	v_mul_f64 v[61:62], v[57:58], v[61:62]
	s_waitcnt vmcnt(0)
	v_fma_f64 v[57:58], v[57:58], v[63:64], -v[65:66]
	v_fma_f64 v[59:60], v[59:60], v[63:64], v[61:62]
	v_add_f64 v[1:2], v[1:2], v[57:58]
	v_add_f64 v[3:4], v[3:4], v[59:60]
	s_andn2_b32 exec_lo, exec_lo, s4
	s_cbranch_execnz .LBB24_380
; %bb.381:
	s_or_b32 exec_lo, exec_lo, s4
.LBB24_382:
	s_or_b32 exec_lo, exec_lo, s31
	v_mov_b32_e32 v0, 0
	s_movk_i32 s34, 0x188
	s_or_b32 s5, s5, exec_lo
	ds_read_b128 v[55:58], v0 offset:384
	s_waitcnt lgkmcnt(0)
	v_mul_f64 v[59:60], v[3:4], v[57:58]
	v_mul_f64 v[57:58], v[1:2], v[57:58]
	v_fma_f64 v[59:60], v[1:2], v[55:56], -v[59:60]
	v_fma_f64 v[1:2], v[3:4], v[55:56], v[57:58]
	buffer_store_dword v60, off, s[0:3], 0 offset:388
	buffer_store_dword v59, off, s[0:3], 0 offset:384
.LBB24_383:
	s_or_b32 exec_lo, exec_lo, s8
.LBB24_384:
	s_and_saveexec_b32 s4, s5
	s_cbranch_execz .LBB24_386
; %bb.385:
	v_mov_b32_e32 v0, s34
	buffer_store_dword v2, v0, s[0:3], 0 offen offset:4
	buffer_store_dword v1, v0, s[0:3], 0 offen
.LBB24_386:
	s_or_b32 exec_lo, exec_lo, s4
	v_mov_b32_e32 v4, s30
	s_clause 0x3
	buffer_load_dword v0, off, s[0:3], 0
	buffer_load_dword v1, off, s[0:3], 0 offset:4
	buffer_load_dword v2, off, s[0:3], 0 offset:8
	;; [unrolled: 1-line block ×3, first 2 shown]
	v_mov_b32_e32 v75, s25
	v_mov_b32_e32 v79, s21
	;; [unrolled: 1-line block ×3, first 2 shown]
	s_clause 0x3
	buffer_load_dword v55, v4, s[0:3], 0 offen
	buffer_load_dword v56, v4, s[0:3], 0 offen offset:4
	buffer_load_dword v57, v4, s[0:3], 0 offen offset:8
	;; [unrolled: 1-line block ×3, first 2 shown]
	v_mov_b32_e32 v4, s29
	v_mov_b32_e32 v82, s11
	;; [unrolled: 1-line block ×4, first 2 shown]
	s_clause 0x3
	buffer_load_dword v59, v4, s[0:3], 0 offen
	buffer_load_dword v60, v4, s[0:3], 0 offen offset:4
	buffer_load_dword v61, v4, s[0:3], 0 offen offset:8
	buffer_load_dword v62, v4, s[0:3], 0 offen offset:12
	v_mov_b32_e32 v4, s28
	v_mov_b32_e32 v81, s12
	;; [unrolled: 1-line block ×3, first 2 shown]
	s_clause 0x3
	buffer_load_dword v63, v4, s[0:3], 0 offen
	buffer_load_dword v64, v4, s[0:3], 0 offen offset:4
	buffer_load_dword v65, v4, s[0:3], 0 offen offset:8
	;; [unrolled: 1-line block ×3, first 2 shown]
	v_mov_b32_e32 v4, s27
	v_mov_b32_e32 v86, s7
	s_clause 0x3
	buffer_load_dword v67, v4, s[0:3], 0 offen
	buffer_load_dword v68, v4, s[0:3], 0 offen offset:4
	buffer_load_dword v69, v4, s[0:3], 0 offen offset:8
	;; [unrolled: 1-line block ×3, first 2 shown]
	v_mov_b32_e32 v4, s26
	s_clause 0x3
	buffer_load_dword v71, v4, s[0:3], 0 offen
	buffer_load_dword v72, v4, s[0:3], 0 offen offset:4
	buffer_load_dword v73, v4, s[0:3], 0 offen offset:8
	;; [unrolled: 1-line block ×3, first 2 shown]
	v_mov_b32_e32 v4, s24
	s_waitcnt vmcnt(20)
	global_store_dwordx4 v[9:10], v[0:3], off
	s_clause 0x7
	buffer_load_dword v0, v75, s[0:3], 0 offen
	buffer_load_dword v1, v75, s[0:3], 0 offen offset:4
	buffer_load_dword v2, v75, s[0:3], 0 offen offset:8
	;; [unrolled: 1-line block ×3, first 2 shown]
	buffer_load_dword v75, v4, s[0:3], 0 offen
	buffer_load_dword v76, v4, s[0:3], 0 offen offset:4
	buffer_load_dword v77, v4, s[0:3], 0 offen offset:8
	;; [unrolled: 1-line block ×3, first 2 shown]
	v_mov_b32_e32 v4, s23
	s_waitcnt vmcnt(24)
	global_store_dwordx4 v[11:12], v[55:58], off
	s_clause 0x3
	buffer_load_dword v9, v4, s[0:3], 0 offen
	buffer_load_dword v10, v4, s[0:3], 0 offen offset:4
	buffer_load_dword v11, v4, s[0:3], 0 offen offset:8
	;; [unrolled: 1-line block ×3, first 2 shown]
	v_mov_b32_e32 v4, s22
	s_waitcnt vmcnt(24)
	global_store_dwordx4 v[5:6], v[59:62], off
	s_clause 0x7
	buffer_load_dword v55, v4, s[0:3], 0 offen
	buffer_load_dword v56, v4, s[0:3], 0 offen offset:4
	buffer_load_dword v57, v4, s[0:3], 0 offen offset:8
	buffer_load_dword v58, v4, s[0:3], 0 offen offset:12
	buffer_load_dword v59, v79, s[0:3], 0 offen
	buffer_load_dword v60, v79, s[0:3], 0 offen offset:4
	buffer_load_dword v61, v79, s[0:3], 0 offen offset:8
	;; [unrolled: 1-line block ×3, first 2 shown]
	v_mov_b32_e32 v79, s15
	s_waitcnt vmcnt(28)
	global_store_dwordx4 v[7:8], v[63:66], off
	v_mov_b32_e32 v7, s20
	v_mov_b32_e32 v8, s19
	s_clause 0x3
	buffer_load_dword v4, v7, s[0:3], 0 offen
	buffer_load_dword v5, v7, s[0:3], 0 offen offset:4
	buffer_load_dword v6, v7, s[0:3], 0 offen offset:8
	;; [unrolled: 1-line block ×3, first 2 shown]
	s_waitcnt vmcnt(28)
	global_store_dwordx4 v[53:54], v[67:70], off
	s_clause 0x3
	buffer_load_dword v63, v8, s[0:3], 0 offen
	buffer_load_dword v64, v8, s[0:3], 0 offen offset:4
	buffer_load_dword v65, v8, s[0:3], 0 offen offset:8
	;; [unrolled: 1-line block ×3, first 2 shown]
	v_mov_b32_e32 v8, s18
	v_mov_b32_e32 v53, s17
	;; [unrolled: 1-line block ×3, first 2 shown]
	s_waitcnt vmcnt(28)
	global_store_dwordx4 v[51:52], v[71:74], off
	v_mov_b32_e32 v74, s14
	s_waitcnt vmcnt(24)
	global_store_dwordx4 v[49:50], v[0:3], off
	s_clause 0x3
	buffer_load_dword v0, v8, s[0:3], 0 offen
	buffer_load_dword v1, v8, s[0:3], 0 offen offset:4
	buffer_load_dword v2, v8, s[0:3], 0 offen offset:8
	buffer_load_dword v3, v8, s[0:3], 0 offen offset:12
	s_waitcnt vmcnt(24)
	global_store_dwordx4 v[33:34], v[75:78], off
	s_clause 0x7
	buffer_load_dword v49, v53, s[0:3], 0 offen
	buffer_load_dword v50, v53, s[0:3], 0 offen offset:4
	buffer_load_dword v51, v53, s[0:3], 0 offen offset:8
	buffer_load_dword v52, v53, s[0:3], 0 offen offset:12
	buffer_load_dword v67, v54, s[0:3], 0 offen
	buffer_load_dword v68, v54, s[0:3], 0 offen offset:4
	buffer_load_dword v69, v54, s[0:3], 0 offen offset:8
	buffer_load_dword v70, v54, s[0:3], 0 offen offset:12
	s_waitcnt vmcnt(28)
	global_store_dwordx4 v[29:30], v[9:12], off
	s_clause 0x7
	buffer_load_dword v8, v79, s[0:3], 0 offen
	buffer_load_dword v9, v79, s[0:3], 0 offen offset:4
	buffer_load_dword v10, v79, s[0:3], 0 offen offset:8
	buffer_load_dword v11, v79, s[0:3], 0 offen offset:12
	;; [unrolled: 11-line block ×6, first 2 shown]
	s_waitcnt vmcnt(44)
	global_store_dwordx4 v[15:16], v[0:3], off
	s_waitcnt vmcnt(40)
	global_store_dwordx4 v[19:20], v[49:52], off
	;; [unrolled: 2-line block ×12, first 2 shown]
.LBB24_387:
	s_endpgm
	.section	.rodata,"a",@progbits
	.p2align	6, 0x0
	.amdhsa_kernel _ZN9rocsolver6v33100L18trti2_kernel_smallILi25E19rocblas_complex_numIdEPS3_EEv13rocblas_fill_17rocblas_diagonal_T1_iil
		.amdhsa_group_segment_fixed_size 800
		.amdhsa_private_segment_fixed_size 416
		.amdhsa_kernarg_size 32
		.amdhsa_user_sgpr_count 6
		.amdhsa_user_sgpr_private_segment_buffer 1
		.amdhsa_user_sgpr_dispatch_ptr 0
		.amdhsa_user_sgpr_queue_ptr 0
		.amdhsa_user_sgpr_kernarg_segment_ptr 1
		.amdhsa_user_sgpr_dispatch_id 0
		.amdhsa_user_sgpr_flat_scratch_init 0
		.amdhsa_user_sgpr_private_segment_size 0
		.amdhsa_wavefront_size32 1
		.amdhsa_uses_dynamic_stack 0
		.amdhsa_system_sgpr_private_segment_wavefront_offset 1
		.amdhsa_system_sgpr_workgroup_id_x 1
		.amdhsa_system_sgpr_workgroup_id_y 0
		.amdhsa_system_sgpr_workgroup_id_z 0
		.amdhsa_system_sgpr_workgroup_info 0
		.amdhsa_system_vgpr_workitem_id 0
		.amdhsa_next_free_vgpr 88
		.amdhsa_next_free_sgpr 42
		.amdhsa_reserve_vcc 1
		.amdhsa_reserve_flat_scratch 0
		.amdhsa_float_round_mode_32 0
		.amdhsa_float_round_mode_16_64 0
		.amdhsa_float_denorm_mode_32 3
		.amdhsa_float_denorm_mode_16_64 3
		.amdhsa_dx10_clamp 1
		.amdhsa_ieee_mode 1
		.amdhsa_fp16_overflow 0
		.amdhsa_workgroup_processor_mode 1
		.amdhsa_memory_ordered 1
		.amdhsa_forward_progress 1
		.amdhsa_shared_vgpr_count 0
		.amdhsa_exception_fp_ieee_invalid_op 0
		.amdhsa_exception_fp_denorm_src 0
		.amdhsa_exception_fp_ieee_div_zero 0
		.amdhsa_exception_fp_ieee_overflow 0
		.amdhsa_exception_fp_ieee_underflow 0
		.amdhsa_exception_fp_ieee_inexact 0
		.amdhsa_exception_int_div_zero 0
	.end_amdhsa_kernel
	.section	.text._ZN9rocsolver6v33100L18trti2_kernel_smallILi25E19rocblas_complex_numIdEPS3_EEv13rocblas_fill_17rocblas_diagonal_T1_iil,"axG",@progbits,_ZN9rocsolver6v33100L18trti2_kernel_smallILi25E19rocblas_complex_numIdEPS3_EEv13rocblas_fill_17rocblas_diagonal_T1_iil,comdat
.Lfunc_end24:
	.size	_ZN9rocsolver6v33100L18trti2_kernel_smallILi25E19rocblas_complex_numIdEPS3_EEv13rocblas_fill_17rocblas_diagonal_T1_iil, .Lfunc_end24-_ZN9rocsolver6v33100L18trti2_kernel_smallILi25E19rocblas_complex_numIdEPS3_EEv13rocblas_fill_17rocblas_diagonal_T1_iil
                                        ; -- End function
	.set _ZN9rocsolver6v33100L18trti2_kernel_smallILi25E19rocblas_complex_numIdEPS3_EEv13rocblas_fill_17rocblas_diagonal_T1_iil.num_vgpr, 88
	.set _ZN9rocsolver6v33100L18trti2_kernel_smallILi25E19rocblas_complex_numIdEPS3_EEv13rocblas_fill_17rocblas_diagonal_T1_iil.num_agpr, 0
	.set _ZN9rocsolver6v33100L18trti2_kernel_smallILi25E19rocblas_complex_numIdEPS3_EEv13rocblas_fill_17rocblas_diagonal_T1_iil.numbered_sgpr, 42
	.set _ZN9rocsolver6v33100L18trti2_kernel_smallILi25E19rocblas_complex_numIdEPS3_EEv13rocblas_fill_17rocblas_diagonal_T1_iil.num_named_barrier, 0
	.set _ZN9rocsolver6v33100L18trti2_kernel_smallILi25E19rocblas_complex_numIdEPS3_EEv13rocblas_fill_17rocblas_diagonal_T1_iil.private_seg_size, 416
	.set _ZN9rocsolver6v33100L18trti2_kernel_smallILi25E19rocblas_complex_numIdEPS3_EEv13rocblas_fill_17rocblas_diagonal_T1_iil.uses_vcc, 1
	.set _ZN9rocsolver6v33100L18trti2_kernel_smallILi25E19rocblas_complex_numIdEPS3_EEv13rocblas_fill_17rocblas_diagonal_T1_iil.uses_flat_scratch, 0
	.set _ZN9rocsolver6v33100L18trti2_kernel_smallILi25E19rocblas_complex_numIdEPS3_EEv13rocblas_fill_17rocblas_diagonal_T1_iil.has_dyn_sized_stack, 0
	.set _ZN9rocsolver6v33100L18trti2_kernel_smallILi25E19rocblas_complex_numIdEPS3_EEv13rocblas_fill_17rocblas_diagonal_T1_iil.has_recursion, 0
	.set _ZN9rocsolver6v33100L18trti2_kernel_smallILi25E19rocblas_complex_numIdEPS3_EEv13rocblas_fill_17rocblas_diagonal_T1_iil.has_indirect_call, 0
	.section	.AMDGPU.csdata,"",@progbits
; Kernel info:
; codeLenInByte = 25132
; TotalNumSgprs: 44
; NumVgprs: 88
; ScratchSize: 416
; MemoryBound: 0
; FloatMode: 240
; IeeeMode: 1
; LDSByteSize: 800 bytes/workgroup (compile time only)
; SGPRBlocks: 0
; VGPRBlocks: 10
; NumSGPRsForWavesPerEU: 44
; NumVGPRsForWavesPerEU: 88
; Occupancy: 10
; WaveLimiterHint : 0
; COMPUTE_PGM_RSRC2:SCRATCH_EN: 1
; COMPUTE_PGM_RSRC2:USER_SGPR: 6
; COMPUTE_PGM_RSRC2:TRAP_HANDLER: 0
; COMPUTE_PGM_RSRC2:TGID_X_EN: 1
; COMPUTE_PGM_RSRC2:TGID_Y_EN: 0
; COMPUTE_PGM_RSRC2:TGID_Z_EN: 0
; COMPUTE_PGM_RSRC2:TIDIG_COMP_CNT: 0
	.section	.text._ZN9rocsolver6v33100L18trti2_kernel_smallILi26E19rocblas_complex_numIdEPS3_EEv13rocblas_fill_17rocblas_diagonal_T1_iil,"axG",@progbits,_ZN9rocsolver6v33100L18trti2_kernel_smallILi26E19rocblas_complex_numIdEPS3_EEv13rocblas_fill_17rocblas_diagonal_T1_iil,comdat
	.globl	_ZN9rocsolver6v33100L18trti2_kernel_smallILi26E19rocblas_complex_numIdEPS3_EEv13rocblas_fill_17rocblas_diagonal_T1_iil ; -- Begin function _ZN9rocsolver6v33100L18trti2_kernel_smallILi26E19rocblas_complex_numIdEPS3_EEv13rocblas_fill_17rocblas_diagonal_T1_iil
	.p2align	8
	.type	_ZN9rocsolver6v33100L18trti2_kernel_smallILi26E19rocblas_complex_numIdEPS3_EEv13rocblas_fill_17rocblas_diagonal_T1_iil,@function
_ZN9rocsolver6v33100L18trti2_kernel_smallILi26E19rocblas_complex_numIdEPS3_EEv13rocblas_fill_17rocblas_diagonal_T1_iil: ; @_ZN9rocsolver6v33100L18trti2_kernel_smallILi26E19rocblas_complex_numIdEPS3_EEv13rocblas_fill_17rocblas_diagonal_T1_iil
; %bb.0:
	s_add_u32 s0, s0, s7
	s_addc_u32 s1, s1, 0
	s_mov_b32 s7, exec_lo
	v_cmpx_gt_u32_e32 26, v0
	s_cbranch_execz .LBB25_403
; %bb.1:
	s_load_dwordx8 s[8:15], s[4:5], 0x0
	s_ashr_i32 s4, s6, 31
	v_lshlrev_b32_e32 v63, 4, v0
	s_movk_i32 s16, 0xf0
	s_movk_i32 s17, 0x100
	;; [unrolled: 1-line block ×11, first 2 shown]
	s_waitcnt lgkmcnt(0)
	s_mul_hi_u32 s5, s14, s6
	s_mul_i32 s4, s14, s4
	s_mul_i32 s7, s15, s6
	s_add_i32 s5, s5, s4
	s_mul_i32 s4, s14, s6
	s_add_i32 s5, s5, s7
	s_ashr_i32 s7, s12, 31
	s_lshl_b64 s[4:5], s[4:5], 4
	s_mov_b32 s6, s12
	s_add_u32 s10, s10, s4
	s_addc_u32 s11, s11, s5
	s_lshl_b64 s[4:5], s[6:7], 4
	v_add3_u32 v5, s13, s13, v0
	s_add_u32 s4, s10, s4
	s_addc_u32 s5, s11, s5
	v_add_co_u32 v43, s10, s4, v63
	global_load_dwordx4 v[1:4], v63, s[4:5]
	v_add_nc_u32_e32 v9, s13, v5
	v_ashrrev_i32_e32 v6, 31, v5
	s_mov_b32 s6, s13
	s_ashr_i32 s7, s13, 31
	v_add_co_ci_u32_e64 v44, null, s5, 0, s10
	v_add_nc_u32_e32 v8, s13, v9
	v_ashrrev_i32_e32 v10, 31, v9
	v_lshlrev_b64 v[5:6], 4, v[5:6]
	s_lshl_b64 s[6:7], s[6:7], 4
	s_cmpk_lg_i32 s9, 0x84
	v_add_nc_u32_e32 v7, s13, v8
	v_add_co_u32 v41, vcc_lo, v43, s6
	v_lshlrev_b64 v[17:18], 4, v[9:10]
	v_add_co_ci_u32_e64 v42, null, s7, v44, vcc_lo
	v_add_nc_u32_e32 v11, s13, v7
	v_add_co_u32 v55, vcc_lo, s4, v5
	v_ashrrev_i32_e32 v9, 31, v8
	v_add_co_ci_u32_e64 v56, null, s5, v6, vcc_lo
	v_add_nc_u32_e32 v21, s13, v11
	global_load_dwordx4 v[13:16], v[41:42], off
	v_add_co_u32 v49, vcc_lo, s4, v17
	v_lshlrev_b64 v[8:9], 4, v[8:9]
	v_add_nc_u32_e32 v23, s13, v21
	v_add_co_ci_u32_e64 v50, null, s5, v18, vcc_lo
	global_load_dwordx4 v[17:20], v[55:56], off
	v_ashrrev_i32_e32 v12, 31, v11
	v_add_nc_u32_e32 v29, s13, v23
	v_ashrrev_i32_e32 v22, 31, v21
	s_movk_i32 s6, 0x70
	s_movk_i32 s7, 0x80
	v_lshlrev_b64 v[34:35], 4, v[11:12]
	v_add_nc_u32_e32 v31, s13, v29
	v_ashrrev_i32_e32 v30, 31, v29
	s_movk_i32 s10, 0x90
	s_movk_i32 s11, 0xa0
	;; [unrolled: 1-line block ×3, first 2 shown]
	v_add_nc_u32_e32 v33, s13, v31
	v_ashrrev_i32_e32 v32, 31, v31
	s_movk_i32 s14, 0xd0
	s_movk_i32 s15, 0xe0
	s_cselect_b32 s34, -1, 0
	v_add_nc_u32_e32 v37, s13, v33
	s_cmpk_eq_i32 s9, 0x84
	v_add_nc_u32_e32 v45, s13, v37
	v_ashrrev_i32_e32 v38, 31, v37
	v_add_nc_u32_e32 v47, s13, v45
	v_ashrrev_i32_e32 v46, 31, v45
	;; [unrolled: 2-line block ×13, first 2 shown]
	s_movk_i32 s13, 0xc0
	v_ashrrev_i32_e32 v25, 31, v24
	v_lshlrev_b64 v[5:6], 4, v[24:25]
	global_load_dwordx4 v[25:28], v[49:50], off
	v_ashrrev_i32_e32 v24, 31, v23
	v_add_co_u32 v5, vcc_lo, s4, v5
	v_add_co_ci_u32_e64 v6, null, s5, v6, vcc_lo
	v_add_co_u32 v51, vcc_lo, s4, v8
	v_add_co_ci_u32_e64 v52, null, s5, v9, vcc_lo
	global_load_dwordx4 v[57:60], v[5:6], off
	v_ashrrev_i32_e32 v8, 31, v7
	s_waitcnt vmcnt(4)
	buffer_store_dword v4, off, s[0:3], 0 offset:12
	buffer_store_dword v3, off, s[0:3], 0 offset:8
	;; [unrolled: 1-line block ×3, first 2 shown]
	buffer_store_dword v1, off, s[0:3], 0
	global_load_dwordx4 v[1:4], v[51:52], off
	v_lshlrev_b64 v[7:8], 4, v[7:8]
	s_waitcnt vmcnt(4)
	buffer_store_dword v16, off, s[0:3], 0 offset:28
	buffer_store_dword v15, off, s[0:3], 0 offset:24
	;; [unrolled: 1-line block ×4, first 2 shown]
	v_add_co_u32 v53, vcc_lo, s4, v7
	v_add_co_ci_u32_e64 v54, null, s5, v8, vcc_lo
	v_lshlrev_b64 v[7:8], 4, v[21:22]
	v_add_co_u32 v39, vcc_lo, s4, v34
	v_add_co_ci_u32_e64 v40, null, s5, v35, vcc_lo
	global_load_dwordx4 v[9:12], v[53:54], off
	s_waitcnt vmcnt(4)
	buffer_store_dword v20, off, s[0:3], 0 offset:44
	buffer_store_dword v19, off, s[0:3], 0 offset:40
	;; [unrolled: 1-line block ×4, first 2 shown]
	v_lshlrev_b64 v[13:14], 4, v[23:24]
	v_add_co_u32 v23, vcc_lo, s4, v7
	global_load_dwordx4 v[17:20], v[39:40], off
	v_add_co_ci_u32_e64 v24, null, s5, v8, vcc_lo
	v_add_co_u32 v7, vcc_lo, s4, v13
	v_add_co_ci_u32_e64 v8, null, s5, v14, vcc_lo
	v_lshlrev_b64 v[13:14], 4, v[29:30]
	v_lshlrev_b64 v[15:16], 4, v[31:32]
	v_ashrrev_i32_e32 v34, 31, v33
	s_waitcnt vmcnt(4)
	buffer_store_dword v28, off, s[0:3], 0 offset:60
	buffer_store_dword v27, off, s[0:3], 0 offset:56
	;; [unrolled: 1-line block ×4, first 2 shown]
	global_load_dwordx4 v[25:28], v[23:24], off
	v_add_co_u32 v13, vcc_lo, s4, v13
	v_add_co_ci_u32_e64 v14, null, s5, v14, vcc_lo
	v_lshlrev_b64 v[21:22], 4, v[33:34]
	v_add_co_u32 v15, vcc_lo, s4, v15
	v_add_co_ci_u32_e64 v16, null, s5, v16, vcc_lo
	s_waitcnt vmcnt(3)
	buffer_store_dword v4, off, s[0:3], 0 offset:76
	buffer_store_dword v3, off, s[0:3], 0 offset:72
	;; [unrolled: 1-line block ×4, first 2 shown]
	global_load_dwordx4 v[1:4], v[7:8], off
	s_waitcnt vmcnt(3)
	buffer_store_dword v12, off, s[0:3], 0 offset:92
	buffer_store_dword v11, off, s[0:3], 0 offset:88
	;; [unrolled: 1-line block ×4, first 2 shown]
	global_load_dwordx4 v[29:32], v[13:14], off
	s_waitcnt vmcnt(3)
	buffer_store_dword v20, off, s[0:3], 0 offset:108
	buffer_store_dword v19, off, s[0:3], 0 offset:104
	;; [unrolled: 1-line block ×4, first 2 shown]
	v_lshlrev_b64 v[9:10], 4, v[37:38]
	v_add_co_u32 v11, vcc_lo, s4, v21
	global_load_dwordx4 v[33:36], v[15:16], off
	v_add_co_ci_u32_e64 v12, null, s5, v22, vcc_lo
	v_add_co_u32 v9, vcc_lo, s4, v9
	v_add_co_ci_u32_e64 v10, null, s5, v10, vcc_lo
	v_lshlrev_b64 v[17:18], 4, v[45:46]
	v_lshlrev_b64 v[19:20], 4, v[47:48]
	;; [unrolled: 1-line block ×5, first 2 shown]
	s_waitcnt vmcnt(3)
	buffer_store_dword v28, off, s[0:3], 0 offset:124
	buffer_store_dword v27, off, s[0:3], 0 offset:120
	;; [unrolled: 1-line block ×4, first 2 shown]
	global_load_dwordx4 v[25:28], v[11:12], off
	v_add_co_u32 v17, vcc_lo, s4, v17
	v_add_co_ci_u32_e64 v18, null, s5, v18, vcc_lo
	v_add_co_u32 v19, vcc_lo, s4, v19
	v_add_co_ci_u32_e64 v20, null, s5, v20, vcc_lo
	;; [unrolled: 2-line block ×3, first 2 shown]
	s_waitcnt vmcnt(3)
	buffer_store_dword v4, off, s[0:3], 0 offset:140
	buffer_store_dword v3, off, s[0:3], 0 offset:136
	buffer_store_dword v2, off, s[0:3], 0 offset:132
	buffer_store_dword v1, off, s[0:3], 0 offset:128
	global_load_dwordx4 v[1:4], v[9:10], off
	s_waitcnt vmcnt(3)
	buffer_store_dword v29, off, s[0:3], 0 offset:144
	buffer_store_dword v30, off, s[0:3], 0 offset:148
	buffer_store_dword v31, off, s[0:3], 0 offset:152
	buffer_store_dword v32, off, s[0:3], 0 offset:156
	global_load_dwordx4 v[29:32], v[17:18], off
	;; [unrolled: 6-line block ×3, first 2 shown]
	s_waitcnt vmcnt(3)
	buffer_store_dword v25, off, s[0:3], 0 offset:176
	buffer_store_dword v26, off, s[0:3], 0 offset:180
	;; [unrolled: 1-line block ×4, first 2 shown]
	v_add_co_u32 v25, vcc_lo, s4, v37
	v_add_co_ci_u32_e64 v26, null, s5, v38, vcc_lo
	global_load_dwordx4 v[45:48], v[21:22], off
	v_lshlrev_b64 v[27:28], 4, v[66:67]
	v_lshlrev_b64 v[37:38], 4, v[68:69]
	s_waitcnt vmcnt(3)
	buffer_store_dword v4, off, s[0:3], 0 offset:204
	buffer_store_dword v3, off, s[0:3], 0 offset:200
	;; [unrolled: 1-line block ×4, first 2 shown]
	global_load_dwordx4 v[1:4], v[25:26], off
	v_add_co_u32 v27, vcc_lo, s4, v27
	v_add_co_ci_u32_e64 v28, null, s5, v28, vcc_lo
	s_waitcnt vmcnt(3)
	buffer_store_dword v32, off, s[0:3], 0 offset:220
	buffer_store_dword v31, off, s[0:3], 0 offset:216
	;; [unrolled: 1-line block ×4, first 2 shown]
	v_add_co_u32 v29, vcc_lo, s4, v37
	global_load_dwordx4 v[64:67], v[27:28], off
	v_add_co_ci_u32_e64 v30, null, s5, v38, vcc_lo
	s_waitcnt vmcnt(3)
	buffer_store_dword v36, off, s[0:3], 0 offset:236
	buffer_store_dword v35, off, s[0:3], 0 offset:232
	buffer_store_dword v34, off, s[0:3], 0 offset:228
	buffer_store_dword v33, off, s[0:3], 0 offset:224
	v_lshlrev_b64 v[33:34], 4, v[72:73]
	v_add_co_u32 v31, vcc_lo, s4, v61
	v_add_co_ci_u32_e64 v32, null, s5, v62, vcc_lo
	global_load_dwordx4 v[68:71], v[29:30], off
	v_add_co_u32 v33, vcc_lo, s4, v33
	v_add_co_ci_u32_e64 v34, null, s5, v34, vcc_lo
	v_lshlrev_b64 v[35:36], 4, v[76:77]
	v_lshlrev_b64 v[37:38], 4, v[78:79]
	s_waitcnt vmcnt(3)
	buffer_store_dword v48, off, s[0:3], 0 offset:252
	buffer_store_dword v47, off, s[0:3], 0 offset:248
	;; [unrolled: 1-line block ×4, first 2 shown]
	global_load_dwordx4 v[72:75], v[31:32], off
	v_add_co_u32 v35, vcc_lo, s4, v35
	v_add_co_ci_u32_e64 v36, null, s5, v36, vcc_lo
	v_add_co_u32 v37, vcc_lo, s4, v37
	v_lshlrev_b64 v[45:46], 4, v[80:81]
	v_add_co_ci_u32_e64 v38, null, s5, v38, vcc_lo
	v_lshlrev_b64 v[47:48], 4, v[82:83]
	s_waitcnt vmcnt(3)
	buffer_store_dword v4, off, s[0:3], 0 offset:268
	buffer_store_dword v3, off, s[0:3], 0 offset:264
	;; [unrolled: 1-line block ×4, first 2 shown]
	global_load_dwordx4 v[1:4], v[33:34], off
	v_add_co_u32 v45, vcc_lo, s4, v45
	v_add_co_ci_u32_e64 v46, null, s5, v46, vcc_lo
	v_add_co_u32 v47, vcc_lo, s4, v47
	v_add_co_ci_u32_e64 v48, null, s5, v48, vcc_lo
	s_waitcnt vmcnt(3)
	buffer_store_dword v67, off, s[0:3], 0 offset:284
	buffer_store_dword v66, off, s[0:3], 0 offset:280
	;; [unrolled: 1-line block ×4, first 2 shown]
	s_waitcnt vmcnt(2)
	buffer_store_dword v71, off, s[0:3], 0 offset:300
	buffer_store_dword v70, off, s[0:3], 0 offset:296
	buffer_store_dword v69, off, s[0:3], 0 offset:292
	buffer_store_dword v68, off, s[0:3], 0 offset:288
	s_clause 0x1
	global_load_dwordx4 v[64:67], v[35:36], off
	global_load_dwordx4 v[68:71], v[37:38], off
	s_movk_i32 s4, 0x50
	s_movk_i32 s5, 0x60
	s_waitcnt vmcnt(3)
	buffer_store_dword v75, off, s[0:3], 0 offset:316
	buffer_store_dword v74, off, s[0:3], 0 offset:312
	buffer_store_dword v73, off, s[0:3], 0 offset:308
	buffer_store_dword v72, off, s[0:3], 0 offset:304
	global_load_dwordx4 v[72:75], v[45:46], off
	s_waitcnt vmcnt(3)
	buffer_store_dword v4, off, s[0:3], 0 offset:332
	buffer_store_dword v3, off, s[0:3], 0 offset:328
	;; [unrolled: 1-line block ×4, first 2 shown]
	global_load_dwordx4 v[1:4], v[47:48], off
	s_waitcnt vmcnt(3)
	buffer_store_dword v67, off, s[0:3], 0 offset:348
	buffer_store_dword v66, off, s[0:3], 0 offset:344
	buffer_store_dword v65, off, s[0:3], 0 offset:340
	buffer_store_dword v64, off, s[0:3], 0 offset:336
	s_waitcnt vmcnt(2)
	buffer_store_dword v71, off, s[0:3], 0 offset:364
	buffer_store_dword v70, off, s[0:3], 0 offset:360
	buffer_store_dword v69, off, s[0:3], 0 offset:356
	buffer_store_dword v68, off, s[0:3], 0 offset:352
	;; [unrolled: 5-line block ×4, first 2 shown]
	buffer_store_dword v60, off, s[0:3], 0 offset:412
	buffer_store_dword v59, off, s[0:3], 0 offset:408
	;; [unrolled: 1-line block ×4, first 2 shown]
	s_cbranch_scc1 .LBB25_7
; %bb.2:
	v_lshl_add_u32 v64, v0, 4, 0
                                        ; implicit-def: $vgpr59_vgpr60
                                        ; implicit-def: $vgpr3_vgpr4
	s_clause 0x3
	buffer_load_dword v57, v64, s[0:3], 0 offen
	buffer_load_dword v58, v64, s[0:3], 0 offen offset:4
	buffer_load_dword v61, v64, s[0:3], 0 offen offset:8
	;; [unrolled: 1-line block ×3, first 2 shown]
	s_waitcnt vmcnt(0)
	v_cmp_ngt_f64_e64 s9, |v[57:58]|, |v[61:62]|
	s_and_saveexec_b32 s18, s9
	s_xor_b32 s9, exec_lo, s18
	s_cbranch_execz .LBB25_4
; %bb.3:
	v_div_scale_f64 v[1:2], null, v[61:62], v[61:62], v[57:58]
	v_div_scale_f64 v[65:66], vcc_lo, v[57:58], v[61:62], v[57:58]
	v_rcp_f64_e32 v[3:4], v[1:2]
	v_fma_f64 v[59:60], -v[1:2], v[3:4], 1.0
	v_fma_f64 v[3:4], v[3:4], v[59:60], v[3:4]
	v_fma_f64 v[59:60], -v[1:2], v[3:4], 1.0
	v_fma_f64 v[3:4], v[3:4], v[59:60], v[3:4]
	v_mul_f64 v[59:60], v[65:66], v[3:4]
	v_fma_f64 v[1:2], -v[1:2], v[59:60], v[65:66]
	v_div_fmas_f64 v[1:2], v[1:2], v[3:4], v[59:60]
	v_div_fixup_f64 v[1:2], v[1:2], v[61:62], v[57:58]
	v_fma_f64 v[3:4], v[57:58], v[1:2], v[61:62]
	v_div_scale_f64 v[57:58], null, v[3:4], v[3:4], 1.0
	v_div_scale_f64 v[65:66], vcc_lo, 1.0, v[3:4], 1.0
	v_rcp_f64_e32 v[59:60], v[57:58]
	v_fma_f64 v[61:62], -v[57:58], v[59:60], 1.0
	v_fma_f64 v[59:60], v[59:60], v[61:62], v[59:60]
	v_fma_f64 v[61:62], -v[57:58], v[59:60], 1.0
	v_fma_f64 v[59:60], v[59:60], v[61:62], v[59:60]
	v_mul_f64 v[61:62], v[65:66], v[59:60]
	v_fma_f64 v[57:58], -v[57:58], v[61:62], v[65:66]
	v_div_fmas_f64 v[57:58], v[57:58], v[59:60], v[61:62]
                                        ; implicit-def: $vgpr61_vgpr62
	v_div_fixup_f64 v[3:4], v[57:58], v[3:4], 1.0
                                        ; implicit-def: $vgpr57_vgpr58
	v_mul_f64 v[59:60], v[1:2], v[3:4]
	v_xor_b32_e32 v4, 0x80000000, v4
	v_xor_b32_e32 v2, 0x80000000, v60
	v_mov_b32_e32 v1, v59
.LBB25_4:
	s_andn2_saveexec_b32 s9, s9
	s_cbranch_execz .LBB25_6
; %bb.5:
	v_div_scale_f64 v[1:2], null, v[57:58], v[57:58], v[61:62]
	v_div_scale_f64 v[65:66], vcc_lo, v[61:62], v[57:58], v[61:62]
	v_rcp_f64_e32 v[3:4], v[1:2]
	v_fma_f64 v[59:60], -v[1:2], v[3:4], 1.0
	v_fma_f64 v[3:4], v[3:4], v[59:60], v[3:4]
	v_fma_f64 v[59:60], -v[1:2], v[3:4], 1.0
	v_fma_f64 v[3:4], v[3:4], v[59:60], v[3:4]
	v_mul_f64 v[59:60], v[65:66], v[3:4]
	v_fma_f64 v[1:2], -v[1:2], v[59:60], v[65:66]
	v_div_fmas_f64 v[1:2], v[1:2], v[3:4], v[59:60]
	v_div_fixup_f64 v[1:2], v[1:2], v[57:58], v[61:62]
	v_fma_f64 v[3:4], v[61:62], v[1:2], v[57:58]
	v_div_scale_f64 v[57:58], null, v[3:4], v[3:4], 1.0
	v_rcp_f64_e32 v[59:60], v[57:58]
	v_fma_f64 v[61:62], -v[57:58], v[59:60], 1.0
	v_fma_f64 v[59:60], v[59:60], v[61:62], v[59:60]
	v_fma_f64 v[61:62], -v[57:58], v[59:60], 1.0
	v_fma_f64 v[59:60], v[59:60], v[61:62], v[59:60]
	v_div_scale_f64 v[61:62], vcc_lo, 1.0, v[3:4], 1.0
	v_mul_f64 v[65:66], v[61:62], v[59:60]
	v_fma_f64 v[57:58], -v[57:58], v[65:66], v[61:62]
	v_div_fmas_f64 v[57:58], v[57:58], v[59:60], v[65:66]
	v_div_fixup_f64 v[59:60], v[57:58], v[3:4], 1.0
	v_mul_f64 v[3:4], v[1:2], -v[59:60]
	v_xor_b32_e32 v2, 0x80000000, v60
	v_mov_b32_e32 v1, v59
.LBB25_6:
	s_or_b32 exec_lo, exec_lo, s9
	buffer_store_dword v4, v64, s[0:3], 0 offen offset:12
	v_xor_b32_e32 v4, 0x80000000, v4
	buffer_store_dword v60, v64, s[0:3], 0 offen offset:4
	buffer_store_dword v59, v64, s[0:3], 0 offen
	buffer_store_dword v3, v64, s[0:3], 0 offen offset:8
	s_branch .LBB25_8
.LBB25_7:
	v_mov_b32_e32 v1, 0
	v_mov_b32_e32 v3, 0
	;; [unrolled: 1-line block ×4, first 2 shown]
.LBB25_8:
	v_add_nc_u32_e32 v58, 0x1a0, v63
	v_mov_b32_e32 v57, v63
	s_mov_b32 s31, 16
	s_mov_b32 s33, 32
	s_mov_b32 s30, 48
	s_mov_b32 s29, 64
	s_mov_b32 s28, s4
	s_mov_b32 s27, s5
	s_mov_b32 s26, s6
	s_mov_b32 s25, s7
	s_mov_b32 s24, s10
	s_mov_b32 s23, s11
	s_mov_b32 s22, s12
	s_mov_b32 s21, s13
	s_mov_b32 s20, s14
	s_mov_b32 s19, s15
	s_mov_b32 s18, s16
	s_mov_b32 s16, s35
	s_mov_b32 s15, s36
	s_mov_b32 s14, s37
	s_mov_b32 s13, s38
	s_mov_b32 s12, s39
	s_mov_b32 s11, s40
	s_mov_b32 s10, s41
	s_mov_b32 s9, s42
	s_mov_b32 s7, s43
	s_cmpk_eq_i32 s8, 0x79
	ds_write_b128 v63, v[1:4]
	s_cbranch_scc1 .LBB25_204
; %bb.9:
	v_mov_b32_e32 v4, s9
	v_cmp_eq_u32_e64 s4, 25, v0
	s_clause 0x3
	buffer_load_dword v1, v4, s[0:3], 0 offen
	buffer_load_dword v2, v4, s[0:3], 0 offen offset:4
	buffer_load_dword v3, v4, s[0:3], 0 offen offset:8
	;; [unrolled: 1-line block ×3, first 2 shown]
	s_waitcnt vmcnt(0)
	ds_write_b128 v58, v[1:4]
	s_waitcnt lgkmcnt(0)
	s_waitcnt_vscnt null, 0x0
	s_barrier
	buffer_gl0_inv
	s_and_saveexec_b32 s5, s4
	s_cbranch_execz .LBB25_13
; %bb.10:
	ds_read_b128 v[1:4], v58
	s_andn2_b32 vcc_lo, exec_lo, s34
	s_cbranch_vccnz .LBB25_12
; %bb.11:
	s_clause 0x3
	buffer_load_dword v59, v57, s[0:3], 0 offen offset:8
	buffer_load_dword v60, v57, s[0:3], 0 offen offset:12
	buffer_load_dword v61, v57, s[0:3], 0 offen
	buffer_load_dword v62, v57, s[0:3], 0 offen offset:4
	s_waitcnt vmcnt(2) lgkmcnt(0)
	v_mul_f64 v[64:65], v[3:4], v[59:60]
	v_mul_f64 v[59:60], v[1:2], v[59:60]
	s_waitcnt vmcnt(0)
	v_fma_f64 v[1:2], v[1:2], v[61:62], -v[64:65]
	v_fma_f64 v[3:4], v[3:4], v[61:62], v[59:60]
.LBB25_12:
	v_mov_b32_e32 v59, 0
	ds_read_b128 v[59:62], v59 offset:384
	s_waitcnt lgkmcnt(0)
	v_mul_f64 v[64:65], v[3:4], v[61:62]
	v_mul_f64 v[61:62], v[1:2], v[61:62]
	v_fma_f64 v[1:2], v[1:2], v[59:60], -v[64:65]
	v_fma_f64 v[3:4], v[3:4], v[59:60], v[61:62]
	buffer_store_dword v2, off, s[0:3], 0 offset:388
	buffer_store_dword v1, off, s[0:3], 0 offset:384
	;; [unrolled: 1-line block ×4, first 2 shown]
.LBB25_13:
	s_or_b32 exec_lo, exec_lo, s5
	v_mov_b32_e32 v4, s10
	v_cmp_lt_u32_e64 s5, 23, v0
	s_clause 0x3
	buffer_load_dword v1, v4, s[0:3], 0 offen
	buffer_load_dword v2, v4, s[0:3], 0 offen offset:4
	buffer_load_dword v3, v4, s[0:3], 0 offen offset:8
	;; [unrolled: 1-line block ×3, first 2 shown]
	s_waitcnt vmcnt(0)
	ds_write_b128 v58, v[1:4]
	s_waitcnt lgkmcnt(0)
	s_waitcnt_vscnt null, 0x0
	s_barrier
	buffer_gl0_inv
	s_and_saveexec_b32 s6, s5
	s_cbranch_execz .LBB25_19
; %bb.14:
	ds_read_b128 v[1:4], v58
	s_andn2_b32 vcc_lo, exec_lo, s34
	s_cbranch_vccnz .LBB25_16
; %bb.15:
	s_clause 0x3
	buffer_load_dword v59, v57, s[0:3], 0 offen offset:8
	buffer_load_dword v60, v57, s[0:3], 0 offen offset:12
	buffer_load_dword v61, v57, s[0:3], 0 offen
	buffer_load_dword v62, v57, s[0:3], 0 offen offset:4
	s_waitcnt vmcnt(2) lgkmcnt(0)
	v_mul_f64 v[64:65], v[3:4], v[59:60]
	v_mul_f64 v[59:60], v[1:2], v[59:60]
	s_waitcnt vmcnt(0)
	v_fma_f64 v[1:2], v[1:2], v[61:62], -v[64:65]
	v_fma_f64 v[3:4], v[3:4], v[61:62], v[59:60]
.LBB25_16:
	s_and_saveexec_b32 s8, s4
	s_cbranch_execz .LBB25_18
; %bb.17:
	s_clause 0x3
	buffer_load_dword v64, off, s[0:3], 0 offset:392
	buffer_load_dword v65, off, s[0:3], 0 offset:396
	;; [unrolled: 1-line block ×4, first 2 shown]
	v_mov_b32_e32 v59, 0
	ds_read_b128 v[59:62], v59 offset:800
	s_waitcnt vmcnt(2) lgkmcnt(0)
	v_mul_f64 v[68:69], v[59:60], v[64:65]
	v_mul_f64 v[64:65], v[61:62], v[64:65]
	s_waitcnt vmcnt(0)
	v_fma_f64 v[61:62], v[61:62], v[66:67], v[68:69]
	v_fma_f64 v[59:60], v[59:60], v[66:67], -v[64:65]
	v_add_f64 v[3:4], v[3:4], v[61:62]
	v_add_f64 v[1:2], v[1:2], v[59:60]
.LBB25_18:
	s_or_b32 exec_lo, exec_lo, s8
	v_mov_b32_e32 v59, 0
	ds_read_b128 v[59:62], v59 offset:368
	s_waitcnt lgkmcnt(0)
	v_mul_f64 v[64:65], v[3:4], v[61:62]
	v_mul_f64 v[61:62], v[1:2], v[61:62]
	v_fma_f64 v[1:2], v[1:2], v[59:60], -v[64:65]
	v_fma_f64 v[3:4], v[3:4], v[59:60], v[61:62]
	buffer_store_dword v2, off, s[0:3], 0 offset:372
	buffer_store_dword v1, off, s[0:3], 0 offset:368
	;; [unrolled: 1-line block ×4, first 2 shown]
.LBB25_19:
	s_or_b32 exec_lo, exec_lo, s6
	v_mov_b32_e32 v4, s11
	v_cmp_lt_u32_e64 s4, 22, v0
	s_clause 0x3
	buffer_load_dword v1, v4, s[0:3], 0 offen
	buffer_load_dword v2, v4, s[0:3], 0 offen offset:4
	buffer_load_dword v3, v4, s[0:3], 0 offen offset:8
	;; [unrolled: 1-line block ×3, first 2 shown]
	s_waitcnt vmcnt(0)
	ds_write_b128 v58, v[1:4]
	s_waitcnt lgkmcnt(0)
	s_waitcnt_vscnt null, 0x0
	s_barrier
	buffer_gl0_inv
	s_and_saveexec_b32 s6, s4
	s_cbranch_execz .LBB25_27
; %bb.20:
	ds_read_b128 v[1:4], v58
	s_andn2_b32 vcc_lo, exec_lo, s34
	s_cbranch_vccnz .LBB25_22
; %bb.21:
	s_clause 0x3
	buffer_load_dword v59, v57, s[0:3], 0 offen offset:8
	buffer_load_dword v60, v57, s[0:3], 0 offen offset:12
	buffer_load_dword v61, v57, s[0:3], 0 offen
	buffer_load_dword v62, v57, s[0:3], 0 offen offset:4
	s_waitcnt vmcnt(2) lgkmcnt(0)
	v_mul_f64 v[64:65], v[3:4], v[59:60]
	v_mul_f64 v[59:60], v[1:2], v[59:60]
	s_waitcnt vmcnt(0)
	v_fma_f64 v[1:2], v[1:2], v[61:62], -v[64:65]
	v_fma_f64 v[3:4], v[3:4], v[61:62], v[59:60]
.LBB25_22:
	s_and_saveexec_b32 s8, s5
	s_cbranch_execz .LBB25_26
; %bb.23:
	v_subrev_nc_u32_e32 v59, 23, v0
	s_movk_i32 s35, 0x310
	s_mov_b32 s5, 0
	s_mov_b32 s36, s10
	.p2align	6
.LBB25_24:                              ; =>This Inner Loop Header: Depth=1
	v_mov_b32_e32 v62, s36
	v_add_nc_u32_e32 v59, -1, v59
	s_add_i32 s36, s36, 16
	s_clause 0x3
	buffer_load_dword v60, v62, s[0:3], 0 offen offset:8
	buffer_load_dword v61, v62, s[0:3], 0 offen offset:12
	buffer_load_dword v68, v62, s[0:3], 0 offen
	buffer_load_dword v69, v62, s[0:3], 0 offen offset:4
	v_mov_b32_e32 v62, s35
	v_cmp_eq_u32_e32 vcc_lo, 0, v59
	s_add_i32 s35, s35, 16
	ds_read_b128 v[64:67], v62
	s_or_b32 s5, vcc_lo, s5
	s_waitcnt vmcnt(2) lgkmcnt(0)
	v_mul_f64 v[70:71], v[66:67], v[60:61]
	v_mul_f64 v[60:61], v[64:65], v[60:61]
	s_waitcnt vmcnt(0)
	v_fma_f64 v[64:65], v[64:65], v[68:69], -v[70:71]
	v_fma_f64 v[60:61], v[66:67], v[68:69], v[60:61]
	v_add_f64 v[1:2], v[1:2], v[64:65]
	v_add_f64 v[3:4], v[3:4], v[60:61]
	s_andn2_b32 exec_lo, exec_lo, s5
	s_cbranch_execnz .LBB25_24
; %bb.25:
	s_or_b32 exec_lo, exec_lo, s5
.LBB25_26:
	s_or_b32 exec_lo, exec_lo, s8
	v_mov_b32_e32 v59, 0
	ds_read_b128 v[59:62], v59 offset:352
	s_waitcnt lgkmcnt(0)
	v_mul_f64 v[64:65], v[3:4], v[61:62]
	v_mul_f64 v[61:62], v[1:2], v[61:62]
	v_fma_f64 v[1:2], v[1:2], v[59:60], -v[64:65]
	v_fma_f64 v[3:4], v[3:4], v[59:60], v[61:62]
	buffer_store_dword v2, off, s[0:3], 0 offset:356
	buffer_store_dword v1, off, s[0:3], 0 offset:352
	;; [unrolled: 1-line block ×4, first 2 shown]
.LBB25_27:
	s_or_b32 exec_lo, exec_lo, s6
	v_mov_b32_e32 v4, s12
	v_cmp_lt_u32_e64 s5, 21, v0
	s_clause 0x3
	buffer_load_dword v1, v4, s[0:3], 0 offen
	buffer_load_dword v2, v4, s[0:3], 0 offen offset:4
	buffer_load_dword v3, v4, s[0:3], 0 offen offset:8
	;; [unrolled: 1-line block ×3, first 2 shown]
	s_waitcnt vmcnt(0)
	ds_write_b128 v58, v[1:4]
	s_waitcnt lgkmcnt(0)
	s_waitcnt_vscnt null, 0x0
	s_barrier
	buffer_gl0_inv
	s_and_saveexec_b32 s6, s5
	s_cbranch_execz .LBB25_35
; %bb.28:
	ds_read_b128 v[1:4], v58
	s_andn2_b32 vcc_lo, exec_lo, s34
	s_cbranch_vccnz .LBB25_30
; %bb.29:
	s_clause 0x3
	buffer_load_dword v59, v57, s[0:3], 0 offen offset:8
	buffer_load_dword v60, v57, s[0:3], 0 offen offset:12
	buffer_load_dword v61, v57, s[0:3], 0 offen
	buffer_load_dword v62, v57, s[0:3], 0 offen offset:4
	s_waitcnt vmcnt(2) lgkmcnt(0)
	v_mul_f64 v[64:65], v[3:4], v[59:60]
	v_mul_f64 v[59:60], v[1:2], v[59:60]
	s_waitcnt vmcnt(0)
	v_fma_f64 v[1:2], v[1:2], v[61:62], -v[64:65]
	v_fma_f64 v[3:4], v[3:4], v[61:62], v[59:60]
.LBB25_30:
	s_and_saveexec_b32 s8, s4
	s_cbranch_execz .LBB25_34
; %bb.31:
	v_subrev_nc_u32_e32 v59, 22, v0
	s_movk_i32 s35, 0x300
	s_mov_b32 s4, 0
	s_mov_b32 s36, s11
	.p2align	6
.LBB25_32:                              ; =>This Inner Loop Header: Depth=1
	v_mov_b32_e32 v62, s36
	v_add_nc_u32_e32 v59, -1, v59
	s_add_i32 s36, s36, 16
	s_clause 0x3
	buffer_load_dword v60, v62, s[0:3], 0 offen offset:8
	buffer_load_dword v61, v62, s[0:3], 0 offen offset:12
	buffer_load_dword v68, v62, s[0:3], 0 offen
	buffer_load_dword v69, v62, s[0:3], 0 offen offset:4
	v_mov_b32_e32 v62, s35
	v_cmp_eq_u32_e32 vcc_lo, 0, v59
	s_add_i32 s35, s35, 16
	ds_read_b128 v[64:67], v62
	s_or_b32 s4, vcc_lo, s4
	s_waitcnt vmcnt(2) lgkmcnt(0)
	v_mul_f64 v[70:71], v[66:67], v[60:61]
	v_mul_f64 v[60:61], v[64:65], v[60:61]
	s_waitcnt vmcnt(0)
	v_fma_f64 v[64:65], v[64:65], v[68:69], -v[70:71]
	v_fma_f64 v[60:61], v[66:67], v[68:69], v[60:61]
	v_add_f64 v[1:2], v[1:2], v[64:65]
	v_add_f64 v[3:4], v[3:4], v[60:61]
	s_andn2_b32 exec_lo, exec_lo, s4
	s_cbranch_execnz .LBB25_32
; %bb.33:
	s_or_b32 exec_lo, exec_lo, s4
.LBB25_34:
	s_or_b32 exec_lo, exec_lo, s8
	v_mov_b32_e32 v59, 0
	ds_read_b128 v[59:62], v59 offset:336
	s_waitcnt lgkmcnt(0)
	v_mul_f64 v[64:65], v[3:4], v[61:62]
	v_mul_f64 v[61:62], v[1:2], v[61:62]
	v_fma_f64 v[1:2], v[1:2], v[59:60], -v[64:65]
	v_fma_f64 v[3:4], v[3:4], v[59:60], v[61:62]
	buffer_store_dword v2, off, s[0:3], 0 offset:340
	buffer_store_dword v1, off, s[0:3], 0 offset:336
	;; [unrolled: 1-line block ×4, first 2 shown]
.LBB25_35:
	s_or_b32 exec_lo, exec_lo, s6
	v_mov_b32_e32 v4, s13
	v_cmp_lt_u32_e64 s4, 20, v0
	s_clause 0x3
	buffer_load_dword v1, v4, s[0:3], 0 offen
	buffer_load_dword v2, v4, s[0:3], 0 offen offset:4
	buffer_load_dword v3, v4, s[0:3], 0 offen offset:8
	;; [unrolled: 1-line block ×3, first 2 shown]
	s_waitcnt vmcnt(0)
	ds_write_b128 v58, v[1:4]
	s_waitcnt lgkmcnt(0)
	s_waitcnt_vscnt null, 0x0
	s_barrier
	buffer_gl0_inv
	s_and_saveexec_b32 s6, s4
	s_cbranch_execz .LBB25_43
; %bb.36:
	ds_read_b128 v[1:4], v58
	s_andn2_b32 vcc_lo, exec_lo, s34
	s_cbranch_vccnz .LBB25_38
; %bb.37:
	s_clause 0x3
	buffer_load_dword v59, v57, s[0:3], 0 offen offset:8
	buffer_load_dword v60, v57, s[0:3], 0 offen offset:12
	buffer_load_dword v61, v57, s[0:3], 0 offen
	buffer_load_dword v62, v57, s[0:3], 0 offen offset:4
	s_waitcnt vmcnt(2) lgkmcnt(0)
	v_mul_f64 v[64:65], v[3:4], v[59:60]
	v_mul_f64 v[59:60], v[1:2], v[59:60]
	s_waitcnt vmcnt(0)
	v_fma_f64 v[1:2], v[1:2], v[61:62], -v[64:65]
	v_fma_f64 v[3:4], v[3:4], v[61:62], v[59:60]
.LBB25_38:
	s_and_saveexec_b32 s8, s5
	s_cbranch_execz .LBB25_42
; %bb.39:
	v_subrev_nc_u32_e32 v59, 21, v0
	s_movk_i32 s35, 0x2f0
	s_mov_b32 s5, 0
	s_mov_b32 s36, s12
	.p2align	6
.LBB25_40:                              ; =>This Inner Loop Header: Depth=1
	v_mov_b32_e32 v62, s36
	v_add_nc_u32_e32 v59, -1, v59
	s_add_i32 s36, s36, 16
	s_clause 0x3
	buffer_load_dword v60, v62, s[0:3], 0 offen offset:8
	buffer_load_dword v61, v62, s[0:3], 0 offen offset:12
	buffer_load_dword v68, v62, s[0:3], 0 offen
	buffer_load_dword v69, v62, s[0:3], 0 offen offset:4
	v_mov_b32_e32 v62, s35
	v_cmp_eq_u32_e32 vcc_lo, 0, v59
	s_add_i32 s35, s35, 16
	ds_read_b128 v[64:67], v62
	s_or_b32 s5, vcc_lo, s5
	s_waitcnt vmcnt(2) lgkmcnt(0)
	v_mul_f64 v[70:71], v[66:67], v[60:61]
	v_mul_f64 v[60:61], v[64:65], v[60:61]
	s_waitcnt vmcnt(0)
	v_fma_f64 v[64:65], v[64:65], v[68:69], -v[70:71]
	v_fma_f64 v[60:61], v[66:67], v[68:69], v[60:61]
	v_add_f64 v[1:2], v[1:2], v[64:65]
	v_add_f64 v[3:4], v[3:4], v[60:61]
	s_andn2_b32 exec_lo, exec_lo, s5
	s_cbranch_execnz .LBB25_40
; %bb.41:
	s_or_b32 exec_lo, exec_lo, s5
.LBB25_42:
	s_or_b32 exec_lo, exec_lo, s8
	v_mov_b32_e32 v59, 0
	ds_read_b128 v[59:62], v59 offset:320
	s_waitcnt lgkmcnt(0)
	v_mul_f64 v[64:65], v[3:4], v[61:62]
	v_mul_f64 v[61:62], v[1:2], v[61:62]
	v_fma_f64 v[1:2], v[1:2], v[59:60], -v[64:65]
	v_fma_f64 v[3:4], v[3:4], v[59:60], v[61:62]
	buffer_store_dword v2, off, s[0:3], 0 offset:324
	buffer_store_dword v1, off, s[0:3], 0 offset:320
	;; [unrolled: 1-line block ×4, first 2 shown]
.LBB25_43:
	s_or_b32 exec_lo, exec_lo, s6
	v_mov_b32_e32 v4, s14
	v_cmp_lt_u32_e64 s5, 19, v0
	s_clause 0x3
	buffer_load_dword v1, v4, s[0:3], 0 offen
	buffer_load_dword v2, v4, s[0:3], 0 offen offset:4
	buffer_load_dword v3, v4, s[0:3], 0 offen offset:8
	;; [unrolled: 1-line block ×3, first 2 shown]
	s_waitcnt vmcnt(0)
	ds_write_b128 v58, v[1:4]
	s_waitcnt lgkmcnt(0)
	s_waitcnt_vscnt null, 0x0
	s_barrier
	buffer_gl0_inv
	s_and_saveexec_b32 s6, s5
	s_cbranch_execz .LBB25_51
; %bb.44:
	ds_read_b128 v[1:4], v58
	s_andn2_b32 vcc_lo, exec_lo, s34
	s_cbranch_vccnz .LBB25_46
; %bb.45:
	s_clause 0x3
	buffer_load_dword v59, v57, s[0:3], 0 offen offset:8
	buffer_load_dword v60, v57, s[0:3], 0 offen offset:12
	buffer_load_dword v61, v57, s[0:3], 0 offen
	buffer_load_dword v62, v57, s[0:3], 0 offen offset:4
	s_waitcnt vmcnt(2) lgkmcnt(0)
	v_mul_f64 v[64:65], v[3:4], v[59:60]
	v_mul_f64 v[59:60], v[1:2], v[59:60]
	s_waitcnt vmcnt(0)
	v_fma_f64 v[1:2], v[1:2], v[61:62], -v[64:65]
	v_fma_f64 v[3:4], v[3:4], v[61:62], v[59:60]
.LBB25_46:
	s_and_saveexec_b32 s8, s4
	s_cbranch_execz .LBB25_50
; %bb.47:
	v_subrev_nc_u32_e32 v59, 20, v0
	s_movk_i32 s35, 0x2e0
	s_mov_b32 s4, 0
	s_mov_b32 s36, s13
	.p2align	6
.LBB25_48:                              ; =>This Inner Loop Header: Depth=1
	v_mov_b32_e32 v62, s36
	v_add_nc_u32_e32 v59, -1, v59
	s_add_i32 s36, s36, 16
	s_clause 0x3
	buffer_load_dword v60, v62, s[0:3], 0 offen offset:8
	buffer_load_dword v61, v62, s[0:3], 0 offen offset:12
	buffer_load_dword v68, v62, s[0:3], 0 offen
	buffer_load_dword v69, v62, s[0:3], 0 offen offset:4
	v_mov_b32_e32 v62, s35
	v_cmp_eq_u32_e32 vcc_lo, 0, v59
	s_add_i32 s35, s35, 16
	ds_read_b128 v[64:67], v62
	s_or_b32 s4, vcc_lo, s4
	s_waitcnt vmcnt(2) lgkmcnt(0)
	v_mul_f64 v[70:71], v[66:67], v[60:61]
	v_mul_f64 v[60:61], v[64:65], v[60:61]
	s_waitcnt vmcnt(0)
	v_fma_f64 v[64:65], v[64:65], v[68:69], -v[70:71]
	v_fma_f64 v[60:61], v[66:67], v[68:69], v[60:61]
	v_add_f64 v[1:2], v[1:2], v[64:65]
	v_add_f64 v[3:4], v[3:4], v[60:61]
	s_andn2_b32 exec_lo, exec_lo, s4
	s_cbranch_execnz .LBB25_48
; %bb.49:
	s_or_b32 exec_lo, exec_lo, s4
.LBB25_50:
	s_or_b32 exec_lo, exec_lo, s8
	v_mov_b32_e32 v59, 0
	ds_read_b128 v[59:62], v59 offset:304
	s_waitcnt lgkmcnt(0)
	v_mul_f64 v[64:65], v[3:4], v[61:62]
	v_mul_f64 v[61:62], v[1:2], v[61:62]
	v_fma_f64 v[1:2], v[1:2], v[59:60], -v[64:65]
	v_fma_f64 v[3:4], v[3:4], v[59:60], v[61:62]
	buffer_store_dword v2, off, s[0:3], 0 offset:308
	buffer_store_dword v1, off, s[0:3], 0 offset:304
	;; [unrolled: 1-line block ×4, first 2 shown]
.LBB25_51:
	s_or_b32 exec_lo, exec_lo, s6
	v_mov_b32_e32 v4, s15
	v_cmp_lt_u32_e64 s4, 18, v0
	s_clause 0x3
	buffer_load_dword v1, v4, s[0:3], 0 offen
	buffer_load_dword v2, v4, s[0:3], 0 offen offset:4
	buffer_load_dword v3, v4, s[0:3], 0 offen offset:8
	buffer_load_dword v4, v4, s[0:3], 0 offen offset:12
	s_waitcnt vmcnt(0)
	ds_write_b128 v58, v[1:4]
	s_waitcnt lgkmcnt(0)
	s_waitcnt_vscnt null, 0x0
	s_barrier
	buffer_gl0_inv
	s_and_saveexec_b32 s6, s4
	s_cbranch_execz .LBB25_59
; %bb.52:
	ds_read_b128 v[1:4], v58
	s_andn2_b32 vcc_lo, exec_lo, s34
	s_cbranch_vccnz .LBB25_54
; %bb.53:
	s_clause 0x3
	buffer_load_dword v59, v57, s[0:3], 0 offen offset:8
	buffer_load_dword v60, v57, s[0:3], 0 offen offset:12
	buffer_load_dword v61, v57, s[0:3], 0 offen
	buffer_load_dword v62, v57, s[0:3], 0 offen offset:4
	s_waitcnt vmcnt(2) lgkmcnt(0)
	v_mul_f64 v[64:65], v[3:4], v[59:60]
	v_mul_f64 v[59:60], v[1:2], v[59:60]
	s_waitcnt vmcnt(0)
	v_fma_f64 v[1:2], v[1:2], v[61:62], -v[64:65]
	v_fma_f64 v[3:4], v[3:4], v[61:62], v[59:60]
.LBB25_54:
	s_and_saveexec_b32 s8, s5
	s_cbranch_execz .LBB25_58
; %bb.55:
	v_subrev_nc_u32_e32 v59, 19, v0
	s_movk_i32 s35, 0x2d0
	s_mov_b32 s5, 0
	s_mov_b32 s36, s14
	.p2align	6
.LBB25_56:                              ; =>This Inner Loop Header: Depth=1
	v_mov_b32_e32 v62, s36
	v_add_nc_u32_e32 v59, -1, v59
	s_add_i32 s36, s36, 16
	s_clause 0x3
	buffer_load_dword v60, v62, s[0:3], 0 offen offset:8
	buffer_load_dword v61, v62, s[0:3], 0 offen offset:12
	buffer_load_dword v68, v62, s[0:3], 0 offen
	buffer_load_dword v69, v62, s[0:3], 0 offen offset:4
	v_mov_b32_e32 v62, s35
	v_cmp_eq_u32_e32 vcc_lo, 0, v59
	s_add_i32 s35, s35, 16
	ds_read_b128 v[64:67], v62
	s_or_b32 s5, vcc_lo, s5
	s_waitcnt vmcnt(2) lgkmcnt(0)
	v_mul_f64 v[70:71], v[66:67], v[60:61]
	v_mul_f64 v[60:61], v[64:65], v[60:61]
	s_waitcnt vmcnt(0)
	v_fma_f64 v[64:65], v[64:65], v[68:69], -v[70:71]
	v_fma_f64 v[60:61], v[66:67], v[68:69], v[60:61]
	v_add_f64 v[1:2], v[1:2], v[64:65]
	v_add_f64 v[3:4], v[3:4], v[60:61]
	s_andn2_b32 exec_lo, exec_lo, s5
	s_cbranch_execnz .LBB25_56
; %bb.57:
	s_or_b32 exec_lo, exec_lo, s5
.LBB25_58:
	s_or_b32 exec_lo, exec_lo, s8
	v_mov_b32_e32 v59, 0
	ds_read_b128 v[59:62], v59 offset:288
	s_waitcnt lgkmcnt(0)
	v_mul_f64 v[64:65], v[3:4], v[61:62]
	v_mul_f64 v[61:62], v[1:2], v[61:62]
	v_fma_f64 v[1:2], v[1:2], v[59:60], -v[64:65]
	v_fma_f64 v[3:4], v[3:4], v[59:60], v[61:62]
	buffer_store_dword v2, off, s[0:3], 0 offset:292
	buffer_store_dword v1, off, s[0:3], 0 offset:288
	;; [unrolled: 1-line block ×4, first 2 shown]
.LBB25_59:
	s_or_b32 exec_lo, exec_lo, s6
	v_mov_b32_e32 v4, s16
	v_cmp_lt_u32_e64 s5, 17, v0
	s_clause 0x3
	buffer_load_dword v1, v4, s[0:3], 0 offen
	buffer_load_dword v2, v4, s[0:3], 0 offen offset:4
	buffer_load_dword v3, v4, s[0:3], 0 offen offset:8
	buffer_load_dword v4, v4, s[0:3], 0 offen offset:12
	s_waitcnt vmcnt(0)
	ds_write_b128 v58, v[1:4]
	s_waitcnt lgkmcnt(0)
	s_waitcnt_vscnt null, 0x0
	s_barrier
	buffer_gl0_inv
	s_and_saveexec_b32 s6, s5
	s_cbranch_execz .LBB25_67
; %bb.60:
	ds_read_b128 v[1:4], v58
	s_andn2_b32 vcc_lo, exec_lo, s34
	s_cbranch_vccnz .LBB25_62
; %bb.61:
	s_clause 0x3
	buffer_load_dword v59, v57, s[0:3], 0 offen offset:8
	buffer_load_dword v60, v57, s[0:3], 0 offen offset:12
	buffer_load_dword v61, v57, s[0:3], 0 offen
	buffer_load_dword v62, v57, s[0:3], 0 offen offset:4
	s_waitcnt vmcnt(2) lgkmcnt(0)
	v_mul_f64 v[64:65], v[3:4], v[59:60]
	v_mul_f64 v[59:60], v[1:2], v[59:60]
	s_waitcnt vmcnt(0)
	v_fma_f64 v[1:2], v[1:2], v[61:62], -v[64:65]
	v_fma_f64 v[3:4], v[3:4], v[61:62], v[59:60]
.LBB25_62:
	s_and_saveexec_b32 s8, s4
	s_cbranch_execz .LBB25_66
; %bb.63:
	v_subrev_nc_u32_e32 v59, 18, v0
	s_movk_i32 s35, 0x2c0
	s_mov_b32 s4, 0
	s_mov_b32 s36, s15
	.p2align	6
.LBB25_64:                              ; =>This Inner Loop Header: Depth=1
	v_mov_b32_e32 v62, s36
	v_add_nc_u32_e32 v59, -1, v59
	s_add_i32 s36, s36, 16
	s_clause 0x3
	buffer_load_dword v60, v62, s[0:3], 0 offen offset:8
	buffer_load_dword v61, v62, s[0:3], 0 offen offset:12
	buffer_load_dword v68, v62, s[0:3], 0 offen
	buffer_load_dword v69, v62, s[0:3], 0 offen offset:4
	v_mov_b32_e32 v62, s35
	v_cmp_eq_u32_e32 vcc_lo, 0, v59
	s_add_i32 s35, s35, 16
	ds_read_b128 v[64:67], v62
	s_or_b32 s4, vcc_lo, s4
	s_waitcnt vmcnt(2) lgkmcnt(0)
	v_mul_f64 v[70:71], v[66:67], v[60:61]
	v_mul_f64 v[60:61], v[64:65], v[60:61]
	s_waitcnt vmcnt(0)
	v_fma_f64 v[64:65], v[64:65], v[68:69], -v[70:71]
	v_fma_f64 v[60:61], v[66:67], v[68:69], v[60:61]
	v_add_f64 v[1:2], v[1:2], v[64:65]
	v_add_f64 v[3:4], v[3:4], v[60:61]
	s_andn2_b32 exec_lo, exec_lo, s4
	s_cbranch_execnz .LBB25_64
; %bb.65:
	s_or_b32 exec_lo, exec_lo, s4
.LBB25_66:
	s_or_b32 exec_lo, exec_lo, s8
	v_mov_b32_e32 v59, 0
	ds_read_b128 v[59:62], v59 offset:272
	s_waitcnt lgkmcnt(0)
	v_mul_f64 v[64:65], v[3:4], v[61:62]
	v_mul_f64 v[61:62], v[1:2], v[61:62]
	v_fma_f64 v[1:2], v[1:2], v[59:60], -v[64:65]
	v_fma_f64 v[3:4], v[3:4], v[59:60], v[61:62]
	buffer_store_dword v2, off, s[0:3], 0 offset:276
	buffer_store_dword v1, off, s[0:3], 0 offset:272
	;; [unrolled: 1-line block ×4, first 2 shown]
.LBB25_67:
	s_or_b32 exec_lo, exec_lo, s6
	v_mov_b32_e32 v4, s17
	v_cmp_lt_u32_e64 s4, 16, v0
	s_clause 0x3
	buffer_load_dword v1, v4, s[0:3], 0 offen
	buffer_load_dword v2, v4, s[0:3], 0 offen offset:4
	buffer_load_dword v3, v4, s[0:3], 0 offen offset:8
	buffer_load_dword v4, v4, s[0:3], 0 offen offset:12
	s_waitcnt vmcnt(0)
	ds_write_b128 v58, v[1:4]
	s_waitcnt lgkmcnt(0)
	s_waitcnt_vscnt null, 0x0
	s_barrier
	buffer_gl0_inv
	s_and_saveexec_b32 s6, s4
	s_cbranch_execz .LBB25_75
; %bb.68:
	ds_read_b128 v[1:4], v58
	s_andn2_b32 vcc_lo, exec_lo, s34
	s_cbranch_vccnz .LBB25_70
; %bb.69:
	s_clause 0x3
	buffer_load_dword v59, v57, s[0:3], 0 offen offset:8
	buffer_load_dword v60, v57, s[0:3], 0 offen offset:12
	buffer_load_dword v61, v57, s[0:3], 0 offen
	buffer_load_dword v62, v57, s[0:3], 0 offen offset:4
	s_waitcnt vmcnt(2) lgkmcnt(0)
	v_mul_f64 v[64:65], v[3:4], v[59:60]
	v_mul_f64 v[59:60], v[1:2], v[59:60]
	s_waitcnt vmcnt(0)
	v_fma_f64 v[1:2], v[1:2], v[61:62], -v[64:65]
	v_fma_f64 v[3:4], v[3:4], v[61:62], v[59:60]
.LBB25_70:
	s_and_saveexec_b32 s8, s5
	s_cbranch_execz .LBB25_74
; %bb.71:
	v_subrev_nc_u32_e32 v59, 17, v0
	s_movk_i32 s35, 0x2b0
	s_mov_b32 s5, 0
	s_mov_b32 s36, s16
	.p2align	6
.LBB25_72:                              ; =>This Inner Loop Header: Depth=1
	v_mov_b32_e32 v62, s36
	v_add_nc_u32_e32 v59, -1, v59
	s_add_i32 s36, s36, 16
	s_clause 0x3
	buffer_load_dword v60, v62, s[0:3], 0 offen offset:8
	buffer_load_dword v61, v62, s[0:3], 0 offen offset:12
	buffer_load_dword v68, v62, s[0:3], 0 offen
	buffer_load_dword v69, v62, s[0:3], 0 offen offset:4
	v_mov_b32_e32 v62, s35
	v_cmp_eq_u32_e32 vcc_lo, 0, v59
	s_add_i32 s35, s35, 16
	ds_read_b128 v[64:67], v62
	s_or_b32 s5, vcc_lo, s5
	s_waitcnt vmcnt(2) lgkmcnt(0)
	v_mul_f64 v[70:71], v[66:67], v[60:61]
	v_mul_f64 v[60:61], v[64:65], v[60:61]
	s_waitcnt vmcnt(0)
	v_fma_f64 v[64:65], v[64:65], v[68:69], -v[70:71]
	v_fma_f64 v[60:61], v[66:67], v[68:69], v[60:61]
	v_add_f64 v[1:2], v[1:2], v[64:65]
	v_add_f64 v[3:4], v[3:4], v[60:61]
	s_andn2_b32 exec_lo, exec_lo, s5
	s_cbranch_execnz .LBB25_72
; %bb.73:
	s_or_b32 exec_lo, exec_lo, s5
.LBB25_74:
	s_or_b32 exec_lo, exec_lo, s8
	v_mov_b32_e32 v59, 0
	ds_read_b128 v[59:62], v59 offset:256
	s_waitcnt lgkmcnt(0)
	v_mul_f64 v[64:65], v[3:4], v[61:62]
	v_mul_f64 v[61:62], v[1:2], v[61:62]
	v_fma_f64 v[1:2], v[1:2], v[59:60], -v[64:65]
	v_fma_f64 v[3:4], v[3:4], v[59:60], v[61:62]
	buffer_store_dword v2, off, s[0:3], 0 offset:260
	buffer_store_dword v1, off, s[0:3], 0 offset:256
	buffer_store_dword v4, off, s[0:3], 0 offset:268
	buffer_store_dword v3, off, s[0:3], 0 offset:264
.LBB25_75:
	s_or_b32 exec_lo, exec_lo, s6
	v_mov_b32_e32 v4, s18
	v_cmp_lt_u32_e64 s5, 15, v0
	s_clause 0x3
	buffer_load_dword v1, v4, s[0:3], 0 offen
	buffer_load_dword v2, v4, s[0:3], 0 offen offset:4
	buffer_load_dword v3, v4, s[0:3], 0 offen offset:8
	;; [unrolled: 1-line block ×3, first 2 shown]
	s_waitcnt vmcnt(0)
	ds_write_b128 v58, v[1:4]
	s_waitcnt lgkmcnt(0)
	s_waitcnt_vscnt null, 0x0
	s_barrier
	buffer_gl0_inv
	s_and_saveexec_b32 s6, s5
	s_cbranch_execz .LBB25_83
; %bb.76:
	ds_read_b128 v[1:4], v58
	s_andn2_b32 vcc_lo, exec_lo, s34
	s_cbranch_vccnz .LBB25_78
; %bb.77:
	s_clause 0x3
	buffer_load_dword v59, v57, s[0:3], 0 offen offset:8
	buffer_load_dword v60, v57, s[0:3], 0 offen offset:12
	buffer_load_dword v61, v57, s[0:3], 0 offen
	buffer_load_dword v62, v57, s[0:3], 0 offen offset:4
	s_waitcnt vmcnt(2) lgkmcnt(0)
	v_mul_f64 v[64:65], v[3:4], v[59:60]
	v_mul_f64 v[59:60], v[1:2], v[59:60]
	s_waitcnt vmcnt(0)
	v_fma_f64 v[1:2], v[1:2], v[61:62], -v[64:65]
	v_fma_f64 v[3:4], v[3:4], v[61:62], v[59:60]
.LBB25_78:
	s_and_saveexec_b32 s8, s4
	s_cbranch_execz .LBB25_82
; %bb.79:
	v_add_nc_u32_e32 v59, -16, v0
	s_movk_i32 s35, 0x2a0
	s_mov_b32 s4, 0
	s_mov_b32 s36, s17
	.p2align	6
.LBB25_80:                              ; =>This Inner Loop Header: Depth=1
	v_mov_b32_e32 v62, s36
	v_add_nc_u32_e32 v59, -1, v59
	s_add_i32 s36, s36, 16
	s_clause 0x3
	buffer_load_dword v60, v62, s[0:3], 0 offen offset:8
	buffer_load_dword v61, v62, s[0:3], 0 offen offset:12
	buffer_load_dword v68, v62, s[0:3], 0 offen
	buffer_load_dword v69, v62, s[0:3], 0 offen offset:4
	v_mov_b32_e32 v62, s35
	v_cmp_eq_u32_e32 vcc_lo, 0, v59
	s_add_i32 s35, s35, 16
	ds_read_b128 v[64:67], v62
	s_or_b32 s4, vcc_lo, s4
	s_waitcnt vmcnt(2) lgkmcnt(0)
	v_mul_f64 v[70:71], v[66:67], v[60:61]
	v_mul_f64 v[60:61], v[64:65], v[60:61]
	s_waitcnt vmcnt(0)
	v_fma_f64 v[64:65], v[64:65], v[68:69], -v[70:71]
	v_fma_f64 v[60:61], v[66:67], v[68:69], v[60:61]
	v_add_f64 v[1:2], v[1:2], v[64:65]
	v_add_f64 v[3:4], v[3:4], v[60:61]
	s_andn2_b32 exec_lo, exec_lo, s4
	s_cbranch_execnz .LBB25_80
; %bb.81:
	s_or_b32 exec_lo, exec_lo, s4
.LBB25_82:
	s_or_b32 exec_lo, exec_lo, s8
	v_mov_b32_e32 v59, 0
	ds_read_b128 v[59:62], v59 offset:240
	s_waitcnt lgkmcnt(0)
	v_mul_f64 v[64:65], v[3:4], v[61:62]
	v_mul_f64 v[61:62], v[1:2], v[61:62]
	v_fma_f64 v[1:2], v[1:2], v[59:60], -v[64:65]
	v_fma_f64 v[3:4], v[3:4], v[59:60], v[61:62]
	buffer_store_dword v2, off, s[0:3], 0 offset:244
	buffer_store_dword v1, off, s[0:3], 0 offset:240
	buffer_store_dword v4, off, s[0:3], 0 offset:252
	buffer_store_dword v3, off, s[0:3], 0 offset:248
.LBB25_83:
	s_or_b32 exec_lo, exec_lo, s6
	v_mov_b32_e32 v4, s19
	v_cmp_lt_u32_e64 s4, 14, v0
	s_clause 0x3
	buffer_load_dword v1, v4, s[0:3], 0 offen
	buffer_load_dword v2, v4, s[0:3], 0 offen offset:4
	buffer_load_dword v3, v4, s[0:3], 0 offen offset:8
	;; [unrolled: 1-line block ×3, first 2 shown]
	s_waitcnt vmcnt(0)
	ds_write_b128 v58, v[1:4]
	s_waitcnt lgkmcnt(0)
	s_waitcnt_vscnt null, 0x0
	s_barrier
	buffer_gl0_inv
	s_and_saveexec_b32 s6, s4
	s_cbranch_execz .LBB25_91
; %bb.84:
	ds_read_b128 v[1:4], v58
	s_andn2_b32 vcc_lo, exec_lo, s34
	s_cbranch_vccnz .LBB25_86
; %bb.85:
	s_clause 0x3
	buffer_load_dword v59, v57, s[0:3], 0 offen offset:8
	buffer_load_dword v60, v57, s[0:3], 0 offen offset:12
	buffer_load_dword v61, v57, s[0:3], 0 offen
	buffer_load_dword v62, v57, s[0:3], 0 offen offset:4
	s_waitcnt vmcnt(2) lgkmcnt(0)
	v_mul_f64 v[64:65], v[3:4], v[59:60]
	v_mul_f64 v[59:60], v[1:2], v[59:60]
	s_waitcnt vmcnt(0)
	v_fma_f64 v[1:2], v[1:2], v[61:62], -v[64:65]
	v_fma_f64 v[3:4], v[3:4], v[61:62], v[59:60]
.LBB25_86:
	s_and_saveexec_b32 s8, s5
	s_cbranch_execz .LBB25_90
; %bb.87:
	v_add_nc_u32_e32 v59, -15, v0
	s_movk_i32 s35, 0x290
	s_mov_b32 s5, 0
	s_mov_b32 s36, s18
	.p2align	6
.LBB25_88:                              ; =>This Inner Loop Header: Depth=1
	v_mov_b32_e32 v62, s36
	v_add_nc_u32_e32 v59, -1, v59
	s_add_i32 s36, s36, 16
	s_clause 0x3
	buffer_load_dword v60, v62, s[0:3], 0 offen offset:8
	buffer_load_dword v61, v62, s[0:3], 0 offen offset:12
	buffer_load_dword v68, v62, s[0:3], 0 offen
	buffer_load_dword v69, v62, s[0:3], 0 offen offset:4
	v_mov_b32_e32 v62, s35
	v_cmp_eq_u32_e32 vcc_lo, 0, v59
	s_add_i32 s35, s35, 16
	ds_read_b128 v[64:67], v62
	s_or_b32 s5, vcc_lo, s5
	s_waitcnt vmcnt(2) lgkmcnt(0)
	v_mul_f64 v[70:71], v[66:67], v[60:61]
	v_mul_f64 v[60:61], v[64:65], v[60:61]
	s_waitcnt vmcnt(0)
	v_fma_f64 v[64:65], v[64:65], v[68:69], -v[70:71]
	v_fma_f64 v[60:61], v[66:67], v[68:69], v[60:61]
	v_add_f64 v[1:2], v[1:2], v[64:65]
	v_add_f64 v[3:4], v[3:4], v[60:61]
	s_andn2_b32 exec_lo, exec_lo, s5
	s_cbranch_execnz .LBB25_88
; %bb.89:
	s_or_b32 exec_lo, exec_lo, s5
.LBB25_90:
	s_or_b32 exec_lo, exec_lo, s8
	v_mov_b32_e32 v59, 0
	ds_read_b128 v[59:62], v59 offset:224
	s_waitcnt lgkmcnt(0)
	v_mul_f64 v[64:65], v[3:4], v[61:62]
	v_mul_f64 v[61:62], v[1:2], v[61:62]
	v_fma_f64 v[1:2], v[1:2], v[59:60], -v[64:65]
	v_fma_f64 v[3:4], v[3:4], v[59:60], v[61:62]
	buffer_store_dword v2, off, s[0:3], 0 offset:228
	buffer_store_dword v1, off, s[0:3], 0 offset:224
	;; [unrolled: 1-line block ×4, first 2 shown]
.LBB25_91:
	s_or_b32 exec_lo, exec_lo, s6
	v_mov_b32_e32 v4, s20
	v_cmp_lt_u32_e64 s5, 13, v0
	s_clause 0x3
	buffer_load_dword v1, v4, s[0:3], 0 offen
	buffer_load_dword v2, v4, s[0:3], 0 offen offset:4
	buffer_load_dword v3, v4, s[0:3], 0 offen offset:8
	;; [unrolled: 1-line block ×3, first 2 shown]
	s_waitcnt vmcnt(0)
	ds_write_b128 v58, v[1:4]
	s_waitcnt lgkmcnt(0)
	s_waitcnt_vscnt null, 0x0
	s_barrier
	buffer_gl0_inv
	s_and_saveexec_b32 s6, s5
	s_cbranch_execz .LBB25_99
; %bb.92:
	ds_read_b128 v[1:4], v58
	s_andn2_b32 vcc_lo, exec_lo, s34
	s_cbranch_vccnz .LBB25_94
; %bb.93:
	s_clause 0x3
	buffer_load_dword v59, v57, s[0:3], 0 offen offset:8
	buffer_load_dword v60, v57, s[0:3], 0 offen offset:12
	buffer_load_dword v61, v57, s[0:3], 0 offen
	buffer_load_dword v62, v57, s[0:3], 0 offen offset:4
	s_waitcnt vmcnt(2) lgkmcnt(0)
	v_mul_f64 v[64:65], v[3:4], v[59:60]
	v_mul_f64 v[59:60], v[1:2], v[59:60]
	s_waitcnt vmcnt(0)
	v_fma_f64 v[1:2], v[1:2], v[61:62], -v[64:65]
	v_fma_f64 v[3:4], v[3:4], v[61:62], v[59:60]
.LBB25_94:
	s_and_saveexec_b32 s8, s4
	s_cbranch_execz .LBB25_98
; %bb.95:
	v_add_nc_u32_e32 v59, -14, v0
	s_movk_i32 s35, 0x280
	s_mov_b32 s4, 0
	s_mov_b32 s36, s19
	.p2align	6
.LBB25_96:                              ; =>This Inner Loop Header: Depth=1
	v_mov_b32_e32 v62, s36
	v_add_nc_u32_e32 v59, -1, v59
	s_add_i32 s36, s36, 16
	s_clause 0x3
	buffer_load_dword v60, v62, s[0:3], 0 offen offset:8
	buffer_load_dword v61, v62, s[0:3], 0 offen offset:12
	buffer_load_dword v68, v62, s[0:3], 0 offen
	buffer_load_dword v69, v62, s[0:3], 0 offen offset:4
	v_mov_b32_e32 v62, s35
	v_cmp_eq_u32_e32 vcc_lo, 0, v59
	s_add_i32 s35, s35, 16
	ds_read_b128 v[64:67], v62
	s_or_b32 s4, vcc_lo, s4
	s_waitcnt vmcnt(2) lgkmcnt(0)
	v_mul_f64 v[70:71], v[66:67], v[60:61]
	v_mul_f64 v[60:61], v[64:65], v[60:61]
	s_waitcnt vmcnt(0)
	v_fma_f64 v[64:65], v[64:65], v[68:69], -v[70:71]
	v_fma_f64 v[60:61], v[66:67], v[68:69], v[60:61]
	v_add_f64 v[1:2], v[1:2], v[64:65]
	v_add_f64 v[3:4], v[3:4], v[60:61]
	s_andn2_b32 exec_lo, exec_lo, s4
	s_cbranch_execnz .LBB25_96
; %bb.97:
	s_or_b32 exec_lo, exec_lo, s4
.LBB25_98:
	s_or_b32 exec_lo, exec_lo, s8
	v_mov_b32_e32 v59, 0
	ds_read_b128 v[59:62], v59 offset:208
	s_waitcnt lgkmcnt(0)
	v_mul_f64 v[64:65], v[3:4], v[61:62]
	v_mul_f64 v[61:62], v[1:2], v[61:62]
	v_fma_f64 v[1:2], v[1:2], v[59:60], -v[64:65]
	v_fma_f64 v[3:4], v[3:4], v[59:60], v[61:62]
	buffer_store_dword v2, off, s[0:3], 0 offset:212
	buffer_store_dword v1, off, s[0:3], 0 offset:208
	;; [unrolled: 1-line block ×4, first 2 shown]
.LBB25_99:
	s_or_b32 exec_lo, exec_lo, s6
	v_mov_b32_e32 v4, s21
	v_cmp_lt_u32_e64 s4, 12, v0
	s_clause 0x3
	buffer_load_dword v1, v4, s[0:3], 0 offen
	buffer_load_dword v2, v4, s[0:3], 0 offen offset:4
	buffer_load_dword v3, v4, s[0:3], 0 offen offset:8
	;; [unrolled: 1-line block ×3, first 2 shown]
	s_waitcnt vmcnt(0)
	ds_write_b128 v58, v[1:4]
	s_waitcnt lgkmcnt(0)
	s_waitcnt_vscnt null, 0x0
	s_barrier
	buffer_gl0_inv
	s_and_saveexec_b32 s6, s4
	s_cbranch_execz .LBB25_107
; %bb.100:
	ds_read_b128 v[1:4], v58
	s_andn2_b32 vcc_lo, exec_lo, s34
	s_cbranch_vccnz .LBB25_102
; %bb.101:
	s_clause 0x3
	buffer_load_dword v59, v57, s[0:3], 0 offen offset:8
	buffer_load_dword v60, v57, s[0:3], 0 offen offset:12
	buffer_load_dword v61, v57, s[0:3], 0 offen
	buffer_load_dword v62, v57, s[0:3], 0 offen offset:4
	s_waitcnt vmcnt(2) lgkmcnt(0)
	v_mul_f64 v[64:65], v[3:4], v[59:60]
	v_mul_f64 v[59:60], v[1:2], v[59:60]
	s_waitcnt vmcnt(0)
	v_fma_f64 v[1:2], v[1:2], v[61:62], -v[64:65]
	v_fma_f64 v[3:4], v[3:4], v[61:62], v[59:60]
.LBB25_102:
	s_and_saveexec_b32 s8, s5
	s_cbranch_execz .LBB25_106
; %bb.103:
	v_add_nc_u32_e32 v59, -13, v0
	s_movk_i32 s35, 0x270
	s_mov_b32 s5, 0
	s_mov_b32 s36, s20
	.p2align	6
.LBB25_104:                             ; =>This Inner Loop Header: Depth=1
	v_mov_b32_e32 v62, s36
	v_add_nc_u32_e32 v59, -1, v59
	s_add_i32 s36, s36, 16
	s_clause 0x3
	buffer_load_dword v60, v62, s[0:3], 0 offen offset:8
	buffer_load_dword v61, v62, s[0:3], 0 offen offset:12
	buffer_load_dword v68, v62, s[0:3], 0 offen
	buffer_load_dword v69, v62, s[0:3], 0 offen offset:4
	v_mov_b32_e32 v62, s35
	v_cmp_eq_u32_e32 vcc_lo, 0, v59
	s_add_i32 s35, s35, 16
	ds_read_b128 v[64:67], v62
	s_or_b32 s5, vcc_lo, s5
	s_waitcnt vmcnt(2) lgkmcnt(0)
	v_mul_f64 v[70:71], v[66:67], v[60:61]
	v_mul_f64 v[60:61], v[64:65], v[60:61]
	s_waitcnt vmcnt(0)
	v_fma_f64 v[64:65], v[64:65], v[68:69], -v[70:71]
	v_fma_f64 v[60:61], v[66:67], v[68:69], v[60:61]
	v_add_f64 v[1:2], v[1:2], v[64:65]
	v_add_f64 v[3:4], v[3:4], v[60:61]
	s_andn2_b32 exec_lo, exec_lo, s5
	s_cbranch_execnz .LBB25_104
; %bb.105:
	s_or_b32 exec_lo, exec_lo, s5
.LBB25_106:
	s_or_b32 exec_lo, exec_lo, s8
	v_mov_b32_e32 v59, 0
	ds_read_b128 v[59:62], v59 offset:192
	s_waitcnt lgkmcnt(0)
	v_mul_f64 v[64:65], v[3:4], v[61:62]
	v_mul_f64 v[61:62], v[1:2], v[61:62]
	v_fma_f64 v[1:2], v[1:2], v[59:60], -v[64:65]
	v_fma_f64 v[3:4], v[3:4], v[59:60], v[61:62]
	buffer_store_dword v2, off, s[0:3], 0 offset:196
	buffer_store_dword v1, off, s[0:3], 0 offset:192
	;; [unrolled: 1-line block ×4, first 2 shown]
.LBB25_107:
	s_or_b32 exec_lo, exec_lo, s6
	v_mov_b32_e32 v4, s22
	v_cmp_lt_u32_e64 s5, 11, v0
	s_clause 0x3
	buffer_load_dword v1, v4, s[0:3], 0 offen
	buffer_load_dword v2, v4, s[0:3], 0 offen offset:4
	buffer_load_dword v3, v4, s[0:3], 0 offen offset:8
	;; [unrolled: 1-line block ×3, first 2 shown]
	s_waitcnt vmcnt(0)
	ds_write_b128 v58, v[1:4]
	s_waitcnt lgkmcnt(0)
	s_waitcnt_vscnt null, 0x0
	s_barrier
	buffer_gl0_inv
	s_and_saveexec_b32 s6, s5
	s_cbranch_execz .LBB25_115
; %bb.108:
	ds_read_b128 v[1:4], v58
	s_andn2_b32 vcc_lo, exec_lo, s34
	s_cbranch_vccnz .LBB25_110
; %bb.109:
	s_clause 0x3
	buffer_load_dword v59, v57, s[0:3], 0 offen offset:8
	buffer_load_dword v60, v57, s[0:3], 0 offen offset:12
	buffer_load_dword v61, v57, s[0:3], 0 offen
	buffer_load_dword v62, v57, s[0:3], 0 offen offset:4
	s_waitcnt vmcnt(2) lgkmcnt(0)
	v_mul_f64 v[64:65], v[3:4], v[59:60]
	v_mul_f64 v[59:60], v[1:2], v[59:60]
	s_waitcnt vmcnt(0)
	v_fma_f64 v[1:2], v[1:2], v[61:62], -v[64:65]
	v_fma_f64 v[3:4], v[3:4], v[61:62], v[59:60]
.LBB25_110:
	s_and_saveexec_b32 s8, s4
	s_cbranch_execz .LBB25_114
; %bb.111:
	v_add_nc_u32_e32 v59, -12, v0
	s_movk_i32 s35, 0x260
	s_mov_b32 s4, 0
	s_mov_b32 s36, s21
	.p2align	6
.LBB25_112:                             ; =>This Inner Loop Header: Depth=1
	v_mov_b32_e32 v62, s36
	v_add_nc_u32_e32 v59, -1, v59
	s_add_i32 s36, s36, 16
	s_clause 0x3
	buffer_load_dword v60, v62, s[0:3], 0 offen offset:8
	buffer_load_dword v61, v62, s[0:3], 0 offen offset:12
	buffer_load_dword v68, v62, s[0:3], 0 offen
	buffer_load_dword v69, v62, s[0:3], 0 offen offset:4
	v_mov_b32_e32 v62, s35
	v_cmp_eq_u32_e32 vcc_lo, 0, v59
	s_add_i32 s35, s35, 16
	ds_read_b128 v[64:67], v62
	s_or_b32 s4, vcc_lo, s4
	s_waitcnt vmcnt(2) lgkmcnt(0)
	v_mul_f64 v[70:71], v[66:67], v[60:61]
	v_mul_f64 v[60:61], v[64:65], v[60:61]
	s_waitcnt vmcnt(0)
	v_fma_f64 v[64:65], v[64:65], v[68:69], -v[70:71]
	v_fma_f64 v[60:61], v[66:67], v[68:69], v[60:61]
	v_add_f64 v[1:2], v[1:2], v[64:65]
	v_add_f64 v[3:4], v[3:4], v[60:61]
	s_andn2_b32 exec_lo, exec_lo, s4
	s_cbranch_execnz .LBB25_112
; %bb.113:
	s_or_b32 exec_lo, exec_lo, s4
.LBB25_114:
	s_or_b32 exec_lo, exec_lo, s8
	v_mov_b32_e32 v59, 0
	ds_read_b128 v[59:62], v59 offset:176
	s_waitcnt lgkmcnt(0)
	v_mul_f64 v[64:65], v[3:4], v[61:62]
	v_mul_f64 v[61:62], v[1:2], v[61:62]
	v_fma_f64 v[1:2], v[1:2], v[59:60], -v[64:65]
	v_fma_f64 v[3:4], v[3:4], v[59:60], v[61:62]
	buffer_store_dword v2, off, s[0:3], 0 offset:180
	buffer_store_dword v1, off, s[0:3], 0 offset:176
	;; [unrolled: 1-line block ×4, first 2 shown]
.LBB25_115:
	s_or_b32 exec_lo, exec_lo, s6
	v_mov_b32_e32 v4, s23
	v_cmp_lt_u32_e64 s4, 10, v0
	s_clause 0x3
	buffer_load_dword v1, v4, s[0:3], 0 offen
	buffer_load_dword v2, v4, s[0:3], 0 offen offset:4
	buffer_load_dword v3, v4, s[0:3], 0 offen offset:8
	;; [unrolled: 1-line block ×3, first 2 shown]
	s_waitcnt vmcnt(0)
	ds_write_b128 v58, v[1:4]
	s_waitcnt lgkmcnt(0)
	s_waitcnt_vscnt null, 0x0
	s_barrier
	buffer_gl0_inv
	s_and_saveexec_b32 s6, s4
	s_cbranch_execz .LBB25_123
; %bb.116:
	ds_read_b128 v[1:4], v58
	s_andn2_b32 vcc_lo, exec_lo, s34
	s_cbranch_vccnz .LBB25_118
; %bb.117:
	s_clause 0x3
	buffer_load_dword v59, v57, s[0:3], 0 offen offset:8
	buffer_load_dword v60, v57, s[0:3], 0 offen offset:12
	buffer_load_dword v61, v57, s[0:3], 0 offen
	buffer_load_dword v62, v57, s[0:3], 0 offen offset:4
	s_waitcnt vmcnt(2) lgkmcnt(0)
	v_mul_f64 v[64:65], v[3:4], v[59:60]
	v_mul_f64 v[59:60], v[1:2], v[59:60]
	s_waitcnt vmcnt(0)
	v_fma_f64 v[1:2], v[1:2], v[61:62], -v[64:65]
	v_fma_f64 v[3:4], v[3:4], v[61:62], v[59:60]
.LBB25_118:
	s_and_saveexec_b32 s8, s5
	s_cbranch_execz .LBB25_122
; %bb.119:
	v_add_nc_u32_e32 v59, -11, v0
	s_movk_i32 s35, 0x250
	s_mov_b32 s5, 0
	s_mov_b32 s36, s22
	.p2align	6
.LBB25_120:                             ; =>This Inner Loop Header: Depth=1
	v_mov_b32_e32 v62, s36
	v_add_nc_u32_e32 v59, -1, v59
	s_add_i32 s36, s36, 16
	s_clause 0x3
	buffer_load_dword v60, v62, s[0:3], 0 offen offset:8
	buffer_load_dword v61, v62, s[0:3], 0 offen offset:12
	buffer_load_dword v68, v62, s[0:3], 0 offen
	buffer_load_dword v69, v62, s[0:3], 0 offen offset:4
	v_mov_b32_e32 v62, s35
	v_cmp_eq_u32_e32 vcc_lo, 0, v59
	s_add_i32 s35, s35, 16
	ds_read_b128 v[64:67], v62
	s_or_b32 s5, vcc_lo, s5
	s_waitcnt vmcnt(2) lgkmcnt(0)
	v_mul_f64 v[70:71], v[66:67], v[60:61]
	v_mul_f64 v[60:61], v[64:65], v[60:61]
	s_waitcnt vmcnt(0)
	v_fma_f64 v[64:65], v[64:65], v[68:69], -v[70:71]
	v_fma_f64 v[60:61], v[66:67], v[68:69], v[60:61]
	v_add_f64 v[1:2], v[1:2], v[64:65]
	v_add_f64 v[3:4], v[3:4], v[60:61]
	s_andn2_b32 exec_lo, exec_lo, s5
	s_cbranch_execnz .LBB25_120
; %bb.121:
	s_or_b32 exec_lo, exec_lo, s5
.LBB25_122:
	s_or_b32 exec_lo, exec_lo, s8
	v_mov_b32_e32 v59, 0
	ds_read_b128 v[59:62], v59 offset:160
	s_waitcnt lgkmcnt(0)
	v_mul_f64 v[64:65], v[3:4], v[61:62]
	v_mul_f64 v[61:62], v[1:2], v[61:62]
	v_fma_f64 v[1:2], v[1:2], v[59:60], -v[64:65]
	v_fma_f64 v[3:4], v[3:4], v[59:60], v[61:62]
	buffer_store_dword v2, off, s[0:3], 0 offset:164
	buffer_store_dword v1, off, s[0:3], 0 offset:160
	;; [unrolled: 1-line block ×4, first 2 shown]
.LBB25_123:
	s_or_b32 exec_lo, exec_lo, s6
	v_mov_b32_e32 v4, s24
	v_cmp_lt_u32_e64 s5, 9, v0
	s_clause 0x3
	buffer_load_dword v1, v4, s[0:3], 0 offen
	buffer_load_dword v2, v4, s[0:3], 0 offen offset:4
	buffer_load_dword v3, v4, s[0:3], 0 offen offset:8
	;; [unrolled: 1-line block ×3, first 2 shown]
	s_waitcnt vmcnt(0)
	ds_write_b128 v58, v[1:4]
	s_waitcnt lgkmcnt(0)
	s_waitcnt_vscnt null, 0x0
	s_barrier
	buffer_gl0_inv
	s_and_saveexec_b32 s6, s5
	s_cbranch_execz .LBB25_131
; %bb.124:
	ds_read_b128 v[1:4], v58
	s_andn2_b32 vcc_lo, exec_lo, s34
	s_cbranch_vccnz .LBB25_126
; %bb.125:
	s_clause 0x3
	buffer_load_dword v59, v57, s[0:3], 0 offen offset:8
	buffer_load_dword v60, v57, s[0:3], 0 offen offset:12
	buffer_load_dword v61, v57, s[0:3], 0 offen
	buffer_load_dword v62, v57, s[0:3], 0 offen offset:4
	s_waitcnt vmcnt(2) lgkmcnt(0)
	v_mul_f64 v[64:65], v[3:4], v[59:60]
	v_mul_f64 v[59:60], v[1:2], v[59:60]
	s_waitcnt vmcnt(0)
	v_fma_f64 v[1:2], v[1:2], v[61:62], -v[64:65]
	v_fma_f64 v[3:4], v[3:4], v[61:62], v[59:60]
.LBB25_126:
	s_and_saveexec_b32 s8, s4
	s_cbranch_execz .LBB25_130
; %bb.127:
	v_add_nc_u32_e32 v59, -10, v0
	s_movk_i32 s35, 0x240
	s_mov_b32 s4, 0
	s_mov_b32 s36, s23
	.p2align	6
.LBB25_128:                             ; =>This Inner Loop Header: Depth=1
	v_mov_b32_e32 v62, s36
	v_add_nc_u32_e32 v59, -1, v59
	s_add_i32 s36, s36, 16
	s_clause 0x3
	buffer_load_dword v60, v62, s[0:3], 0 offen offset:8
	buffer_load_dword v61, v62, s[0:3], 0 offen offset:12
	buffer_load_dword v68, v62, s[0:3], 0 offen
	buffer_load_dword v69, v62, s[0:3], 0 offen offset:4
	v_mov_b32_e32 v62, s35
	v_cmp_eq_u32_e32 vcc_lo, 0, v59
	s_add_i32 s35, s35, 16
	ds_read_b128 v[64:67], v62
	s_or_b32 s4, vcc_lo, s4
	s_waitcnt vmcnt(2) lgkmcnt(0)
	v_mul_f64 v[70:71], v[66:67], v[60:61]
	v_mul_f64 v[60:61], v[64:65], v[60:61]
	s_waitcnt vmcnt(0)
	v_fma_f64 v[64:65], v[64:65], v[68:69], -v[70:71]
	v_fma_f64 v[60:61], v[66:67], v[68:69], v[60:61]
	v_add_f64 v[1:2], v[1:2], v[64:65]
	v_add_f64 v[3:4], v[3:4], v[60:61]
	s_andn2_b32 exec_lo, exec_lo, s4
	s_cbranch_execnz .LBB25_128
; %bb.129:
	s_or_b32 exec_lo, exec_lo, s4
.LBB25_130:
	s_or_b32 exec_lo, exec_lo, s8
	v_mov_b32_e32 v59, 0
	ds_read_b128 v[59:62], v59 offset:144
	s_waitcnt lgkmcnt(0)
	v_mul_f64 v[64:65], v[3:4], v[61:62]
	v_mul_f64 v[61:62], v[1:2], v[61:62]
	v_fma_f64 v[1:2], v[1:2], v[59:60], -v[64:65]
	v_fma_f64 v[3:4], v[3:4], v[59:60], v[61:62]
	buffer_store_dword v2, off, s[0:3], 0 offset:148
	buffer_store_dword v1, off, s[0:3], 0 offset:144
	;; [unrolled: 1-line block ×4, first 2 shown]
.LBB25_131:
	s_or_b32 exec_lo, exec_lo, s6
	v_mov_b32_e32 v4, s25
	v_cmp_lt_u32_e64 s4, 8, v0
	s_clause 0x3
	buffer_load_dword v1, v4, s[0:3], 0 offen
	buffer_load_dword v2, v4, s[0:3], 0 offen offset:4
	buffer_load_dword v3, v4, s[0:3], 0 offen offset:8
	;; [unrolled: 1-line block ×3, first 2 shown]
	s_waitcnt vmcnt(0)
	ds_write_b128 v58, v[1:4]
	s_waitcnt lgkmcnt(0)
	s_waitcnt_vscnt null, 0x0
	s_barrier
	buffer_gl0_inv
	s_and_saveexec_b32 s6, s4
	s_cbranch_execz .LBB25_139
; %bb.132:
	ds_read_b128 v[1:4], v58
	s_andn2_b32 vcc_lo, exec_lo, s34
	s_cbranch_vccnz .LBB25_134
; %bb.133:
	s_clause 0x3
	buffer_load_dword v59, v57, s[0:3], 0 offen offset:8
	buffer_load_dword v60, v57, s[0:3], 0 offen offset:12
	buffer_load_dword v61, v57, s[0:3], 0 offen
	buffer_load_dword v62, v57, s[0:3], 0 offen offset:4
	s_waitcnt vmcnt(2) lgkmcnt(0)
	v_mul_f64 v[64:65], v[3:4], v[59:60]
	v_mul_f64 v[59:60], v[1:2], v[59:60]
	s_waitcnt vmcnt(0)
	v_fma_f64 v[1:2], v[1:2], v[61:62], -v[64:65]
	v_fma_f64 v[3:4], v[3:4], v[61:62], v[59:60]
.LBB25_134:
	s_and_saveexec_b32 s8, s5
	s_cbranch_execz .LBB25_138
; %bb.135:
	v_add_nc_u32_e32 v59, -9, v0
	s_movk_i32 s35, 0x230
	s_mov_b32 s5, 0
	s_mov_b32 s36, s24
	.p2align	6
.LBB25_136:                             ; =>This Inner Loop Header: Depth=1
	v_mov_b32_e32 v62, s36
	v_add_nc_u32_e32 v59, -1, v59
	s_add_i32 s36, s36, 16
	s_clause 0x3
	buffer_load_dword v60, v62, s[0:3], 0 offen offset:8
	buffer_load_dword v61, v62, s[0:3], 0 offen offset:12
	buffer_load_dword v68, v62, s[0:3], 0 offen
	buffer_load_dword v69, v62, s[0:3], 0 offen offset:4
	v_mov_b32_e32 v62, s35
	v_cmp_eq_u32_e32 vcc_lo, 0, v59
	s_add_i32 s35, s35, 16
	ds_read_b128 v[64:67], v62
	s_or_b32 s5, vcc_lo, s5
	s_waitcnt vmcnt(2) lgkmcnt(0)
	v_mul_f64 v[70:71], v[66:67], v[60:61]
	v_mul_f64 v[60:61], v[64:65], v[60:61]
	s_waitcnt vmcnt(0)
	v_fma_f64 v[64:65], v[64:65], v[68:69], -v[70:71]
	v_fma_f64 v[60:61], v[66:67], v[68:69], v[60:61]
	v_add_f64 v[1:2], v[1:2], v[64:65]
	v_add_f64 v[3:4], v[3:4], v[60:61]
	s_andn2_b32 exec_lo, exec_lo, s5
	s_cbranch_execnz .LBB25_136
; %bb.137:
	s_or_b32 exec_lo, exec_lo, s5
.LBB25_138:
	s_or_b32 exec_lo, exec_lo, s8
	v_mov_b32_e32 v59, 0
	ds_read_b128 v[59:62], v59 offset:128
	s_waitcnt lgkmcnt(0)
	v_mul_f64 v[64:65], v[3:4], v[61:62]
	v_mul_f64 v[61:62], v[1:2], v[61:62]
	v_fma_f64 v[1:2], v[1:2], v[59:60], -v[64:65]
	v_fma_f64 v[3:4], v[3:4], v[59:60], v[61:62]
	buffer_store_dword v2, off, s[0:3], 0 offset:132
	buffer_store_dword v1, off, s[0:3], 0 offset:128
	;; [unrolled: 1-line block ×4, first 2 shown]
.LBB25_139:
	s_or_b32 exec_lo, exec_lo, s6
	v_mov_b32_e32 v4, s26
	v_cmp_lt_u32_e64 s5, 7, v0
	s_clause 0x3
	buffer_load_dword v1, v4, s[0:3], 0 offen
	buffer_load_dword v2, v4, s[0:3], 0 offen offset:4
	buffer_load_dword v3, v4, s[0:3], 0 offen offset:8
	;; [unrolled: 1-line block ×3, first 2 shown]
	s_waitcnt vmcnt(0)
	ds_write_b128 v58, v[1:4]
	s_waitcnt lgkmcnt(0)
	s_waitcnt_vscnt null, 0x0
	s_barrier
	buffer_gl0_inv
	s_and_saveexec_b32 s6, s5
	s_cbranch_execz .LBB25_147
; %bb.140:
	ds_read_b128 v[1:4], v58
	s_andn2_b32 vcc_lo, exec_lo, s34
	s_cbranch_vccnz .LBB25_142
; %bb.141:
	s_clause 0x3
	buffer_load_dword v59, v57, s[0:3], 0 offen offset:8
	buffer_load_dword v60, v57, s[0:3], 0 offen offset:12
	buffer_load_dword v61, v57, s[0:3], 0 offen
	buffer_load_dword v62, v57, s[0:3], 0 offen offset:4
	s_waitcnt vmcnt(2) lgkmcnt(0)
	v_mul_f64 v[64:65], v[3:4], v[59:60]
	v_mul_f64 v[59:60], v[1:2], v[59:60]
	s_waitcnt vmcnt(0)
	v_fma_f64 v[1:2], v[1:2], v[61:62], -v[64:65]
	v_fma_f64 v[3:4], v[3:4], v[61:62], v[59:60]
.LBB25_142:
	s_and_saveexec_b32 s8, s4
	s_cbranch_execz .LBB25_146
; %bb.143:
	v_add_nc_u32_e32 v59, -8, v0
	s_movk_i32 s35, 0x220
	s_mov_b32 s4, 0
	s_mov_b32 s36, s25
	.p2align	6
.LBB25_144:                             ; =>This Inner Loop Header: Depth=1
	v_mov_b32_e32 v62, s36
	v_add_nc_u32_e32 v59, -1, v59
	s_add_i32 s36, s36, 16
	s_clause 0x3
	buffer_load_dword v60, v62, s[0:3], 0 offen offset:8
	buffer_load_dword v61, v62, s[0:3], 0 offen offset:12
	buffer_load_dword v68, v62, s[0:3], 0 offen
	buffer_load_dword v69, v62, s[0:3], 0 offen offset:4
	v_mov_b32_e32 v62, s35
	v_cmp_eq_u32_e32 vcc_lo, 0, v59
	s_add_i32 s35, s35, 16
	ds_read_b128 v[64:67], v62
	s_or_b32 s4, vcc_lo, s4
	s_waitcnt vmcnt(2) lgkmcnt(0)
	v_mul_f64 v[70:71], v[66:67], v[60:61]
	v_mul_f64 v[60:61], v[64:65], v[60:61]
	s_waitcnt vmcnt(0)
	v_fma_f64 v[64:65], v[64:65], v[68:69], -v[70:71]
	v_fma_f64 v[60:61], v[66:67], v[68:69], v[60:61]
	v_add_f64 v[1:2], v[1:2], v[64:65]
	v_add_f64 v[3:4], v[3:4], v[60:61]
	s_andn2_b32 exec_lo, exec_lo, s4
	s_cbranch_execnz .LBB25_144
; %bb.145:
	s_or_b32 exec_lo, exec_lo, s4
.LBB25_146:
	s_or_b32 exec_lo, exec_lo, s8
	v_mov_b32_e32 v59, 0
	ds_read_b128 v[59:62], v59 offset:112
	s_waitcnt lgkmcnt(0)
	v_mul_f64 v[64:65], v[3:4], v[61:62]
	v_mul_f64 v[61:62], v[1:2], v[61:62]
	v_fma_f64 v[1:2], v[1:2], v[59:60], -v[64:65]
	v_fma_f64 v[3:4], v[3:4], v[59:60], v[61:62]
	buffer_store_dword v2, off, s[0:3], 0 offset:116
	buffer_store_dword v1, off, s[0:3], 0 offset:112
	;; [unrolled: 1-line block ×4, first 2 shown]
.LBB25_147:
	s_or_b32 exec_lo, exec_lo, s6
	v_mov_b32_e32 v4, s27
	v_cmp_lt_u32_e64 s4, 6, v0
	s_clause 0x3
	buffer_load_dword v1, v4, s[0:3], 0 offen
	buffer_load_dword v2, v4, s[0:3], 0 offen offset:4
	buffer_load_dword v3, v4, s[0:3], 0 offen offset:8
	;; [unrolled: 1-line block ×3, first 2 shown]
	s_waitcnt vmcnt(0)
	ds_write_b128 v58, v[1:4]
	s_waitcnt lgkmcnt(0)
	s_waitcnt_vscnt null, 0x0
	s_barrier
	buffer_gl0_inv
	s_and_saveexec_b32 s6, s4
	s_cbranch_execz .LBB25_155
; %bb.148:
	ds_read_b128 v[1:4], v58
	s_andn2_b32 vcc_lo, exec_lo, s34
	s_cbranch_vccnz .LBB25_150
; %bb.149:
	s_clause 0x3
	buffer_load_dword v59, v57, s[0:3], 0 offen offset:8
	buffer_load_dword v60, v57, s[0:3], 0 offen offset:12
	buffer_load_dword v61, v57, s[0:3], 0 offen
	buffer_load_dword v62, v57, s[0:3], 0 offen offset:4
	s_waitcnt vmcnt(2) lgkmcnt(0)
	v_mul_f64 v[64:65], v[3:4], v[59:60]
	v_mul_f64 v[59:60], v[1:2], v[59:60]
	s_waitcnt vmcnt(0)
	v_fma_f64 v[1:2], v[1:2], v[61:62], -v[64:65]
	v_fma_f64 v[3:4], v[3:4], v[61:62], v[59:60]
.LBB25_150:
	s_and_saveexec_b32 s8, s5
	s_cbranch_execz .LBB25_154
; %bb.151:
	v_add_nc_u32_e32 v59, -7, v0
	s_movk_i32 s35, 0x210
	s_mov_b32 s5, 0
	s_mov_b32 s36, s26
	.p2align	6
.LBB25_152:                             ; =>This Inner Loop Header: Depth=1
	v_mov_b32_e32 v62, s36
	v_add_nc_u32_e32 v59, -1, v59
	s_add_i32 s36, s36, 16
	s_clause 0x3
	buffer_load_dword v60, v62, s[0:3], 0 offen offset:8
	buffer_load_dword v61, v62, s[0:3], 0 offen offset:12
	buffer_load_dword v68, v62, s[0:3], 0 offen
	buffer_load_dword v69, v62, s[0:3], 0 offen offset:4
	v_mov_b32_e32 v62, s35
	v_cmp_eq_u32_e32 vcc_lo, 0, v59
	s_add_i32 s35, s35, 16
	ds_read_b128 v[64:67], v62
	s_or_b32 s5, vcc_lo, s5
	s_waitcnt vmcnt(2) lgkmcnt(0)
	v_mul_f64 v[70:71], v[66:67], v[60:61]
	v_mul_f64 v[60:61], v[64:65], v[60:61]
	s_waitcnt vmcnt(0)
	v_fma_f64 v[64:65], v[64:65], v[68:69], -v[70:71]
	v_fma_f64 v[60:61], v[66:67], v[68:69], v[60:61]
	v_add_f64 v[1:2], v[1:2], v[64:65]
	v_add_f64 v[3:4], v[3:4], v[60:61]
	s_andn2_b32 exec_lo, exec_lo, s5
	s_cbranch_execnz .LBB25_152
; %bb.153:
	s_or_b32 exec_lo, exec_lo, s5
.LBB25_154:
	s_or_b32 exec_lo, exec_lo, s8
	v_mov_b32_e32 v59, 0
	ds_read_b128 v[59:62], v59 offset:96
	s_waitcnt lgkmcnt(0)
	v_mul_f64 v[64:65], v[3:4], v[61:62]
	v_mul_f64 v[61:62], v[1:2], v[61:62]
	v_fma_f64 v[1:2], v[1:2], v[59:60], -v[64:65]
	v_fma_f64 v[3:4], v[3:4], v[59:60], v[61:62]
	buffer_store_dword v2, off, s[0:3], 0 offset:100
	buffer_store_dword v1, off, s[0:3], 0 offset:96
	;; [unrolled: 1-line block ×4, first 2 shown]
.LBB25_155:
	s_or_b32 exec_lo, exec_lo, s6
	v_mov_b32_e32 v4, s28
	v_cmp_lt_u32_e64 s5, 5, v0
	s_clause 0x3
	buffer_load_dword v1, v4, s[0:3], 0 offen
	buffer_load_dword v2, v4, s[0:3], 0 offen offset:4
	buffer_load_dword v3, v4, s[0:3], 0 offen offset:8
	;; [unrolled: 1-line block ×3, first 2 shown]
	s_waitcnt vmcnt(0)
	ds_write_b128 v58, v[1:4]
	s_waitcnt lgkmcnt(0)
	s_waitcnt_vscnt null, 0x0
	s_barrier
	buffer_gl0_inv
	s_and_saveexec_b32 s6, s5
	s_cbranch_execz .LBB25_163
; %bb.156:
	ds_read_b128 v[1:4], v58
	s_andn2_b32 vcc_lo, exec_lo, s34
	s_cbranch_vccnz .LBB25_158
; %bb.157:
	s_clause 0x3
	buffer_load_dword v59, v57, s[0:3], 0 offen offset:8
	buffer_load_dword v60, v57, s[0:3], 0 offen offset:12
	buffer_load_dword v61, v57, s[0:3], 0 offen
	buffer_load_dword v62, v57, s[0:3], 0 offen offset:4
	s_waitcnt vmcnt(2) lgkmcnt(0)
	v_mul_f64 v[64:65], v[3:4], v[59:60]
	v_mul_f64 v[59:60], v[1:2], v[59:60]
	s_waitcnt vmcnt(0)
	v_fma_f64 v[1:2], v[1:2], v[61:62], -v[64:65]
	v_fma_f64 v[3:4], v[3:4], v[61:62], v[59:60]
.LBB25_158:
	s_and_saveexec_b32 s8, s4
	s_cbranch_execz .LBB25_162
; %bb.159:
	v_add_nc_u32_e32 v59, -6, v0
	s_movk_i32 s35, 0x200
	s_mov_b32 s4, 0
	s_mov_b32 s36, s27
	.p2align	6
.LBB25_160:                             ; =>This Inner Loop Header: Depth=1
	v_mov_b32_e32 v62, s36
	v_add_nc_u32_e32 v59, -1, v59
	s_add_i32 s36, s36, 16
	s_clause 0x3
	buffer_load_dword v60, v62, s[0:3], 0 offen offset:8
	buffer_load_dword v61, v62, s[0:3], 0 offen offset:12
	buffer_load_dword v68, v62, s[0:3], 0 offen
	buffer_load_dword v69, v62, s[0:3], 0 offen offset:4
	v_mov_b32_e32 v62, s35
	v_cmp_eq_u32_e32 vcc_lo, 0, v59
	s_add_i32 s35, s35, 16
	ds_read_b128 v[64:67], v62
	s_or_b32 s4, vcc_lo, s4
	s_waitcnt vmcnt(2) lgkmcnt(0)
	v_mul_f64 v[70:71], v[66:67], v[60:61]
	v_mul_f64 v[60:61], v[64:65], v[60:61]
	s_waitcnt vmcnt(0)
	v_fma_f64 v[64:65], v[64:65], v[68:69], -v[70:71]
	v_fma_f64 v[60:61], v[66:67], v[68:69], v[60:61]
	v_add_f64 v[1:2], v[1:2], v[64:65]
	v_add_f64 v[3:4], v[3:4], v[60:61]
	s_andn2_b32 exec_lo, exec_lo, s4
	s_cbranch_execnz .LBB25_160
; %bb.161:
	s_or_b32 exec_lo, exec_lo, s4
.LBB25_162:
	s_or_b32 exec_lo, exec_lo, s8
	v_mov_b32_e32 v59, 0
	ds_read_b128 v[59:62], v59 offset:80
	s_waitcnt lgkmcnt(0)
	v_mul_f64 v[64:65], v[3:4], v[61:62]
	v_mul_f64 v[61:62], v[1:2], v[61:62]
	v_fma_f64 v[1:2], v[1:2], v[59:60], -v[64:65]
	v_fma_f64 v[3:4], v[3:4], v[59:60], v[61:62]
	buffer_store_dword v2, off, s[0:3], 0 offset:84
	buffer_store_dword v1, off, s[0:3], 0 offset:80
	;; [unrolled: 1-line block ×4, first 2 shown]
.LBB25_163:
	s_or_b32 exec_lo, exec_lo, s6
	v_mov_b32_e32 v4, s29
	v_cmp_lt_u32_e64 s4, 4, v0
	s_clause 0x3
	buffer_load_dword v1, v4, s[0:3], 0 offen
	buffer_load_dword v2, v4, s[0:3], 0 offen offset:4
	buffer_load_dword v3, v4, s[0:3], 0 offen offset:8
	;; [unrolled: 1-line block ×3, first 2 shown]
	s_waitcnt vmcnt(0)
	ds_write_b128 v58, v[1:4]
	s_waitcnt lgkmcnt(0)
	s_waitcnt_vscnt null, 0x0
	s_barrier
	buffer_gl0_inv
	s_and_saveexec_b32 s6, s4
	s_cbranch_execz .LBB25_171
; %bb.164:
	ds_read_b128 v[1:4], v58
	s_andn2_b32 vcc_lo, exec_lo, s34
	s_cbranch_vccnz .LBB25_166
; %bb.165:
	s_clause 0x3
	buffer_load_dword v59, v57, s[0:3], 0 offen offset:8
	buffer_load_dword v60, v57, s[0:3], 0 offen offset:12
	buffer_load_dword v61, v57, s[0:3], 0 offen
	buffer_load_dword v62, v57, s[0:3], 0 offen offset:4
	s_waitcnt vmcnt(2) lgkmcnt(0)
	v_mul_f64 v[64:65], v[3:4], v[59:60]
	v_mul_f64 v[59:60], v[1:2], v[59:60]
	s_waitcnt vmcnt(0)
	v_fma_f64 v[1:2], v[1:2], v[61:62], -v[64:65]
	v_fma_f64 v[3:4], v[3:4], v[61:62], v[59:60]
.LBB25_166:
	s_and_saveexec_b32 s8, s5
	s_cbranch_execz .LBB25_170
; %bb.167:
	v_add_nc_u32_e32 v59, -5, v0
	s_movk_i32 s35, 0x1f0
	s_mov_b32 s5, 0
	s_mov_b32 s36, s28
	.p2align	6
.LBB25_168:                             ; =>This Inner Loop Header: Depth=1
	v_mov_b32_e32 v62, s36
	v_add_nc_u32_e32 v59, -1, v59
	s_add_i32 s36, s36, 16
	s_clause 0x3
	buffer_load_dword v60, v62, s[0:3], 0 offen offset:8
	buffer_load_dword v61, v62, s[0:3], 0 offen offset:12
	buffer_load_dword v68, v62, s[0:3], 0 offen
	buffer_load_dword v69, v62, s[0:3], 0 offen offset:4
	v_mov_b32_e32 v62, s35
	v_cmp_eq_u32_e32 vcc_lo, 0, v59
	s_add_i32 s35, s35, 16
	ds_read_b128 v[64:67], v62
	s_or_b32 s5, vcc_lo, s5
	s_waitcnt vmcnt(2) lgkmcnt(0)
	v_mul_f64 v[70:71], v[66:67], v[60:61]
	v_mul_f64 v[60:61], v[64:65], v[60:61]
	s_waitcnt vmcnt(0)
	v_fma_f64 v[64:65], v[64:65], v[68:69], -v[70:71]
	v_fma_f64 v[60:61], v[66:67], v[68:69], v[60:61]
	v_add_f64 v[1:2], v[1:2], v[64:65]
	v_add_f64 v[3:4], v[3:4], v[60:61]
	s_andn2_b32 exec_lo, exec_lo, s5
	s_cbranch_execnz .LBB25_168
; %bb.169:
	s_or_b32 exec_lo, exec_lo, s5
.LBB25_170:
	s_or_b32 exec_lo, exec_lo, s8
	v_mov_b32_e32 v59, 0
	ds_read_b128 v[59:62], v59 offset:64
	s_waitcnt lgkmcnt(0)
	v_mul_f64 v[64:65], v[3:4], v[61:62]
	v_mul_f64 v[61:62], v[1:2], v[61:62]
	v_fma_f64 v[1:2], v[1:2], v[59:60], -v[64:65]
	v_fma_f64 v[3:4], v[3:4], v[59:60], v[61:62]
	buffer_store_dword v2, off, s[0:3], 0 offset:68
	buffer_store_dword v1, off, s[0:3], 0 offset:64
	buffer_store_dword v4, off, s[0:3], 0 offset:76
	buffer_store_dword v3, off, s[0:3], 0 offset:72
.LBB25_171:
	s_or_b32 exec_lo, exec_lo, s6
	v_mov_b32_e32 v4, s30
	v_cmp_lt_u32_e64 s5, 3, v0
	s_clause 0x3
	buffer_load_dword v1, v4, s[0:3], 0 offen
	buffer_load_dword v2, v4, s[0:3], 0 offen offset:4
	buffer_load_dword v3, v4, s[0:3], 0 offen offset:8
	buffer_load_dword v4, v4, s[0:3], 0 offen offset:12
	s_waitcnt vmcnt(0)
	ds_write_b128 v58, v[1:4]
	s_waitcnt lgkmcnt(0)
	s_waitcnt_vscnt null, 0x0
	s_barrier
	buffer_gl0_inv
	s_and_saveexec_b32 s6, s5
	s_cbranch_execz .LBB25_179
; %bb.172:
	ds_read_b128 v[1:4], v58
	s_andn2_b32 vcc_lo, exec_lo, s34
	s_cbranch_vccnz .LBB25_174
; %bb.173:
	s_clause 0x3
	buffer_load_dword v59, v57, s[0:3], 0 offen offset:8
	buffer_load_dword v60, v57, s[0:3], 0 offen offset:12
	buffer_load_dword v61, v57, s[0:3], 0 offen
	buffer_load_dword v62, v57, s[0:3], 0 offen offset:4
	s_waitcnt vmcnt(2) lgkmcnt(0)
	v_mul_f64 v[64:65], v[3:4], v[59:60]
	v_mul_f64 v[59:60], v[1:2], v[59:60]
	s_waitcnt vmcnt(0)
	v_fma_f64 v[1:2], v[1:2], v[61:62], -v[64:65]
	v_fma_f64 v[3:4], v[3:4], v[61:62], v[59:60]
.LBB25_174:
	s_and_saveexec_b32 s8, s4
	s_cbranch_execz .LBB25_178
; %bb.175:
	v_add_nc_u32_e32 v59, -4, v0
	s_movk_i32 s35, 0x1e0
	s_mov_b32 s4, 0
	s_mov_b32 s36, s29
	.p2align	6
.LBB25_176:                             ; =>This Inner Loop Header: Depth=1
	v_mov_b32_e32 v62, s36
	v_add_nc_u32_e32 v59, -1, v59
	s_add_i32 s36, s36, 16
	s_clause 0x3
	buffer_load_dword v60, v62, s[0:3], 0 offen offset:8
	buffer_load_dword v61, v62, s[0:3], 0 offen offset:12
	buffer_load_dword v68, v62, s[0:3], 0 offen
	buffer_load_dword v69, v62, s[0:3], 0 offen offset:4
	v_mov_b32_e32 v62, s35
	v_cmp_eq_u32_e32 vcc_lo, 0, v59
	s_add_i32 s35, s35, 16
	ds_read_b128 v[64:67], v62
	s_or_b32 s4, vcc_lo, s4
	s_waitcnt vmcnt(2) lgkmcnt(0)
	v_mul_f64 v[70:71], v[66:67], v[60:61]
	v_mul_f64 v[60:61], v[64:65], v[60:61]
	s_waitcnt vmcnt(0)
	v_fma_f64 v[64:65], v[64:65], v[68:69], -v[70:71]
	v_fma_f64 v[60:61], v[66:67], v[68:69], v[60:61]
	v_add_f64 v[1:2], v[1:2], v[64:65]
	v_add_f64 v[3:4], v[3:4], v[60:61]
	s_andn2_b32 exec_lo, exec_lo, s4
	s_cbranch_execnz .LBB25_176
; %bb.177:
	s_or_b32 exec_lo, exec_lo, s4
.LBB25_178:
	s_or_b32 exec_lo, exec_lo, s8
	v_mov_b32_e32 v59, 0
	ds_read_b128 v[59:62], v59 offset:48
	s_waitcnt lgkmcnt(0)
	v_mul_f64 v[64:65], v[3:4], v[61:62]
	v_mul_f64 v[61:62], v[1:2], v[61:62]
	v_fma_f64 v[1:2], v[1:2], v[59:60], -v[64:65]
	v_fma_f64 v[3:4], v[3:4], v[59:60], v[61:62]
	buffer_store_dword v2, off, s[0:3], 0 offset:52
	buffer_store_dword v1, off, s[0:3], 0 offset:48
	;; [unrolled: 1-line block ×4, first 2 shown]
.LBB25_179:
	s_or_b32 exec_lo, exec_lo, s6
	v_mov_b32_e32 v4, s33
	v_cmp_lt_u32_e64 s6, 2, v0
	s_clause 0x3
	buffer_load_dword v1, v4, s[0:3], 0 offen
	buffer_load_dword v2, v4, s[0:3], 0 offen offset:4
	buffer_load_dword v3, v4, s[0:3], 0 offen offset:8
	;; [unrolled: 1-line block ×3, first 2 shown]
	s_waitcnt vmcnt(0)
	ds_write_b128 v58, v[1:4]
	s_waitcnt lgkmcnt(0)
	s_waitcnt_vscnt null, 0x0
	s_barrier
	buffer_gl0_inv
	s_and_saveexec_b32 s4, s6
	s_cbranch_execz .LBB25_187
; %bb.180:
	ds_read_b128 v[1:4], v58
	s_andn2_b32 vcc_lo, exec_lo, s34
	s_cbranch_vccnz .LBB25_182
; %bb.181:
	s_clause 0x3
	buffer_load_dword v59, v57, s[0:3], 0 offen offset:8
	buffer_load_dword v60, v57, s[0:3], 0 offen offset:12
	buffer_load_dword v61, v57, s[0:3], 0 offen
	buffer_load_dword v62, v57, s[0:3], 0 offen offset:4
	s_waitcnt vmcnt(2) lgkmcnt(0)
	v_mul_f64 v[64:65], v[3:4], v[59:60]
	v_mul_f64 v[59:60], v[1:2], v[59:60]
	s_waitcnt vmcnt(0)
	v_fma_f64 v[1:2], v[1:2], v[61:62], -v[64:65]
	v_fma_f64 v[3:4], v[3:4], v[61:62], v[59:60]
.LBB25_182:
	s_and_saveexec_b32 s8, s5
	s_cbranch_execz .LBB25_186
; %bb.183:
	v_add_nc_u32_e32 v59, -3, v0
	s_movk_i32 s35, 0x1d0
	s_mov_b32 s5, 0
	s_mov_b32 s36, s30
	.p2align	6
.LBB25_184:                             ; =>This Inner Loop Header: Depth=1
	v_mov_b32_e32 v62, s36
	v_add_nc_u32_e32 v59, -1, v59
	s_add_i32 s36, s36, 16
	s_clause 0x3
	buffer_load_dword v60, v62, s[0:3], 0 offen offset:8
	buffer_load_dword v61, v62, s[0:3], 0 offen offset:12
	buffer_load_dword v68, v62, s[0:3], 0 offen
	buffer_load_dword v69, v62, s[0:3], 0 offen offset:4
	v_mov_b32_e32 v62, s35
	v_cmp_eq_u32_e32 vcc_lo, 0, v59
	s_add_i32 s35, s35, 16
	ds_read_b128 v[64:67], v62
	s_or_b32 s5, vcc_lo, s5
	s_waitcnt vmcnt(2) lgkmcnt(0)
	v_mul_f64 v[70:71], v[66:67], v[60:61]
	v_mul_f64 v[60:61], v[64:65], v[60:61]
	s_waitcnt vmcnt(0)
	v_fma_f64 v[64:65], v[64:65], v[68:69], -v[70:71]
	v_fma_f64 v[60:61], v[66:67], v[68:69], v[60:61]
	v_add_f64 v[1:2], v[1:2], v[64:65]
	v_add_f64 v[3:4], v[3:4], v[60:61]
	s_andn2_b32 exec_lo, exec_lo, s5
	s_cbranch_execnz .LBB25_184
; %bb.185:
	s_or_b32 exec_lo, exec_lo, s5
.LBB25_186:
	s_or_b32 exec_lo, exec_lo, s8
	v_mov_b32_e32 v59, 0
	ds_read_b128 v[59:62], v59 offset:32
	s_waitcnt lgkmcnt(0)
	v_mul_f64 v[64:65], v[3:4], v[61:62]
	v_mul_f64 v[61:62], v[1:2], v[61:62]
	v_fma_f64 v[1:2], v[1:2], v[59:60], -v[64:65]
	v_fma_f64 v[3:4], v[3:4], v[59:60], v[61:62]
	buffer_store_dword v2, off, s[0:3], 0 offset:36
	buffer_store_dword v1, off, s[0:3], 0 offset:32
	;; [unrolled: 1-line block ×4, first 2 shown]
.LBB25_187:
	s_or_b32 exec_lo, exec_lo, s4
	v_mov_b32_e32 v4, s31
	v_cmp_lt_u32_e64 s4, 1, v0
	s_clause 0x3
	buffer_load_dword v1, v4, s[0:3], 0 offen
	buffer_load_dword v2, v4, s[0:3], 0 offen offset:4
	buffer_load_dword v3, v4, s[0:3], 0 offen offset:8
	;; [unrolled: 1-line block ×3, first 2 shown]
	s_waitcnt vmcnt(0)
	ds_write_b128 v58, v[1:4]
	s_waitcnt lgkmcnt(0)
	s_waitcnt_vscnt null, 0x0
	s_barrier
	buffer_gl0_inv
	s_and_saveexec_b32 s5, s4
	s_cbranch_execz .LBB25_195
; %bb.188:
	ds_read_b128 v[1:4], v58
	s_andn2_b32 vcc_lo, exec_lo, s34
	s_cbranch_vccnz .LBB25_190
; %bb.189:
	s_clause 0x3
	buffer_load_dword v59, v57, s[0:3], 0 offen offset:8
	buffer_load_dword v60, v57, s[0:3], 0 offen offset:12
	buffer_load_dword v61, v57, s[0:3], 0 offen
	buffer_load_dword v62, v57, s[0:3], 0 offen offset:4
	s_waitcnt vmcnt(2) lgkmcnt(0)
	v_mul_f64 v[64:65], v[3:4], v[59:60]
	v_mul_f64 v[59:60], v[1:2], v[59:60]
	s_waitcnt vmcnt(0)
	v_fma_f64 v[1:2], v[1:2], v[61:62], -v[64:65]
	v_fma_f64 v[3:4], v[3:4], v[61:62], v[59:60]
.LBB25_190:
	s_and_saveexec_b32 s8, s6
	s_cbranch_execz .LBB25_194
; %bb.191:
	v_add_nc_u32_e32 v59, -2, v0
	s_movk_i32 s35, 0x1c0
	s_mov_b32 s6, 0
	s_mov_b32 s36, s33
	.p2align	6
.LBB25_192:                             ; =>This Inner Loop Header: Depth=1
	v_mov_b32_e32 v62, s36
	v_add_nc_u32_e32 v59, -1, v59
	s_add_i32 s36, s36, 16
	s_clause 0x3
	buffer_load_dword v60, v62, s[0:3], 0 offen offset:8
	buffer_load_dword v61, v62, s[0:3], 0 offen offset:12
	buffer_load_dword v68, v62, s[0:3], 0 offen
	buffer_load_dword v69, v62, s[0:3], 0 offen offset:4
	v_mov_b32_e32 v62, s35
	v_cmp_eq_u32_e32 vcc_lo, 0, v59
	s_add_i32 s35, s35, 16
	ds_read_b128 v[64:67], v62
	s_or_b32 s6, vcc_lo, s6
	s_waitcnt vmcnt(2) lgkmcnt(0)
	v_mul_f64 v[70:71], v[66:67], v[60:61]
	v_mul_f64 v[60:61], v[64:65], v[60:61]
	s_waitcnt vmcnt(0)
	v_fma_f64 v[64:65], v[64:65], v[68:69], -v[70:71]
	v_fma_f64 v[60:61], v[66:67], v[68:69], v[60:61]
	v_add_f64 v[1:2], v[1:2], v[64:65]
	v_add_f64 v[3:4], v[3:4], v[60:61]
	s_andn2_b32 exec_lo, exec_lo, s6
	s_cbranch_execnz .LBB25_192
; %bb.193:
	s_or_b32 exec_lo, exec_lo, s6
.LBB25_194:
	s_or_b32 exec_lo, exec_lo, s8
	v_mov_b32_e32 v59, 0
	ds_read_b128 v[59:62], v59 offset:16
	s_waitcnt lgkmcnt(0)
	v_mul_f64 v[64:65], v[3:4], v[61:62]
	v_mul_f64 v[61:62], v[1:2], v[61:62]
	v_fma_f64 v[1:2], v[1:2], v[59:60], -v[64:65]
	v_fma_f64 v[3:4], v[3:4], v[59:60], v[61:62]
	buffer_store_dword v2, off, s[0:3], 0 offset:20
	buffer_store_dword v1, off, s[0:3], 0 offset:16
	;; [unrolled: 1-line block ×4, first 2 shown]
.LBB25_195:
	s_or_b32 exec_lo, exec_lo, s5
	s_clause 0x3
	buffer_load_dword v1, off, s[0:3], 0
	buffer_load_dword v2, off, s[0:3], 0 offset:4
	buffer_load_dword v3, off, s[0:3], 0 offset:8
	;; [unrolled: 1-line block ×3, first 2 shown]
	s_mov_b32 s6, 0
	s_mov_b32 s5, 0
	s_mov_b32 s8, exec_lo
                                        ; implicit-def: $sgpr35
	s_waitcnt vmcnt(0)
	ds_write_b128 v58, v[1:4]
	s_waitcnt lgkmcnt(0)
	s_waitcnt_vscnt null, 0x0
	s_barrier
	buffer_gl0_inv
                                        ; implicit-def: $vgpr1_vgpr2
	v_cmpx_ne_u32_e32 0, v0
	s_cbranch_execz .LBB25_203
; %bb.196:
	ds_read_b128 v[1:4], v58
	s_andn2_b32 vcc_lo, exec_lo, s34
	s_cbranch_vccnz .LBB25_198
; %bb.197:
	s_clause 0x3
	buffer_load_dword v59, v57, s[0:3], 0 offen offset:8
	buffer_load_dword v60, v57, s[0:3], 0 offen offset:12
	buffer_load_dword v61, v57, s[0:3], 0 offen
	buffer_load_dword v62, v57, s[0:3], 0 offen offset:4
	s_waitcnt vmcnt(2) lgkmcnt(0)
	v_mul_f64 v[64:65], v[3:4], v[59:60]
	v_mul_f64 v[59:60], v[1:2], v[59:60]
	s_waitcnt vmcnt(0)
	v_fma_f64 v[1:2], v[1:2], v[61:62], -v[64:65]
	v_fma_f64 v[3:4], v[3:4], v[61:62], v[59:60]
.LBB25_198:
	s_and_saveexec_b32 s5, s4
	s_cbranch_execz .LBB25_202
; %bb.199:
	v_add_nc_u32_e32 v59, -1, v0
	s_movk_i32 s35, 0x1b0
	s_mov_b32 s4, 0
	s_mov_b32 s36, s31
	.p2align	6
.LBB25_200:                             ; =>This Inner Loop Header: Depth=1
	v_mov_b32_e32 v62, s36
	v_add_nc_u32_e32 v59, -1, v59
	s_add_i32 s36, s36, 16
	s_clause 0x3
	buffer_load_dword v60, v62, s[0:3], 0 offen offset:8
	buffer_load_dword v61, v62, s[0:3], 0 offen offset:12
	buffer_load_dword v68, v62, s[0:3], 0 offen
	buffer_load_dword v69, v62, s[0:3], 0 offen offset:4
	v_mov_b32_e32 v62, s35
	v_cmp_eq_u32_e32 vcc_lo, 0, v59
	s_add_i32 s35, s35, 16
	ds_read_b128 v[64:67], v62
	s_or_b32 s4, vcc_lo, s4
	s_waitcnt vmcnt(2) lgkmcnt(0)
	v_mul_f64 v[70:71], v[66:67], v[60:61]
	v_mul_f64 v[60:61], v[64:65], v[60:61]
	s_waitcnt vmcnt(0)
	v_fma_f64 v[64:65], v[64:65], v[68:69], -v[70:71]
	v_fma_f64 v[60:61], v[66:67], v[68:69], v[60:61]
	v_add_f64 v[1:2], v[1:2], v[64:65]
	v_add_f64 v[3:4], v[3:4], v[60:61]
	s_andn2_b32 exec_lo, exec_lo, s4
	s_cbranch_execnz .LBB25_200
; %bb.201:
	s_or_b32 exec_lo, exec_lo, s4
.LBB25_202:
	s_or_b32 exec_lo, exec_lo, s5
	v_mov_b32_e32 v59, 0
	s_mov_b32 s5, exec_lo
	s_or_b32 s35, 0, 8
	ds_read_b128 v[59:62], v59
	s_waitcnt lgkmcnt(0)
	v_mul_f64 v[64:65], v[3:4], v[61:62]
	v_mul_f64 v[61:62], v[1:2], v[61:62]
	v_fma_f64 v[64:65], v[1:2], v[59:60], -v[64:65]
	v_fma_f64 v[1:2], v[3:4], v[59:60], v[61:62]
	buffer_store_dword v65, off, s[0:3], 0 offset:4
	buffer_store_dword v64, off, s[0:3], 0
.LBB25_203:
	s_or_b32 exec_lo, exec_lo, s8
	s_and_b32 vcc_lo, exec_lo, s6
	s_cbranch_vccnz .LBB25_205
	s_branch .LBB25_400
.LBB25_204:
	s_mov_b32 s5, 0
                                        ; implicit-def: $vgpr1_vgpr2
                                        ; implicit-def: $sgpr35
	s_cbranch_execz .LBB25_400
.LBB25_205:
	v_mov_b32_e32 v4, s31
	v_cmp_eq_u32_e64 s4, 0, v0
	v_cndmask_b32_e64 v59, 0, 1, s34
	s_clause 0x3
	buffer_load_dword v1, v4, s[0:3], 0 offen
	buffer_load_dword v2, v4, s[0:3], 0 offen offset:4
	buffer_load_dword v3, v4, s[0:3], 0 offen offset:8
	;; [unrolled: 1-line block ×3, first 2 shown]
	s_waitcnt vmcnt(0)
	ds_write_b128 v58, v[1:4]
	s_waitcnt lgkmcnt(0)
	s_waitcnt_vscnt null, 0x0
	s_barrier
	buffer_gl0_inv
	s_and_saveexec_b32 s6, s4
	s_cbranch_execz .LBB25_209
; %bb.206:
	ds_read_b128 v[1:4], v58
	s_andn2_b32 vcc_lo, exec_lo, s34
	s_cbranch_vccnz .LBB25_208
; %bb.207:
	s_clause 0x3
	buffer_load_dword v60, v57, s[0:3], 0 offen offset:8
	buffer_load_dword v61, v57, s[0:3], 0 offen offset:12
	buffer_load_dword v64, v57, s[0:3], 0 offen
	buffer_load_dword v65, v57, s[0:3], 0 offen offset:4
	s_waitcnt vmcnt(2) lgkmcnt(0)
	v_mul_f64 v[66:67], v[3:4], v[60:61]
	v_mul_f64 v[60:61], v[1:2], v[60:61]
	s_waitcnt vmcnt(0)
	v_fma_f64 v[1:2], v[1:2], v[64:65], -v[66:67]
	v_fma_f64 v[3:4], v[3:4], v[64:65], v[60:61]
.LBB25_208:
	v_mov_b32_e32 v60, 0
	ds_read_b128 v[64:67], v60 offset:16
	s_waitcnt lgkmcnt(0)
	v_mul_f64 v[60:61], v[3:4], v[66:67]
	v_mul_f64 v[66:67], v[1:2], v[66:67]
	v_fma_f64 v[1:2], v[1:2], v[64:65], -v[60:61]
	v_fma_f64 v[3:4], v[3:4], v[64:65], v[66:67]
	buffer_store_dword v2, off, s[0:3], 0 offset:20
	buffer_store_dword v1, off, s[0:3], 0 offset:16
	;; [unrolled: 1-line block ×4, first 2 shown]
.LBB25_209:
	s_or_b32 exec_lo, exec_lo, s6
	v_mov_b32_e32 v4, s33
	s_mov_b32 s6, exec_lo
	s_clause 0x3
	buffer_load_dword v1, v4, s[0:3], 0 offen
	buffer_load_dword v2, v4, s[0:3], 0 offen offset:4
	buffer_load_dword v3, v4, s[0:3], 0 offen offset:8
	;; [unrolled: 1-line block ×3, first 2 shown]
	s_waitcnt vmcnt(0)
	ds_write_b128 v58, v[1:4]
	s_waitcnt lgkmcnt(0)
	s_waitcnt_vscnt null, 0x0
	s_barrier
	buffer_gl0_inv
	v_cmpx_gt_u32_e32 2, v0
	s_cbranch_execz .LBB25_215
; %bb.210:
	ds_read_b128 v[1:4], v58
	v_cmp_ne_u32_e32 vcc_lo, 1, v59
	s_cbranch_vccnz .LBB25_212
; %bb.211:
	s_clause 0x3
	buffer_load_dword v60, v57, s[0:3], 0 offen offset:8
	buffer_load_dword v61, v57, s[0:3], 0 offen offset:12
	buffer_load_dword v64, v57, s[0:3], 0 offen
	buffer_load_dword v65, v57, s[0:3], 0 offen offset:4
	s_waitcnt vmcnt(2) lgkmcnt(0)
	v_mul_f64 v[66:67], v[3:4], v[60:61]
	v_mul_f64 v[60:61], v[1:2], v[60:61]
	s_waitcnt vmcnt(0)
	v_fma_f64 v[1:2], v[1:2], v[64:65], -v[66:67]
	v_fma_f64 v[3:4], v[3:4], v[64:65], v[60:61]
.LBB25_212:
	s_and_saveexec_b32 s8, s4
	s_cbranch_execz .LBB25_214
; %bb.213:
	s_clause 0x3
	buffer_load_dword v60, off, s[0:3], 0 offset:24
	buffer_load_dword v61, off, s[0:3], 0 offset:28
	buffer_load_dword v68, off, s[0:3], 0 offset:16
	buffer_load_dword v69, off, s[0:3], 0 offset:20
	v_mov_b32_e32 v62, 0
	ds_read_b128 v[64:67], v62 offset:432
	s_waitcnt vmcnt(2) lgkmcnt(0)
	v_mul_f64 v[70:71], v[66:67], v[60:61]
	v_mul_f64 v[60:61], v[64:65], v[60:61]
	s_waitcnt vmcnt(0)
	v_fma_f64 v[64:65], v[64:65], v[68:69], -v[70:71]
	v_fma_f64 v[60:61], v[66:67], v[68:69], v[60:61]
	v_add_f64 v[1:2], v[1:2], v[64:65]
	v_add_f64 v[3:4], v[3:4], v[60:61]
.LBB25_214:
	s_or_b32 exec_lo, exec_lo, s8
	v_mov_b32_e32 v60, 0
	ds_read_b128 v[64:67], v60 offset:32
	s_waitcnt lgkmcnt(0)
	v_mul_f64 v[60:61], v[3:4], v[66:67]
	v_mul_f64 v[66:67], v[1:2], v[66:67]
	v_fma_f64 v[1:2], v[1:2], v[64:65], -v[60:61]
	v_fma_f64 v[3:4], v[3:4], v[64:65], v[66:67]
	buffer_store_dword v2, off, s[0:3], 0 offset:36
	buffer_store_dword v1, off, s[0:3], 0 offset:32
	;; [unrolled: 1-line block ×4, first 2 shown]
.LBB25_215:
	s_or_b32 exec_lo, exec_lo, s6
	v_mov_b32_e32 v4, s30
	s_mov_b32 s6, exec_lo
	s_clause 0x3
	buffer_load_dword v1, v4, s[0:3], 0 offen
	buffer_load_dword v2, v4, s[0:3], 0 offen offset:4
	buffer_load_dword v3, v4, s[0:3], 0 offen offset:8
	;; [unrolled: 1-line block ×3, first 2 shown]
	s_waitcnt vmcnt(0)
	ds_write_b128 v58, v[1:4]
	s_waitcnt lgkmcnt(0)
	s_waitcnt_vscnt null, 0x0
	s_barrier
	buffer_gl0_inv
	v_cmpx_gt_u32_e32 3, v0
	s_cbranch_execz .LBB25_223
; %bb.216:
	ds_read_b128 v[1:4], v58
	v_cmp_ne_u32_e32 vcc_lo, 1, v59
	s_cbranch_vccnz .LBB25_218
; %bb.217:
	s_clause 0x3
	buffer_load_dword v60, v57, s[0:3], 0 offen offset:8
	buffer_load_dword v61, v57, s[0:3], 0 offen offset:12
	buffer_load_dword v64, v57, s[0:3], 0 offen
	buffer_load_dword v65, v57, s[0:3], 0 offen offset:4
	s_waitcnt vmcnt(2) lgkmcnt(0)
	v_mul_f64 v[66:67], v[3:4], v[60:61]
	v_mul_f64 v[60:61], v[1:2], v[60:61]
	s_waitcnt vmcnt(0)
	v_fma_f64 v[1:2], v[1:2], v[64:65], -v[66:67]
	v_fma_f64 v[3:4], v[3:4], v[64:65], v[60:61]
.LBB25_218:
	s_mov_b32 s8, exec_lo
	v_cmpx_ne_u32_e32 2, v0
	s_cbranch_execz .LBB25_222
; %bb.219:
	s_clause 0x3
	buffer_load_dword v60, v57, s[0:3], 0 offen offset:24
	buffer_load_dword v61, v57, s[0:3], 0 offen offset:28
	;; [unrolled: 1-line block ×4, first 2 shown]
	ds_read_b128 v[64:67], v58 offset:16
	s_waitcnt vmcnt(2) lgkmcnt(0)
	v_mul_f64 v[70:71], v[66:67], v[60:61]
	v_mul_f64 v[60:61], v[64:65], v[60:61]
	s_waitcnt vmcnt(0)
	v_fma_f64 v[64:65], v[64:65], v[68:69], -v[70:71]
	v_fma_f64 v[60:61], v[66:67], v[68:69], v[60:61]
	v_add_f64 v[1:2], v[1:2], v[64:65]
	v_add_f64 v[3:4], v[3:4], v[60:61]
	s_and_saveexec_b32 s34, s4
	s_cbranch_execz .LBB25_221
; %bb.220:
	s_clause 0x3
	buffer_load_dword v60, off, s[0:3], 0 offset:40
	buffer_load_dword v61, off, s[0:3], 0 offset:44
	;; [unrolled: 1-line block ×4, first 2 shown]
	v_mov_b32_e32 v62, 0
	ds_read_b128 v[64:67], v62 offset:448
	s_waitcnt vmcnt(2) lgkmcnt(0)
	v_mul_f64 v[70:71], v[64:65], v[60:61]
	v_mul_f64 v[60:61], v[66:67], v[60:61]
	s_waitcnt vmcnt(0)
	v_fma_f64 v[66:67], v[66:67], v[68:69], v[70:71]
	v_fma_f64 v[60:61], v[64:65], v[68:69], -v[60:61]
	v_add_f64 v[3:4], v[3:4], v[66:67]
	v_add_f64 v[1:2], v[1:2], v[60:61]
.LBB25_221:
	s_or_b32 exec_lo, exec_lo, s34
.LBB25_222:
	s_or_b32 exec_lo, exec_lo, s8
	v_mov_b32_e32 v60, 0
	ds_read_b128 v[64:67], v60 offset:48
	s_waitcnt lgkmcnt(0)
	v_mul_f64 v[60:61], v[3:4], v[66:67]
	v_mul_f64 v[66:67], v[1:2], v[66:67]
	v_fma_f64 v[1:2], v[1:2], v[64:65], -v[60:61]
	v_fma_f64 v[3:4], v[3:4], v[64:65], v[66:67]
	buffer_store_dword v2, off, s[0:3], 0 offset:52
	buffer_store_dword v1, off, s[0:3], 0 offset:48
	;; [unrolled: 1-line block ×4, first 2 shown]
.LBB25_223:
	s_or_b32 exec_lo, exec_lo, s6
	v_mov_b32_e32 v4, s29
	s_mov_b32 s4, exec_lo
	s_clause 0x3
	buffer_load_dword v1, v4, s[0:3], 0 offen
	buffer_load_dword v2, v4, s[0:3], 0 offen offset:4
	buffer_load_dword v3, v4, s[0:3], 0 offen offset:8
	;; [unrolled: 1-line block ×3, first 2 shown]
	s_waitcnt vmcnt(0)
	ds_write_b128 v58, v[1:4]
	s_waitcnt lgkmcnt(0)
	s_waitcnt_vscnt null, 0x0
	s_barrier
	buffer_gl0_inv
	v_cmpx_gt_u32_e32 4, v0
	s_cbranch_execz .LBB25_231
; %bb.224:
	ds_read_b128 v[1:4], v58
	v_cmp_ne_u32_e32 vcc_lo, 1, v59
	s_cbranch_vccnz .LBB25_226
; %bb.225:
	s_clause 0x3
	buffer_load_dword v60, v57, s[0:3], 0 offen offset:8
	buffer_load_dword v61, v57, s[0:3], 0 offen offset:12
	buffer_load_dword v64, v57, s[0:3], 0 offen
	buffer_load_dword v65, v57, s[0:3], 0 offen offset:4
	s_waitcnt vmcnt(2) lgkmcnt(0)
	v_mul_f64 v[66:67], v[3:4], v[60:61]
	v_mul_f64 v[60:61], v[1:2], v[60:61]
	s_waitcnt vmcnt(0)
	v_fma_f64 v[1:2], v[1:2], v[64:65], -v[66:67]
	v_fma_f64 v[3:4], v[3:4], v[64:65], v[60:61]
.LBB25_226:
	s_mov_b32 s6, exec_lo
	v_cmpx_ne_u32_e32 3, v0
	s_cbranch_execz .LBB25_230
; %bb.227:
	v_add_nc_u32_e32 v60, 0x1b0, v63
	v_add3_u32 v61, 0, v63, 16
	v_mov_b32_e32 v62, v0
	s_mov_b32 s8, 0
	.p2align	6
.LBB25_228:                             ; =>This Inner Loop Header: Depth=1
	s_clause 0x3
	buffer_load_dword v68, v61, s[0:3], 0 offen offset:8
	buffer_load_dword v69, v61, s[0:3], 0 offen offset:12
	buffer_load_dword v70, v61, s[0:3], 0 offen
	buffer_load_dword v71, v61, s[0:3], 0 offen offset:4
	ds_read_b128 v[64:67], v60
	v_add_nc_u32_e32 v62, 1, v62
	v_add_nc_u32_e32 v60, 16, v60
	;; [unrolled: 1-line block ×3, first 2 shown]
	v_cmp_lt_u32_e32 vcc_lo, 2, v62
	s_or_b32 s8, vcc_lo, s8
	s_waitcnt vmcnt(2) lgkmcnt(0)
	v_mul_f64 v[72:73], v[66:67], v[68:69]
	v_mul_f64 v[68:69], v[64:65], v[68:69]
	s_waitcnt vmcnt(0)
	v_fma_f64 v[64:65], v[64:65], v[70:71], -v[72:73]
	v_fma_f64 v[66:67], v[66:67], v[70:71], v[68:69]
	v_add_f64 v[1:2], v[1:2], v[64:65]
	v_add_f64 v[3:4], v[3:4], v[66:67]
	s_andn2_b32 exec_lo, exec_lo, s8
	s_cbranch_execnz .LBB25_228
; %bb.229:
	s_or_b32 exec_lo, exec_lo, s8
.LBB25_230:
	s_or_b32 exec_lo, exec_lo, s6
	v_mov_b32_e32 v60, 0
	ds_read_b128 v[64:67], v60 offset:64
	s_waitcnt lgkmcnt(0)
	v_mul_f64 v[60:61], v[3:4], v[66:67]
	v_mul_f64 v[66:67], v[1:2], v[66:67]
	v_fma_f64 v[1:2], v[1:2], v[64:65], -v[60:61]
	v_fma_f64 v[3:4], v[3:4], v[64:65], v[66:67]
	buffer_store_dword v2, off, s[0:3], 0 offset:68
	buffer_store_dword v1, off, s[0:3], 0 offset:64
	;; [unrolled: 1-line block ×4, first 2 shown]
.LBB25_231:
	s_or_b32 exec_lo, exec_lo, s4
	v_mov_b32_e32 v4, s28
	s_mov_b32 s4, exec_lo
	s_clause 0x3
	buffer_load_dword v1, v4, s[0:3], 0 offen
	buffer_load_dword v2, v4, s[0:3], 0 offen offset:4
	buffer_load_dword v3, v4, s[0:3], 0 offen offset:8
	;; [unrolled: 1-line block ×3, first 2 shown]
	s_waitcnt vmcnt(0)
	ds_write_b128 v58, v[1:4]
	s_waitcnt lgkmcnt(0)
	s_waitcnt_vscnt null, 0x0
	s_barrier
	buffer_gl0_inv
	v_cmpx_gt_u32_e32 5, v0
	s_cbranch_execz .LBB25_239
; %bb.232:
	ds_read_b128 v[1:4], v58
	v_cmp_ne_u32_e32 vcc_lo, 1, v59
	s_cbranch_vccnz .LBB25_234
; %bb.233:
	s_clause 0x3
	buffer_load_dword v60, v57, s[0:3], 0 offen offset:8
	buffer_load_dword v61, v57, s[0:3], 0 offen offset:12
	buffer_load_dword v64, v57, s[0:3], 0 offen
	buffer_load_dword v65, v57, s[0:3], 0 offen offset:4
	s_waitcnt vmcnt(2) lgkmcnt(0)
	v_mul_f64 v[66:67], v[3:4], v[60:61]
	v_mul_f64 v[60:61], v[1:2], v[60:61]
	s_waitcnt vmcnt(0)
	v_fma_f64 v[1:2], v[1:2], v[64:65], -v[66:67]
	v_fma_f64 v[3:4], v[3:4], v[64:65], v[60:61]
.LBB25_234:
	s_mov_b32 s6, exec_lo
	v_cmpx_ne_u32_e32 4, v0
	s_cbranch_execz .LBB25_238
; %bb.235:
	v_add_nc_u32_e32 v60, 0x1b0, v63
	v_add3_u32 v61, 0, v63, 16
	v_mov_b32_e32 v62, v0
	s_mov_b32 s8, 0
	.p2align	6
.LBB25_236:                             ; =>This Inner Loop Header: Depth=1
	s_clause 0x3
	buffer_load_dword v68, v61, s[0:3], 0 offen offset:8
	buffer_load_dword v69, v61, s[0:3], 0 offen offset:12
	buffer_load_dword v70, v61, s[0:3], 0 offen
	buffer_load_dword v71, v61, s[0:3], 0 offen offset:4
	ds_read_b128 v[64:67], v60
	v_add_nc_u32_e32 v62, 1, v62
	v_add_nc_u32_e32 v60, 16, v60
	;; [unrolled: 1-line block ×3, first 2 shown]
	v_cmp_lt_u32_e32 vcc_lo, 3, v62
	s_or_b32 s8, vcc_lo, s8
	s_waitcnt vmcnt(2) lgkmcnt(0)
	v_mul_f64 v[72:73], v[66:67], v[68:69]
	v_mul_f64 v[68:69], v[64:65], v[68:69]
	s_waitcnt vmcnt(0)
	v_fma_f64 v[64:65], v[64:65], v[70:71], -v[72:73]
	v_fma_f64 v[66:67], v[66:67], v[70:71], v[68:69]
	v_add_f64 v[1:2], v[1:2], v[64:65]
	v_add_f64 v[3:4], v[3:4], v[66:67]
	s_andn2_b32 exec_lo, exec_lo, s8
	s_cbranch_execnz .LBB25_236
; %bb.237:
	s_or_b32 exec_lo, exec_lo, s8
.LBB25_238:
	s_or_b32 exec_lo, exec_lo, s6
	v_mov_b32_e32 v60, 0
	ds_read_b128 v[64:67], v60 offset:80
	s_waitcnt lgkmcnt(0)
	v_mul_f64 v[60:61], v[3:4], v[66:67]
	v_mul_f64 v[66:67], v[1:2], v[66:67]
	v_fma_f64 v[1:2], v[1:2], v[64:65], -v[60:61]
	v_fma_f64 v[3:4], v[3:4], v[64:65], v[66:67]
	buffer_store_dword v2, off, s[0:3], 0 offset:84
	buffer_store_dword v1, off, s[0:3], 0 offset:80
	;; [unrolled: 1-line block ×4, first 2 shown]
.LBB25_239:
	s_or_b32 exec_lo, exec_lo, s4
	v_mov_b32_e32 v4, s27
	s_mov_b32 s4, exec_lo
	s_clause 0x3
	buffer_load_dword v1, v4, s[0:3], 0 offen
	buffer_load_dword v2, v4, s[0:3], 0 offen offset:4
	buffer_load_dword v3, v4, s[0:3], 0 offen offset:8
	;; [unrolled: 1-line block ×3, first 2 shown]
	s_waitcnt vmcnt(0)
	ds_write_b128 v58, v[1:4]
	s_waitcnt lgkmcnt(0)
	s_waitcnt_vscnt null, 0x0
	s_barrier
	buffer_gl0_inv
	v_cmpx_gt_u32_e32 6, v0
	s_cbranch_execz .LBB25_247
; %bb.240:
	ds_read_b128 v[1:4], v58
	v_cmp_ne_u32_e32 vcc_lo, 1, v59
	s_cbranch_vccnz .LBB25_242
; %bb.241:
	s_clause 0x3
	buffer_load_dword v60, v57, s[0:3], 0 offen offset:8
	buffer_load_dword v61, v57, s[0:3], 0 offen offset:12
	buffer_load_dword v64, v57, s[0:3], 0 offen
	buffer_load_dword v65, v57, s[0:3], 0 offen offset:4
	s_waitcnt vmcnt(2) lgkmcnt(0)
	v_mul_f64 v[66:67], v[3:4], v[60:61]
	v_mul_f64 v[60:61], v[1:2], v[60:61]
	s_waitcnt vmcnt(0)
	v_fma_f64 v[1:2], v[1:2], v[64:65], -v[66:67]
	v_fma_f64 v[3:4], v[3:4], v[64:65], v[60:61]
.LBB25_242:
	s_mov_b32 s6, exec_lo
	v_cmpx_ne_u32_e32 5, v0
	s_cbranch_execz .LBB25_246
; %bb.243:
	v_add_nc_u32_e32 v60, 0x1b0, v63
	v_add3_u32 v61, 0, v63, 16
	v_mov_b32_e32 v62, v0
	s_mov_b32 s8, 0
	.p2align	6
.LBB25_244:                             ; =>This Inner Loop Header: Depth=1
	s_clause 0x3
	buffer_load_dword v68, v61, s[0:3], 0 offen offset:8
	buffer_load_dword v69, v61, s[0:3], 0 offen offset:12
	buffer_load_dword v70, v61, s[0:3], 0 offen
	buffer_load_dword v71, v61, s[0:3], 0 offen offset:4
	ds_read_b128 v[64:67], v60
	v_add_nc_u32_e32 v62, 1, v62
	v_add_nc_u32_e32 v60, 16, v60
	;; [unrolled: 1-line block ×3, first 2 shown]
	v_cmp_lt_u32_e32 vcc_lo, 4, v62
	s_or_b32 s8, vcc_lo, s8
	s_waitcnt vmcnt(2) lgkmcnt(0)
	v_mul_f64 v[72:73], v[66:67], v[68:69]
	v_mul_f64 v[68:69], v[64:65], v[68:69]
	s_waitcnt vmcnt(0)
	v_fma_f64 v[64:65], v[64:65], v[70:71], -v[72:73]
	v_fma_f64 v[66:67], v[66:67], v[70:71], v[68:69]
	v_add_f64 v[1:2], v[1:2], v[64:65]
	v_add_f64 v[3:4], v[3:4], v[66:67]
	s_andn2_b32 exec_lo, exec_lo, s8
	s_cbranch_execnz .LBB25_244
; %bb.245:
	s_or_b32 exec_lo, exec_lo, s8
.LBB25_246:
	s_or_b32 exec_lo, exec_lo, s6
	v_mov_b32_e32 v60, 0
	ds_read_b128 v[64:67], v60 offset:96
	s_waitcnt lgkmcnt(0)
	v_mul_f64 v[60:61], v[3:4], v[66:67]
	v_mul_f64 v[66:67], v[1:2], v[66:67]
	v_fma_f64 v[1:2], v[1:2], v[64:65], -v[60:61]
	v_fma_f64 v[3:4], v[3:4], v[64:65], v[66:67]
	buffer_store_dword v2, off, s[0:3], 0 offset:100
	buffer_store_dword v1, off, s[0:3], 0 offset:96
	;; [unrolled: 1-line block ×4, first 2 shown]
.LBB25_247:
	s_or_b32 exec_lo, exec_lo, s4
	v_mov_b32_e32 v4, s26
	s_mov_b32 s4, exec_lo
	s_clause 0x3
	buffer_load_dword v1, v4, s[0:3], 0 offen
	buffer_load_dword v2, v4, s[0:3], 0 offen offset:4
	buffer_load_dword v3, v4, s[0:3], 0 offen offset:8
	;; [unrolled: 1-line block ×3, first 2 shown]
	s_waitcnt vmcnt(0)
	ds_write_b128 v58, v[1:4]
	s_waitcnt lgkmcnt(0)
	s_waitcnt_vscnt null, 0x0
	s_barrier
	buffer_gl0_inv
	v_cmpx_gt_u32_e32 7, v0
	s_cbranch_execz .LBB25_255
; %bb.248:
	ds_read_b128 v[1:4], v58
	v_cmp_ne_u32_e32 vcc_lo, 1, v59
	s_cbranch_vccnz .LBB25_250
; %bb.249:
	s_clause 0x3
	buffer_load_dword v60, v57, s[0:3], 0 offen offset:8
	buffer_load_dword v61, v57, s[0:3], 0 offen offset:12
	buffer_load_dword v64, v57, s[0:3], 0 offen
	buffer_load_dword v65, v57, s[0:3], 0 offen offset:4
	s_waitcnt vmcnt(2) lgkmcnt(0)
	v_mul_f64 v[66:67], v[3:4], v[60:61]
	v_mul_f64 v[60:61], v[1:2], v[60:61]
	s_waitcnt vmcnt(0)
	v_fma_f64 v[1:2], v[1:2], v[64:65], -v[66:67]
	v_fma_f64 v[3:4], v[3:4], v[64:65], v[60:61]
.LBB25_250:
	s_mov_b32 s6, exec_lo
	v_cmpx_ne_u32_e32 6, v0
	s_cbranch_execz .LBB25_254
; %bb.251:
	v_add_nc_u32_e32 v60, 0x1b0, v63
	v_add3_u32 v61, 0, v63, 16
	v_mov_b32_e32 v62, v0
	s_mov_b32 s8, 0
	.p2align	6
.LBB25_252:                             ; =>This Inner Loop Header: Depth=1
	s_clause 0x3
	buffer_load_dword v68, v61, s[0:3], 0 offen offset:8
	buffer_load_dword v69, v61, s[0:3], 0 offen offset:12
	buffer_load_dword v70, v61, s[0:3], 0 offen
	buffer_load_dword v71, v61, s[0:3], 0 offen offset:4
	ds_read_b128 v[64:67], v60
	v_add_nc_u32_e32 v62, 1, v62
	v_add_nc_u32_e32 v60, 16, v60
	;; [unrolled: 1-line block ×3, first 2 shown]
	v_cmp_lt_u32_e32 vcc_lo, 5, v62
	s_or_b32 s8, vcc_lo, s8
	s_waitcnt vmcnt(2) lgkmcnt(0)
	v_mul_f64 v[72:73], v[66:67], v[68:69]
	v_mul_f64 v[68:69], v[64:65], v[68:69]
	s_waitcnt vmcnt(0)
	v_fma_f64 v[64:65], v[64:65], v[70:71], -v[72:73]
	v_fma_f64 v[66:67], v[66:67], v[70:71], v[68:69]
	v_add_f64 v[1:2], v[1:2], v[64:65]
	v_add_f64 v[3:4], v[3:4], v[66:67]
	s_andn2_b32 exec_lo, exec_lo, s8
	s_cbranch_execnz .LBB25_252
; %bb.253:
	s_or_b32 exec_lo, exec_lo, s8
.LBB25_254:
	s_or_b32 exec_lo, exec_lo, s6
	v_mov_b32_e32 v60, 0
	ds_read_b128 v[64:67], v60 offset:112
	s_waitcnt lgkmcnt(0)
	v_mul_f64 v[60:61], v[3:4], v[66:67]
	v_mul_f64 v[66:67], v[1:2], v[66:67]
	v_fma_f64 v[1:2], v[1:2], v[64:65], -v[60:61]
	v_fma_f64 v[3:4], v[3:4], v[64:65], v[66:67]
	buffer_store_dword v2, off, s[0:3], 0 offset:116
	buffer_store_dword v1, off, s[0:3], 0 offset:112
	;; [unrolled: 1-line block ×4, first 2 shown]
.LBB25_255:
	s_or_b32 exec_lo, exec_lo, s4
	v_mov_b32_e32 v4, s25
	s_mov_b32 s4, exec_lo
	s_clause 0x3
	buffer_load_dword v1, v4, s[0:3], 0 offen
	buffer_load_dword v2, v4, s[0:3], 0 offen offset:4
	buffer_load_dword v3, v4, s[0:3], 0 offen offset:8
	;; [unrolled: 1-line block ×3, first 2 shown]
	s_waitcnt vmcnt(0)
	ds_write_b128 v58, v[1:4]
	s_waitcnt lgkmcnt(0)
	s_waitcnt_vscnt null, 0x0
	s_barrier
	buffer_gl0_inv
	v_cmpx_gt_u32_e32 8, v0
	s_cbranch_execz .LBB25_263
; %bb.256:
	ds_read_b128 v[1:4], v58
	v_cmp_ne_u32_e32 vcc_lo, 1, v59
	s_cbranch_vccnz .LBB25_258
; %bb.257:
	s_clause 0x3
	buffer_load_dword v60, v57, s[0:3], 0 offen offset:8
	buffer_load_dword v61, v57, s[0:3], 0 offen offset:12
	buffer_load_dword v64, v57, s[0:3], 0 offen
	buffer_load_dword v65, v57, s[0:3], 0 offen offset:4
	s_waitcnt vmcnt(2) lgkmcnt(0)
	v_mul_f64 v[66:67], v[3:4], v[60:61]
	v_mul_f64 v[60:61], v[1:2], v[60:61]
	s_waitcnt vmcnt(0)
	v_fma_f64 v[1:2], v[1:2], v[64:65], -v[66:67]
	v_fma_f64 v[3:4], v[3:4], v[64:65], v[60:61]
.LBB25_258:
	s_mov_b32 s6, exec_lo
	v_cmpx_ne_u32_e32 7, v0
	s_cbranch_execz .LBB25_262
; %bb.259:
	v_add_nc_u32_e32 v60, 0x1b0, v63
	v_add3_u32 v61, 0, v63, 16
	v_mov_b32_e32 v62, v0
	s_mov_b32 s8, 0
	.p2align	6
.LBB25_260:                             ; =>This Inner Loop Header: Depth=1
	s_clause 0x3
	buffer_load_dword v68, v61, s[0:3], 0 offen offset:8
	buffer_load_dword v69, v61, s[0:3], 0 offen offset:12
	buffer_load_dword v70, v61, s[0:3], 0 offen
	buffer_load_dword v71, v61, s[0:3], 0 offen offset:4
	ds_read_b128 v[64:67], v60
	v_add_nc_u32_e32 v62, 1, v62
	v_add_nc_u32_e32 v60, 16, v60
	;; [unrolled: 1-line block ×3, first 2 shown]
	v_cmp_lt_u32_e32 vcc_lo, 6, v62
	s_or_b32 s8, vcc_lo, s8
	s_waitcnt vmcnt(2) lgkmcnt(0)
	v_mul_f64 v[72:73], v[66:67], v[68:69]
	v_mul_f64 v[68:69], v[64:65], v[68:69]
	s_waitcnt vmcnt(0)
	v_fma_f64 v[64:65], v[64:65], v[70:71], -v[72:73]
	v_fma_f64 v[66:67], v[66:67], v[70:71], v[68:69]
	v_add_f64 v[1:2], v[1:2], v[64:65]
	v_add_f64 v[3:4], v[3:4], v[66:67]
	s_andn2_b32 exec_lo, exec_lo, s8
	s_cbranch_execnz .LBB25_260
; %bb.261:
	s_or_b32 exec_lo, exec_lo, s8
.LBB25_262:
	s_or_b32 exec_lo, exec_lo, s6
	v_mov_b32_e32 v60, 0
	ds_read_b128 v[64:67], v60 offset:128
	s_waitcnt lgkmcnt(0)
	v_mul_f64 v[60:61], v[3:4], v[66:67]
	v_mul_f64 v[66:67], v[1:2], v[66:67]
	v_fma_f64 v[1:2], v[1:2], v[64:65], -v[60:61]
	v_fma_f64 v[3:4], v[3:4], v[64:65], v[66:67]
	buffer_store_dword v2, off, s[0:3], 0 offset:132
	buffer_store_dword v1, off, s[0:3], 0 offset:128
	;; [unrolled: 1-line block ×4, first 2 shown]
.LBB25_263:
	s_or_b32 exec_lo, exec_lo, s4
	v_mov_b32_e32 v4, s24
	s_mov_b32 s4, exec_lo
	s_clause 0x3
	buffer_load_dword v1, v4, s[0:3], 0 offen
	buffer_load_dword v2, v4, s[0:3], 0 offen offset:4
	buffer_load_dword v3, v4, s[0:3], 0 offen offset:8
	;; [unrolled: 1-line block ×3, first 2 shown]
	s_waitcnt vmcnt(0)
	ds_write_b128 v58, v[1:4]
	s_waitcnt lgkmcnt(0)
	s_waitcnt_vscnt null, 0x0
	s_barrier
	buffer_gl0_inv
	v_cmpx_gt_u32_e32 9, v0
	s_cbranch_execz .LBB25_271
; %bb.264:
	ds_read_b128 v[1:4], v58
	v_cmp_ne_u32_e32 vcc_lo, 1, v59
	s_cbranch_vccnz .LBB25_266
; %bb.265:
	s_clause 0x3
	buffer_load_dword v60, v57, s[0:3], 0 offen offset:8
	buffer_load_dword v61, v57, s[0:3], 0 offen offset:12
	buffer_load_dword v64, v57, s[0:3], 0 offen
	buffer_load_dword v65, v57, s[0:3], 0 offen offset:4
	s_waitcnt vmcnt(2) lgkmcnt(0)
	v_mul_f64 v[66:67], v[3:4], v[60:61]
	v_mul_f64 v[60:61], v[1:2], v[60:61]
	s_waitcnt vmcnt(0)
	v_fma_f64 v[1:2], v[1:2], v[64:65], -v[66:67]
	v_fma_f64 v[3:4], v[3:4], v[64:65], v[60:61]
.LBB25_266:
	s_mov_b32 s6, exec_lo
	v_cmpx_ne_u32_e32 8, v0
	s_cbranch_execz .LBB25_270
; %bb.267:
	v_add_nc_u32_e32 v60, 0x1b0, v63
	v_add3_u32 v61, 0, v63, 16
	v_mov_b32_e32 v62, v0
	s_mov_b32 s8, 0
	.p2align	6
.LBB25_268:                             ; =>This Inner Loop Header: Depth=1
	s_clause 0x3
	buffer_load_dword v68, v61, s[0:3], 0 offen offset:8
	buffer_load_dword v69, v61, s[0:3], 0 offen offset:12
	buffer_load_dword v70, v61, s[0:3], 0 offen
	buffer_load_dword v71, v61, s[0:3], 0 offen offset:4
	ds_read_b128 v[64:67], v60
	v_add_nc_u32_e32 v62, 1, v62
	v_add_nc_u32_e32 v60, 16, v60
	v_add_nc_u32_e32 v61, 16, v61
	v_cmp_lt_u32_e32 vcc_lo, 7, v62
	s_or_b32 s8, vcc_lo, s8
	s_waitcnt vmcnt(2) lgkmcnt(0)
	v_mul_f64 v[72:73], v[66:67], v[68:69]
	v_mul_f64 v[68:69], v[64:65], v[68:69]
	s_waitcnt vmcnt(0)
	v_fma_f64 v[64:65], v[64:65], v[70:71], -v[72:73]
	v_fma_f64 v[66:67], v[66:67], v[70:71], v[68:69]
	v_add_f64 v[1:2], v[1:2], v[64:65]
	v_add_f64 v[3:4], v[3:4], v[66:67]
	s_andn2_b32 exec_lo, exec_lo, s8
	s_cbranch_execnz .LBB25_268
; %bb.269:
	s_or_b32 exec_lo, exec_lo, s8
.LBB25_270:
	s_or_b32 exec_lo, exec_lo, s6
	v_mov_b32_e32 v60, 0
	ds_read_b128 v[64:67], v60 offset:144
	s_waitcnt lgkmcnt(0)
	v_mul_f64 v[60:61], v[3:4], v[66:67]
	v_mul_f64 v[66:67], v[1:2], v[66:67]
	v_fma_f64 v[1:2], v[1:2], v[64:65], -v[60:61]
	v_fma_f64 v[3:4], v[3:4], v[64:65], v[66:67]
	buffer_store_dword v2, off, s[0:3], 0 offset:148
	buffer_store_dword v1, off, s[0:3], 0 offset:144
	;; [unrolled: 1-line block ×4, first 2 shown]
.LBB25_271:
	s_or_b32 exec_lo, exec_lo, s4
	v_mov_b32_e32 v4, s23
	s_mov_b32 s4, exec_lo
	s_clause 0x3
	buffer_load_dword v1, v4, s[0:3], 0 offen
	buffer_load_dword v2, v4, s[0:3], 0 offen offset:4
	buffer_load_dword v3, v4, s[0:3], 0 offen offset:8
	;; [unrolled: 1-line block ×3, first 2 shown]
	s_waitcnt vmcnt(0)
	ds_write_b128 v58, v[1:4]
	s_waitcnt lgkmcnt(0)
	s_waitcnt_vscnt null, 0x0
	s_barrier
	buffer_gl0_inv
	v_cmpx_gt_u32_e32 10, v0
	s_cbranch_execz .LBB25_279
; %bb.272:
	ds_read_b128 v[1:4], v58
	v_cmp_ne_u32_e32 vcc_lo, 1, v59
	s_cbranch_vccnz .LBB25_274
; %bb.273:
	s_clause 0x3
	buffer_load_dword v60, v57, s[0:3], 0 offen offset:8
	buffer_load_dword v61, v57, s[0:3], 0 offen offset:12
	buffer_load_dword v64, v57, s[0:3], 0 offen
	buffer_load_dword v65, v57, s[0:3], 0 offen offset:4
	s_waitcnt vmcnt(2) lgkmcnt(0)
	v_mul_f64 v[66:67], v[3:4], v[60:61]
	v_mul_f64 v[60:61], v[1:2], v[60:61]
	s_waitcnt vmcnt(0)
	v_fma_f64 v[1:2], v[1:2], v[64:65], -v[66:67]
	v_fma_f64 v[3:4], v[3:4], v[64:65], v[60:61]
.LBB25_274:
	s_mov_b32 s6, exec_lo
	v_cmpx_ne_u32_e32 9, v0
	s_cbranch_execz .LBB25_278
; %bb.275:
	v_add_nc_u32_e32 v60, 0x1b0, v63
	v_add3_u32 v61, 0, v63, 16
	v_mov_b32_e32 v62, v0
	s_mov_b32 s8, 0
	.p2align	6
.LBB25_276:                             ; =>This Inner Loop Header: Depth=1
	s_clause 0x3
	buffer_load_dword v68, v61, s[0:3], 0 offen offset:8
	buffer_load_dword v69, v61, s[0:3], 0 offen offset:12
	buffer_load_dword v70, v61, s[0:3], 0 offen
	buffer_load_dword v71, v61, s[0:3], 0 offen offset:4
	ds_read_b128 v[64:67], v60
	v_add_nc_u32_e32 v62, 1, v62
	v_add_nc_u32_e32 v60, 16, v60
	;; [unrolled: 1-line block ×3, first 2 shown]
	v_cmp_lt_u32_e32 vcc_lo, 8, v62
	s_or_b32 s8, vcc_lo, s8
	s_waitcnt vmcnt(2) lgkmcnt(0)
	v_mul_f64 v[72:73], v[66:67], v[68:69]
	v_mul_f64 v[68:69], v[64:65], v[68:69]
	s_waitcnt vmcnt(0)
	v_fma_f64 v[64:65], v[64:65], v[70:71], -v[72:73]
	v_fma_f64 v[66:67], v[66:67], v[70:71], v[68:69]
	v_add_f64 v[1:2], v[1:2], v[64:65]
	v_add_f64 v[3:4], v[3:4], v[66:67]
	s_andn2_b32 exec_lo, exec_lo, s8
	s_cbranch_execnz .LBB25_276
; %bb.277:
	s_or_b32 exec_lo, exec_lo, s8
.LBB25_278:
	s_or_b32 exec_lo, exec_lo, s6
	v_mov_b32_e32 v60, 0
	ds_read_b128 v[64:67], v60 offset:160
	s_waitcnt lgkmcnt(0)
	v_mul_f64 v[60:61], v[3:4], v[66:67]
	v_mul_f64 v[66:67], v[1:2], v[66:67]
	v_fma_f64 v[1:2], v[1:2], v[64:65], -v[60:61]
	v_fma_f64 v[3:4], v[3:4], v[64:65], v[66:67]
	buffer_store_dword v2, off, s[0:3], 0 offset:164
	buffer_store_dword v1, off, s[0:3], 0 offset:160
	;; [unrolled: 1-line block ×4, first 2 shown]
.LBB25_279:
	s_or_b32 exec_lo, exec_lo, s4
	v_mov_b32_e32 v4, s22
	s_mov_b32 s4, exec_lo
	s_clause 0x3
	buffer_load_dword v1, v4, s[0:3], 0 offen
	buffer_load_dword v2, v4, s[0:3], 0 offen offset:4
	buffer_load_dword v3, v4, s[0:3], 0 offen offset:8
	;; [unrolled: 1-line block ×3, first 2 shown]
	s_waitcnt vmcnt(0)
	ds_write_b128 v58, v[1:4]
	s_waitcnt lgkmcnt(0)
	s_waitcnt_vscnt null, 0x0
	s_barrier
	buffer_gl0_inv
	v_cmpx_gt_u32_e32 11, v0
	s_cbranch_execz .LBB25_287
; %bb.280:
	ds_read_b128 v[1:4], v58
	v_cmp_ne_u32_e32 vcc_lo, 1, v59
	s_cbranch_vccnz .LBB25_282
; %bb.281:
	s_clause 0x3
	buffer_load_dword v60, v57, s[0:3], 0 offen offset:8
	buffer_load_dword v61, v57, s[0:3], 0 offen offset:12
	buffer_load_dword v64, v57, s[0:3], 0 offen
	buffer_load_dword v65, v57, s[0:3], 0 offen offset:4
	s_waitcnt vmcnt(2) lgkmcnt(0)
	v_mul_f64 v[66:67], v[3:4], v[60:61]
	v_mul_f64 v[60:61], v[1:2], v[60:61]
	s_waitcnt vmcnt(0)
	v_fma_f64 v[1:2], v[1:2], v[64:65], -v[66:67]
	v_fma_f64 v[3:4], v[3:4], v[64:65], v[60:61]
.LBB25_282:
	s_mov_b32 s6, exec_lo
	v_cmpx_ne_u32_e32 10, v0
	s_cbranch_execz .LBB25_286
; %bb.283:
	v_add_nc_u32_e32 v60, 0x1b0, v63
	v_add3_u32 v61, 0, v63, 16
	v_mov_b32_e32 v62, v0
	s_mov_b32 s8, 0
	.p2align	6
.LBB25_284:                             ; =>This Inner Loop Header: Depth=1
	s_clause 0x3
	buffer_load_dword v68, v61, s[0:3], 0 offen offset:8
	buffer_load_dword v69, v61, s[0:3], 0 offen offset:12
	buffer_load_dword v70, v61, s[0:3], 0 offen
	buffer_load_dword v71, v61, s[0:3], 0 offen offset:4
	ds_read_b128 v[64:67], v60
	v_add_nc_u32_e32 v62, 1, v62
	v_add_nc_u32_e32 v60, 16, v60
	;; [unrolled: 1-line block ×3, first 2 shown]
	v_cmp_lt_u32_e32 vcc_lo, 9, v62
	s_or_b32 s8, vcc_lo, s8
	s_waitcnt vmcnt(2) lgkmcnt(0)
	v_mul_f64 v[72:73], v[66:67], v[68:69]
	v_mul_f64 v[68:69], v[64:65], v[68:69]
	s_waitcnt vmcnt(0)
	v_fma_f64 v[64:65], v[64:65], v[70:71], -v[72:73]
	v_fma_f64 v[66:67], v[66:67], v[70:71], v[68:69]
	v_add_f64 v[1:2], v[1:2], v[64:65]
	v_add_f64 v[3:4], v[3:4], v[66:67]
	s_andn2_b32 exec_lo, exec_lo, s8
	s_cbranch_execnz .LBB25_284
; %bb.285:
	s_or_b32 exec_lo, exec_lo, s8
.LBB25_286:
	s_or_b32 exec_lo, exec_lo, s6
	v_mov_b32_e32 v60, 0
	ds_read_b128 v[64:67], v60 offset:176
	s_waitcnt lgkmcnt(0)
	v_mul_f64 v[60:61], v[3:4], v[66:67]
	v_mul_f64 v[66:67], v[1:2], v[66:67]
	v_fma_f64 v[1:2], v[1:2], v[64:65], -v[60:61]
	v_fma_f64 v[3:4], v[3:4], v[64:65], v[66:67]
	buffer_store_dword v2, off, s[0:3], 0 offset:180
	buffer_store_dword v1, off, s[0:3], 0 offset:176
	;; [unrolled: 1-line block ×4, first 2 shown]
.LBB25_287:
	s_or_b32 exec_lo, exec_lo, s4
	v_mov_b32_e32 v4, s21
	s_mov_b32 s4, exec_lo
	s_clause 0x3
	buffer_load_dword v1, v4, s[0:3], 0 offen
	buffer_load_dword v2, v4, s[0:3], 0 offen offset:4
	buffer_load_dword v3, v4, s[0:3], 0 offen offset:8
	;; [unrolled: 1-line block ×3, first 2 shown]
	s_waitcnt vmcnt(0)
	ds_write_b128 v58, v[1:4]
	s_waitcnt lgkmcnt(0)
	s_waitcnt_vscnt null, 0x0
	s_barrier
	buffer_gl0_inv
	v_cmpx_gt_u32_e32 12, v0
	s_cbranch_execz .LBB25_295
; %bb.288:
	ds_read_b128 v[1:4], v58
	v_cmp_ne_u32_e32 vcc_lo, 1, v59
	s_cbranch_vccnz .LBB25_290
; %bb.289:
	s_clause 0x3
	buffer_load_dword v60, v57, s[0:3], 0 offen offset:8
	buffer_load_dword v61, v57, s[0:3], 0 offen offset:12
	buffer_load_dword v64, v57, s[0:3], 0 offen
	buffer_load_dword v65, v57, s[0:3], 0 offen offset:4
	s_waitcnt vmcnt(2) lgkmcnt(0)
	v_mul_f64 v[66:67], v[3:4], v[60:61]
	v_mul_f64 v[60:61], v[1:2], v[60:61]
	s_waitcnt vmcnt(0)
	v_fma_f64 v[1:2], v[1:2], v[64:65], -v[66:67]
	v_fma_f64 v[3:4], v[3:4], v[64:65], v[60:61]
.LBB25_290:
	s_mov_b32 s6, exec_lo
	v_cmpx_ne_u32_e32 11, v0
	s_cbranch_execz .LBB25_294
; %bb.291:
	v_add_nc_u32_e32 v60, 0x1b0, v63
	v_add3_u32 v61, 0, v63, 16
	v_mov_b32_e32 v62, v0
	s_mov_b32 s8, 0
	.p2align	6
.LBB25_292:                             ; =>This Inner Loop Header: Depth=1
	s_clause 0x3
	buffer_load_dword v68, v61, s[0:3], 0 offen offset:8
	buffer_load_dword v69, v61, s[0:3], 0 offen offset:12
	buffer_load_dword v70, v61, s[0:3], 0 offen
	buffer_load_dword v71, v61, s[0:3], 0 offen offset:4
	ds_read_b128 v[64:67], v60
	v_add_nc_u32_e32 v62, 1, v62
	v_add_nc_u32_e32 v60, 16, v60
	;; [unrolled: 1-line block ×3, first 2 shown]
	v_cmp_lt_u32_e32 vcc_lo, 10, v62
	s_or_b32 s8, vcc_lo, s8
	s_waitcnt vmcnt(2) lgkmcnt(0)
	v_mul_f64 v[72:73], v[66:67], v[68:69]
	v_mul_f64 v[68:69], v[64:65], v[68:69]
	s_waitcnt vmcnt(0)
	v_fma_f64 v[64:65], v[64:65], v[70:71], -v[72:73]
	v_fma_f64 v[66:67], v[66:67], v[70:71], v[68:69]
	v_add_f64 v[1:2], v[1:2], v[64:65]
	v_add_f64 v[3:4], v[3:4], v[66:67]
	s_andn2_b32 exec_lo, exec_lo, s8
	s_cbranch_execnz .LBB25_292
; %bb.293:
	s_or_b32 exec_lo, exec_lo, s8
.LBB25_294:
	s_or_b32 exec_lo, exec_lo, s6
	v_mov_b32_e32 v60, 0
	ds_read_b128 v[64:67], v60 offset:192
	s_waitcnt lgkmcnt(0)
	v_mul_f64 v[60:61], v[3:4], v[66:67]
	v_mul_f64 v[66:67], v[1:2], v[66:67]
	v_fma_f64 v[1:2], v[1:2], v[64:65], -v[60:61]
	v_fma_f64 v[3:4], v[3:4], v[64:65], v[66:67]
	buffer_store_dword v2, off, s[0:3], 0 offset:196
	buffer_store_dword v1, off, s[0:3], 0 offset:192
	;; [unrolled: 1-line block ×4, first 2 shown]
.LBB25_295:
	s_or_b32 exec_lo, exec_lo, s4
	v_mov_b32_e32 v4, s20
	s_mov_b32 s4, exec_lo
	s_clause 0x3
	buffer_load_dword v1, v4, s[0:3], 0 offen
	buffer_load_dword v2, v4, s[0:3], 0 offen offset:4
	buffer_load_dword v3, v4, s[0:3], 0 offen offset:8
	;; [unrolled: 1-line block ×3, first 2 shown]
	s_waitcnt vmcnt(0)
	ds_write_b128 v58, v[1:4]
	s_waitcnt lgkmcnt(0)
	s_waitcnt_vscnt null, 0x0
	s_barrier
	buffer_gl0_inv
	v_cmpx_gt_u32_e32 13, v0
	s_cbranch_execz .LBB25_303
; %bb.296:
	ds_read_b128 v[1:4], v58
	v_cmp_ne_u32_e32 vcc_lo, 1, v59
	s_cbranch_vccnz .LBB25_298
; %bb.297:
	s_clause 0x3
	buffer_load_dword v60, v57, s[0:3], 0 offen offset:8
	buffer_load_dword v61, v57, s[0:3], 0 offen offset:12
	buffer_load_dword v64, v57, s[0:3], 0 offen
	buffer_load_dword v65, v57, s[0:3], 0 offen offset:4
	s_waitcnt vmcnt(2) lgkmcnt(0)
	v_mul_f64 v[66:67], v[3:4], v[60:61]
	v_mul_f64 v[60:61], v[1:2], v[60:61]
	s_waitcnt vmcnt(0)
	v_fma_f64 v[1:2], v[1:2], v[64:65], -v[66:67]
	v_fma_f64 v[3:4], v[3:4], v[64:65], v[60:61]
.LBB25_298:
	s_mov_b32 s6, exec_lo
	v_cmpx_ne_u32_e32 12, v0
	s_cbranch_execz .LBB25_302
; %bb.299:
	v_add_nc_u32_e32 v60, 0x1b0, v63
	v_add3_u32 v61, 0, v63, 16
	v_mov_b32_e32 v62, v0
	s_mov_b32 s8, 0
	.p2align	6
.LBB25_300:                             ; =>This Inner Loop Header: Depth=1
	s_clause 0x3
	buffer_load_dword v68, v61, s[0:3], 0 offen offset:8
	buffer_load_dword v69, v61, s[0:3], 0 offen offset:12
	buffer_load_dword v70, v61, s[0:3], 0 offen
	buffer_load_dword v71, v61, s[0:3], 0 offen offset:4
	ds_read_b128 v[64:67], v60
	v_add_nc_u32_e32 v62, 1, v62
	v_add_nc_u32_e32 v60, 16, v60
	;; [unrolled: 1-line block ×3, first 2 shown]
	v_cmp_lt_u32_e32 vcc_lo, 11, v62
	s_or_b32 s8, vcc_lo, s8
	s_waitcnt vmcnt(2) lgkmcnt(0)
	v_mul_f64 v[72:73], v[66:67], v[68:69]
	v_mul_f64 v[68:69], v[64:65], v[68:69]
	s_waitcnt vmcnt(0)
	v_fma_f64 v[64:65], v[64:65], v[70:71], -v[72:73]
	v_fma_f64 v[66:67], v[66:67], v[70:71], v[68:69]
	v_add_f64 v[1:2], v[1:2], v[64:65]
	v_add_f64 v[3:4], v[3:4], v[66:67]
	s_andn2_b32 exec_lo, exec_lo, s8
	s_cbranch_execnz .LBB25_300
; %bb.301:
	s_or_b32 exec_lo, exec_lo, s8
.LBB25_302:
	s_or_b32 exec_lo, exec_lo, s6
	v_mov_b32_e32 v60, 0
	ds_read_b128 v[64:67], v60 offset:208
	s_waitcnt lgkmcnt(0)
	v_mul_f64 v[60:61], v[3:4], v[66:67]
	v_mul_f64 v[66:67], v[1:2], v[66:67]
	v_fma_f64 v[1:2], v[1:2], v[64:65], -v[60:61]
	v_fma_f64 v[3:4], v[3:4], v[64:65], v[66:67]
	buffer_store_dword v2, off, s[0:3], 0 offset:212
	buffer_store_dword v1, off, s[0:3], 0 offset:208
	;; [unrolled: 1-line block ×4, first 2 shown]
.LBB25_303:
	s_or_b32 exec_lo, exec_lo, s4
	v_mov_b32_e32 v4, s19
	s_mov_b32 s4, exec_lo
	s_clause 0x3
	buffer_load_dword v1, v4, s[0:3], 0 offen
	buffer_load_dword v2, v4, s[0:3], 0 offen offset:4
	buffer_load_dword v3, v4, s[0:3], 0 offen offset:8
	;; [unrolled: 1-line block ×3, first 2 shown]
	s_waitcnt vmcnt(0)
	ds_write_b128 v58, v[1:4]
	s_waitcnt lgkmcnt(0)
	s_waitcnt_vscnt null, 0x0
	s_barrier
	buffer_gl0_inv
	v_cmpx_gt_u32_e32 14, v0
	s_cbranch_execz .LBB25_311
; %bb.304:
	ds_read_b128 v[1:4], v58
	v_cmp_ne_u32_e32 vcc_lo, 1, v59
	s_cbranch_vccnz .LBB25_306
; %bb.305:
	s_clause 0x3
	buffer_load_dword v60, v57, s[0:3], 0 offen offset:8
	buffer_load_dword v61, v57, s[0:3], 0 offen offset:12
	buffer_load_dword v64, v57, s[0:3], 0 offen
	buffer_load_dword v65, v57, s[0:3], 0 offen offset:4
	s_waitcnt vmcnt(2) lgkmcnt(0)
	v_mul_f64 v[66:67], v[3:4], v[60:61]
	v_mul_f64 v[60:61], v[1:2], v[60:61]
	s_waitcnt vmcnt(0)
	v_fma_f64 v[1:2], v[1:2], v[64:65], -v[66:67]
	v_fma_f64 v[3:4], v[3:4], v[64:65], v[60:61]
.LBB25_306:
	s_mov_b32 s6, exec_lo
	v_cmpx_ne_u32_e32 13, v0
	s_cbranch_execz .LBB25_310
; %bb.307:
	v_add_nc_u32_e32 v60, 0x1b0, v63
	v_add3_u32 v61, 0, v63, 16
	v_mov_b32_e32 v62, v0
	s_mov_b32 s8, 0
	.p2align	6
.LBB25_308:                             ; =>This Inner Loop Header: Depth=1
	s_clause 0x3
	buffer_load_dword v68, v61, s[0:3], 0 offen offset:8
	buffer_load_dword v69, v61, s[0:3], 0 offen offset:12
	buffer_load_dword v70, v61, s[0:3], 0 offen
	buffer_load_dword v71, v61, s[0:3], 0 offen offset:4
	ds_read_b128 v[64:67], v60
	v_add_nc_u32_e32 v62, 1, v62
	v_add_nc_u32_e32 v60, 16, v60
	;; [unrolled: 1-line block ×3, first 2 shown]
	v_cmp_lt_u32_e32 vcc_lo, 12, v62
	s_or_b32 s8, vcc_lo, s8
	s_waitcnt vmcnt(2) lgkmcnt(0)
	v_mul_f64 v[72:73], v[66:67], v[68:69]
	v_mul_f64 v[68:69], v[64:65], v[68:69]
	s_waitcnt vmcnt(0)
	v_fma_f64 v[64:65], v[64:65], v[70:71], -v[72:73]
	v_fma_f64 v[66:67], v[66:67], v[70:71], v[68:69]
	v_add_f64 v[1:2], v[1:2], v[64:65]
	v_add_f64 v[3:4], v[3:4], v[66:67]
	s_andn2_b32 exec_lo, exec_lo, s8
	s_cbranch_execnz .LBB25_308
; %bb.309:
	s_or_b32 exec_lo, exec_lo, s8
.LBB25_310:
	s_or_b32 exec_lo, exec_lo, s6
	v_mov_b32_e32 v60, 0
	ds_read_b128 v[64:67], v60 offset:224
	s_waitcnt lgkmcnt(0)
	v_mul_f64 v[60:61], v[3:4], v[66:67]
	v_mul_f64 v[66:67], v[1:2], v[66:67]
	v_fma_f64 v[1:2], v[1:2], v[64:65], -v[60:61]
	v_fma_f64 v[3:4], v[3:4], v[64:65], v[66:67]
	buffer_store_dword v2, off, s[0:3], 0 offset:228
	buffer_store_dword v1, off, s[0:3], 0 offset:224
	;; [unrolled: 1-line block ×4, first 2 shown]
.LBB25_311:
	s_or_b32 exec_lo, exec_lo, s4
	v_mov_b32_e32 v4, s18
	s_mov_b32 s4, exec_lo
	s_clause 0x3
	buffer_load_dword v1, v4, s[0:3], 0 offen
	buffer_load_dword v2, v4, s[0:3], 0 offen offset:4
	buffer_load_dword v3, v4, s[0:3], 0 offen offset:8
	buffer_load_dword v4, v4, s[0:3], 0 offen offset:12
	s_waitcnt vmcnt(0)
	ds_write_b128 v58, v[1:4]
	s_waitcnt lgkmcnt(0)
	s_waitcnt_vscnt null, 0x0
	s_barrier
	buffer_gl0_inv
	v_cmpx_gt_u32_e32 15, v0
	s_cbranch_execz .LBB25_319
; %bb.312:
	ds_read_b128 v[1:4], v58
	v_cmp_ne_u32_e32 vcc_lo, 1, v59
	s_cbranch_vccnz .LBB25_314
; %bb.313:
	s_clause 0x3
	buffer_load_dword v60, v57, s[0:3], 0 offen offset:8
	buffer_load_dword v61, v57, s[0:3], 0 offen offset:12
	buffer_load_dword v64, v57, s[0:3], 0 offen
	buffer_load_dword v65, v57, s[0:3], 0 offen offset:4
	s_waitcnt vmcnt(2) lgkmcnt(0)
	v_mul_f64 v[66:67], v[3:4], v[60:61]
	v_mul_f64 v[60:61], v[1:2], v[60:61]
	s_waitcnt vmcnt(0)
	v_fma_f64 v[1:2], v[1:2], v[64:65], -v[66:67]
	v_fma_f64 v[3:4], v[3:4], v[64:65], v[60:61]
.LBB25_314:
	s_mov_b32 s6, exec_lo
	v_cmpx_ne_u32_e32 14, v0
	s_cbranch_execz .LBB25_318
; %bb.315:
	v_add_nc_u32_e32 v60, 0x1b0, v63
	v_add3_u32 v61, 0, v63, 16
	v_mov_b32_e32 v62, v0
	s_mov_b32 s8, 0
	.p2align	6
.LBB25_316:                             ; =>This Inner Loop Header: Depth=1
	s_clause 0x3
	buffer_load_dword v68, v61, s[0:3], 0 offen offset:8
	buffer_load_dword v69, v61, s[0:3], 0 offen offset:12
	buffer_load_dword v70, v61, s[0:3], 0 offen
	buffer_load_dword v71, v61, s[0:3], 0 offen offset:4
	ds_read_b128 v[64:67], v60
	v_add_nc_u32_e32 v62, 1, v62
	v_add_nc_u32_e32 v60, 16, v60
	;; [unrolled: 1-line block ×3, first 2 shown]
	v_cmp_lt_u32_e32 vcc_lo, 13, v62
	s_or_b32 s8, vcc_lo, s8
	s_waitcnt vmcnt(2) lgkmcnt(0)
	v_mul_f64 v[72:73], v[66:67], v[68:69]
	v_mul_f64 v[68:69], v[64:65], v[68:69]
	s_waitcnt vmcnt(0)
	v_fma_f64 v[64:65], v[64:65], v[70:71], -v[72:73]
	v_fma_f64 v[66:67], v[66:67], v[70:71], v[68:69]
	v_add_f64 v[1:2], v[1:2], v[64:65]
	v_add_f64 v[3:4], v[3:4], v[66:67]
	s_andn2_b32 exec_lo, exec_lo, s8
	s_cbranch_execnz .LBB25_316
; %bb.317:
	s_or_b32 exec_lo, exec_lo, s8
.LBB25_318:
	s_or_b32 exec_lo, exec_lo, s6
	v_mov_b32_e32 v60, 0
	ds_read_b128 v[64:67], v60 offset:240
	s_waitcnt lgkmcnt(0)
	v_mul_f64 v[60:61], v[3:4], v[66:67]
	v_mul_f64 v[66:67], v[1:2], v[66:67]
	v_fma_f64 v[1:2], v[1:2], v[64:65], -v[60:61]
	v_fma_f64 v[3:4], v[3:4], v[64:65], v[66:67]
	buffer_store_dword v2, off, s[0:3], 0 offset:244
	buffer_store_dword v1, off, s[0:3], 0 offset:240
	;; [unrolled: 1-line block ×4, first 2 shown]
.LBB25_319:
	s_or_b32 exec_lo, exec_lo, s4
	v_mov_b32_e32 v4, s17
	s_mov_b32 s4, exec_lo
	s_clause 0x3
	buffer_load_dword v1, v4, s[0:3], 0 offen
	buffer_load_dword v2, v4, s[0:3], 0 offen offset:4
	buffer_load_dword v3, v4, s[0:3], 0 offen offset:8
	;; [unrolled: 1-line block ×3, first 2 shown]
	s_waitcnt vmcnt(0)
	ds_write_b128 v58, v[1:4]
	s_waitcnt lgkmcnt(0)
	s_waitcnt_vscnt null, 0x0
	s_barrier
	buffer_gl0_inv
	v_cmpx_gt_u32_e32 16, v0
	s_cbranch_execz .LBB25_327
; %bb.320:
	ds_read_b128 v[1:4], v58
	v_cmp_ne_u32_e32 vcc_lo, 1, v59
	s_cbranch_vccnz .LBB25_322
; %bb.321:
	s_clause 0x3
	buffer_load_dword v60, v57, s[0:3], 0 offen offset:8
	buffer_load_dword v61, v57, s[0:3], 0 offen offset:12
	buffer_load_dword v64, v57, s[0:3], 0 offen
	buffer_load_dword v65, v57, s[0:3], 0 offen offset:4
	s_waitcnt vmcnt(2) lgkmcnt(0)
	v_mul_f64 v[66:67], v[3:4], v[60:61]
	v_mul_f64 v[60:61], v[1:2], v[60:61]
	s_waitcnt vmcnt(0)
	v_fma_f64 v[1:2], v[1:2], v[64:65], -v[66:67]
	v_fma_f64 v[3:4], v[3:4], v[64:65], v[60:61]
.LBB25_322:
	s_mov_b32 s6, exec_lo
	v_cmpx_ne_u32_e32 15, v0
	s_cbranch_execz .LBB25_326
; %bb.323:
	v_add_nc_u32_e32 v60, 0x1b0, v63
	v_add3_u32 v61, 0, v63, 16
	v_mov_b32_e32 v62, v0
	s_mov_b32 s8, 0
	.p2align	6
.LBB25_324:                             ; =>This Inner Loop Header: Depth=1
	s_clause 0x3
	buffer_load_dword v68, v61, s[0:3], 0 offen offset:8
	buffer_load_dword v69, v61, s[0:3], 0 offen offset:12
	buffer_load_dword v70, v61, s[0:3], 0 offen
	buffer_load_dword v71, v61, s[0:3], 0 offen offset:4
	ds_read_b128 v[64:67], v60
	v_add_nc_u32_e32 v62, 1, v62
	v_add_nc_u32_e32 v60, 16, v60
	;; [unrolled: 1-line block ×3, first 2 shown]
	v_cmp_lt_u32_e32 vcc_lo, 14, v62
	s_or_b32 s8, vcc_lo, s8
	s_waitcnt vmcnt(2) lgkmcnt(0)
	v_mul_f64 v[72:73], v[66:67], v[68:69]
	v_mul_f64 v[68:69], v[64:65], v[68:69]
	s_waitcnt vmcnt(0)
	v_fma_f64 v[64:65], v[64:65], v[70:71], -v[72:73]
	v_fma_f64 v[66:67], v[66:67], v[70:71], v[68:69]
	v_add_f64 v[1:2], v[1:2], v[64:65]
	v_add_f64 v[3:4], v[3:4], v[66:67]
	s_andn2_b32 exec_lo, exec_lo, s8
	s_cbranch_execnz .LBB25_324
; %bb.325:
	s_or_b32 exec_lo, exec_lo, s8
.LBB25_326:
	s_or_b32 exec_lo, exec_lo, s6
	v_mov_b32_e32 v60, 0
	ds_read_b128 v[64:67], v60 offset:256
	s_waitcnt lgkmcnt(0)
	v_mul_f64 v[60:61], v[3:4], v[66:67]
	v_mul_f64 v[66:67], v[1:2], v[66:67]
	v_fma_f64 v[1:2], v[1:2], v[64:65], -v[60:61]
	v_fma_f64 v[3:4], v[3:4], v[64:65], v[66:67]
	buffer_store_dword v2, off, s[0:3], 0 offset:260
	buffer_store_dword v1, off, s[0:3], 0 offset:256
	;; [unrolled: 1-line block ×4, first 2 shown]
.LBB25_327:
	s_or_b32 exec_lo, exec_lo, s4
	v_mov_b32_e32 v4, s16
	s_mov_b32 s4, exec_lo
	s_clause 0x3
	buffer_load_dword v1, v4, s[0:3], 0 offen
	buffer_load_dword v2, v4, s[0:3], 0 offen offset:4
	buffer_load_dword v3, v4, s[0:3], 0 offen offset:8
	;; [unrolled: 1-line block ×3, first 2 shown]
	s_waitcnt vmcnt(0)
	ds_write_b128 v58, v[1:4]
	s_waitcnt lgkmcnt(0)
	s_waitcnt_vscnt null, 0x0
	s_barrier
	buffer_gl0_inv
	v_cmpx_gt_u32_e32 17, v0
	s_cbranch_execz .LBB25_335
; %bb.328:
	ds_read_b128 v[1:4], v58
	v_cmp_ne_u32_e32 vcc_lo, 1, v59
	s_cbranch_vccnz .LBB25_330
; %bb.329:
	s_clause 0x3
	buffer_load_dword v60, v57, s[0:3], 0 offen offset:8
	buffer_load_dword v61, v57, s[0:3], 0 offen offset:12
	buffer_load_dword v64, v57, s[0:3], 0 offen
	buffer_load_dword v65, v57, s[0:3], 0 offen offset:4
	s_waitcnt vmcnt(2) lgkmcnt(0)
	v_mul_f64 v[66:67], v[3:4], v[60:61]
	v_mul_f64 v[60:61], v[1:2], v[60:61]
	s_waitcnt vmcnt(0)
	v_fma_f64 v[1:2], v[1:2], v[64:65], -v[66:67]
	v_fma_f64 v[3:4], v[3:4], v[64:65], v[60:61]
.LBB25_330:
	s_mov_b32 s6, exec_lo
	v_cmpx_ne_u32_e32 16, v0
	s_cbranch_execz .LBB25_334
; %bb.331:
	v_add_nc_u32_e32 v60, 0x1b0, v63
	v_add3_u32 v61, 0, v63, 16
	v_mov_b32_e32 v62, v0
	s_mov_b32 s8, 0
	.p2align	6
.LBB25_332:                             ; =>This Inner Loop Header: Depth=1
	s_clause 0x3
	buffer_load_dword v68, v61, s[0:3], 0 offen offset:8
	buffer_load_dword v69, v61, s[0:3], 0 offen offset:12
	buffer_load_dword v70, v61, s[0:3], 0 offen
	buffer_load_dword v71, v61, s[0:3], 0 offen offset:4
	ds_read_b128 v[64:67], v60
	v_add_nc_u32_e32 v62, 1, v62
	v_add_nc_u32_e32 v60, 16, v60
	;; [unrolled: 1-line block ×3, first 2 shown]
	v_cmp_lt_u32_e32 vcc_lo, 15, v62
	s_or_b32 s8, vcc_lo, s8
	s_waitcnt vmcnt(2) lgkmcnt(0)
	v_mul_f64 v[72:73], v[66:67], v[68:69]
	v_mul_f64 v[68:69], v[64:65], v[68:69]
	s_waitcnt vmcnt(0)
	v_fma_f64 v[64:65], v[64:65], v[70:71], -v[72:73]
	v_fma_f64 v[66:67], v[66:67], v[70:71], v[68:69]
	v_add_f64 v[1:2], v[1:2], v[64:65]
	v_add_f64 v[3:4], v[3:4], v[66:67]
	s_andn2_b32 exec_lo, exec_lo, s8
	s_cbranch_execnz .LBB25_332
; %bb.333:
	s_or_b32 exec_lo, exec_lo, s8
.LBB25_334:
	s_or_b32 exec_lo, exec_lo, s6
	v_mov_b32_e32 v60, 0
	ds_read_b128 v[64:67], v60 offset:272
	s_waitcnt lgkmcnt(0)
	v_mul_f64 v[60:61], v[3:4], v[66:67]
	v_mul_f64 v[66:67], v[1:2], v[66:67]
	v_fma_f64 v[1:2], v[1:2], v[64:65], -v[60:61]
	v_fma_f64 v[3:4], v[3:4], v[64:65], v[66:67]
	buffer_store_dword v2, off, s[0:3], 0 offset:276
	buffer_store_dword v1, off, s[0:3], 0 offset:272
	;; [unrolled: 1-line block ×4, first 2 shown]
.LBB25_335:
	s_or_b32 exec_lo, exec_lo, s4
	v_mov_b32_e32 v4, s15
	s_mov_b32 s4, exec_lo
	s_clause 0x3
	buffer_load_dword v1, v4, s[0:3], 0 offen
	buffer_load_dword v2, v4, s[0:3], 0 offen offset:4
	buffer_load_dword v3, v4, s[0:3], 0 offen offset:8
	;; [unrolled: 1-line block ×3, first 2 shown]
	s_waitcnt vmcnt(0)
	ds_write_b128 v58, v[1:4]
	s_waitcnt lgkmcnt(0)
	s_waitcnt_vscnt null, 0x0
	s_barrier
	buffer_gl0_inv
	v_cmpx_gt_u32_e32 18, v0
	s_cbranch_execz .LBB25_343
; %bb.336:
	ds_read_b128 v[1:4], v58
	v_cmp_ne_u32_e32 vcc_lo, 1, v59
	s_cbranch_vccnz .LBB25_338
; %bb.337:
	s_clause 0x3
	buffer_load_dword v60, v57, s[0:3], 0 offen offset:8
	buffer_load_dword v61, v57, s[0:3], 0 offen offset:12
	buffer_load_dword v64, v57, s[0:3], 0 offen
	buffer_load_dword v65, v57, s[0:3], 0 offen offset:4
	s_waitcnt vmcnt(2) lgkmcnt(0)
	v_mul_f64 v[66:67], v[3:4], v[60:61]
	v_mul_f64 v[60:61], v[1:2], v[60:61]
	s_waitcnt vmcnt(0)
	v_fma_f64 v[1:2], v[1:2], v[64:65], -v[66:67]
	v_fma_f64 v[3:4], v[3:4], v[64:65], v[60:61]
.LBB25_338:
	s_mov_b32 s6, exec_lo
	v_cmpx_ne_u32_e32 17, v0
	s_cbranch_execz .LBB25_342
; %bb.339:
	v_add_nc_u32_e32 v60, 0x1b0, v63
	v_add3_u32 v61, 0, v63, 16
	v_mov_b32_e32 v62, v0
	s_mov_b32 s8, 0
	.p2align	6
.LBB25_340:                             ; =>This Inner Loop Header: Depth=1
	s_clause 0x3
	buffer_load_dword v68, v61, s[0:3], 0 offen offset:8
	buffer_load_dword v69, v61, s[0:3], 0 offen offset:12
	buffer_load_dword v70, v61, s[0:3], 0 offen
	buffer_load_dword v71, v61, s[0:3], 0 offen offset:4
	ds_read_b128 v[64:67], v60
	v_add_nc_u32_e32 v62, 1, v62
	v_add_nc_u32_e32 v60, 16, v60
	;; [unrolled: 1-line block ×3, first 2 shown]
	v_cmp_lt_u32_e32 vcc_lo, 16, v62
	s_or_b32 s8, vcc_lo, s8
	s_waitcnt vmcnt(2) lgkmcnt(0)
	v_mul_f64 v[72:73], v[66:67], v[68:69]
	v_mul_f64 v[68:69], v[64:65], v[68:69]
	s_waitcnt vmcnt(0)
	v_fma_f64 v[64:65], v[64:65], v[70:71], -v[72:73]
	v_fma_f64 v[66:67], v[66:67], v[70:71], v[68:69]
	v_add_f64 v[1:2], v[1:2], v[64:65]
	v_add_f64 v[3:4], v[3:4], v[66:67]
	s_andn2_b32 exec_lo, exec_lo, s8
	s_cbranch_execnz .LBB25_340
; %bb.341:
	s_or_b32 exec_lo, exec_lo, s8
.LBB25_342:
	s_or_b32 exec_lo, exec_lo, s6
	v_mov_b32_e32 v60, 0
	ds_read_b128 v[64:67], v60 offset:288
	s_waitcnt lgkmcnt(0)
	v_mul_f64 v[60:61], v[3:4], v[66:67]
	v_mul_f64 v[66:67], v[1:2], v[66:67]
	v_fma_f64 v[1:2], v[1:2], v[64:65], -v[60:61]
	v_fma_f64 v[3:4], v[3:4], v[64:65], v[66:67]
	buffer_store_dword v2, off, s[0:3], 0 offset:292
	buffer_store_dword v1, off, s[0:3], 0 offset:288
	;; [unrolled: 1-line block ×4, first 2 shown]
.LBB25_343:
	s_or_b32 exec_lo, exec_lo, s4
	v_mov_b32_e32 v4, s14
	s_mov_b32 s4, exec_lo
	s_clause 0x3
	buffer_load_dword v1, v4, s[0:3], 0 offen
	buffer_load_dword v2, v4, s[0:3], 0 offen offset:4
	buffer_load_dword v3, v4, s[0:3], 0 offen offset:8
	;; [unrolled: 1-line block ×3, first 2 shown]
	s_waitcnt vmcnt(0)
	ds_write_b128 v58, v[1:4]
	s_waitcnt lgkmcnt(0)
	s_waitcnt_vscnt null, 0x0
	s_barrier
	buffer_gl0_inv
	v_cmpx_gt_u32_e32 19, v0
	s_cbranch_execz .LBB25_351
; %bb.344:
	ds_read_b128 v[1:4], v58
	v_cmp_ne_u32_e32 vcc_lo, 1, v59
	s_cbranch_vccnz .LBB25_346
; %bb.345:
	s_clause 0x3
	buffer_load_dword v60, v57, s[0:3], 0 offen offset:8
	buffer_load_dword v61, v57, s[0:3], 0 offen offset:12
	buffer_load_dword v64, v57, s[0:3], 0 offen
	buffer_load_dword v65, v57, s[0:3], 0 offen offset:4
	s_waitcnt vmcnt(2) lgkmcnt(0)
	v_mul_f64 v[66:67], v[3:4], v[60:61]
	v_mul_f64 v[60:61], v[1:2], v[60:61]
	s_waitcnt vmcnt(0)
	v_fma_f64 v[1:2], v[1:2], v[64:65], -v[66:67]
	v_fma_f64 v[3:4], v[3:4], v[64:65], v[60:61]
.LBB25_346:
	s_mov_b32 s6, exec_lo
	v_cmpx_ne_u32_e32 18, v0
	s_cbranch_execz .LBB25_350
; %bb.347:
	v_add_nc_u32_e32 v60, 0x1b0, v63
	v_add3_u32 v61, 0, v63, 16
	v_mov_b32_e32 v62, v0
	s_mov_b32 s8, 0
	.p2align	6
.LBB25_348:                             ; =>This Inner Loop Header: Depth=1
	s_clause 0x3
	buffer_load_dword v68, v61, s[0:3], 0 offen offset:8
	buffer_load_dword v69, v61, s[0:3], 0 offen offset:12
	buffer_load_dword v70, v61, s[0:3], 0 offen
	buffer_load_dword v71, v61, s[0:3], 0 offen offset:4
	ds_read_b128 v[64:67], v60
	v_add_nc_u32_e32 v62, 1, v62
	v_add_nc_u32_e32 v60, 16, v60
	;; [unrolled: 1-line block ×3, first 2 shown]
	v_cmp_lt_u32_e32 vcc_lo, 17, v62
	s_or_b32 s8, vcc_lo, s8
	s_waitcnt vmcnt(2) lgkmcnt(0)
	v_mul_f64 v[72:73], v[66:67], v[68:69]
	v_mul_f64 v[68:69], v[64:65], v[68:69]
	s_waitcnt vmcnt(0)
	v_fma_f64 v[64:65], v[64:65], v[70:71], -v[72:73]
	v_fma_f64 v[66:67], v[66:67], v[70:71], v[68:69]
	v_add_f64 v[1:2], v[1:2], v[64:65]
	v_add_f64 v[3:4], v[3:4], v[66:67]
	s_andn2_b32 exec_lo, exec_lo, s8
	s_cbranch_execnz .LBB25_348
; %bb.349:
	s_or_b32 exec_lo, exec_lo, s8
.LBB25_350:
	s_or_b32 exec_lo, exec_lo, s6
	v_mov_b32_e32 v60, 0
	ds_read_b128 v[64:67], v60 offset:304
	s_waitcnt lgkmcnt(0)
	v_mul_f64 v[60:61], v[3:4], v[66:67]
	v_mul_f64 v[66:67], v[1:2], v[66:67]
	v_fma_f64 v[1:2], v[1:2], v[64:65], -v[60:61]
	v_fma_f64 v[3:4], v[3:4], v[64:65], v[66:67]
	buffer_store_dword v2, off, s[0:3], 0 offset:308
	buffer_store_dword v1, off, s[0:3], 0 offset:304
	buffer_store_dword v4, off, s[0:3], 0 offset:316
	buffer_store_dword v3, off, s[0:3], 0 offset:312
.LBB25_351:
	s_or_b32 exec_lo, exec_lo, s4
	v_mov_b32_e32 v4, s13
	s_mov_b32 s4, exec_lo
	s_clause 0x3
	buffer_load_dword v1, v4, s[0:3], 0 offen
	buffer_load_dword v2, v4, s[0:3], 0 offen offset:4
	buffer_load_dword v3, v4, s[0:3], 0 offen offset:8
	;; [unrolled: 1-line block ×3, first 2 shown]
	s_waitcnt vmcnt(0)
	ds_write_b128 v58, v[1:4]
	s_waitcnt lgkmcnt(0)
	s_waitcnt_vscnt null, 0x0
	s_barrier
	buffer_gl0_inv
	v_cmpx_gt_u32_e32 20, v0
	s_cbranch_execz .LBB25_359
; %bb.352:
	ds_read_b128 v[1:4], v58
	v_cmp_ne_u32_e32 vcc_lo, 1, v59
	s_cbranch_vccnz .LBB25_354
; %bb.353:
	s_clause 0x3
	buffer_load_dword v60, v57, s[0:3], 0 offen offset:8
	buffer_load_dword v61, v57, s[0:3], 0 offen offset:12
	buffer_load_dword v64, v57, s[0:3], 0 offen
	buffer_load_dword v65, v57, s[0:3], 0 offen offset:4
	s_waitcnt vmcnt(2) lgkmcnt(0)
	v_mul_f64 v[66:67], v[3:4], v[60:61]
	v_mul_f64 v[60:61], v[1:2], v[60:61]
	s_waitcnt vmcnt(0)
	v_fma_f64 v[1:2], v[1:2], v[64:65], -v[66:67]
	v_fma_f64 v[3:4], v[3:4], v[64:65], v[60:61]
.LBB25_354:
	s_mov_b32 s6, exec_lo
	v_cmpx_ne_u32_e32 19, v0
	s_cbranch_execz .LBB25_358
; %bb.355:
	v_add_nc_u32_e32 v60, 0x1b0, v63
	v_add3_u32 v61, 0, v63, 16
	v_mov_b32_e32 v62, v0
	s_mov_b32 s8, 0
	.p2align	6
.LBB25_356:                             ; =>This Inner Loop Header: Depth=1
	s_clause 0x3
	buffer_load_dword v68, v61, s[0:3], 0 offen offset:8
	buffer_load_dword v69, v61, s[0:3], 0 offen offset:12
	buffer_load_dword v70, v61, s[0:3], 0 offen
	buffer_load_dword v71, v61, s[0:3], 0 offen offset:4
	ds_read_b128 v[64:67], v60
	v_add_nc_u32_e32 v62, 1, v62
	v_add_nc_u32_e32 v60, 16, v60
	;; [unrolled: 1-line block ×3, first 2 shown]
	v_cmp_lt_u32_e32 vcc_lo, 18, v62
	s_or_b32 s8, vcc_lo, s8
	s_waitcnt vmcnt(2) lgkmcnt(0)
	v_mul_f64 v[72:73], v[66:67], v[68:69]
	v_mul_f64 v[68:69], v[64:65], v[68:69]
	s_waitcnt vmcnt(0)
	v_fma_f64 v[64:65], v[64:65], v[70:71], -v[72:73]
	v_fma_f64 v[66:67], v[66:67], v[70:71], v[68:69]
	v_add_f64 v[1:2], v[1:2], v[64:65]
	v_add_f64 v[3:4], v[3:4], v[66:67]
	s_andn2_b32 exec_lo, exec_lo, s8
	s_cbranch_execnz .LBB25_356
; %bb.357:
	s_or_b32 exec_lo, exec_lo, s8
.LBB25_358:
	s_or_b32 exec_lo, exec_lo, s6
	v_mov_b32_e32 v60, 0
	ds_read_b128 v[64:67], v60 offset:320
	s_waitcnt lgkmcnt(0)
	v_mul_f64 v[60:61], v[3:4], v[66:67]
	v_mul_f64 v[66:67], v[1:2], v[66:67]
	v_fma_f64 v[1:2], v[1:2], v[64:65], -v[60:61]
	v_fma_f64 v[3:4], v[3:4], v[64:65], v[66:67]
	buffer_store_dword v2, off, s[0:3], 0 offset:324
	buffer_store_dword v1, off, s[0:3], 0 offset:320
	;; [unrolled: 1-line block ×4, first 2 shown]
.LBB25_359:
	s_or_b32 exec_lo, exec_lo, s4
	v_mov_b32_e32 v4, s12
	s_mov_b32 s4, exec_lo
	s_clause 0x3
	buffer_load_dword v1, v4, s[0:3], 0 offen
	buffer_load_dword v2, v4, s[0:3], 0 offen offset:4
	buffer_load_dword v3, v4, s[0:3], 0 offen offset:8
	;; [unrolled: 1-line block ×3, first 2 shown]
	s_waitcnt vmcnt(0)
	ds_write_b128 v58, v[1:4]
	s_waitcnt lgkmcnt(0)
	s_waitcnt_vscnt null, 0x0
	s_barrier
	buffer_gl0_inv
	v_cmpx_gt_u32_e32 21, v0
	s_cbranch_execz .LBB25_367
; %bb.360:
	ds_read_b128 v[1:4], v58
	v_cmp_ne_u32_e32 vcc_lo, 1, v59
	s_cbranch_vccnz .LBB25_362
; %bb.361:
	s_clause 0x3
	buffer_load_dword v60, v57, s[0:3], 0 offen offset:8
	buffer_load_dword v61, v57, s[0:3], 0 offen offset:12
	buffer_load_dword v64, v57, s[0:3], 0 offen
	buffer_load_dword v65, v57, s[0:3], 0 offen offset:4
	s_waitcnt vmcnt(2) lgkmcnt(0)
	v_mul_f64 v[66:67], v[3:4], v[60:61]
	v_mul_f64 v[60:61], v[1:2], v[60:61]
	s_waitcnt vmcnt(0)
	v_fma_f64 v[1:2], v[1:2], v[64:65], -v[66:67]
	v_fma_f64 v[3:4], v[3:4], v[64:65], v[60:61]
.LBB25_362:
	s_mov_b32 s6, exec_lo
	v_cmpx_ne_u32_e32 20, v0
	s_cbranch_execz .LBB25_366
; %bb.363:
	v_add_nc_u32_e32 v60, 0x1b0, v63
	v_add3_u32 v61, 0, v63, 16
	v_mov_b32_e32 v62, v0
	s_mov_b32 s8, 0
	.p2align	6
.LBB25_364:                             ; =>This Inner Loop Header: Depth=1
	s_clause 0x3
	buffer_load_dword v68, v61, s[0:3], 0 offen offset:8
	buffer_load_dword v69, v61, s[0:3], 0 offen offset:12
	buffer_load_dword v70, v61, s[0:3], 0 offen
	buffer_load_dword v71, v61, s[0:3], 0 offen offset:4
	ds_read_b128 v[64:67], v60
	v_add_nc_u32_e32 v62, 1, v62
	v_add_nc_u32_e32 v60, 16, v60
	v_add_nc_u32_e32 v61, 16, v61
	v_cmp_lt_u32_e32 vcc_lo, 19, v62
	s_or_b32 s8, vcc_lo, s8
	s_waitcnt vmcnt(2) lgkmcnt(0)
	v_mul_f64 v[72:73], v[66:67], v[68:69]
	v_mul_f64 v[68:69], v[64:65], v[68:69]
	s_waitcnt vmcnt(0)
	v_fma_f64 v[64:65], v[64:65], v[70:71], -v[72:73]
	v_fma_f64 v[66:67], v[66:67], v[70:71], v[68:69]
	v_add_f64 v[1:2], v[1:2], v[64:65]
	v_add_f64 v[3:4], v[3:4], v[66:67]
	s_andn2_b32 exec_lo, exec_lo, s8
	s_cbranch_execnz .LBB25_364
; %bb.365:
	s_or_b32 exec_lo, exec_lo, s8
.LBB25_366:
	s_or_b32 exec_lo, exec_lo, s6
	v_mov_b32_e32 v60, 0
	ds_read_b128 v[64:67], v60 offset:336
	s_waitcnt lgkmcnt(0)
	v_mul_f64 v[60:61], v[3:4], v[66:67]
	v_mul_f64 v[66:67], v[1:2], v[66:67]
	v_fma_f64 v[1:2], v[1:2], v[64:65], -v[60:61]
	v_fma_f64 v[3:4], v[3:4], v[64:65], v[66:67]
	buffer_store_dword v2, off, s[0:3], 0 offset:340
	buffer_store_dword v1, off, s[0:3], 0 offset:336
	;; [unrolled: 1-line block ×4, first 2 shown]
.LBB25_367:
	s_or_b32 exec_lo, exec_lo, s4
	v_mov_b32_e32 v4, s11
	s_mov_b32 s4, exec_lo
	s_clause 0x3
	buffer_load_dword v1, v4, s[0:3], 0 offen
	buffer_load_dword v2, v4, s[0:3], 0 offen offset:4
	buffer_load_dword v3, v4, s[0:3], 0 offen offset:8
	;; [unrolled: 1-line block ×3, first 2 shown]
	s_waitcnt vmcnt(0)
	ds_write_b128 v58, v[1:4]
	s_waitcnt lgkmcnt(0)
	s_waitcnt_vscnt null, 0x0
	s_barrier
	buffer_gl0_inv
	v_cmpx_gt_u32_e32 22, v0
	s_cbranch_execz .LBB25_375
; %bb.368:
	ds_read_b128 v[1:4], v58
	v_cmp_ne_u32_e32 vcc_lo, 1, v59
	s_cbranch_vccnz .LBB25_370
; %bb.369:
	s_clause 0x3
	buffer_load_dword v60, v57, s[0:3], 0 offen offset:8
	buffer_load_dword v61, v57, s[0:3], 0 offen offset:12
	buffer_load_dword v64, v57, s[0:3], 0 offen
	buffer_load_dword v65, v57, s[0:3], 0 offen offset:4
	s_waitcnt vmcnt(2) lgkmcnt(0)
	v_mul_f64 v[66:67], v[3:4], v[60:61]
	v_mul_f64 v[60:61], v[1:2], v[60:61]
	s_waitcnt vmcnt(0)
	v_fma_f64 v[1:2], v[1:2], v[64:65], -v[66:67]
	v_fma_f64 v[3:4], v[3:4], v[64:65], v[60:61]
.LBB25_370:
	s_mov_b32 s6, exec_lo
	v_cmpx_ne_u32_e32 21, v0
	s_cbranch_execz .LBB25_374
; %bb.371:
	v_add_nc_u32_e32 v60, 0x1b0, v63
	v_add3_u32 v61, 0, v63, 16
	v_mov_b32_e32 v62, v0
	s_mov_b32 s8, 0
	.p2align	6
.LBB25_372:                             ; =>This Inner Loop Header: Depth=1
	s_clause 0x3
	buffer_load_dword v68, v61, s[0:3], 0 offen offset:8
	buffer_load_dword v69, v61, s[0:3], 0 offen offset:12
	buffer_load_dword v70, v61, s[0:3], 0 offen
	buffer_load_dword v71, v61, s[0:3], 0 offen offset:4
	ds_read_b128 v[64:67], v60
	v_add_nc_u32_e32 v62, 1, v62
	v_add_nc_u32_e32 v60, 16, v60
	;; [unrolled: 1-line block ×3, first 2 shown]
	v_cmp_lt_u32_e32 vcc_lo, 20, v62
	s_or_b32 s8, vcc_lo, s8
	s_waitcnt vmcnt(2) lgkmcnt(0)
	v_mul_f64 v[72:73], v[66:67], v[68:69]
	v_mul_f64 v[68:69], v[64:65], v[68:69]
	s_waitcnt vmcnt(0)
	v_fma_f64 v[64:65], v[64:65], v[70:71], -v[72:73]
	v_fma_f64 v[66:67], v[66:67], v[70:71], v[68:69]
	v_add_f64 v[1:2], v[1:2], v[64:65]
	v_add_f64 v[3:4], v[3:4], v[66:67]
	s_andn2_b32 exec_lo, exec_lo, s8
	s_cbranch_execnz .LBB25_372
; %bb.373:
	s_or_b32 exec_lo, exec_lo, s8
.LBB25_374:
	s_or_b32 exec_lo, exec_lo, s6
	v_mov_b32_e32 v60, 0
	ds_read_b128 v[64:67], v60 offset:352
	s_waitcnt lgkmcnt(0)
	v_mul_f64 v[60:61], v[3:4], v[66:67]
	v_mul_f64 v[66:67], v[1:2], v[66:67]
	v_fma_f64 v[1:2], v[1:2], v[64:65], -v[60:61]
	v_fma_f64 v[3:4], v[3:4], v[64:65], v[66:67]
	buffer_store_dword v2, off, s[0:3], 0 offset:356
	buffer_store_dword v1, off, s[0:3], 0 offset:352
	;; [unrolled: 1-line block ×4, first 2 shown]
.LBB25_375:
	s_or_b32 exec_lo, exec_lo, s4
	v_mov_b32_e32 v4, s10
	s_mov_b32 s4, exec_lo
	s_clause 0x3
	buffer_load_dword v1, v4, s[0:3], 0 offen
	buffer_load_dword v2, v4, s[0:3], 0 offen offset:4
	buffer_load_dword v3, v4, s[0:3], 0 offen offset:8
	;; [unrolled: 1-line block ×3, first 2 shown]
	s_waitcnt vmcnt(0)
	ds_write_b128 v58, v[1:4]
	s_waitcnt lgkmcnt(0)
	s_waitcnt_vscnt null, 0x0
	s_barrier
	buffer_gl0_inv
	v_cmpx_gt_u32_e32 23, v0
	s_cbranch_execz .LBB25_383
; %bb.376:
	ds_read_b128 v[1:4], v58
	v_cmp_ne_u32_e32 vcc_lo, 1, v59
	s_cbranch_vccnz .LBB25_378
; %bb.377:
	s_clause 0x3
	buffer_load_dword v60, v57, s[0:3], 0 offen offset:8
	buffer_load_dword v61, v57, s[0:3], 0 offen offset:12
	buffer_load_dword v64, v57, s[0:3], 0 offen
	buffer_load_dword v65, v57, s[0:3], 0 offen offset:4
	s_waitcnt vmcnt(2) lgkmcnt(0)
	v_mul_f64 v[66:67], v[3:4], v[60:61]
	v_mul_f64 v[60:61], v[1:2], v[60:61]
	s_waitcnt vmcnt(0)
	v_fma_f64 v[1:2], v[1:2], v[64:65], -v[66:67]
	v_fma_f64 v[3:4], v[3:4], v[64:65], v[60:61]
.LBB25_378:
	s_mov_b32 s6, exec_lo
	v_cmpx_ne_u32_e32 22, v0
	s_cbranch_execz .LBB25_382
; %bb.379:
	v_add_nc_u32_e32 v60, 0x1b0, v63
	v_add3_u32 v61, 0, v63, 16
	v_mov_b32_e32 v62, v0
	s_mov_b32 s8, 0
	.p2align	6
.LBB25_380:                             ; =>This Inner Loop Header: Depth=1
	s_clause 0x3
	buffer_load_dword v68, v61, s[0:3], 0 offen offset:8
	buffer_load_dword v69, v61, s[0:3], 0 offen offset:12
	buffer_load_dword v70, v61, s[0:3], 0 offen
	buffer_load_dword v71, v61, s[0:3], 0 offen offset:4
	ds_read_b128 v[64:67], v60
	v_add_nc_u32_e32 v62, 1, v62
	v_add_nc_u32_e32 v60, 16, v60
	;; [unrolled: 1-line block ×3, first 2 shown]
	v_cmp_lt_u32_e32 vcc_lo, 21, v62
	s_or_b32 s8, vcc_lo, s8
	s_waitcnt vmcnt(2) lgkmcnt(0)
	v_mul_f64 v[72:73], v[66:67], v[68:69]
	v_mul_f64 v[68:69], v[64:65], v[68:69]
	s_waitcnt vmcnt(0)
	v_fma_f64 v[64:65], v[64:65], v[70:71], -v[72:73]
	v_fma_f64 v[66:67], v[66:67], v[70:71], v[68:69]
	v_add_f64 v[1:2], v[1:2], v[64:65]
	v_add_f64 v[3:4], v[3:4], v[66:67]
	s_andn2_b32 exec_lo, exec_lo, s8
	s_cbranch_execnz .LBB25_380
; %bb.381:
	s_or_b32 exec_lo, exec_lo, s8
.LBB25_382:
	s_or_b32 exec_lo, exec_lo, s6
	v_mov_b32_e32 v60, 0
	ds_read_b128 v[64:67], v60 offset:368
	s_waitcnt lgkmcnt(0)
	v_mul_f64 v[60:61], v[3:4], v[66:67]
	v_mul_f64 v[66:67], v[1:2], v[66:67]
	v_fma_f64 v[1:2], v[1:2], v[64:65], -v[60:61]
	v_fma_f64 v[3:4], v[3:4], v[64:65], v[66:67]
	buffer_store_dword v2, off, s[0:3], 0 offset:372
	buffer_store_dword v1, off, s[0:3], 0 offset:368
	;; [unrolled: 1-line block ×4, first 2 shown]
.LBB25_383:
	s_or_b32 exec_lo, exec_lo, s4
	v_mov_b32_e32 v4, s9
	v_cmp_gt_u32_e64 s4, 24, v0
	s_clause 0x3
	buffer_load_dword v1, v4, s[0:3], 0 offen
	buffer_load_dword v2, v4, s[0:3], 0 offen offset:4
	buffer_load_dword v3, v4, s[0:3], 0 offen offset:8
	;; [unrolled: 1-line block ×3, first 2 shown]
	s_waitcnt vmcnt(0)
	ds_write_b128 v58, v[1:4]
	s_waitcnt lgkmcnt(0)
	s_waitcnt_vscnt null, 0x0
	s_barrier
	buffer_gl0_inv
	s_and_saveexec_b32 s6, s4
	s_cbranch_execz .LBB25_391
; %bb.384:
	ds_read_b128 v[1:4], v58
	v_cmp_ne_u32_e32 vcc_lo, 1, v59
	s_cbranch_vccnz .LBB25_386
; %bb.385:
	s_clause 0x3
	buffer_load_dword v60, v57, s[0:3], 0 offen offset:8
	buffer_load_dword v61, v57, s[0:3], 0 offen offset:12
	buffer_load_dword v64, v57, s[0:3], 0 offen
	buffer_load_dword v65, v57, s[0:3], 0 offen offset:4
	s_waitcnt vmcnt(2) lgkmcnt(0)
	v_mul_f64 v[66:67], v[3:4], v[60:61]
	v_mul_f64 v[60:61], v[1:2], v[60:61]
	s_waitcnt vmcnt(0)
	v_fma_f64 v[1:2], v[1:2], v[64:65], -v[66:67]
	v_fma_f64 v[3:4], v[3:4], v[64:65], v[60:61]
.LBB25_386:
	s_mov_b32 s8, exec_lo
	v_cmpx_ne_u32_e32 23, v0
	s_cbranch_execz .LBB25_390
; %bb.387:
	v_add_nc_u32_e32 v60, 0x1b0, v63
	v_add3_u32 v61, 0, v63, 16
	v_mov_b32_e32 v62, v0
	s_mov_b32 s34, 0
	.p2align	6
.LBB25_388:                             ; =>This Inner Loop Header: Depth=1
	s_clause 0x3
	buffer_load_dword v68, v61, s[0:3], 0 offen offset:8
	buffer_load_dword v69, v61, s[0:3], 0 offen offset:12
	buffer_load_dword v70, v61, s[0:3], 0 offen
	buffer_load_dword v71, v61, s[0:3], 0 offen offset:4
	ds_read_b128 v[64:67], v60
	v_add_nc_u32_e32 v62, 1, v62
	v_add_nc_u32_e32 v60, 16, v60
	;; [unrolled: 1-line block ×3, first 2 shown]
	v_cmp_lt_u32_e32 vcc_lo, 22, v62
	s_or_b32 s34, vcc_lo, s34
	s_waitcnt vmcnt(2) lgkmcnt(0)
	v_mul_f64 v[72:73], v[66:67], v[68:69]
	v_mul_f64 v[68:69], v[64:65], v[68:69]
	s_waitcnt vmcnt(0)
	v_fma_f64 v[64:65], v[64:65], v[70:71], -v[72:73]
	v_fma_f64 v[66:67], v[66:67], v[70:71], v[68:69]
	v_add_f64 v[1:2], v[1:2], v[64:65]
	v_add_f64 v[3:4], v[3:4], v[66:67]
	s_andn2_b32 exec_lo, exec_lo, s34
	s_cbranch_execnz .LBB25_388
; %bb.389:
	s_or_b32 exec_lo, exec_lo, s34
.LBB25_390:
	s_or_b32 exec_lo, exec_lo, s8
	v_mov_b32_e32 v60, 0
	ds_read_b128 v[64:67], v60 offset:384
	s_waitcnt lgkmcnt(0)
	v_mul_f64 v[60:61], v[3:4], v[66:67]
	v_mul_f64 v[66:67], v[1:2], v[66:67]
	v_fma_f64 v[1:2], v[1:2], v[64:65], -v[60:61]
	v_fma_f64 v[3:4], v[3:4], v[64:65], v[66:67]
	buffer_store_dword v2, off, s[0:3], 0 offset:388
	buffer_store_dword v1, off, s[0:3], 0 offset:384
	;; [unrolled: 1-line block ×4, first 2 shown]
.LBB25_391:
	s_or_b32 exec_lo, exec_lo, s6
	v_mov_b32_e32 v4, s7
	s_mov_b32 s6, exec_lo
                                        ; implicit-def: $sgpr35
	s_clause 0x3
	buffer_load_dword v1, v4, s[0:3], 0 offen
	buffer_load_dword v2, v4, s[0:3], 0 offen offset:4
	buffer_load_dword v3, v4, s[0:3], 0 offen offset:8
	;; [unrolled: 1-line block ×3, first 2 shown]
	s_waitcnt vmcnt(0)
	ds_write_b128 v58, v[1:4]
	s_waitcnt lgkmcnt(0)
	s_waitcnt_vscnt null, 0x0
	s_barrier
	buffer_gl0_inv
                                        ; implicit-def: $vgpr1_vgpr2
	v_cmpx_ne_u32_e32 25, v0
	s_cbranch_execz .LBB25_399
; %bb.392:
	ds_read_b128 v[1:4], v58
	v_cmp_ne_u32_e32 vcc_lo, 1, v59
	s_cbranch_vccnz .LBB25_394
; %bb.393:
	s_clause 0x3
	buffer_load_dword v58, v57, s[0:3], 0 offen offset:8
	buffer_load_dword v59, v57, s[0:3], 0 offen offset:12
	buffer_load_dword v60, v57, s[0:3], 0 offen
	buffer_load_dword v61, v57, s[0:3], 0 offen offset:4
	s_waitcnt vmcnt(2) lgkmcnt(0)
	v_mul_f64 v[64:65], v[3:4], v[58:59]
	v_mul_f64 v[57:58], v[1:2], v[58:59]
	s_waitcnt vmcnt(0)
	v_fma_f64 v[1:2], v[1:2], v[60:61], -v[64:65]
	v_fma_f64 v[3:4], v[3:4], v[60:61], v[57:58]
.LBB25_394:
	s_and_saveexec_b32 s8, s4
	s_cbranch_execz .LBB25_398
; %bb.395:
	v_add_nc_u32_e32 v57, 0x1b0, v63
	v_add3_u32 v58, 0, v63, 16
	s_mov_b32 s4, 0
	.p2align	6
.LBB25_396:                             ; =>This Inner Loop Header: Depth=1
	s_clause 0x3
	buffer_load_dword v63, v58, s[0:3], 0 offen offset:8
	buffer_load_dword v64, v58, s[0:3], 0 offen offset:12
	buffer_load_dword v65, v58, s[0:3], 0 offen
	buffer_load_dword v66, v58, s[0:3], 0 offen offset:4
	ds_read_b128 v[59:62], v57
	v_add_nc_u32_e32 v0, 1, v0
	v_add_nc_u32_e32 v57, 16, v57
	;; [unrolled: 1-line block ×3, first 2 shown]
	v_cmp_lt_u32_e32 vcc_lo, 23, v0
	s_or_b32 s4, vcc_lo, s4
	s_waitcnt vmcnt(2) lgkmcnt(0)
	v_mul_f64 v[67:68], v[61:62], v[63:64]
	v_mul_f64 v[63:64], v[59:60], v[63:64]
	s_waitcnt vmcnt(0)
	v_fma_f64 v[59:60], v[59:60], v[65:66], -v[67:68]
	v_fma_f64 v[61:62], v[61:62], v[65:66], v[63:64]
	v_add_f64 v[1:2], v[1:2], v[59:60]
	v_add_f64 v[3:4], v[3:4], v[61:62]
	s_andn2_b32 exec_lo, exec_lo, s4
	s_cbranch_execnz .LBB25_396
; %bb.397:
	s_or_b32 exec_lo, exec_lo, s4
.LBB25_398:
	s_or_b32 exec_lo, exec_lo, s8
	v_mov_b32_e32 v0, 0
	s_movk_i32 s35, 0x198
	s_or_b32 s5, s5, exec_lo
	ds_read_b128 v[57:60], v0 offset:400
	s_waitcnt lgkmcnt(0)
	v_mul_f64 v[61:62], v[3:4], v[59:60]
	v_mul_f64 v[59:60], v[1:2], v[59:60]
	v_fma_f64 v[61:62], v[1:2], v[57:58], -v[61:62]
	v_fma_f64 v[1:2], v[3:4], v[57:58], v[59:60]
	buffer_store_dword v62, off, s[0:3], 0 offset:404
	buffer_store_dword v61, off, s[0:3], 0 offset:400
.LBB25_399:
	s_or_b32 exec_lo, exec_lo, s6
.LBB25_400:
	s_and_saveexec_b32 s4, s5
	s_cbranch_execz .LBB25_402
; %bb.401:
	v_mov_b32_e32 v0, s35
	buffer_store_dword v2, v0, s[0:3], 0 offen offset:4
	buffer_store_dword v1, v0, s[0:3], 0 offen
.LBB25_402:
	s_or_b32 exec_lo, exec_lo, s4
	v_mov_b32_e32 v3, s33
	v_mov_b32_e32 v64, s29
	;; [unrolled: 1-line block ×5, first 2 shown]
	s_clause 0x17
	buffer_load_dword v0, v3, s[0:3], 0 offen
	buffer_load_dword v1, v3, s[0:3], 0 offen offset:4
	buffer_load_dword v2, v3, s[0:3], 0 offen offset:8
	buffer_load_dword v3, v3, s[0:3], 0 offen offset:12
	buffer_load_dword v57, v60, s[0:3], 0 offen
	buffer_load_dword v58, v60, s[0:3], 0 offen offset:4
	buffer_load_dword v59, v60, s[0:3], 0 offen offset:8
	buffer_load_dword v60, v60, s[0:3], 0 offen offset:12
	;; [unrolled: 4-line block ×5, first 2 shown]
	buffer_load_dword v73, off, s[0:3], 0
	buffer_load_dword v74, off, s[0:3], 0 offset:4
	buffer_load_dword v75, off, s[0:3], 0 offset:8
	buffer_load_dword v76, off, s[0:3], 0 offset:12
	v_mov_b32_e32 v4, s27
	v_mov_b32_e32 v80, s22
	;; [unrolled: 1-line block ×6, first 2 shown]
	s_waitcnt vmcnt(0)
	global_store_dwordx4 v[43:44], v[73:76], off
	v_mov_b32_e32 v44, s26
	s_clause 0x3
	buffer_load_dword v73, v4, s[0:3], 0 offen
	buffer_load_dword v74, v4, s[0:3], 0 offen offset:4
	buffer_load_dword v75, v4, s[0:3], 0 offen offset:8
	;; [unrolled: 1-line block ×3, first 2 shown]
	v_mov_b32_e32 v4, s25
	global_store_dwordx4 v[41:42], v[69:72], off
	s_clause 0x7
	buffer_load_dword v41, v44, s[0:3], 0 offen
	buffer_load_dword v42, v44, s[0:3], 0 offen offset:4
	buffer_load_dword v43, v44, s[0:3], 0 offen offset:8
	buffer_load_dword v44, v44, s[0:3], 0 offen offset:12
	buffer_load_dword v69, v4, s[0:3], 0 offen
	buffer_load_dword v70, v4, s[0:3], 0 offen offset:4
	buffer_load_dword v71, v4, s[0:3], 0 offen offset:8
	buffer_load_dword v72, v4, s[0:3], 0 offen offset:12
	global_store_dwordx4 v[55:56], v[0:3], off
	v_mov_b32_e32 v3, s24
	v_mov_b32_e32 v4, s23
	s_clause 0x3
	buffer_load_dword v0, v3, s[0:3], 0 offen
	buffer_load_dword v1, v3, s[0:3], 0 offen offset:4
	buffer_load_dword v2, v3, s[0:3], 0 offen offset:8
	;; [unrolled: 1-line block ×3, first 2 shown]
	global_store_dwordx4 v[49:50], v[57:60], off
	s_clause 0x7
	buffer_load_dword v55, v4, s[0:3], 0 offen
	buffer_load_dword v56, v4, s[0:3], 0 offen offset:4
	buffer_load_dword v57, v4, s[0:3], 0 offen offset:8
	;; [unrolled: 1-line block ×3, first 2 shown]
	buffer_load_dword v77, v80, s[0:3], 0 offen
	buffer_load_dword v78, v80, s[0:3], 0 offen offset:4
	buffer_load_dword v79, v80, s[0:3], 0 offen offset:8
	;; [unrolled: 1-line block ×3, first 2 shown]
	v_mov_b32_e32 v4, s21
	global_store_dwordx4 v[51:52], v[61:64], off
	s_clause 0x3
	buffer_load_dword v49, v4, s[0:3], 0 offen
	buffer_load_dword v50, v4, s[0:3], 0 offen offset:4
	buffer_load_dword v51, v4, s[0:3], 0 offen offset:8
	;; [unrolled: 1-line block ×3, first 2 shown]
	v_mov_b32_e32 v4, s20
	global_store_dwordx4 v[53:54], v[65:68], off
	s_clause 0x3
	buffer_load_dword v59, v4, s[0:3], 0 offen
	buffer_load_dword v60, v4, s[0:3], 0 offen offset:4
	buffer_load_dword v61, v4, s[0:3], 0 offen offset:8
	;; [unrolled: 1-line block ×3, first 2 shown]
	v_mov_b32_e32 v4, s19
	v_mov_b32_e32 v54, s17
	;; [unrolled: 1-line block ×3, first 2 shown]
	s_waitcnt vmcnt(28)
	global_store_dwordx4 v[39:40], v[73:76], off
	v_mov_b32_e32 v73, s15
	v_mov_b32_e32 v75, s13
	s_waitcnt vmcnt(24)
	global_store_dwordx4 v[23:24], v[41:44], off
	s_waitcnt vmcnt(20)
	global_store_dwordx4 v[7:8], v[69:72], off
	v_mov_b32_e32 v23, s9
	s_clause 0x7
	buffer_load_dword v39, v4, s[0:3], 0 offen
	buffer_load_dword v40, v4, s[0:3], 0 offen offset:4
	buffer_load_dword v41, v4, s[0:3], 0 offen offset:8
	;; [unrolled: 1-line block ×3, first 2 shown]
	buffer_load_dword v63, v53, s[0:3], 0 offen
	buffer_load_dword v64, v53, s[0:3], 0 offen offset:4
	buffer_load_dword v65, v53, s[0:3], 0 offen offset:8
	;; [unrolled: 1-line block ×3, first 2 shown]
	v_mov_b32_e32 v74, s14
	v_mov_b32_e32 v24, s7
	s_waitcnt vmcnt(24)
	global_store_dwordx4 v[13:14], v[0:3], off
	s_clause 0x7
	buffer_load_dword v0, v54, s[0:3], 0 offen
	buffer_load_dword v1, v54, s[0:3], 0 offen offset:4
	buffer_load_dword v2, v54, s[0:3], 0 offen offset:8
	buffer_load_dword v3, v54, s[0:3], 0 offen offset:12
	buffer_load_dword v67, v81, s[0:3], 0 offen
	buffer_load_dword v68, v81, s[0:3], 0 offen offset:4
	buffer_load_dword v69, v81, s[0:3], 0 offen offset:8
	buffer_load_dword v70, v81, s[0:3], 0 offen offset:12
	s_waitcnt vmcnt(28)
	global_store_dwordx4 v[15:16], v[55:58], off
	s_clause 0x7
	buffer_load_dword v13, v73, s[0:3], 0 offen
	buffer_load_dword v14, v73, s[0:3], 0 offen offset:4
	buffer_load_dword v15, v73, s[0:3], 0 offen offset:8
	buffer_load_dword v16, v73, s[0:3], 0 offen offset:12
	buffer_load_dword v53, v74, s[0:3], 0 offen
	buffer_load_dword v54, v74, s[0:3], 0 offen offset:4
	buffer_load_dword v55, v74, s[0:3], 0 offen offset:8
	buffer_load_dword v56, v74, s[0:3], 0 offen offset:12
	;; [unrolled: 11-line block ×5, first 2 shown]
	s_waitcnt vmcnt(44)
	global_store_dwordx4 v[19:20], v[39:42], off
	s_waitcnt vmcnt(40)
	global_store_dwordx4 v[21:22], v[63:66], off
	;; [unrolled: 2-line block ×12, first 2 shown]
.LBB25_403:
	s_endpgm
	.section	.rodata,"a",@progbits
	.p2align	6, 0x0
	.amdhsa_kernel _ZN9rocsolver6v33100L18trti2_kernel_smallILi26E19rocblas_complex_numIdEPS3_EEv13rocblas_fill_17rocblas_diagonal_T1_iil
		.amdhsa_group_segment_fixed_size 832
		.amdhsa_private_segment_fixed_size 432
		.amdhsa_kernarg_size 32
		.amdhsa_user_sgpr_count 6
		.amdhsa_user_sgpr_private_segment_buffer 1
		.amdhsa_user_sgpr_dispatch_ptr 0
		.amdhsa_user_sgpr_queue_ptr 0
		.amdhsa_user_sgpr_kernarg_segment_ptr 1
		.amdhsa_user_sgpr_dispatch_id 0
		.amdhsa_user_sgpr_flat_scratch_init 0
		.amdhsa_user_sgpr_private_segment_size 0
		.amdhsa_wavefront_size32 1
		.amdhsa_uses_dynamic_stack 0
		.amdhsa_system_sgpr_private_segment_wavefront_offset 1
		.amdhsa_system_sgpr_workgroup_id_x 1
		.amdhsa_system_sgpr_workgroup_id_y 0
		.amdhsa_system_sgpr_workgroup_id_z 0
		.amdhsa_system_sgpr_workgroup_info 0
		.amdhsa_system_vgpr_workitem_id 0
		.amdhsa_next_free_vgpr 85
		.amdhsa_next_free_sgpr 44
		.amdhsa_reserve_vcc 1
		.amdhsa_reserve_flat_scratch 0
		.amdhsa_float_round_mode_32 0
		.amdhsa_float_round_mode_16_64 0
		.amdhsa_float_denorm_mode_32 3
		.amdhsa_float_denorm_mode_16_64 3
		.amdhsa_dx10_clamp 1
		.amdhsa_ieee_mode 1
		.amdhsa_fp16_overflow 0
		.amdhsa_workgroup_processor_mode 1
		.amdhsa_memory_ordered 1
		.amdhsa_forward_progress 1
		.amdhsa_shared_vgpr_count 0
		.amdhsa_exception_fp_ieee_invalid_op 0
		.amdhsa_exception_fp_denorm_src 0
		.amdhsa_exception_fp_ieee_div_zero 0
		.amdhsa_exception_fp_ieee_overflow 0
		.amdhsa_exception_fp_ieee_underflow 0
		.amdhsa_exception_fp_ieee_inexact 0
		.amdhsa_exception_int_div_zero 0
	.end_amdhsa_kernel
	.section	.text._ZN9rocsolver6v33100L18trti2_kernel_smallILi26E19rocblas_complex_numIdEPS3_EEv13rocblas_fill_17rocblas_diagonal_T1_iil,"axG",@progbits,_ZN9rocsolver6v33100L18trti2_kernel_smallILi26E19rocblas_complex_numIdEPS3_EEv13rocblas_fill_17rocblas_diagonal_T1_iil,comdat
.Lfunc_end25:
	.size	_ZN9rocsolver6v33100L18trti2_kernel_smallILi26E19rocblas_complex_numIdEPS3_EEv13rocblas_fill_17rocblas_diagonal_T1_iil, .Lfunc_end25-_ZN9rocsolver6v33100L18trti2_kernel_smallILi26E19rocblas_complex_numIdEPS3_EEv13rocblas_fill_17rocblas_diagonal_T1_iil
                                        ; -- End function
	.set _ZN9rocsolver6v33100L18trti2_kernel_smallILi26E19rocblas_complex_numIdEPS3_EEv13rocblas_fill_17rocblas_diagonal_T1_iil.num_vgpr, 85
	.set _ZN9rocsolver6v33100L18trti2_kernel_smallILi26E19rocblas_complex_numIdEPS3_EEv13rocblas_fill_17rocblas_diagonal_T1_iil.num_agpr, 0
	.set _ZN9rocsolver6v33100L18trti2_kernel_smallILi26E19rocblas_complex_numIdEPS3_EEv13rocblas_fill_17rocblas_diagonal_T1_iil.numbered_sgpr, 44
	.set _ZN9rocsolver6v33100L18trti2_kernel_smallILi26E19rocblas_complex_numIdEPS3_EEv13rocblas_fill_17rocblas_diagonal_T1_iil.num_named_barrier, 0
	.set _ZN9rocsolver6v33100L18trti2_kernel_smallILi26E19rocblas_complex_numIdEPS3_EEv13rocblas_fill_17rocblas_diagonal_T1_iil.private_seg_size, 432
	.set _ZN9rocsolver6v33100L18trti2_kernel_smallILi26E19rocblas_complex_numIdEPS3_EEv13rocblas_fill_17rocblas_diagonal_T1_iil.uses_vcc, 1
	.set _ZN9rocsolver6v33100L18trti2_kernel_smallILi26E19rocblas_complex_numIdEPS3_EEv13rocblas_fill_17rocblas_diagonal_T1_iil.uses_flat_scratch, 0
	.set _ZN9rocsolver6v33100L18trti2_kernel_smallILi26E19rocblas_complex_numIdEPS3_EEv13rocblas_fill_17rocblas_diagonal_T1_iil.has_dyn_sized_stack, 0
	.set _ZN9rocsolver6v33100L18trti2_kernel_smallILi26E19rocblas_complex_numIdEPS3_EEv13rocblas_fill_17rocblas_diagonal_T1_iil.has_recursion, 0
	.set _ZN9rocsolver6v33100L18trti2_kernel_smallILi26E19rocblas_complex_numIdEPS3_EEv13rocblas_fill_17rocblas_diagonal_T1_iil.has_indirect_call, 0
	.section	.AMDGPU.csdata,"",@progbits
; Kernel info:
; codeLenInByte = 26100
; TotalNumSgprs: 46
; NumVgprs: 85
; ScratchSize: 432
; MemoryBound: 0
; FloatMode: 240
; IeeeMode: 1
; LDSByteSize: 832 bytes/workgroup (compile time only)
; SGPRBlocks: 0
; VGPRBlocks: 10
; NumSGPRsForWavesPerEU: 46
; NumVGPRsForWavesPerEU: 85
; Occupancy: 10
; WaveLimiterHint : 0
; COMPUTE_PGM_RSRC2:SCRATCH_EN: 1
; COMPUTE_PGM_RSRC2:USER_SGPR: 6
; COMPUTE_PGM_RSRC2:TRAP_HANDLER: 0
; COMPUTE_PGM_RSRC2:TGID_X_EN: 1
; COMPUTE_PGM_RSRC2:TGID_Y_EN: 0
; COMPUTE_PGM_RSRC2:TGID_Z_EN: 0
; COMPUTE_PGM_RSRC2:TIDIG_COMP_CNT: 0
	.section	.text._ZN9rocsolver6v33100L18trti2_kernel_smallILi27E19rocblas_complex_numIdEPS3_EEv13rocblas_fill_17rocblas_diagonal_T1_iil,"axG",@progbits,_ZN9rocsolver6v33100L18trti2_kernel_smallILi27E19rocblas_complex_numIdEPS3_EEv13rocblas_fill_17rocblas_diagonal_T1_iil,comdat
	.globl	_ZN9rocsolver6v33100L18trti2_kernel_smallILi27E19rocblas_complex_numIdEPS3_EEv13rocblas_fill_17rocblas_diagonal_T1_iil ; -- Begin function _ZN9rocsolver6v33100L18trti2_kernel_smallILi27E19rocblas_complex_numIdEPS3_EEv13rocblas_fill_17rocblas_diagonal_T1_iil
	.p2align	8
	.type	_ZN9rocsolver6v33100L18trti2_kernel_smallILi27E19rocblas_complex_numIdEPS3_EEv13rocblas_fill_17rocblas_diagonal_T1_iil,@function
_ZN9rocsolver6v33100L18trti2_kernel_smallILi27E19rocblas_complex_numIdEPS3_EEv13rocblas_fill_17rocblas_diagonal_T1_iil: ; @_ZN9rocsolver6v33100L18trti2_kernel_smallILi27E19rocblas_complex_numIdEPS3_EEv13rocblas_fill_17rocblas_diagonal_T1_iil
; %bb.0:
	s_add_u32 s0, s0, s7
	s_addc_u32 s1, s1, 0
	s_mov_b32 s7, exec_lo
	v_cmpx_gt_u32_e32 27, v0
	s_cbranch_execz .LBB26_419
; %bb.1:
	s_load_dwordx8 s[8:15], s[4:5], 0x0
	s_ashr_i32 s4, s6, 31
	v_lshlrev_b32_e32 v65, 4, v0
	s_movk_i32 s16, 0xf0
	s_movk_i32 s17, 0x100
	;; [unrolled: 1-line block ×12, first 2 shown]
	s_waitcnt lgkmcnt(0)
	s_mul_hi_u32 s5, s14, s6
	s_mul_i32 s4, s14, s4
	s_mul_i32 s7, s15, s6
	s_add_i32 s5, s5, s4
	s_mul_i32 s4, s14, s6
	s_add_i32 s5, s5, s7
	s_ashr_i32 s7, s12, 31
	s_lshl_b64 s[4:5], s[4:5], 4
	s_mov_b32 s6, s12
	s_add_u32 s10, s10, s4
	s_addc_u32 s11, s11, s5
	s_lshl_b64 s[4:5], s[6:7], 4
	s_mov_b32 s6, s13
	s_add_u32 s4, s10, s4
	s_addc_u32 s5, s11, s5
	v_add_co_u32 v5, s10, s4, v65
	s_ashr_i32 s7, s13, 31
	v_add_co_ci_u32_e64 v6, null, s5, 0, s10
	s_lshl_b64 s[6:7], s[6:7], 4
	global_load_dwordx4 v[1:4], v65, s[4:5]
	v_add_co_u32 v7, vcc_lo, v5, s6
	v_add_co_ci_u32_e64 v8, null, s7, v6, vcc_lo
	v_add3_u32 v9, s13, s13, v0
	s_cmpk_lg_i32 s9, 0x84
	s_movk_i32 s6, 0x70
	global_load_dwordx4 v[59:62], v[7:8], off
	s_movk_i32 s7, 0x80
	v_add_nc_u32_e32 v11, s13, v9
	v_ashrrev_i32_e32 v10, 31, v9
	s_movk_i32 s10, 0x90
	s_movk_i32 s11, 0xa0
	;; [unrolled: 1-line block ×3, first 2 shown]
	v_add_nc_u32_e32 v13, s13, v11
	v_lshlrev_b64 v[9:10], 4, v[9:10]
	v_ashrrev_i32_e32 v12, 31, v11
	s_movk_i32 s14, 0xd0
	s_movk_i32 s15, 0xe0
	v_ashrrev_i32_e32 v14, 31, v13
	v_add_nc_u32_e32 v15, s13, v13
	v_lshlrev_b64 v[11:12], 4, v[11:12]
	v_add_co_u32 v49, vcc_lo, s4, v9
	v_add_co_ci_u32_e64 v50, null, s5, v10, vcc_lo
	v_lshlrev_b64 v[9:10], 4, v[13:14]
	v_add_nc_u32_e32 v13, s13, v15
	v_ashrrev_i32_e32 v16, 31, v15
	v_add_co_u32 v47, vcc_lo, s4, v11
	v_add_co_ci_u32_e64 v48, null, s5, v12, vcc_lo
	v_ashrrev_i32_e32 v14, 31, v13
	v_lshlrev_b64 v[11:12], 4, v[15:16]
	global_load_dwordx4 v[66:69], v[49:50], off
	v_add_co_u32 v41, vcc_lo, s4, v9
	v_add_co_ci_u32_e64 v42, null, s5, v10, vcc_lo
	v_lshlrev_b64 v[9:10], 4, v[13:14]
	global_load_dwordx4 v[70:73], v[47:48], off
	v_add_co_u32 v43, vcc_lo, s4, v11
	v_add_co_ci_u32_e64 v44, null, s5, v12, vcc_lo
	global_load_dwordx4 v[74:77], v[41:42], off
	v_add_co_u32 v39, vcc_lo, s4, v9
	v_add_co_ci_u32_e64 v40, null, s5, v10, vcc_lo
	v_add_nc_u32_e32 v15, s13, v13
	s_cselect_b32 s34, -1, 0
	s_cmpk_eq_i32 s9, 0x84
	s_waitcnt vmcnt(4)
	buffer_store_dword v4, off, s[0:3], 0 offset:12
	buffer_store_dword v3, off, s[0:3], 0 offset:8
	;; [unrolled: 1-line block ×3, first 2 shown]
	buffer_store_dword v1, off, s[0:3], 0
	global_load_dwordx4 v[1:4], v[43:44], off
	v_ashrrev_i32_e32 v16, 31, v15
	v_add_nc_u32_e32 v13, s13, v15
	s_waitcnt vmcnt(4)
	buffer_store_dword v62, off, s[0:3], 0 offset:28
	buffer_store_dword v61, off, s[0:3], 0 offset:24
	;; [unrolled: 1-line block ×4, first 2 shown]
	global_load_dwordx4 v[59:62], v[39:40], off
	v_lshlrev_b64 v[11:12], 4, v[15:16]
	v_ashrrev_i32_e32 v14, 31, v13
	v_add_nc_u32_e32 v15, s13, v13
	s_waitcnt vmcnt(4)
	buffer_store_dword v69, off, s[0:3], 0 offset:44
	buffer_store_dword v68, off, s[0:3], 0 offset:40
	;; [unrolled: 1-line block ×4, first 2 shown]
	v_lshlrev_b64 v[9:10], 4, v[13:14]
	v_ashrrev_i32_e32 v16, 31, v15
	v_add_nc_u32_e32 v13, s13, v15
	v_add_co_u32 v35, vcc_lo, s4, v11
	v_add_co_ci_u32_e64 v36, null, s5, v12, vcc_lo
	v_lshlrev_b64 v[11:12], 4, v[15:16]
	v_add_nc_u32_e32 v15, s13, v13
	v_ashrrev_i32_e32 v14, 31, v13
	v_add_co_u32 v33, vcc_lo, s4, v9
	v_add_co_ci_u32_e64 v34, null, s5, v10, vcc_lo
	v_ashrrev_i32_e32 v16, 31, v15
	v_lshlrev_b64 v[9:10], 4, v[13:14]
	global_load_dwordx4 v[66:69], v[35:36], off
	v_add_co_u32 v29, vcc_lo, s4, v11
	v_add_co_ci_u32_e64 v30, null, s5, v12, vcc_lo
	v_lshlrev_b64 v[11:12], 4, v[15:16]
	s_waitcnt vmcnt(4)
	buffer_store_dword v73, off, s[0:3], 0 offset:60
	buffer_store_dword v72, off, s[0:3], 0 offset:56
	;; [unrolled: 1-line block ×4, first 2 shown]
	global_load_dwordx4 v[70:73], v[33:34], off
	v_add_co_u32 v25, vcc_lo, s4, v9
	v_add_co_ci_u32_e64 v26, null, s5, v10, vcc_lo
	s_waitcnt vmcnt(4)
	buffer_store_dword v77, off, s[0:3], 0 offset:76
	buffer_store_dword v76, off, s[0:3], 0 offset:72
	;; [unrolled: 1-line block ×4, first 2 shown]
	global_load_dwordx4 v[74:77], v[29:30], off
	v_add_co_u32 v21, vcc_lo, s4, v11
	v_add_co_ci_u32_e64 v22, null, s5, v12, vcc_lo
	v_add_nc_u32_e32 v13, s13, v15
	s_waitcnt vmcnt(4)
	buffer_store_dword v4, off, s[0:3], 0 offset:92
	buffer_store_dword v3, off, s[0:3], 0 offset:88
	buffer_store_dword v2, off, s[0:3], 0 offset:84
	buffer_store_dword v1, off, s[0:3], 0 offset:80
	global_load_dwordx4 v[1:4], v[25:26], off
	v_ashrrev_i32_e32 v14, 31, v13
	v_add_nc_u32_e32 v15, s13, v13
	s_waitcnt vmcnt(4)
	buffer_store_dword v62, off, s[0:3], 0 offset:108
	buffer_store_dword v61, off, s[0:3], 0 offset:104
	;; [unrolled: 1-line block ×4, first 2 shown]
	global_load_dwordx4 v[59:62], v[21:22], off
	v_lshlrev_b64 v[9:10], 4, v[13:14]
	v_ashrrev_i32_e32 v16, 31, v15
	v_add_nc_u32_e32 v13, s13, v15
	s_waitcnt vmcnt(4)
	buffer_store_dword v69, off, s[0:3], 0 offset:124
	buffer_store_dword v68, off, s[0:3], 0 offset:120
	;; [unrolled: 1-line block ×4, first 2 shown]
	v_lshlrev_b64 v[11:12], 4, v[15:16]
	v_add_nc_u32_e32 v15, s13, v13
	v_ashrrev_i32_e32 v14, 31, v13
	v_add_co_u32 v17, vcc_lo, s4, v9
	v_add_co_ci_u32_e64 v18, null, s5, v10, vcc_lo
	v_add_nc_u32_e32 v19, s13, v15
	v_ashrrev_i32_e32 v16, 31, v15
	v_lshlrev_b64 v[9:10], 4, v[13:14]
	v_add_co_u32 v13, vcc_lo, s4, v11
	v_ashrrev_i32_e32 v20, 31, v19
	v_add_co_ci_u32_e64 v14, null, s5, v12, vcc_lo
	v_lshlrev_b64 v[11:12], 4, v[15:16]
	v_add_nc_u32_e32 v15, s13, v19
	global_load_dwordx4 v[66:69], v[17:18], off
	v_add_co_u32 v9, vcc_lo, s4, v9
	v_add_co_ci_u32_e64 v10, null, s5, v10, vcc_lo
	v_lshlrev_b64 v[19:20], 4, v[19:20]
	s_waitcnt vmcnt(4)
	buffer_store_dword v73, off, s[0:3], 0 offset:140
	buffer_store_dword v72, off, s[0:3], 0 offset:136
	buffer_store_dword v71, off, s[0:3], 0 offset:132
	buffer_store_dword v70, off, s[0:3], 0 offset:128
	v_ashrrev_i32_e32 v16, 31, v15
	global_load_dwordx4 v[70:73], v[13:14], off
	v_add_co_u32 v11, vcc_lo, s4, v11
	v_add_co_ci_u32_e64 v12, null, s5, v12, vcc_lo
	s_waitcnt vmcnt(4)
	buffer_store_dword v74, off, s[0:3], 0 offset:144
	buffer_store_dword v75, off, s[0:3], 0 offset:148
	;; [unrolled: 1-line block ×4, first 2 shown]
	global_load_dwordx4 v[74:77], v[9:10], off
	v_add_nc_u32_e32 v23, s13, v15
	v_lshlrev_b64 v[27:28], 4, v[15:16]
	v_add_co_u32 v15, vcc_lo, s4, v19
	v_add_co_ci_u32_e64 v16, null, s5, v20, vcc_lo
	v_add_nc_u32_e32 v31, s13, v23
	v_ashrrev_i32_e32 v24, 31, v23
	v_add_co_u32 v19, vcc_lo, s4, v27
	v_add_co_ci_u32_e64 v20, null, s5, v28, vcc_lo
	v_ashrrev_i32_e32 v32, 31, v31
	v_add_nc_u32_e32 v37, s13, v31
	v_lshlrev_b64 v[23:24], 4, v[23:24]
	s_waitcnt vmcnt(4)
	buffer_store_dword v1, off, s[0:3], 0 offset:160
	buffer_store_dword v2, off, s[0:3], 0 offset:164
	buffer_store_dword v3, off, s[0:3], 0 offset:168
	buffer_store_dword v4, off, s[0:3], 0 offset:172
	global_load_dwordx4 v[1:4], v[11:12], off
	v_lshlrev_b64 v[27:28], 4, v[31:32]
	v_add_nc_u32_e32 v31, s13, v37
	s_waitcnt vmcnt(4)
	buffer_store_dword v59, off, s[0:3], 0 offset:176
	buffer_store_dword v60, off, s[0:3], 0 offset:180
	buffer_store_dword v61, off, s[0:3], 0 offset:184
	buffer_store_dword v62, off, s[0:3], 0 offset:188
	global_load_dwordx4 v[59:62], v[15:16], off
	v_ashrrev_i32_e32 v38, 31, v37
	v_add_co_u32 v23, vcc_lo, s4, v23
	v_ashrrev_i32_e32 v32, 31, v31
	v_add_co_ci_u32_e64 v24, null, s5, v24, vcc_lo
	v_lshlrev_b64 v[37:38], 4, v[37:38]
	s_waitcnt vmcnt(4)
	buffer_store_dword v69, off, s[0:3], 0 offset:204
	buffer_store_dword v68, off, s[0:3], 0 offset:200
	;; [unrolled: 1-line block ×4, first 2 shown]
	global_load_dwordx4 v[66:69], v[19:20], off
	v_add_co_u32 v27, vcc_lo, s4, v27
	v_add_co_ci_u32_e64 v28, null, s5, v28, vcc_lo
	v_lshlrev_b64 v[51:52], 4, v[31:32]
	s_waitcnt vmcnt(4)
	buffer_store_dword v73, off, s[0:3], 0 offset:220
	buffer_store_dword v72, off, s[0:3], 0 offset:216
	;; [unrolled: 1-line block ×4, first 2 shown]
	global_load_dwordx4 v[70:73], v[23:24], off
	v_add_nc_u32_e32 v45, s13, v31
	v_add_co_u32 v31, vcc_lo, s4, v37
	v_add_co_ci_u32_e64 v32, null, s5, v38, vcc_lo
	s_waitcnt vmcnt(4)
	buffer_store_dword v77, off, s[0:3], 0 offset:236
	buffer_store_dword v76, off, s[0:3], 0 offset:232
	;; [unrolled: 1-line block ×4, first 2 shown]
	global_load_dwordx4 v[74:77], v[27:28], off
	v_add_co_u32 v37, vcc_lo, s4, v51
	v_add_co_ci_u32_e64 v38, null, s5, v52, vcc_lo
	v_add_nc_u32_e32 v53, s13, v45
	v_ashrrev_i32_e32 v46, 31, v45
	s_waitcnt vmcnt(4)
	buffer_store_dword v4, off, s[0:3], 0 offset:252
	buffer_store_dword v3, off, s[0:3], 0 offset:248
	;; [unrolled: 1-line block ×4, first 2 shown]
	global_load_dwordx4 v[1:4], v[31:32], off
	v_ashrrev_i32_e32 v54, 31, v53
	v_add_nc_u32_e32 v55, s13, v53
	s_waitcnt vmcnt(4)
	buffer_store_dword v62, off, s[0:3], 0 offset:268
	buffer_store_dword v61, off, s[0:3], 0 offset:264
	;; [unrolled: 1-line block ×4, first 2 shown]
	global_load_dwordx4 v[59:62], v[37:38], off
	v_lshlrev_b64 v[45:46], 4, v[45:46]
	v_lshlrev_b64 v[51:52], 4, v[53:54]
	v_add_nc_u32_e32 v53, s13, v55
	v_ashrrev_i32_e32 v56, 31, v55
	s_waitcnt vmcnt(4)
	buffer_store_dword v69, off, s[0:3], 0 offset:284
	buffer_store_dword v68, off, s[0:3], 0 offset:280
	;; [unrolled: 1-line block ×4, first 2 shown]
	v_add_co_u32 v45, vcc_lo, s4, v45
	v_add_nc_u32_e32 v57, s13, v53
	v_ashrrev_i32_e32 v54, 31, v53
	v_add_co_ci_u32_e64 v46, null, s5, v46, vcc_lo
	v_lshlrev_b64 v[55:56], 4, v[55:56]
	v_add_co_u32 v51, vcc_lo, s4, v51
	v_ashrrev_i32_e32 v58, 31, v57
	v_add_co_ci_u32_e64 v52, null, s5, v52, vcc_lo
	v_lshlrev_b64 v[63:64], 4, v[53:54]
	global_load_dwordx4 v[66:69], v[45:46], off
	v_add_co_u32 v53, vcc_lo, s4, v55
	v_add_co_ci_u32_e64 v54, null, s5, v56, vcc_lo
	v_lshlrev_b64 v[55:56], 4, v[57:58]
	s_waitcnt vmcnt(4)
	buffer_store_dword v73, off, s[0:3], 0 offset:300
	buffer_store_dword v72, off, s[0:3], 0 offset:296
	;; [unrolled: 1-line block ×4, first 2 shown]
	global_load_dwordx4 v[70:73], v[51:52], off
	v_add_co_u32 v57, vcc_lo, s4, v63
	v_add_co_ci_u32_e64 v58, null, s5, v64, vcc_lo
	s_waitcnt vmcnt(4)
	buffer_store_dword v77, off, s[0:3], 0 offset:316
	buffer_store_dword v76, off, s[0:3], 0 offset:312
	;; [unrolled: 1-line block ×4, first 2 shown]
	global_load_dwordx4 v[74:77], v[53:54], off
	v_add_co_u32 v55, vcc_lo, s4, v55
	v_add_co_ci_u32_e64 v56, null, s5, v56, vcc_lo
	s_movk_i32 s4, 0x50
	s_movk_i32 s5, 0x60
	;; [unrolled: 1-line block ×3, first 2 shown]
	s_waitcnt vmcnt(4)
	buffer_store_dword v4, off, s[0:3], 0 offset:332
	buffer_store_dword v3, off, s[0:3], 0 offset:328
	;; [unrolled: 1-line block ×4, first 2 shown]
	global_load_dwordx4 v[1:4], v[57:58], off
	s_waitcnt vmcnt(4)
	buffer_store_dword v62, off, s[0:3], 0 offset:348
	buffer_store_dword v61, off, s[0:3], 0 offset:344
	;; [unrolled: 1-line block ×4, first 2 shown]
	global_load_dwordx4 v[59:62], v[55:56], off
	s_waitcnt vmcnt(4)
	buffer_store_dword v69, off, s[0:3], 0 offset:364
	buffer_store_dword v68, off, s[0:3], 0 offset:360
	buffer_store_dword v67, off, s[0:3], 0 offset:356
	buffer_store_dword v66, off, s[0:3], 0 offset:352
	s_waitcnt vmcnt(3)
	buffer_store_dword v73, off, s[0:3], 0 offset:380
	buffer_store_dword v72, off, s[0:3], 0 offset:376
	buffer_store_dword v71, off, s[0:3], 0 offset:372
	buffer_store_dword v70, off, s[0:3], 0 offset:368
	;; [unrolled: 5-line block ×5, first 2 shown]
	s_cbranch_scc1 .LBB26_7
; %bb.2:
	v_lshl_add_u32 v66, v0, 4, 0
                                        ; implicit-def: $vgpr61_vgpr62
                                        ; implicit-def: $vgpr3_vgpr4
	s_clause 0x3
	buffer_load_dword v59, v66, s[0:3], 0 offen
	buffer_load_dword v60, v66, s[0:3], 0 offen offset:4
	buffer_load_dword v63, v66, s[0:3], 0 offen offset:8
	;; [unrolled: 1-line block ×3, first 2 shown]
	s_waitcnt vmcnt(0)
	v_cmp_ngt_f64_e64 s9, |v[59:60]|, |v[63:64]|
	s_and_saveexec_b32 s18, s9
	s_xor_b32 s9, exec_lo, s18
	s_cbranch_execz .LBB26_4
; %bb.3:
	v_div_scale_f64 v[1:2], null, v[63:64], v[63:64], v[59:60]
	v_div_scale_f64 v[67:68], vcc_lo, v[59:60], v[63:64], v[59:60]
	v_rcp_f64_e32 v[3:4], v[1:2]
	v_fma_f64 v[61:62], -v[1:2], v[3:4], 1.0
	v_fma_f64 v[3:4], v[3:4], v[61:62], v[3:4]
	v_fma_f64 v[61:62], -v[1:2], v[3:4], 1.0
	v_fma_f64 v[3:4], v[3:4], v[61:62], v[3:4]
	v_mul_f64 v[61:62], v[67:68], v[3:4]
	v_fma_f64 v[1:2], -v[1:2], v[61:62], v[67:68]
	v_div_fmas_f64 v[1:2], v[1:2], v[3:4], v[61:62]
	v_div_fixup_f64 v[1:2], v[1:2], v[63:64], v[59:60]
	v_fma_f64 v[3:4], v[59:60], v[1:2], v[63:64]
	v_div_scale_f64 v[59:60], null, v[3:4], v[3:4], 1.0
	v_div_scale_f64 v[67:68], vcc_lo, 1.0, v[3:4], 1.0
	v_rcp_f64_e32 v[61:62], v[59:60]
	v_fma_f64 v[63:64], -v[59:60], v[61:62], 1.0
	v_fma_f64 v[61:62], v[61:62], v[63:64], v[61:62]
	v_fma_f64 v[63:64], -v[59:60], v[61:62], 1.0
	v_fma_f64 v[61:62], v[61:62], v[63:64], v[61:62]
	v_mul_f64 v[63:64], v[67:68], v[61:62]
	v_fma_f64 v[59:60], -v[59:60], v[63:64], v[67:68]
	v_div_fmas_f64 v[59:60], v[59:60], v[61:62], v[63:64]
                                        ; implicit-def: $vgpr63_vgpr64
	v_div_fixup_f64 v[3:4], v[59:60], v[3:4], 1.0
                                        ; implicit-def: $vgpr59_vgpr60
	v_mul_f64 v[61:62], v[1:2], v[3:4]
	v_xor_b32_e32 v4, 0x80000000, v4
	v_xor_b32_e32 v2, 0x80000000, v62
	v_mov_b32_e32 v1, v61
.LBB26_4:
	s_andn2_saveexec_b32 s9, s9
	s_cbranch_execz .LBB26_6
; %bb.5:
	v_div_scale_f64 v[1:2], null, v[59:60], v[59:60], v[63:64]
	v_div_scale_f64 v[67:68], vcc_lo, v[63:64], v[59:60], v[63:64]
	v_rcp_f64_e32 v[3:4], v[1:2]
	v_fma_f64 v[61:62], -v[1:2], v[3:4], 1.0
	v_fma_f64 v[3:4], v[3:4], v[61:62], v[3:4]
	v_fma_f64 v[61:62], -v[1:2], v[3:4], 1.0
	v_fma_f64 v[3:4], v[3:4], v[61:62], v[3:4]
	v_mul_f64 v[61:62], v[67:68], v[3:4]
	v_fma_f64 v[1:2], -v[1:2], v[61:62], v[67:68]
	v_div_fmas_f64 v[1:2], v[1:2], v[3:4], v[61:62]
	v_div_fixup_f64 v[1:2], v[1:2], v[59:60], v[63:64]
	v_fma_f64 v[3:4], v[63:64], v[1:2], v[59:60]
	v_div_scale_f64 v[59:60], null, v[3:4], v[3:4], 1.0
	v_rcp_f64_e32 v[61:62], v[59:60]
	v_fma_f64 v[63:64], -v[59:60], v[61:62], 1.0
	v_fma_f64 v[61:62], v[61:62], v[63:64], v[61:62]
	v_fma_f64 v[63:64], -v[59:60], v[61:62], 1.0
	v_fma_f64 v[61:62], v[61:62], v[63:64], v[61:62]
	v_div_scale_f64 v[63:64], vcc_lo, 1.0, v[3:4], 1.0
	v_mul_f64 v[67:68], v[63:64], v[61:62]
	v_fma_f64 v[59:60], -v[59:60], v[67:68], v[63:64]
	v_div_fmas_f64 v[59:60], v[59:60], v[61:62], v[67:68]
	v_div_fixup_f64 v[61:62], v[59:60], v[3:4], 1.0
	v_mul_f64 v[3:4], v[1:2], -v[61:62]
	v_xor_b32_e32 v2, 0x80000000, v62
	v_mov_b32_e32 v1, v61
.LBB26_6:
	s_or_b32 exec_lo, exec_lo, s9
	buffer_store_dword v4, v66, s[0:3], 0 offen offset:12
	v_xor_b32_e32 v4, 0x80000000, v4
	buffer_store_dword v62, v66, s[0:3], 0 offen offset:4
	buffer_store_dword v61, v66, s[0:3], 0 offen
	buffer_store_dword v3, v66, s[0:3], 0 offen offset:8
	s_branch .LBB26_8
.LBB26_7:
	v_mov_b32_e32 v1, 0
	v_mov_b32_e32 v3, 0
	;; [unrolled: 1-line block ×4, first 2 shown]
.LBB26_8:
	v_add_nc_u32_e32 v60, 0x1b0, v65
	v_mov_b32_e32 v59, v65
	s_mov_b32 s33, 16
	s_mov_b32 s31, 32
	s_mov_b32 s30, 48
	s_mov_b32 s29, 64
	s_mov_b32 s28, s4
	s_mov_b32 s27, s5
	s_mov_b32 s26, s6
	s_mov_b32 s25, s7
	s_mov_b32 s24, s10
	s_mov_b32 s23, s11
	s_mov_b32 s22, s12
	s_mov_b32 s21, s13
	s_mov_b32 s20, s14
	s_mov_b32 s19, s15
	s_mov_b32 s18, s16
	s_mov_b32 s16, s35
	s_mov_b32 s15, s36
	s_mov_b32 s14, s37
	s_mov_b32 s13, s38
	s_mov_b32 s12, s39
	s_mov_b32 s11, s40
	s_mov_b32 s10, s41
	s_mov_b32 s9, s42
	s_mov_b32 s7, s43
	s_mov_b32 s6, s44
	s_cmpk_eq_i32 s8, 0x79
	ds_write_b128 v65, v[1:4]
	s_cbranch_scc1 .LBB26_212
; %bb.9:
	v_mov_b32_e32 v4, s7
	v_cmp_eq_u32_e64 s4, 26, v0
	s_clause 0x3
	buffer_load_dword v1, v4, s[0:3], 0 offen
	buffer_load_dword v2, v4, s[0:3], 0 offen offset:4
	buffer_load_dword v3, v4, s[0:3], 0 offen offset:8
	;; [unrolled: 1-line block ×3, first 2 shown]
	s_waitcnt vmcnt(0)
	ds_write_b128 v60, v[1:4]
	s_waitcnt lgkmcnt(0)
	s_waitcnt_vscnt null, 0x0
	s_barrier
	buffer_gl0_inv
	s_and_saveexec_b32 s5, s4
	s_cbranch_execz .LBB26_13
; %bb.10:
	ds_read_b128 v[1:4], v60
	s_andn2_b32 vcc_lo, exec_lo, s34
	s_cbranch_vccnz .LBB26_12
; %bb.11:
	s_clause 0x3
	buffer_load_dword v61, v59, s[0:3], 0 offen offset:8
	buffer_load_dword v62, v59, s[0:3], 0 offen offset:12
	buffer_load_dword v63, v59, s[0:3], 0 offen
	buffer_load_dword v64, v59, s[0:3], 0 offen offset:4
	s_waitcnt vmcnt(2) lgkmcnt(0)
	v_mul_f64 v[66:67], v[3:4], v[61:62]
	v_mul_f64 v[61:62], v[1:2], v[61:62]
	s_waitcnt vmcnt(0)
	v_fma_f64 v[1:2], v[1:2], v[63:64], -v[66:67]
	v_fma_f64 v[3:4], v[3:4], v[63:64], v[61:62]
.LBB26_12:
	v_mov_b32_e32 v61, 0
	ds_read_b128 v[61:64], v61 offset:400
	s_waitcnt lgkmcnt(0)
	v_mul_f64 v[66:67], v[3:4], v[63:64]
	v_mul_f64 v[63:64], v[1:2], v[63:64]
	v_fma_f64 v[1:2], v[1:2], v[61:62], -v[66:67]
	v_fma_f64 v[3:4], v[3:4], v[61:62], v[63:64]
	buffer_store_dword v2, off, s[0:3], 0 offset:404
	buffer_store_dword v1, off, s[0:3], 0 offset:400
	;; [unrolled: 1-line block ×4, first 2 shown]
.LBB26_13:
	s_or_b32 exec_lo, exec_lo, s5
	v_mov_b32_e32 v4, s9
	v_cmp_lt_u32_e64 s5, 24, v0
	s_clause 0x3
	buffer_load_dword v1, v4, s[0:3], 0 offen
	buffer_load_dword v2, v4, s[0:3], 0 offen offset:4
	buffer_load_dword v3, v4, s[0:3], 0 offen offset:8
	;; [unrolled: 1-line block ×3, first 2 shown]
	s_waitcnt vmcnt(0)
	ds_write_b128 v60, v[1:4]
	s_waitcnt lgkmcnt(0)
	s_waitcnt_vscnt null, 0x0
	s_barrier
	buffer_gl0_inv
	s_and_saveexec_b32 s8, s5
	s_cbranch_execz .LBB26_19
; %bb.14:
	ds_read_b128 v[1:4], v60
	s_andn2_b32 vcc_lo, exec_lo, s34
	s_cbranch_vccnz .LBB26_16
; %bb.15:
	s_clause 0x3
	buffer_load_dword v61, v59, s[0:3], 0 offen offset:8
	buffer_load_dword v62, v59, s[0:3], 0 offen offset:12
	buffer_load_dword v63, v59, s[0:3], 0 offen
	buffer_load_dword v64, v59, s[0:3], 0 offen offset:4
	s_waitcnt vmcnt(2) lgkmcnt(0)
	v_mul_f64 v[66:67], v[3:4], v[61:62]
	v_mul_f64 v[61:62], v[1:2], v[61:62]
	s_waitcnt vmcnt(0)
	v_fma_f64 v[1:2], v[1:2], v[63:64], -v[66:67]
	v_fma_f64 v[3:4], v[3:4], v[63:64], v[61:62]
.LBB26_16:
	s_and_saveexec_b32 s35, s4
	s_cbranch_execz .LBB26_18
; %bb.17:
	s_clause 0x3
	buffer_load_dword v66, off, s[0:3], 0 offset:408
	buffer_load_dword v67, off, s[0:3], 0 offset:412
	;; [unrolled: 1-line block ×4, first 2 shown]
	v_mov_b32_e32 v61, 0
	ds_read_b128 v[61:64], v61 offset:832
	s_waitcnt vmcnt(2) lgkmcnt(0)
	v_mul_f64 v[70:71], v[61:62], v[66:67]
	v_mul_f64 v[66:67], v[63:64], v[66:67]
	s_waitcnt vmcnt(0)
	v_fma_f64 v[63:64], v[63:64], v[68:69], v[70:71]
	v_fma_f64 v[61:62], v[61:62], v[68:69], -v[66:67]
	v_add_f64 v[3:4], v[3:4], v[63:64]
	v_add_f64 v[1:2], v[1:2], v[61:62]
.LBB26_18:
	s_or_b32 exec_lo, exec_lo, s35
	v_mov_b32_e32 v61, 0
	ds_read_b128 v[61:64], v61 offset:384
	s_waitcnt lgkmcnt(0)
	v_mul_f64 v[66:67], v[3:4], v[63:64]
	v_mul_f64 v[63:64], v[1:2], v[63:64]
	v_fma_f64 v[1:2], v[1:2], v[61:62], -v[66:67]
	v_fma_f64 v[3:4], v[3:4], v[61:62], v[63:64]
	buffer_store_dword v2, off, s[0:3], 0 offset:388
	buffer_store_dword v1, off, s[0:3], 0 offset:384
	;; [unrolled: 1-line block ×4, first 2 shown]
.LBB26_19:
	s_or_b32 exec_lo, exec_lo, s8
	v_mov_b32_e32 v4, s10
	v_cmp_lt_u32_e64 s4, 23, v0
	s_clause 0x3
	buffer_load_dword v1, v4, s[0:3], 0 offen
	buffer_load_dword v2, v4, s[0:3], 0 offen offset:4
	buffer_load_dword v3, v4, s[0:3], 0 offen offset:8
	;; [unrolled: 1-line block ×3, first 2 shown]
	s_waitcnt vmcnt(0)
	ds_write_b128 v60, v[1:4]
	s_waitcnt lgkmcnt(0)
	s_waitcnt_vscnt null, 0x0
	s_barrier
	buffer_gl0_inv
	s_and_saveexec_b32 s8, s4
	s_cbranch_execz .LBB26_27
; %bb.20:
	ds_read_b128 v[1:4], v60
	s_andn2_b32 vcc_lo, exec_lo, s34
	s_cbranch_vccnz .LBB26_22
; %bb.21:
	s_clause 0x3
	buffer_load_dword v61, v59, s[0:3], 0 offen offset:8
	buffer_load_dword v62, v59, s[0:3], 0 offen offset:12
	buffer_load_dword v63, v59, s[0:3], 0 offen
	buffer_load_dword v64, v59, s[0:3], 0 offen offset:4
	s_waitcnt vmcnt(2) lgkmcnt(0)
	v_mul_f64 v[66:67], v[3:4], v[61:62]
	v_mul_f64 v[61:62], v[1:2], v[61:62]
	s_waitcnt vmcnt(0)
	v_fma_f64 v[1:2], v[1:2], v[63:64], -v[66:67]
	v_fma_f64 v[3:4], v[3:4], v[63:64], v[61:62]
.LBB26_22:
	s_and_saveexec_b32 s35, s5
	s_cbranch_execz .LBB26_26
; %bb.23:
	v_subrev_nc_u32_e32 v61, 24, v0
	s_movk_i32 s36, 0x330
	s_mov_b32 s5, 0
	s_mov_b32 s37, s9
	.p2align	6
.LBB26_24:                              ; =>This Inner Loop Header: Depth=1
	v_mov_b32_e32 v64, s37
	v_add_nc_u32_e32 v61, -1, v61
	s_add_i32 s37, s37, 16
	s_clause 0x3
	buffer_load_dword v62, v64, s[0:3], 0 offen offset:8
	buffer_load_dword v63, v64, s[0:3], 0 offen offset:12
	buffer_load_dword v70, v64, s[0:3], 0 offen
	buffer_load_dword v71, v64, s[0:3], 0 offen offset:4
	v_mov_b32_e32 v64, s36
	v_cmp_eq_u32_e32 vcc_lo, 0, v61
	s_add_i32 s36, s36, 16
	ds_read_b128 v[66:69], v64
	s_or_b32 s5, vcc_lo, s5
	s_waitcnt vmcnt(2) lgkmcnt(0)
	v_mul_f64 v[72:73], v[68:69], v[62:63]
	v_mul_f64 v[62:63], v[66:67], v[62:63]
	s_waitcnt vmcnt(0)
	v_fma_f64 v[66:67], v[66:67], v[70:71], -v[72:73]
	v_fma_f64 v[62:63], v[68:69], v[70:71], v[62:63]
	v_add_f64 v[1:2], v[1:2], v[66:67]
	v_add_f64 v[3:4], v[3:4], v[62:63]
	s_andn2_b32 exec_lo, exec_lo, s5
	s_cbranch_execnz .LBB26_24
; %bb.25:
	s_or_b32 exec_lo, exec_lo, s5
.LBB26_26:
	s_or_b32 exec_lo, exec_lo, s35
	v_mov_b32_e32 v61, 0
	ds_read_b128 v[61:64], v61 offset:368
	s_waitcnt lgkmcnt(0)
	v_mul_f64 v[66:67], v[3:4], v[63:64]
	v_mul_f64 v[63:64], v[1:2], v[63:64]
	v_fma_f64 v[1:2], v[1:2], v[61:62], -v[66:67]
	v_fma_f64 v[3:4], v[3:4], v[61:62], v[63:64]
	buffer_store_dword v2, off, s[0:3], 0 offset:372
	buffer_store_dword v1, off, s[0:3], 0 offset:368
	;; [unrolled: 1-line block ×4, first 2 shown]
.LBB26_27:
	s_or_b32 exec_lo, exec_lo, s8
	v_mov_b32_e32 v4, s11
	v_cmp_lt_u32_e64 s5, 22, v0
	s_clause 0x3
	buffer_load_dword v1, v4, s[0:3], 0 offen
	buffer_load_dword v2, v4, s[0:3], 0 offen offset:4
	buffer_load_dword v3, v4, s[0:3], 0 offen offset:8
	;; [unrolled: 1-line block ×3, first 2 shown]
	s_waitcnt vmcnt(0)
	ds_write_b128 v60, v[1:4]
	s_waitcnt lgkmcnt(0)
	s_waitcnt_vscnt null, 0x0
	s_barrier
	buffer_gl0_inv
	s_and_saveexec_b32 s8, s5
	s_cbranch_execz .LBB26_35
; %bb.28:
	ds_read_b128 v[1:4], v60
	s_andn2_b32 vcc_lo, exec_lo, s34
	s_cbranch_vccnz .LBB26_30
; %bb.29:
	s_clause 0x3
	buffer_load_dword v61, v59, s[0:3], 0 offen offset:8
	buffer_load_dword v62, v59, s[0:3], 0 offen offset:12
	buffer_load_dword v63, v59, s[0:3], 0 offen
	buffer_load_dword v64, v59, s[0:3], 0 offen offset:4
	s_waitcnt vmcnt(2) lgkmcnt(0)
	v_mul_f64 v[66:67], v[3:4], v[61:62]
	v_mul_f64 v[61:62], v[1:2], v[61:62]
	s_waitcnt vmcnt(0)
	v_fma_f64 v[1:2], v[1:2], v[63:64], -v[66:67]
	v_fma_f64 v[3:4], v[3:4], v[63:64], v[61:62]
.LBB26_30:
	s_and_saveexec_b32 s35, s4
	s_cbranch_execz .LBB26_34
; %bb.31:
	v_subrev_nc_u32_e32 v61, 23, v0
	s_movk_i32 s36, 0x320
	s_mov_b32 s4, 0
	s_mov_b32 s37, s10
	.p2align	6
.LBB26_32:                              ; =>This Inner Loop Header: Depth=1
	v_mov_b32_e32 v64, s37
	v_add_nc_u32_e32 v61, -1, v61
	s_add_i32 s37, s37, 16
	s_clause 0x3
	buffer_load_dword v62, v64, s[0:3], 0 offen offset:8
	buffer_load_dword v63, v64, s[0:3], 0 offen offset:12
	buffer_load_dword v70, v64, s[0:3], 0 offen
	buffer_load_dword v71, v64, s[0:3], 0 offen offset:4
	v_mov_b32_e32 v64, s36
	v_cmp_eq_u32_e32 vcc_lo, 0, v61
	s_add_i32 s36, s36, 16
	ds_read_b128 v[66:69], v64
	s_or_b32 s4, vcc_lo, s4
	s_waitcnt vmcnt(2) lgkmcnt(0)
	v_mul_f64 v[72:73], v[68:69], v[62:63]
	v_mul_f64 v[62:63], v[66:67], v[62:63]
	s_waitcnt vmcnt(0)
	v_fma_f64 v[66:67], v[66:67], v[70:71], -v[72:73]
	v_fma_f64 v[62:63], v[68:69], v[70:71], v[62:63]
	v_add_f64 v[1:2], v[1:2], v[66:67]
	v_add_f64 v[3:4], v[3:4], v[62:63]
	s_andn2_b32 exec_lo, exec_lo, s4
	s_cbranch_execnz .LBB26_32
; %bb.33:
	s_or_b32 exec_lo, exec_lo, s4
.LBB26_34:
	s_or_b32 exec_lo, exec_lo, s35
	v_mov_b32_e32 v61, 0
	ds_read_b128 v[61:64], v61 offset:352
	s_waitcnt lgkmcnt(0)
	v_mul_f64 v[66:67], v[3:4], v[63:64]
	v_mul_f64 v[63:64], v[1:2], v[63:64]
	v_fma_f64 v[1:2], v[1:2], v[61:62], -v[66:67]
	v_fma_f64 v[3:4], v[3:4], v[61:62], v[63:64]
	buffer_store_dword v2, off, s[0:3], 0 offset:356
	buffer_store_dword v1, off, s[0:3], 0 offset:352
	;; [unrolled: 1-line block ×4, first 2 shown]
.LBB26_35:
	s_or_b32 exec_lo, exec_lo, s8
	v_mov_b32_e32 v4, s12
	v_cmp_lt_u32_e64 s4, 21, v0
	s_clause 0x3
	buffer_load_dword v1, v4, s[0:3], 0 offen
	buffer_load_dword v2, v4, s[0:3], 0 offen offset:4
	buffer_load_dword v3, v4, s[0:3], 0 offen offset:8
	;; [unrolled: 1-line block ×3, first 2 shown]
	s_waitcnt vmcnt(0)
	ds_write_b128 v60, v[1:4]
	s_waitcnt lgkmcnt(0)
	s_waitcnt_vscnt null, 0x0
	s_barrier
	buffer_gl0_inv
	s_and_saveexec_b32 s8, s4
	s_cbranch_execz .LBB26_43
; %bb.36:
	ds_read_b128 v[1:4], v60
	s_andn2_b32 vcc_lo, exec_lo, s34
	s_cbranch_vccnz .LBB26_38
; %bb.37:
	s_clause 0x3
	buffer_load_dword v61, v59, s[0:3], 0 offen offset:8
	buffer_load_dword v62, v59, s[0:3], 0 offen offset:12
	buffer_load_dword v63, v59, s[0:3], 0 offen
	buffer_load_dword v64, v59, s[0:3], 0 offen offset:4
	s_waitcnt vmcnt(2) lgkmcnt(0)
	v_mul_f64 v[66:67], v[3:4], v[61:62]
	v_mul_f64 v[61:62], v[1:2], v[61:62]
	s_waitcnt vmcnt(0)
	v_fma_f64 v[1:2], v[1:2], v[63:64], -v[66:67]
	v_fma_f64 v[3:4], v[3:4], v[63:64], v[61:62]
.LBB26_38:
	s_and_saveexec_b32 s35, s5
	s_cbranch_execz .LBB26_42
; %bb.39:
	v_subrev_nc_u32_e32 v61, 22, v0
	s_movk_i32 s36, 0x310
	s_mov_b32 s5, 0
	s_mov_b32 s37, s11
	.p2align	6
.LBB26_40:                              ; =>This Inner Loop Header: Depth=1
	v_mov_b32_e32 v64, s37
	v_add_nc_u32_e32 v61, -1, v61
	s_add_i32 s37, s37, 16
	s_clause 0x3
	buffer_load_dword v62, v64, s[0:3], 0 offen offset:8
	buffer_load_dword v63, v64, s[0:3], 0 offen offset:12
	buffer_load_dword v70, v64, s[0:3], 0 offen
	buffer_load_dword v71, v64, s[0:3], 0 offen offset:4
	v_mov_b32_e32 v64, s36
	v_cmp_eq_u32_e32 vcc_lo, 0, v61
	s_add_i32 s36, s36, 16
	ds_read_b128 v[66:69], v64
	s_or_b32 s5, vcc_lo, s5
	s_waitcnt vmcnt(2) lgkmcnt(0)
	v_mul_f64 v[72:73], v[68:69], v[62:63]
	v_mul_f64 v[62:63], v[66:67], v[62:63]
	s_waitcnt vmcnt(0)
	v_fma_f64 v[66:67], v[66:67], v[70:71], -v[72:73]
	v_fma_f64 v[62:63], v[68:69], v[70:71], v[62:63]
	v_add_f64 v[1:2], v[1:2], v[66:67]
	v_add_f64 v[3:4], v[3:4], v[62:63]
	s_andn2_b32 exec_lo, exec_lo, s5
	s_cbranch_execnz .LBB26_40
; %bb.41:
	s_or_b32 exec_lo, exec_lo, s5
.LBB26_42:
	s_or_b32 exec_lo, exec_lo, s35
	v_mov_b32_e32 v61, 0
	ds_read_b128 v[61:64], v61 offset:336
	s_waitcnt lgkmcnt(0)
	v_mul_f64 v[66:67], v[3:4], v[63:64]
	v_mul_f64 v[63:64], v[1:2], v[63:64]
	v_fma_f64 v[1:2], v[1:2], v[61:62], -v[66:67]
	v_fma_f64 v[3:4], v[3:4], v[61:62], v[63:64]
	buffer_store_dword v2, off, s[0:3], 0 offset:340
	buffer_store_dword v1, off, s[0:3], 0 offset:336
	;; [unrolled: 1-line block ×4, first 2 shown]
.LBB26_43:
	s_or_b32 exec_lo, exec_lo, s8
	v_mov_b32_e32 v4, s13
	v_cmp_lt_u32_e64 s5, 20, v0
	s_clause 0x3
	buffer_load_dword v1, v4, s[0:3], 0 offen
	buffer_load_dword v2, v4, s[0:3], 0 offen offset:4
	buffer_load_dword v3, v4, s[0:3], 0 offen offset:8
	;; [unrolled: 1-line block ×3, first 2 shown]
	s_waitcnt vmcnt(0)
	ds_write_b128 v60, v[1:4]
	s_waitcnt lgkmcnt(0)
	s_waitcnt_vscnt null, 0x0
	s_barrier
	buffer_gl0_inv
	s_and_saveexec_b32 s8, s5
	s_cbranch_execz .LBB26_51
; %bb.44:
	ds_read_b128 v[1:4], v60
	s_andn2_b32 vcc_lo, exec_lo, s34
	s_cbranch_vccnz .LBB26_46
; %bb.45:
	s_clause 0x3
	buffer_load_dword v61, v59, s[0:3], 0 offen offset:8
	buffer_load_dword v62, v59, s[0:3], 0 offen offset:12
	buffer_load_dword v63, v59, s[0:3], 0 offen
	buffer_load_dword v64, v59, s[0:3], 0 offen offset:4
	s_waitcnt vmcnt(2) lgkmcnt(0)
	v_mul_f64 v[66:67], v[3:4], v[61:62]
	v_mul_f64 v[61:62], v[1:2], v[61:62]
	s_waitcnt vmcnt(0)
	v_fma_f64 v[1:2], v[1:2], v[63:64], -v[66:67]
	v_fma_f64 v[3:4], v[3:4], v[63:64], v[61:62]
.LBB26_46:
	s_and_saveexec_b32 s35, s4
	s_cbranch_execz .LBB26_50
; %bb.47:
	v_subrev_nc_u32_e32 v61, 21, v0
	s_movk_i32 s36, 0x300
	s_mov_b32 s4, 0
	s_mov_b32 s37, s12
	.p2align	6
.LBB26_48:                              ; =>This Inner Loop Header: Depth=1
	v_mov_b32_e32 v64, s37
	v_add_nc_u32_e32 v61, -1, v61
	s_add_i32 s37, s37, 16
	s_clause 0x3
	buffer_load_dword v62, v64, s[0:3], 0 offen offset:8
	buffer_load_dword v63, v64, s[0:3], 0 offen offset:12
	buffer_load_dword v70, v64, s[0:3], 0 offen
	buffer_load_dword v71, v64, s[0:3], 0 offen offset:4
	v_mov_b32_e32 v64, s36
	v_cmp_eq_u32_e32 vcc_lo, 0, v61
	s_add_i32 s36, s36, 16
	ds_read_b128 v[66:69], v64
	s_or_b32 s4, vcc_lo, s4
	s_waitcnt vmcnt(2) lgkmcnt(0)
	v_mul_f64 v[72:73], v[68:69], v[62:63]
	v_mul_f64 v[62:63], v[66:67], v[62:63]
	s_waitcnt vmcnt(0)
	v_fma_f64 v[66:67], v[66:67], v[70:71], -v[72:73]
	v_fma_f64 v[62:63], v[68:69], v[70:71], v[62:63]
	v_add_f64 v[1:2], v[1:2], v[66:67]
	v_add_f64 v[3:4], v[3:4], v[62:63]
	s_andn2_b32 exec_lo, exec_lo, s4
	s_cbranch_execnz .LBB26_48
; %bb.49:
	s_or_b32 exec_lo, exec_lo, s4
.LBB26_50:
	s_or_b32 exec_lo, exec_lo, s35
	v_mov_b32_e32 v61, 0
	ds_read_b128 v[61:64], v61 offset:320
	s_waitcnt lgkmcnt(0)
	v_mul_f64 v[66:67], v[3:4], v[63:64]
	v_mul_f64 v[63:64], v[1:2], v[63:64]
	v_fma_f64 v[1:2], v[1:2], v[61:62], -v[66:67]
	v_fma_f64 v[3:4], v[3:4], v[61:62], v[63:64]
	buffer_store_dword v2, off, s[0:3], 0 offset:324
	buffer_store_dword v1, off, s[0:3], 0 offset:320
	;; [unrolled: 1-line block ×4, first 2 shown]
.LBB26_51:
	s_or_b32 exec_lo, exec_lo, s8
	v_mov_b32_e32 v4, s14
	v_cmp_lt_u32_e64 s4, 19, v0
	s_clause 0x3
	buffer_load_dword v1, v4, s[0:3], 0 offen
	buffer_load_dword v2, v4, s[0:3], 0 offen offset:4
	buffer_load_dword v3, v4, s[0:3], 0 offen offset:8
	;; [unrolled: 1-line block ×3, first 2 shown]
	s_waitcnt vmcnt(0)
	ds_write_b128 v60, v[1:4]
	s_waitcnt lgkmcnt(0)
	s_waitcnt_vscnt null, 0x0
	s_barrier
	buffer_gl0_inv
	s_and_saveexec_b32 s8, s4
	s_cbranch_execz .LBB26_59
; %bb.52:
	ds_read_b128 v[1:4], v60
	s_andn2_b32 vcc_lo, exec_lo, s34
	s_cbranch_vccnz .LBB26_54
; %bb.53:
	s_clause 0x3
	buffer_load_dword v61, v59, s[0:3], 0 offen offset:8
	buffer_load_dword v62, v59, s[0:3], 0 offen offset:12
	buffer_load_dword v63, v59, s[0:3], 0 offen
	buffer_load_dword v64, v59, s[0:3], 0 offen offset:4
	s_waitcnt vmcnt(2) lgkmcnt(0)
	v_mul_f64 v[66:67], v[3:4], v[61:62]
	v_mul_f64 v[61:62], v[1:2], v[61:62]
	s_waitcnt vmcnt(0)
	v_fma_f64 v[1:2], v[1:2], v[63:64], -v[66:67]
	v_fma_f64 v[3:4], v[3:4], v[63:64], v[61:62]
.LBB26_54:
	s_and_saveexec_b32 s35, s5
	s_cbranch_execz .LBB26_58
; %bb.55:
	v_subrev_nc_u32_e32 v61, 20, v0
	s_movk_i32 s36, 0x2f0
	s_mov_b32 s5, 0
	s_mov_b32 s37, s13
	.p2align	6
.LBB26_56:                              ; =>This Inner Loop Header: Depth=1
	v_mov_b32_e32 v64, s37
	v_add_nc_u32_e32 v61, -1, v61
	s_add_i32 s37, s37, 16
	s_clause 0x3
	buffer_load_dword v62, v64, s[0:3], 0 offen offset:8
	buffer_load_dword v63, v64, s[0:3], 0 offen offset:12
	buffer_load_dword v70, v64, s[0:3], 0 offen
	buffer_load_dword v71, v64, s[0:3], 0 offen offset:4
	v_mov_b32_e32 v64, s36
	v_cmp_eq_u32_e32 vcc_lo, 0, v61
	s_add_i32 s36, s36, 16
	ds_read_b128 v[66:69], v64
	s_or_b32 s5, vcc_lo, s5
	s_waitcnt vmcnt(2) lgkmcnt(0)
	v_mul_f64 v[72:73], v[68:69], v[62:63]
	v_mul_f64 v[62:63], v[66:67], v[62:63]
	s_waitcnt vmcnt(0)
	v_fma_f64 v[66:67], v[66:67], v[70:71], -v[72:73]
	v_fma_f64 v[62:63], v[68:69], v[70:71], v[62:63]
	v_add_f64 v[1:2], v[1:2], v[66:67]
	v_add_f64 v[3:4], v[3:4], v[62:63]
	s_andn2_b32 exec_lo, exec_lo, s5
	s_cbranch_execnz .LBB26_56
; %bb.57:
	s_or_b32 exec_lo, exec_lo, s5
.LBB26_58:
	s_or_b32 exec_lo, exec_lo, s35
	v_mov_b32_e32 v61, 0
	ds_read_b128 v[61:64], v61 offset:304
	s_waitcnt lgkmcnt(0)
	v_mul_f64 v[66:67], v[3:4], v[63:64]
	v_mul_f64 v[63:64], v[1:2], v[63:64]
	v_fma_f64 v[1:2], v[1:2], v[61:62], -v[66:67]
	v_fma_f64 v[3:4], v[3:4], v[61:62], v[63:64]
	buffer_store_dword v2, off, s[0:3], 0 offset:308
	buffer_store_dword v1, off, s[0:3], 0 offset:304
	;; [unrolled: 1-line block ×4, first 2 shown]
.LBB26_59:
	s_or_b32 exec_lo, exec_lo, s8
	v_mov_b32_e32 v4, s15
	v_cmp_lt_u32_e64 s5, 18, v0
	s_clause 0x3
	buffer_load_dword v1, v4, s[0:3], 0 offen
	buffer_load_dword v2, v4, s[0:3], 0 offen offset:4
	buffer_load_dword v3, v4, s[0:3], 0 offen offset:8
	;; [unrolled: 1-line block ×3, first 2 shown]
	s_waitcnt vmcnt(0)
	ds_write_b128 v60, v[1:4]
	s_waitcnt lgkmcnt(0)
	s_waitcnt_vscnt null, 0x0
	s_barrier
	buffer_gl0_inv
	s_and_saveexec_b32 s8, s5
	s_cbranch_execz .LBB26_67
; %bb.60:
	ds_read_b128 v[1:4], v60
	s_andn2_b32 vcc_lo, exec_lo, s34
	s_cbranch_vccnz .LBB26_62
; %bb.61:
	s_clause 0x3
	buffer_load_dword v61, v59, s[0:3], 0 offen offset:8
	buffer_load_dword v62, v59, s[0:3], 0 offen offset:12
	buffer_load_dword v63, v59, s[0:3], 0 offen
	buffer_load_dword v64, v59, s[0:3], 0 offen offset:4
	s_waitcnt vmcnt(2) lgkmcnt(0)
	v_mul_f64 v[66:67], v[3:4], v[61:62]
	v_mul_f64 v[61:62], v[1:2], v[61:62]
	s_waitcnt vmcnt(0)
	v_fma_f64 v[1:2], v[1:2], v[63:64], -v[66:67]
	v_fma_f64 v[3:4], v[3:4], v[63:64], v[61:62]
.LBB26_62:
	s_and_saveexec_b32 s35, s4
	s_cbranch_execz .LBB26_66
; %bb.63:
	v_subrev_nc_u32_e32 v61, 19, v0
	s_movk_i32 s36, 0x2e0
	s_mov_b32 s4, 0
	s_mov_b32 s37, s14
	.p2align	6
.LBB26_64:                              ; =>This Inner Loop Header: Depth=1
	v_mov_b32_e32 v64, s37
	v_add_nc_u32_e32 v61, -1, v61
	s_add_i32 s37, s37, 16
	s_clause 0x3
	buffer_load_dword v62, v64, s[0:3], 0 offen offset:8
	buffer_load_dword v63, v64, s[0:3], 0 offen offset:12
	buffer_load_dword v70, v64, s[0:3], 0 offen
	buffer_load_dword v71, v64, s[0:3], 0 offen offset:4
	v_mov_b32_e32 v64, s36
	v_cmp_eq_u32_e32 vcc_lo, 0, v61
	s_add_i32 s36, s36, 16
	ds_read_b128 v[66:69], v64
	s_or_b32 s4, vcc_lo, s4
	s_waitcnt vmcnt(2) lgkmcnt(0)
	v_mul_f64 v[72:73], v[68:69], v[62:63]
	v_mul_f64 v[62:63], v[66:67], v[62:63]
	s_waitcnt vmcnt(0)
	v_fma_f64 v[66:67], v[66:67], v[70:71], -v[72:73]
	v_fma_f64 v[62:63], v[68:69], v[70:71], v[62:63]
	v_add_f64 v[1:2], v[1:2], v[66:67]
	v_add_f64 v[3:4], v[3:4], v[62:63]
	s_andn2_b32 exec_lo, exec_lo, s4
	s_cbranch_execnz .LBB26_64
; %bb.65:
	s_or_b32 exec_lo, exec_lo, s4
.LBB26_66:
	s_or_b32 exec_lo, exec_lo, s35
	v_mov_b32_e32 v61, 0
	ds_read_b128 v[61:64], v61 offset:288
	s_waitcnt lgkmcnt(0)
	v_mul_f64 v[66:67], v[3:4], v[63:64]
	v_mul_f64 v[63:64], v[1:2], v[63:64]
	v_fma_f64 v[1:2], v[1:2], v[61:62], -v[66:67]
	v_fma_f64 v[3:4], v[3:4], v[61:62], v[63:64]
	buffer_store_dword v2, off, s[0:3], 0 offset:292
	buffer_store_dword v1, off, s[0:3], 0 offset:288
	;; [unrolled: 1-line block ×4, first 2 shown]
.LBB26_67:
	s_or_b32 exec_lo, exec_lo, s8
	v_mov_b32_e32 v4, s16
	v_cmp_lt_u32_e64 s4, 17, v0
	s_clause 0x3
	buffer_load_dword v1, v4, s[0:3], 0 offen
	buffer_load_dword v2, v4, s[0:3], 0 offen offset:4
	buffer_load_dword v3, v4, s[0:3], 0 offen offset:8
	;; [unrolled: 1-line block ×3, first 2 shown]
	s_waitcnt vmcnt(0)
	ds_write_b128 v60, v[1:4]
	s_waitcnt lgkmcnt(0)
	s_waitcnt_vscnt null, 0x0
	s_barrier
	buffer_gl0_inv
	s_and_saveexec_b32 s8, s4
	s_cbranch_execz .LBB26_75
; %bb.68:
	ds_read_b128 v[1:4], v60
	s_andn2_b32 vcc_lo, exec_lo, s34
	s_cbranch_vccnz .LBB26_70
; %bb.69:
	s_clause 0x3
	buffer_load_dword v61, v59, s[0:3], 0 offen offset:8
	buffer_load_dword v62, v59, s[0:3], 0 offen offset:12
	buffer_load_dword v63, v59, s[0:3], 0 offen
	buffer_load_dword v64, v59, s[0:3], 0 offen offset:4
	s_waitcnt vmcnt(2) lgkmcnt(0)
	v_mul_f64 v[66:67], v[3:4], v[61:62]
	v_mul_f64 v[61:62], v[1:2], v[61:62]
	s_waitcnt vmcnt(0)
	v_fma_f64 v[1:2], v[1:2], v[63:64], -v[66:67]
	v_fma_f64 v[3:4], v[3:4], v[63:64], v[61:62]
.LBB26_70:
	s_and_saveexec_b32 s35, s5
	s_cbranch_execz .LBB26_74
; %bb.71:
	v_subrev_nc_u32_e32 v61, 18, v0
	s_movk_i32 s36, 0x2d0
	s_mov_b32 s5, 0
	s_mov_b32 s37, s15
	.p2align	6
.LBB26_72:                              ; =>This Inner Loop Header: Depth=1
	v_mov_b32_e32 v64, s37
	v_add_nc_u32_e32 v61, -1, v61
	s_add_i32 s37, s37, 16
	s_clause 0x3
	buffer_load_dword v62, v64, s[0:3], 0 offen offset:8
	buffer_load_dword v63, v64, s[0:3], 0 offen offset:12
	buffer_load_dword v70, v64, s[0:3], 0 offen
	buffer_load_dword v71, v64, s[0:3], 0 offen offset:4
	v_mov_b32_e32 v64, s36
	v_cmp_eq_u32_e32 vcc_lo, 0, v61
	s_add_i32 s36, s36, 16
	ds_read_b128 v[66:69], v64
	s_or_b32 s5, vcc_lo, s5
	s_waitcnt vmcnt(2) lgkmcnt(0)
	v_mul_f64 v[72:73], v[68:69], v[62:63]
	v_mul_f64 v[62:63], v[66:67], v[62:63]
	s_waitcnt vmcnt(0)
	v_fma_f64 v[66:67], v[66:67], v[70:71], -v[72:73]
	v_fma_f64 v[62:63], v[68:69], v[70:71], v[62:63]
	v_add_f64 v[1:2], v[1:2], v[66:67]
	v_add_f64 v[3:4], v[3:4], v[62:63]
	s_andn2_b32 exec_lo, exec_lo, s5
	s_cbranch_execnz .LBB26_72
; %bb.73:
	s_or_b32 exec_lo, exec_lo, s5
.LBB26_74:
	s_or_b32 exec_lo, exec_lo, s35
	v_mov_b32_e32 v61, 0
	ds_read_b128 v[61:64], v61 offset:272
	s_waitcnt lgkmcnt(0)
	v_mul_f64 v[66:67], v[3:4], v[63:64]
	v_mul_f64 v[63:64], v[1:2], v[63:64]
	v_fma_f64 v[1:2], v[1:2], v[61:62], -v[66:67]
	v_fma_f64 v[3:4], v[3:4], v[61:62], v[63:64]
	buffer_store_dword v2, off, s[0:3], 0 offset:276
	buffer_store_dword v1, off, s[0:3], 0 offset:272
	;; [unrolled: 1-line block ×4, first 2 shown]
.LBB26_75:
	s_or_b32 exec_lo, exec_lo, s8
	v_mov_b32_e32 v4, s17
	v_cmp_lt_u32_e64 s5, 16, v0
	s_clause 0x3
	buffer_load_dword v1, v4, s[0:3], 0 offen
	buffer_load_dword v2, v4, s[0:3], 0 offen offset:4
	buffer_load_dword v3, v4, s[0:3], 0 offen offset:8
	;; [unrolled: 1-line block ×3, first 2 shown]
	s_waitcnt vmcnt(0)
	ds_write_b128 v60, v[1:4]
	s_waitcnt lgkmcnt(0)
	s_waitcnt_vscnt null, 0x0
	s_barrier
	buffer_gl0_inv
	s_and_saveexec_b32 s8, s5
	s_cbranch_execz .LBB26_83
; %bb.76:
	ds_read_b128 v[1:4], v60
	s_andn2_b32 vcc_lo, exec_lo, s34
	s_cbranch_vccnz .LBB26_78
; %bb.77:
	s_clause 0x3
	buffer_load_dword v61, v59, s[0:3], 0 offen offset:8
	buffer_load_dword v62, v59, s[0:3], 0 offen offset:12
	buffer_load_dword v63, v59, s[0:3], 0 offen
	buffer_load_dword v64, v59, s[0:3], 0 offen offset:4
	s_waitcnt vmcnt(2) lgkmcnt(0)
	v_mul_f64 v[66:67], v[3:4], v[61:62]
	v_mul_f64 v[61:62], v[1:2], v[61:62]
	s_waitcnt vmcnt(0)
	v_fma_f64 v[1:2], v[1:2], v[63:64], -v[66:67]
	v_fma_f64 v[3:4], v[3:4], v[63:64], v[61:62]
.LBB26_78:
	s_and_saveexec_b32 s35, s4
	s_cbranch_execz .LBB26_82
; %bb.79:
	v_subrev_nc_u32_e32 v61, 17, v0
	s_movk_i32 s36, 0x2c0
	s_mov_b32 s4, 0
	s_mov_b32 s37, s16
	.p2align	6
.LBB26_80:                              ; =>This Inner Loop Header: Depth=1
	v_mov_b32_e32 v64, s37
	v_add_nc_u32_e32 v61, -1, v61
	s_add_i32 s37, s37, 16
	s_clause 0x3
	buffer_load_dword v62, v64, s[0:3], 0 offen offset:8
	buffer_load_dword v63, v64, s[0:3], 0 offen offset:12
	buffer_load_dword v70, v64, s[0:3], 0 offen
	buffer_load_dword v71, v64, s[0:3], 0 offen offset:4
	v_mov_b32_e32 v64, s36
	v_cmp_eq_u32_e32 vcc_lo, 0, v61
	s_add_i32 s36, s36, 16
	ds_read_b128 v[66:69], v64
	s_or_b32 s4, vcc_lo, s4
	s_waitcnt vmcnt(2) lgkmcnt(0)
	v_mul_f64 v[72:73], v[68:69], v[62:63]
	v_mul_f64 v[62:63], v[66:67], v[62:63]
	s_waitcnt vmcnt(0)
	v_fma_f64 v[66:67], v[66:67], v[70:71], -v[72:73]
	v_fma_f64 v[62:63], v[68:69], v[70:71], v[62:63]
	v_add_f64 v[1:2], v[1:2], v[66:67]
	v_add_f64 v[3:4], v[3:4], v[62:63]
	s_andn2_b32 exec_lo, exec_lo, s4
	s_cbranch_execnz .LBB26_80
; %bb.81:
	s_or_b32 exec_lo, exec_lo, s4
.LBB26_82:
	s_or_b32 exec_lo, exec_lo, s35
	v_mov_b32_e32 v61, 0
	ds_read_b128 v[61:64], v61 offset:256
	s_waitcnt lgkmcnt(0)
	v_mul_f64 v[66:67], v[3:4], v[63:64]
	v_mul_f64 v[63:64], v[1:2], v[63:64]
	v_fma_f64 v[1:2], v[1:2], v[61:62], -v[66:67]
	v_fma_f64 v[3:4], v[3:4], v[61:62], v[63:64]
	buffer_store_dword v2, off, s[0:3], 0 offset:260
	buffer_store_dword v1, off, s[0:3], 0 offset:256
	;; [unrolled: 1-line block ×4, first 2 shown]
.LBB26_83:
	s_or_b32 exec_lo, exec_lo, s8
	v_mov_b32_e32 v4, s18
	v_cmp_lt_u32_e64 s4, 15, v0
	s_clause 0x3
	buffer_load_dword v1, v4, s[0:3], 0 offen
	buffer_load_dword v2, v4, s[0:3], 0 offen offset:4
	buffer_load_dword v3, v4, s[0:3], 0 offen offset:8
	;; [unrolled: 1-line block ×3, first 2 shown]
	s_waitcnt vmcnt(0)
	ds_write_b128 v60, v[1:4]
	s_waitcnt lgkmcnt(0)
	s_waitcnt_vscnt null, 0x0
	s_barrier
	buffer_gl0_inv
	s_and_saveexec_b32 s8, s4
	s_cbranch_execz .LBB26_91
; %bb.84:
	ds_read_b128 v[1:4], v60
	s_andn2_b32 vcc_lo, exec_lo, s34
	s_cbranch_vccnz .LBB26_86
; %bb.85:
	s_clause 0x3
	buffer_load_dword v61, v59, s[0:3], 0 offen offset:8
	buffer_load_dword v62, v59, s[0:3], 0 offen offset:12
	buffer_load_dword v63, v59, s[0:3], 0 offen
	buffer_load_dword v64, v59, s[0:3], 0 offen offset:4
	s_waitcnt vmcnt(2) lgkmcnt(0)
	v_mul_f64 v[66:67], v[3:4], v[61:62]
	v_mul_f64 v[61:62], v[1:2], v[61:62]
	s_waitcnt vmcnt(0)
	v_fma_f64 v[1:2], v[1:2], v[63:64], -v[66:67]
	v_fma_f64 v[3:4], v[3:4], v[63:64], v[61:62]
.LBB26_86:
	s_and_saveexec_b32 s35, s5
	s_cbranch_execz .LBB26_90
; %bb.87:
	v_add_nc_u32_e32 v61, -16, v0
	s_movk_i32 s36, 0x2b0
	s_mov_b32 s5, 0
	s_mov_b32 s37, s17
	.p2align	6
.LBB26_88:                              ; =>This Inner Loop Header: Depth=1
	v_mov_b32_e32 v64, s37
	v_add_nc_u32_e32 v61, -1, v61
	s_add_i32 s37, s37, 16
	s_clause 0x3
	buffer_load_dword v62, v64, s[0:3], 0 offen offset:8
	buffer_load_dword v63, v64, s[0:3], 0 offen offset:12
	buffer_load_dword v70, v64, s[0:3], 0 offen
	buffer_load_dword v71, v64, s[0:3], 0 offen offset:4
	v_mov_b32_e32 v64, s36
	v_cmp_eq_u32_e32 vcc_lo, 0, v61
	s_add_i32 s36, s36, 16
	ds_read_b128 v[66:69], v64
	s_or_b32 s5, vcc_lo, s5
	s_waitcnt vmcnt(2) lgkmcnt(0)
	v_mul_f64 v[72:73], v[68:69], v[62:63]
	v_mul_f64 v[62:63], v[66:67], v[62:63]
	s_waitcnt vmcnt(0)
	v_fma_f64 v[66:67], v[66:67], v[70:71], -v[72:73]
	v_fma_f64 v[62:63], v[68:69], v[70:71], v[62:63]
	v_add_f64 v[1:2], v[1:2], v[66:67]
	v_add_f64 v[3:4], v[3:4], v[62:63]
	s_andn2_b32 exec_lo, exec_lo, s5
	s_cbranch_execnz .LBB26_88
; %bb.89:
	s_or_b32 exec_lo, exec_lo, s5
.LBB26_90:
	s_or_b32 exec_lo, exec_lo, s35
	v_mov_b32_e32 v61, 0
	ds_read_b128 v[61:64], v61 offset:240
	s_waitcnt lgkmcnt(0)
	v_mul_f64 v[66:67], v[3:4], v[63:64]
	v_mul_f64 v[63:64], v[1:2], v[63:64]
	v_fma_f64 v[1:2], v[1:2], v[61:62], -v[66:67]
	v_fma_f64 v[3:4], v[3:4], v[61:62], v[63:64]
	buffer_store_dword v2, off, s[0:3], 0 offset:244
	buffer_store_dword v1, off, s[0:3], 0 offset:240
	;; [unrolled: 1-line block ×4, first 2 shown]
.LBB26_91:
	s_or_b32 exec_lo, exec_lo, s8
	v_mov_b32_e32 v4, s19
	v_cmp_lt_u32_e64 s5, 14, v0
	s_clause 0x3
	buffer_load_dword v1, v4, s[0:3], 0 offen
	buffer_load_dword v2, v4, s[0:3], 0 offen offset:4
	buffer_load_dword v3, v4, s[0:3], 0 offen offset:8
	;; [unrolled: 1-line block ×3, first 2 shown]
	s_waitcnt vmcnt(0)
	ds_write_b128 v60, v[1:4]
	s_waitcnt lgkmcnt(0)
	s_waitcnt_vscnt null, 0x0
	s_barrier
	buffer_gl0_inv
	s_and_saveexec_b32 s8, s5
	s_cbranch_execz .LBB26_99
; %bb.92:
	ds_read_b128 v[1:4], v60
	s_andn2_b32 vcc_lo, exec_lo, s34
	s_cbranch_vccnz .LBB26_94
; %bb.93:
	s_clause 0x3
	buffer_load_dword v61, v59, s[0:3], 0 offen offset:8
	buffer_load_dword v62, v59, s[0:3], 0 offen offset:12
	buffer_load_dword v63, v59, s[0:3], 0 offen
	buffer_load_dword v64, v59, s[0:3], 0 offen offset:4
	s_waitcnt vmcnt(2) lgkmcnt(0)
	v_mul_f64 v[66:67], v[3:4], v[61:62]
	v_mul_f64 v[61:62], v[1:2], v[61:62]
	s_waitcnt vmcnt(0)
	v_fma_f64 v[1:2], v[1:2], v[63:64], -v[66:67]
	v_fma_f64 v[3:4], v[3:4], v[63:64], v[61:62]
.LBB26_94:
	s_and_saveexec_b32 s35, s4
	s_cbranch_execz .LBB26_98
; %bb.95:
	v_add_nc_u32_e32 v61, -15, v0
	s_movk_i32 s36, 0x2a0
	s_mov_b32 s4, 0
	s_mov_b32 s37, s18
	.p2align	6
.LBB26_96:                              ; =>This Inner Loop Header: Depth=1
	v_mov_b32_e32 v64, s37
	v_add_nc_u32_e32 v61, -1, v61
	s_add_i32 s37, s37, 16
	s_clause 0x3
	buffer_load_dword v62, v64, s[0:3], 0 offen offset:8
	buffer_load_dword v63, v64, s[0:3], 0 offen offset:12
	buffer_load_dword v70, v64, s[0:3], 0 offen
	buffer_load_dword v71, v64, s[0:3], 0 offen offset:4
	v_mov_b32_e32 v64, s36
	v_cmp_eq_u32_e32 vcc_lo, 0, v61
	s_add_i32 s36, s36, 16
	ds_read_b128 v[66:69], v64
	s_or_b32 s4, vcc_lo, s4
	s_waitcnt vmcnt(2) lgkmcnt(0)
	v_mul_f64 v[72:73], v[68:69], v[62:63]
	v_mul_f64 v[62:63], v[66:67], v[62:63]
	s_waitcnt vmcnt(0)
	v_fma_f64 v[66:67], v[66:67], v[70:71], -v[72:73]
	v_fma_f64 v[62:63], v[68:69], v[70:71], v[62:63]
	v_add_f64 v[1:2], v[1:2], v[66:67]
	v_add_f64 v[3:4], v[3:4], v[62:63]
	s_andn2_b32 exec_lo, exec_lo, s4
	s_cbranch_execnz .LBB26_96
; %bb.97:
	s_or_b32 exec_lo, exec_lo, s4
.LBB26_98:
	s_or_b32 exec_lo, exec_lo, s35
	v_mov_b32_e32 v61, 0
	ds_read_b128 v[61:64], v61 offset:224
	s_waitcnt lgkmcnt(0)
	v_mul_f64 v[66:67], v[3:4], v[63:64]
	v_mul_f64 v[63:64], v[1:2], v[63:64]
	v_fma_f64 v[1:2], v[1:2], v[61:62], -v[66:67]
	v_fma_f64 v[3:4], v[3:4], v[61:62], v[63:64]
	buffer_store_dword v2, off, s[0:3], 0 offset:228
	buffer_store_dword v1, off, s[0:3], 0 offset:224
	;; [unrolled: 1-line block ×4, first 2 shown]
.LBB26_99:
	s_or_b32 exec_lo, exec_lo, s8
	v_mov_b32_e32 v4, s20
	v_cmp_lt_u32_e64 s4, 13, v0
	s_clause 0x3
	buffer_load_dword v1, v4, s[0:3], 0 offen
	buffer_load_dword v2, v4, s[0:3], 0 offen offset:4
	buffer_load_dword v3, v4, s[0:3], 0 offen offset:8
	;; [unrolled: 1-line block ×3, first 2 shown]
	s_waitcnt vmcnt(0)
	ds_write_b128 v60, v[1:4]
	s_waitcnt lgkmcnt(0)
	s_waitcnt_vscnt null, 0x0
	s_barrier
	buffer_gl0_inv
	s_and_saveexec_b32 s8, s4
	s_cbranch_execz .LBB26_107
; %bb.100:
	ds_read_b128 v[1:4], v60
	s_andn2_b32 vcc_lo, exec_lo, s34
	s_cbranch_vccnz .LBB26_102
; %bb.101:
	s_clause 0x3
	buffer_load_dword v61, v59, s[0:3], 0 offen offset:8
	buffer_load_dword v62, v59, s[0:3], 0 offen offset:12
	buffer_load_dword v63, v59, s[0:3], 0 offen
	buffer_load_dword v64, v59, s[0:3], 0 offen offset:4
	s_waitcnt vmcnt(2) lgkmcnt(0)
	v_mul_f64 v[66:67], v[3:4], v[61:62]
	v_mul_f64 v[61:62], v[1:2], v[61:62]
	s_waitcnt vmcnt(0)
	v_fma_f64 v[1:2], v[1:2], v[63:64], -v[66:67]
	v_fma_f64 v[3:4], v[3:4], v[63:64], v[61:62]
.LBB26_102:
	s_and_saveexec_b32 s35, s5
	s_cbranch_execz .LBB26_106
; %bb.103:
	v_add_nc_u32_e32 v61, -14, v0
	s_movk_i32 s36, 0x290
	s_mov_b32 s5, 0
	s_mov_b32 s37, s19
	.p2align	6
.LBB26_104:                             ; =>This Inner Loop Header: Depth=1
	v_mov_b32_e32 v64, s37
	v_add_nc_u32_e32 v61, -1, v61
	s_add_i32 s37, s37, 16
	s_clause 0x3
	buffer_load_dword v62, v64, s[0:3], 0 offen offset:8
	buffer_load_dword v63, v64, s[0:3], 0 offen offset:12
	buffer_load_dword v70, v64, s[0:3], 0 offen
	buffer_load_dword v71, v64, s[0:3], 0 offen offset:4
	v_mov_b32_e32 v64, s36
	v_cmp_eq_u32_e32 vcc_lo, 0, v61
	s_add_i32 s36, s36, 16
	ds_read_b128 v[66:69], v64
	s_or_b32 s5, vcc_lo, s5
	s_waitcnt vmcnt(2) lgkmcnt(0)
	v_mul_f64 v[72:73], v[68:69], v[62:63]
	v_mul_f64 v[62:63], v[66:67], v[62:63]
	s_waitcnt vmcnt(0)
	v_fma_f64 v[66:67], v[66:67], v[70:71], -v[72:73]
	v_fma_f64 v[62:63], v[68:69], v[70:71], v[62:63]
	v_add_f64 v[1:2], v[1:2], v[66:67]
	v_add_f64 v[3:4], v[3:4], v[62:63]
	s_andn2_b32 exec_lo, exec_lo, s5
	s_cbranch_execnz .LBB26_104
; %bb.105:
	s_or_b32 exec_lo, exec_lo, s5
.LBB26_106:
	s_or_b32 exec_lo, exec_lo, s35
	v_mov_b32_e32 v61, 0
	ds_read_b128 v[61:64], v61 offset:208
	s_waitcnt lgkmcnt(0)
	v_mul_f64 v[66:67], v[3:4], v[63:64]
	v_mul_f64 v[63:64], v[1:2], v[63:64]
	v_fma_f64 v[1:2], v[1:2], v[61:62], -v[66:67]
	v_fma_f64 v[3:4], v[3:4], v[61:62], v[63:64]
	buffer_store_dword v2, off, s[0:3], 0 offset:212
	buffer_store_dword v1, off, s[0:3], 0 offset:208
	;; [unrolled: 1-line block ×4, first 2 shown]
.LBB26_107:
	s_or_b32 exec_lo, exec_lo, s8
	v_mov_b32_e32 v4, s21
	v_cmp_lt_u32_e64 s5, 12, v0
	s_clause 0x3
	buffer_load_dword v1, v4, s[0:3], 0 offen
	buffer_load_dword v2, v4, s[0:3], 0 offen offset:4
	buffer_load_dword v3, v4, s[0:3], 0 offen offset:8
	;; [unrolled: 1-line block ×3, first 2 shown]
	s_waitcnt vmcnt(0)
	ds_write_b128 v60, v[1:4]
	s_waitcnt lgkmcnt(0)
	s_waitcnt_vscnt null, 0x0
	s_barrier
	buffer_gl0_inv
	s_and_saveexec_b32 s8, s5
	s_cbranch_execz .LBB26_115
; %bb.108:
	ds_read_b128 v[1:4], v60
	s_andn2_b32 vcc_lo, exec_lo, s34
	s_cbranch_vccnz .LBB26_110
; %bb.109:
	s_clause 0x3
	buffer_load_dword v61, v59, s[0:3], 0 offen offset:8
	buffer_load_dword v62, v59, s[0:3], 0 offen offset:12
	buffer_load_dword v63, v59, s[0:3], 0 offen
	buffer_load_dword v64, v59, s[0:3], 0 offen offset:4
	s_waitcnt vmcnt(2) lgkmcnt(0)
	v_mul_f64 v[66:67], v[3:4], v[61:62]
	v_mul_f64 v[61:62], v[1:2], v[61:62]
	s_waitcnt vmcnt(0)
	v_fma_f64 v[1:2], v[1:2], v[63:64], -v[66:67]
	v_fma_f64 v[3:4], v[3:4], v[63:64], v[61:62]
.LBB26_110:
	s_and_saveexec_b32 s35, s4
	s_cbranch_execz .LBB26_114
; %bb.111:
	v_add_nc_u32_e32 v61, -13, v0
	s_movk_i32 s36, 0x280
	s_mov_b32 s4, 0
	s_mov_b32 s37, s20
	.p2align	6
.LBB26_112:                             ; =>This Inner Loop Header: Depth=1
	v_mov_b32_e32 v64, s37
	v_add_nc_u32_e32 v61, -1, v61
	s_add_i32 s37, s37, 16
	s_clause 0x3
	buffer_load_dword v62, v64, s[0:3], 0 offen offset:8
	buffer_load_dword v63, v64, s[0:3], 0 offen offset:12
	buffer_load_dword v70, v64, s[0:3], 0 offen
	buffer_load_dword v71, v64, s[0:3], 0 offen offset:4
	v_mov_b32_e32 v64, s36
	v_cmp_eq_u32_e32 vcc_lo, 0, v61
	s_add_i32 s36, s36, 16
	ds_read_b128 v[66:69], v64
	s_or_b32 s4, vcc_lo, s4
	s_waitcnt vmcnt(2) lgkmcnt(0)
	v_mul_f64 v[72:73], v[68:69], v[62:63]
	v_mul_f64 v[62:63], v[66:67], v[62:63]
	s_waitcnt vmcnt(0)
	v_fma_f64 v[66:67], v[66:67], v[70:71], -v[72:73]
	v_fma_f64 v[62:63], v[68:69], v[70:71], v[62:63]
	v_add_f64 v[1:2], v[1:2], v[66:67]
	v_add_f64 v[3:4], v[3:4], v[62:63]
	s_andn2_b32 exec_lo, exec_lo, s4
	s_cbranch_execnz .LBB26_112
; %bb.113:
	s_or_b32 exec_lo, exec_lo, s4
.LBB26_114:
	s_or_b32 exec_lo, exec_lo, s35
	v_mov_b32_e32 v61, 0
	ds_read_b128 v[61:64], v61 offset:192
	s_waitcnt lgkmcnt(0)
	v_mul_f64 v[66:67], v[3:4], v[63:64]
	v_mul_f64 v[63:64], v[1:2], v[63:64]
	v_fma_f64 v[1:2], v[1:2], v[61:62], -v[66:67]
	v_fma_f64 v[3:4], v[3:4], v[61:62], v[63:64]
	buffer_store_dword v2, off, s[0:3], 0 offset:196
	buffer_store_dword v1, off, s[0:3], 0 offset:192
	;; [unrolled: 1-line block ×4, first 2 shown]
.LBB26_115:
	s_or_b32 exec_lo, exec_lo, s8
	v_mov_b32_e32 v4, s22
	v_cmp_lt_u32_e64 s4, 11, v0
	s_clause 0x3
	buffer_load_dword v1, v4, s[0:3], 0 offen
	buffer_load_dword v2, v4, s[0:3], 0 offen offset:4
	buffer_load_dword v3, v4, s[0:3], 0 offen offset:8
	;; [unrolled: 1-line block ×3, first 2 shown]
	s_waitcnt vmcnt(0)
	ds_write_b128 v60, v[1:4]
	s_waitcnt lgkmcnt(0)
	s_waitcnt_vscnt null, 0x0
	s_barrier
	buffer_gl0_inv
	s_and_saveexec_b32 s8, s4
	s_cbranch_execz .LBB26_123
; %bb.116:
	ds_read_b128 v[1:4], v60
	s_andn2_b32 vcc_lo, exec_lo, s34
	s_cbranch_vccnz .LBB26_118
; %bb.117:
	s_clause 0x3
	buffer_load_dword v61, v59, s[0:3], 0 offen offset:8
	buffer_load_dword v62, v59, s[0:3], 0 offen offset:12
	buffer_load_dword v63, v59, s[0:3], 0 offen
	buffer_load_dword v64, v59, s[0:3], 0 offen offset:4
	s_waitcnt vmcnt(2) lgkmcnt(0)
	v_mul_f64 v[66:67], v[3:4], v[61:62]
	v_mul_f64 v[61:62], v[1:2], v[61:62]
	s_waitcnt vmcnt(0)
	v_fma_f64 v[1:2], v[1:2], v[63:64], -v[66:67]
	v_fma_f64 v[3:4], v[3:4], v[63:64], v[61:62]
.LBB26_118:
	s_and_saveexec_b32 s35, s5
	s_cbranch_execz .LBB26_122
; %bb.119:
	v_add_nc_u32_e32 v61, -12, v0
	s_movk_i32 s36, 0x270
	s_mov_b32 s5, 0
	s_mov_b32 s37, s21
	.p2align	6
.LBB26_120:                             ; =>This Inner Loop Header: Depth=1
	v_mov_b32_e32 v64, s37
	v_add_nc_u32_e32 v61, -1, v61
	s_add_i32 s37, s37, 16
	s_clause 0x3
	buffer_load_dword v62, v64, s[0:3], 0 offen offset:8
	buffer_load_dword v63, v64, s[0:3], 0 offen offset:12
	buffer_load_dword v70, v64, s[0:3], 0 offen
	buffer_load_dword v71, v64, s[0:3], 0 offen offset:4
	v_mov_b32_e32 v64, s36
	v_cmp_eq_u32_e32 vcc_lo, 0, v61
	s_add_i32 s36, s36, 16
	ds_read_b128 v[66:69], v64
	s_or_b32 s5, vcc_lo, s5
	s_waitcnt vmcnt(2) lgkmcnt(0)
	v_mul_f64 v[72:73], v[68:69], v[62:63]
	v_mul_f64 v[62:63], v[66:67], v[62:63]
	s_waitcnt vmcnt(0)
	v_fma_f64 v[66:67], v[66:67], v[70:71], -v[72:73]
	v_fma_f64 v[62:63], v[68:69], v[70:71], v[62:63]
	v_add_f64 v[1:2], v[1:2], v[66:67]
	v_add_f64 v[3:4], v[3:4], v[62:63]
	s_andn2_b32 exec_lo, exec_lo, s5
	s_cbranch_execnz .LBB26_120
; %bb.121:
	s_or_b32 exec_lo, exec_lo, s5
.LBB26_122:
	s_or_b32 exec_lo, exec_lo, s35
	v_mov_b32_e32 v61, 0
	ds_read_b128 v[61:64], v61 offset:176
	s_waitcnt lgkmcnt(0)
	v_mul_f64 v[66:67], v[3:4], v[63:64]
	v_mul_f64 v[63:64], v[1:2], v[63:64]
	v_fma_f64 v[1:2], v[1:2], v[61:62], -v[66:67]
	v_fma_f64 v[3:4], v[3:4], v[61:62], v[63:64]
	buffer_store_dword v2, off, s[0:3], 0 offset:180
	buffer_store_dword v1, off, s[0:3], 0 offset:176
	;; [unrolled: 1-line block ×4, first 2 shown]
.LBB26_123:
	s_or_b32 exec_lo, exec_lo, s8
	v_mov_b32_e32 v4, s23
	v_cmp_lt_u32_e64 s5, 10, v0
	s_clause 0x3
	buffer_load_dword v1, v4, s[0:3], 0 offen
	buffer_load_dword v2, v4, s[0:3], 0 offen offset:4
	buffer_load_dword v3, v4, s[0:3], 0 offen offset:8
	;; [unrolled: 1-line block ×3, first 2 shown]
	s_waitcnt vmcnt(0)
	ds_write_b128 v60, v[1:4]
	s_waitcnt lgkmcnt(0)
	s_waitcnt_vscnt null, 0x0
	s_barrier
	buffer_gl0_inv
	s_and_saveexec_b32 s8, s5
	s_cbranch_execz .LBB26_131
; %bb.124:
	ds_read_b128 v[1:4], v60
	s_andn2_b32 vcc_lo, exec_lo, s34
	s_cbranch_vccnz .LBB26_126
; %bb.125:
	s_clause 0x3
	buffer_load_dword v61, v59, s[0:3], 0 offen offset:8
	buffer_load_dword v62, v59, s[0:3], 0 offen offset:12
	buffer_load_dword v63, v59, s[0:3], 0 offen
	buffer_load_dword v64, v59, s[0:3], 0 offen offset:4
	s_waitcnt vmcnt(2) lgkmcnt(0)
	v_mul_f64 v[66:67], v[3:4], v[61:62]
	v_mul_f64 v[61:62], v[1:2], v[61:62]
	s_waitcnt vmcnt(0)
	v_fma_f64 v[1:2], v[1:2], v[63:64], -v[66:67]
	v_fma_f64 v[3:4], v[3:4], v[63:64], v[61:62]
.LBB26_126:
	s_and_saveexec_b32 s35, s4
	s_cbranch_execz .LBB26_130
; %bb.127:
	v_add_nc_u32_e32 v61, -11, v0
	s_movk_i32 s36, 0x260
	s_mov_b32 s4, 0
	s_mov_b32 s37, s22
	.p2align	6
.LBB26_128:                             ; =>This Inner Loop Header: Depth=1
	v_mov_b32_e32 v64, s37
	v_add_nc_u32_e32 v61, -1, v61
	s_add_i32 s37, s37, 16
	s_clause 0x3
	buffer_load_dword v62, v64, s[0:3], 0 offen offset:8
	buffer_load_dword v63, v64, s[0:3], 0 offen offset:12
	buffer_load_dword v70, v64, s[0:3], 0 offen
	buffer_load_dword v71, v64, s[0:3], 0 offen offset:4
	v_mov_b32_e32 v64, s36
	v_cmp_eq_u32_e32 vcc_lo, 0, v61
	s_add_i32 s36, s36, 16
	ds_read_b128 v[66:69], v64
	s_or_b32 s4, vcc_lo, s4
	s_waitcnt vmcnt(2) lgkmcnt(0)
	v_mul_f64 v[72:73], v[68:69], v[62:63]
	v_mul_f64 v[62:63], v[66:67], v[62:63]
	s_waitcnt vmcnt(0)
	v_fma_f64 v[66:67], v[66:67], v[70:71], -v[72:73]
	v_fma_f64 v[62:63], v[68:69], v[70:71], v[62:63]
	v_add_f64 v[1:2], v[1:2], v[66:67]
	v_add_f64 v[3:4], v[3:4], v[62:63]
	s_andn2_b32 exec_lo, exec_lo, s4
	s_cbranch_execnz .LBB26_128
; %bb.129:
	s_or_b32 exec_lo, exec_lo, s4
.LBB26_130:
	s_or_b32 exec_lo, exec_lo, s35
	v_mov_b32_e32 v61, 0
	ds_read_b128 v[61:64], v61 offset:160
	s_waitcnt lgkmcnt(0)
	v_mul_f64 v[66:67], v[3:4], v[63:64]
	v_mul_f64 v[63:64], v[1:2], v[63:64]
	v_fma_f64 v[1:2], v[1:2], v[61:62], -v[66:67]
	v_fma_f64 v[3:4], v[3:4], v[61:62], v[63:64]
	buffer_store_dword v2, off, s[0:3], 0 offset:164
	buffer_store_dword v1, off, s[0:3], 0 offset:160
	;; [unrolled: 1-line block ×4, first 2 shown]
.LBB26_131:
	s_or_b32 exec_lo, exec_lo, s8
	v_mov_b32_e32 v4, s24
	v_cmp_lt_u32_e64 s4, 9, v0
	s_clause 0x3
	buffer_load_dword v1, v4, s[0:3], 0 offen
	buffer_load_dword v2, v4, s[0:3], 0 offen offset:4
	buffer_load_dword v3, v4, s[0:3], 0 offen offset:8
	buffer_load_dword v4, v4, s[0:3], 0 offen offset:12
	s_waitcnt vmcnt(0)
	ds_write_b128 v60, v[1:4]
	s_waitcnt lgkmcnt(0)
	s_waitcnt_vscnt null, 0x0
	s_barrier
	buffer_gl0_inv
	s_and_saveexec_b32 s8, s4
	s_cbranch_execz .LBB26_139
; %bb.132:
	ds_read_b128 v[1:4], v60
	s_andn2_b32 vcc_lo, exec_lo, s34
	s_cbranch_vccnz .LBB26_134
; %bb.133:
	s_clause 0x3
	buffer_load_dword v61, v59, s[0:3], 0 offen offset:8
	buffer_load_dword v62, v59, s[0:3], 0 offen offset:12
	buffer_load_dword v63, v59, s[0:3], 0 offen
	buffer_load_dword v64, v59, s[0:3], 0 offen offset:4
	s_waitcnt vmcnt(2) lgkmcnt(0)
	v_mul_f64 v[66:67], v[3:4], v[61:62]
	v_mul_f64 v[61:62], v[1:2], v[61:62]
	s_waitcnt vmcnt(0)
	v_fma_f64 v[1:2], v[1:2], v[63:64], -v[66:67]
	v_fma_f64 v[3:4], v[3:4], v[63:64], v[61:62]
.LBB26_134:
	s_and_saveexec_b32 s35, s5
	s_cbranch_execz .LBB26_138
; %bb.135:
	v_add_nc_u32_e32 v61, -10, v0
	s_movk_i32 s36, 0x250
	s_mov_b32 s5, 0
	s_mov_b32 s37, s23
	.p2align	6
.LBB26_136:                             ; =>This Inner Loop Header: Depth=1
	v_mov_b32_e32 v64, s37
	v_add_nc_u32_e32 v61, -1, v61
	s_add_i32 s37, s37, 16
	s_clause 0x3
	buffer_load_dword v62, v64, s[0:3], 0 offen offset:8
	buffer_load_dword v63, v64, s[0:3], 0 offen offset:12
	buffer_load_dword v70, v64, s[0:3], 0 offen
	buffer_load_dword v71, v64, s[0:3], 0 offen offset:4
	v_mov_b32_e32 v64, s36
	v_cmp_eq_u32_e32 vcc_lo, 0, v61
	s_add_i32 s36, s36, 16
	ds_read_b128 v[66:69], v64
	s_or_b32 s5, vcc_lo, s5
	s_waitcnt vmcnt(2) lgkmcnt(0)
	v_mul_f64 v[72:73], v[68:69], v[62:63]
	v_mul_f64 v[62:63], v[66:67], v[62:63]
	s_waitcnt vmcnt(0)
	v_fma_f64 v[66:67], v[66:67], v[70:71], -v[72:73]
	v_fma_f64 v[62:63], v[68:69], v[70:71], v[62:63]
	v_add_f64 v[1:2], v[1:2], v[66:67]
	v_add_f64 v[3:4], v[3:4], v[62:63]
	s_andn2_b32 exec_lo, exec_lo, s5
	s_cbranch_execnz .LBB26_136
; %bb.137:
	s_or_b32 exec_lo, exec_lo, s5
.LBB26_138:
	s_or_b32 exec_lo, exec_lo, s35
	v_mov_b32_e32 v61, 0
	ds_read_b128 v[61:64], v61 offset:144
	s_waitcnt lgkmcnt(0)
	v_mul_f64 v[66:67], v[3:4], v[63:64]
	v_mul_f64 v[63:64], v[1:2], v[63:64]
	v_fma_f64 v[1:2], v[1:2], v[61:62], -v[66:67]
	v_fma_f64 v[3:4], v[3:4], v[61:62], v[63:64]
	buffer_store_dword v2, off, s[0:3], 0 offset:148
	buffer_store_dword v1, off, s[0:3], 0 offset:144
	;; [unrolled: 1-line block ×4, first 2 shown]
.LBB26_139:
	s_or_b32 exec_lo, exec_lo, s8
	v_mov_b32_e32 v4, s25
	v_cmp_lt_u32_e64 s5, 8, v0
	s_clause 0x3
	buffer_load_dword v1, v4, s[0:3], 0 offen
	buffer_load_dword v2, v4, s[0:3], 0 offen offset:4
	buffer_load_dword v3, v4, s[0:3], 0 offen offset:8
	;; [unrolled: 1-line block ×3, first 2 shown]
	s_waitcnt vmcnt(0)
	ds_write_b128 v60, v[1:4]
	s_waitcnt lgkmcnt(0)
	s_waitcnt_vscnt null, 0x0
	s_barrier
	buffer_gl0_inv
	s_and_saveexec_b32 s8, s5
	s_cbranch_execz .LBB26_147
; %bb.140:
	ds_read_b128 v[1:4], v60
	s_andn2_b32 vcc_lo, exec_lo, s34
	s_cbranch_vccnz .LBB26_142
; %bb.141:
	s_clause 0x3
	buffer_load_dword v61, v59, s[0:3], 0 offen offset:8
	buffer_load_dword v62, v59, s[0:3], 0 offen offset:12
	buffer_load_dword v63, v59, s[0:3], 0 offen
	buffer_load_dword v64, v59, s[0:3], 0 offen offset:4
	s_waitcnt vmcnt(2) lgkmcnt(0)
	v_mul_f64 v[66:67], v[3:4], v[61:62]
	v_mul_f64 v[61:62], v[1:2], v[61:62]
	s_waitcnt vmcnt(0)
	v_fma_f64 v[1:2], v[1:2], v[63:64], -v[66:67]
	v_fma_f64 v[3:4], v[3:4], v[63:64], v[61:62]
.LBB26_142:
	s_and_saveexec_b32 s35, s4
	s_cbranch_execz .LBB26_146
; %bb.143:
	v_add_nc_u32_e32 v61, -9, v0
	s_movk_i32 s36, 0x240
	s_mov_b32 s4, 0
	s_mov_b32 s37, s24
	.p2align	6
.LBB26_144:                             ; =>This Inner Loop Header: Depth=1
	v_mov_b32_e32 v64, s37
	v_add_nc_u32_e32 v61, -1, v61
	s_add_i32 s37, s37, 16
	s_clause 0x3
	buffer_load_dword v62, v64, s[0:3], 0 offen offset:8
	buffer_load_dword v63, v64, s[0:3], 0 offen offset:12
	buffer_load_dword v70, v64, s[0:3], 0 offen
	buffer_load_dword v71, v64, s[0:3], 0 offen offset:4
	v_mov_b32_e32 v64, s36
	v_cmp_eq_u32_e32 vcc_lo, 0, v61
	s_add_i32 s36, s36, 16
	ds_read_b128 v[66:69], v64
	s_or_b32 s4, vcc_lo, s4
	s_waitcnt vmcnt(2) lgkmcnt(0)
	v_mul_f64 v[72:73], v[68:69], v[62:63]
	v_mul_f64 v[62:63], v[66:67], v[62:63]
	s_waitcnt vmcnt(0)
	v_fma_f64 v[66:67], v[66:67], v[70:71], -v[72:73]
	v_fma_f64 v[62:63], v[68:69], v[70:71], v[62:63]
	v_add_f64 v[1:2], v[1:2], v[66:67]
	v_add_f64 v[3:4], v[3:4], v[62:63]
	s_andn2_b32 exec_lo, exec_lo, s4
	s_cbranch_execnz .LBB26_144
; %bb.145:
	s_or_b32 exec_lo, exec_lo, s4
.LBB26_146:
	s_or_b32 exec_lo, exec_lo, s35
	v_mov_b32_e32 v61, 0
	ds_read_b128 v[61:64], v61 offset:128
	s_waitcnt lgkmcnt(0)
	v_mul_f64 v[66:67], v[3:4], v[63:64]
	v_mul_f64 v[63:64], v[1:2], v[63:64]
	v_fma_f64 v[1:2], v[1:2], v[61:62], -v[66:67]
	v_fma_f64 v[3:4], v[3:4], v[61:62], v[63:64]
	buffer_store_dword v2, off, s[0:3], 0 offset:132
	buffer_store_dword v1, off, s[0:3], 0 offset:128
	;; [unrolled: 1-line block ×4, first 2 shown]
.LBB26_147:
	s_or_b32 exec_lo, exec_lo, s8
	v_mov_b32_e32 v4, s26
	v_cmp_lt_u32_e64 s4, 7, v0
	s_clause 0x3
	buffer_load_dword v1, v4, s[0:3], 0 offen
	buffer_load_dword v2, v4, s[0:3], 0 offen offset:4
	buffer_load_dword v3, v4, s[0:3], 0 offen offset:8
	;; [unrolled: 1-line block ×3, first 2 shown]
	s_waitcnt vmcnt(0)
	ds_write_b128 v60, v[1:4]
	s_waitcnt lgkmcnt(0)
	s_waitcnt_vscnt null, 0x0
	s_barrier
	buffer_gl0_inv
	s_and_saveexec_b32 s8, s4
	s_cbranch_execz .LBB26_155
; %bb.148:
	ds_read_b128 v[1:4], v60
	s_andn2_b32 vcc_lo, exec_lo, s34
	s_cbranch_vccnz .LBB26_150
; %bb.149:
	s_clause 0x3
	buffer_load_dword v61, v59, s[0:3], 0 offen offset:8
	buffer_load_dword v62, v59, s[0:3], 0 offen offset:12
	buffer_load_dword v63, v59, s[0:3], 0 offen
	buffer_load_dword v64, v59, s[0:3], 0 offen offset:4
	s_waitcnt vmcnt(2) lgkmcnt(0)
	v_mul_f64 v[66:67], v[3:4], v[61:62]
	v_mul_f64 v[61:62], v[1:2], v[61:62]
	s_waitcnt vmcnt(0)
	v_fma_f64 v[1:2], v[1:2], v[63:64], -v[66:67]
	v_fma_f64 v[3:4], v[3:4], v[63:64], v[61:62]
.LBB26_150:
	s_and_saveexec_b32 s35, s5
	s_cbranch_execz .LBB26_154
; %bb.151:
	v_add_nc_u32_e32 v61, -8, v0
	s_movk_i32 s36, 0x230
	s_mov_b32 s5, 0
	s_mov_b32 s37, s25
	.p2align	6
.LBB26_152:                             ; =>This Inner Loop Header: Depth=1
	v_mov_b32_e32 v64, s37
	v_add_nc_u32_e32 v61, -1, v61
	s_add_i32 s37, s37, 16
	s_clause 0x3
	buffer_load_dword v62, v64, s[0:3], 0 offen offset:8
	buffer_load_dword v63, v64, s[0:3], 0 offen offset:12
	buffer_load_dword v70, v64, s[0:3], 0 offen
	buffer_load_dword v71, v64, s[0:3], 0 offen offset:4
	v_mov_b32_e32 v64, s36
	v_cmp_eq_u32_e32 vcc_lo, 0, v61
	s_add_i32 s36, s36, 16
	ds_read_b128 v[66:69], v64
	s_or_b32 s5, vcc_lo, s5
	s_waitcnt vmcnt(2) lgkmcnt(0)
	v_mul_f64 v[72:73], v[68:69], v[62:63]
	v_mul_f64 v[62:63], v[66:67], v[62:63]
	s_waitcnt vmcnt(0)
	v_fma_f64 v[66:67], v[66:67], v[70:71], -v[72:73]
	v_fma_f64 v[62:63], v[68:69], v[70:71], v[62:63]
	v_add_f64 v[1:2], v[1:2], v[66:67]
	v_add_f64 v[3:4], v[3:4], v[62:63]
	s_andn2_b32 exec_lo, exec_lo, s5
	s_cbranch_execnz .LBB26_152
; %bb.153:
	s_or_b32 exec_lo, exec_lo, s5
.LBB26_154:
	s_or_b32 exec_lo, exec_lo, s35
	v_mov_b32_e32 v61, 0
	ds_read_b128 v[61:64], v61 offset:112
	s_waitcnt lgkmcnt(0)
	v_mul_f64 v[66:67], v[3:4], v[63:64]
	v_mul_f64 v[63:64], v[1:2], v[63:64]
	v_fma_f64 v[1:2], v[1:2], v[61:62], -v[66:67]
	v_fma_f64 v[3:4], v[3:4], v[61:62], v[63:64]
	buffer_store_dword v2, off, s[0:3], 0 offset:116
	buffer_store_dword v1, off, s[0:3], 0 offset:112
	;; [unrolled: 1-line block ×4, first 2 shown]
.LBB26_155:
	s_or_b32 exec_lo, exec_lo, s8
	v_mov_b32_e32 v4, s27
	v_cmp_lt_u32_e64 s5, 6, v0
	s_clause 0x3
	buffer_load_dword v1, v4, s[0:3], 0 offen
	buffer_load_dword v2, v4, s[0:3], 0 offen offset:4
	buffer_load_dword v3, v4, s[0:3], 0 offen offset:8
	;; [unrolled: 1-line block ×3, first 2 shown]
	s_waitcnt vmcnt(0)
	ds_write_b128 v60, v[1:4]
	s_waitcnt lgkmcnt(0)
	s_waitcnt_vscnt null, 0x0
	s_barrier
	buffer_gl0_inv
	s_and_saveexec_b32 s8, s5
	s_cbranch_execz .LBB26_163
; %bb.156:
	ds_read_b128 v[1:4], v60
	s_andn2_b32 vcc_lo, exec_lo, s34
	s_cbranch_vccnz .LBB26_158
; %bb.157:
	s_clause 0x3
	buffer_load_dword v61, v59, s[0:3], 0 offen offset:8
	buffer_load_dword v62, v59, s[0:3], 0 offen offset:12
	buffer_load_dword v63, v59, s[0:3], 0 offen
	buffer_load_dword v64, v59, s[0:3], 0 offen offset:4
	s_waitcnt vmcnt(2) lgkmcnt(0)
	v_mul_f64 v[66:67], v[3:4], v[61:62]
	v_mul_f64 v[61:62], v[1:2], v[61:62]
	s_waitcnt vmcnt(0)
	v_fma_f64 v[1:2], v[1:2], v[63:64], -v[66:67]
	v_fma_f64 v[3:4], v[3:4], v[63:64], v[61:62]
.LBB26_158:
	s_and_saveexec_b32 s35, s4
	s_cbranch_execz .LBB26_162
; %bb.159:
	v_add_nc_u32_e32 v61, -7, v0
	s_movk_i32 s36, 0x220
	s_mov_b32 s4, 0
	s_mov_b32 s37, s26
	.p2align	6
.LBB26_160:                             ; =>This Inner Loop Header: Depth=1
	v_mov_b32_e32 v64, s37
	v_add_nc_u32_e32 v61, -1, v61
	s_add_i32 s37, s37, 16
	s_clause 0x3
	buffer_load_dword v62, v64, s[0:3], 0 offen offset:8
	buffer_load_dword v63, v64, s[0:3], 0 offen offset:12
	buffer_load_dword v70, v64, s[0:3], 0 offen
	buffer_load_dword v71, v64, s[0:3], 0 offen offset:4
	v_mov_b32_e32 v64, s36
	v_cmp_eq_u32_e32 vcc_lo, 0, v61
	s_add_i32 s36, s36, 16
	ds_read_b128 v[66:69], v64
	s_or_b32 s4, vcc_lo, s4
	s_waitcnt vmcnt(2) lgkmcnt(0)
	v_mul_f64 v[72:73], v[68:69], v[62:63]
	v_mul_f64 v[62:63], v[66:67], v[62:63]
	s_waitcnt vmcnt(0)
	v_fma_f64 v[66:67], v[66:67], v[70:71], -v[72:73]
	v_fma_f64 v[62:63], v[68:69], v[70:71], v[62:63]
	v_add_f64 v[1:2], v[1:2], v[66:67]
	v_add_f64 v[3:4], v[3:4], v[62:63]
	s_andn2_b32 exec_lo, exec_lo, s4
	s_cbranch_execnz .LBB26_160
; %bb.161:
	s_or_b32 exec_lo, exec_lo, s4
.LBB26_162:
	s_or_b32 exec_lo, exec_lo, s35
	v_mov_b32_e32 v61, 0
	ds_read_b128 v[61:64], v61 offset:96
	s_waitcnt lgkmcnt(0)
	v_mul_f64 v[66:67], v[3:4], v[63:64]
	v_mul_f64 v[63:64], v[1:2], v[63:64]
	v_fma_f64 v[1:2], v[1:2], v[61:62], -v[66:67]
	v_fma_f64 v[3:4], v[3:4], v[61:62], v[63:64]
	buffer_store_dword v2, off, s[0:3], 0 offset:100
	buffer_store_dword v1, off, s[0:3], 0 offset:96
	;; [unrolled: 1-line block ×4, first 2 shown]
.LBB26_163:
	s_or_b32 exec_lo, exec_lo, s8
	v_mov_b32_e32 v4, s28
	v_cmp_lt_u32_e64 s4, 5, v0
	s_clause 0x3
	buffer_load_dword v1, v4, s[0:3], 0 offen
	buffer_load_dword v2, v4, s[0:3], 0 offen offset:4
	buffer_load_dword v3, v4, s[0:3], 0 offen offset:8
	;; [unrolled: 1-line block ×3, first 2 shown]
	s_waitcnt vmcnt(0)
	ds_write_b128 v60, v[1:4]
	s_waitcnt lgkmcnt(0)
	s_waitcnt_vscnt null, 0x0
	s_barrier
	buffer_gl0_inv
	s_and_saveexec_b32 s8, s4
	s_cbranch_execz .LBB26_171
; %bb.164:
	ds_read_b128 v[1:4], v60
	s_andn2_b32 vcc_lo, exec_lo, s34
	s_cbranch_vccnz .LBB26_166
; %bb.165:
	s_clause 0x3
	buffer_load_dword v61, v59, s[0:3], 0 offen offset:8
	buffer_load_dword v62, v59, s[0:3], 0 offen offset:12
	buffer_load_dword v63, v59, s[0:3], 0 offen
	buffer_load_dword v64, v59, s[0:3], 0 offen offset:4
	s_waitcnt vmcnt(2) lgkmcnt(0)
	v_mul_f64 v[66:67], v[3:4], v[61:62]
	v_mul_f64 v[61:62], v[1:2], v[61:62]
	s_waitcnt vmcnt(0)
	v_fma_f64 v[1:2], v[1:2], v[63:64], -v[66:67]
	v_fma_f64 v[3:4], v[3:4], v[63:64], v[61:62]
.LBB26_166:
	s_and_saveexec_b32 s35, s5
	s_cbranch_execz .LBB26_170
; %bb.167:
	v_add_nc_u32_e32 v61, -6, v0
	s_movk_i32 s36, 0x210
	s_mov_b32 s5, 0
	s_mov_b32 s37, s27
	.p2align	6
.LBB26_168:                             ; =>This Inner Loop Header: Depth=1
	v_mov_b32_e32 v64, s37
	v_add_nc_u32_e32 v61, -1, v61
	s_add_i32 s37, s37, 16
	s_clause 0x3
	buffer_load_dword v62, v64, s[0:3], 0 offen offset:8
	buffer_load_dword v63, v64, s[0:3], 0 offen offset:12
	buffer_load_dword v70, v64, s[0:3], 0 offen
	buffer_load_dword v71, v64, s[0:3], 0 offen offset:4
	v_mov_b32_e32 v64, s36
	v_cmp_eq_u32_e32 vcc_lo, 0, v61
	s_add_i32 s36, s36, 16
	ds_read_b128 v[66:69], v64
	s_or_b32 s5, vcc_lo, s5
	s_waitcnt vmcnt(2) lgkmcnt(0)
	v_mul_f64 v[72:73], v[68:69], v[62:63]
	v_mul_f64 v[62:63], v[66:67], v[62:63]
	s_waitcnt vmcnt(0)
	v_fma_f64 v[66:67], v[66:67], v[70:71], -v[72:73]
	v_fma_f64 v[62:63], v[68:69], v[70:71], v[62:63]
	v_add_f64 v[1:2], v[1:2], v[66:67]
	v_add_f64 v[3:4], v[3:4], v[62:63]
	s_andn2_b32 exec_lo, exec_lo, s5
	s_cbranch_execnz .LBB26_168
; %bb.169:
	s_or_b32 exec_lo, exec_lo, s5
.LBB26_170:
	s_or_b32 exec_lo, exec_lo, s35
	v_mov_b32_e32 v61, 0
	ds_read_b128 v[61:64], v61 offset:80
	s_waitcnt lgkmcnt(0)
	v_mul_f64 v[66:67], v[3:4], v[63:64]
	v_mul_f64 v[63:64], v[1:2], v[63:64]
	v_fma_f64 v[1:2], v[1:2], v[61:62], -v[66:67]
	v_fma_f64 v[3:4], v[3:4], v[61:62], v[63:64]
	buffer_store_dword v2, off, s[0:3], 0 offset:84
	buffer_store_dword v1, off, s[0:3], 0 offset:80
	;; [unrolled: 1-line block ×4, first 2 shown]
.LBB26_171:
	s_or_b32 exec_lo, exec_lo, s8
	v_mov_b32_e32 v4, s29
	v_cmp_lt_u32_e64 s5, 4, v0
	s_clause 0x3
	buffer_load_dword v1, v4, s[0:3], 0 offen
	buffer_load_dword v2, v4, s[0:3], 0 offen offset:4
	buffer_load_dword v3, v4, s[0:3], 0 offen offset:8
	;; [unrolled: 1-line block ×3, first 2 shown]
	s_waitcnt vmcnt(0)
	ds_write_b128 v60, v[1:4]
	s_waitcnt lgkmcnt(0)
	s_waitcnt_vscnt null, 0x0
	s_barrier
	buffer_gl0_inv
	s_and_saveexec_b32 s8, s5
	s_cbranch_execz .LBB26_179
; %bb.172:
	ds_read_b128 v[1:4], v60
	s_andn2_b32 vcc_lo, exec_lo, s34
	s_cbranch_vccnz .LBB26_174
; %bb.173:
	s_clause 0x3
	buffer_load_dword v61, v59, s[0:3], 0 offen offset:8
	buffer_load_dword v62, v59, s[0:3], 0 offen offset:12
	buffer_load_dword v63, v59, s[0:3], 0 offen
	buffer_load_dword v64, v59, s[0:3], 0 offen offset:4
	s_waitcnt vmcnt(2) lgkmcnt(0)
	v_mul_f64 v[66:67], v[3:4], v[61:62]
	v_mul_f64 v[61:62], v[1:2], v[61:62]
	s_waitcnt vmcnt(0)
	v_fma_f64 v[1:2], v[1:2], v[63:64], -v[66:67]
	v_fma_f64 v[3:4], v[3:4], v[63:64], v[61:62]
.LBB26_174:
	s_and_saveexec_b32 s35, s4
	s_cbranch_execz .LBB26_178
; %bb.175:
	v_add_nc_u32_e32 v61, -5, v0
	s_movk_i32 s36, 0x200
	s_mov_b32 s4, 0
	s_mov_b32 s37, s28
	.p2align	6
.LBB26_176:                             ; =>This Inner Loop Header: Depth=1
	v_mov_b32_e32 v64, s37
	v_add_nc_u32_e32 v61, -1, v61
	s_add_i32 s37, s37, 16
	s_clause 0x3
	buffer_load_dword v62, v64, s[0:3], 0 offen offset:8
	buffer_load_dword v63, v64, s[0:3], 0 offen offset:12
	buffer_load_dword v70, v64, s[0:3], 0 offen
	buffer_load_dword v71, v64, s[0:3], 0 offen offset:4
	v_mov_b32_e32 v64, s36
	v_cmp_eq_u32_e32 vcc_lo, 0, v61
	s_add_i32 s36, s36, 16
	ds_read_b128 v[66:69], v64
	s_or_b32 s4, vcc_lo, s4
	s_waitcnt vmcnt(2) lgkmcnt(0)
	v_mul_f64 v[72:73], v[68:69], v[62:63]
	v_mul_f64 v[62:63], v[66:67], v[62:63]
	s_waitcnt vmcnt(0)
	v_fma_f64 v[66:67], v[66:67], v[70:71], -v[72:73]
	v_fma_f64 v[62:63], v[68:69], v[70:71], v[62:63]
	v_add_f64 v[1:2], v[1:2], v[66:67]
	v_add_f64 v[3:4], v[3:4], v[62:63]
	s_andn2_b32 exec_lo, exec_lo, s4
	s_cbranch_execnz .LBB26_176
; %bb.177:
	s_or_b32 exec_lo, exec_lo, s4
.LBB26_178:
	s_or_b32 exec_lo, exec_lo, s35
	v_mov_b32_e32 v61, 0
	ds_read_b128 v[61:64], v61 offset:64
	s_waitcnt lgkmcnt(0)
	v_mul_f64 v[66:67], v[3:4], v[63:64]
	v_mul_f64 v[63:64], v[1:2], v[63:64]
	v_fma_f64 v[1:2], v[1:2], v[61:62], -v[66:67]
	v_fma_f64 v[3:4], v[3:4], v[61:62], v[63:64]
	buffer_store_dword v2, off, s[0:3], 0 offset:68
	buffer_store_dword v1, off, s[0:3], 0 offset:64
	;; [unrolled: 1-line block ×4, first 2 shown]
.LBB26_179:
	s_or_b32 exec_lo, exec_lo, s8
	v_mov_b32_e32 v4, s30
	v_cmp_lt_u32_e64 s4, 3, v0
	s_clause 0x3
	buffer_load_dword v1, v4, s[0:3], 0 offen
	buffer_load_dword v2, v4, s[0:3], 0 offen offset:4
	buffer_load_dword v3, v4, s[0:3], 0 offen offset:8
	;; [unrolled: 1-line block ×3, first 2 shown]
	s_waitcnt vmcnt(0)
	ds_write_b128 v60, v[1:4]
	s_waitcnt lgkmcnt(0)
	s_waitcnt_vscnt null, 0x0
	s_barrier
	buffer_gl0_inv
	s_and_saveexec_b32 s8, s4
	s_cbranch_execz .LBB26_187
; %bb.180:
	ds_read_b128 v[1:4], v60
	s_andn2_b32 vcc_lo, exec_lo, s34
	s_cbranch_vccnz .LBB26_182
; %bb.181:
	s_clause 0x3
	buffer_load_dword v61, v59, s[0:3], 0 offen offset:8
	buffer_load_dword v62, v59, s[0:3], 0 offen offset:12
	buffer_load_dword v63, v59, s[0:3], 0 offen
	buffer_load_dword v64, v59, s[0:3], 0 offen offset:4
	s_waitcnt vmcnt(2) lgkmcnt(0)
	v_mul_f64 v[66:67], v[3:4], v[61:62]
	v_mul_f64 v[61:62], v[1:2], v[61:62]
	s_waitcnt vmcnt(0)
	v_fma_f64 v[1:2], v[1:2], v[63:64], -v[66:67]
	v_fma_f64 v[3:4], v[3:4], v[63:64], v[61:62]
.LBB26_182:
	s_and_saveexec_b32 s35, s5
	s_cbranch_execz .LBB26_186
; %bb.183:
	v_add_nc_u32_e32 v61, -4, v0
	s_movk_i32 s36, 0x1f0
	s_mov_b32 s5, 0
	s_mov_b32 s37, s29
	.p2align	6
.LBB26_184:                             ; =>This Inner Loop Header: Depth=1
	v_mov_b32_e32 v64, s37
	v_add_nc_u32_e32 v61, -1, v61
	s_add_i32 s37, s37, 16
	s_clause 0x3
	buffer_load_dword v62, v64, s[0:3], 0 offen offset:8
	buffer_load_dword v63, v64, s[0:3], 0 offen offset:12
	buffer_load_dword v70, v64, s[0:3], 0 offen
	buffer_load_dword v71, v64, s[0:3], 0 offen offset:4
	v_mov_b32_e32 v64, s36
	v_cmp_eq_u32_e32 vcc_lo, 0, v61
	s_add_i32 s36, s36, 16
	ds_read_b128 v[66:69], v64
	s_or_b32 s5, vcc_lo, s5
	s_waitcnt vmcnt(2) lgkmcnt(0)
	v_mul_f64 v[72:73], v[68:69], v[62:63]
	v_mul_f64 v[62:63], v[66:67], v[62:63]
	s_waitcnt vmcnt(0)
	v_fma_f64 v[66:67], v[66:67], v[70:71], -v[72:73]
	v_fma_f64 v[62:63], v[68:69], v[70:71], v[62:63]
	v_add_f64 v[1:2], v[1:2], v[66:67]
	v_add_f64 v[3:4], v[3:4], v[62:63]
	s_andn2_b32 exec_lo, exec_lo, s5
	s_cbranch_execnz .LBB26_184
; %bb.185:
	s_or_b32 exec_lo, exec_lo, s5
.LBB26_186:
	s_or_b32 exec_lo, exec_lo, s35
	v_mov_b32_e32 v61, 0
	ds_read_b128 v[61:64], v61 offset:48
	s_waitcnt lgkmcnt(0)
	v_mul_f64 v[66:67], v[3:4], v[63:64]
	v_mul_f64 v[63:64], v[1:2], v[63:64]
	v_fma_f64 v[1:2], v[1:2], v[61:62], -v[66:67]
	v_fma_f64 v[3:4], v[3:4], v[61:62], v[63:64]
	buffer_store_dword v2, off, s[0:3], 0 offset:52
	buffer_store_dword v1, off, s[0:3], 0 offset:48
	;; [unrolled: 1-line block ×4, first 2 shown]
.LBB26_187:
	s_or_b32 exec_lo, exec_lo, s8
	v_mov_b32_e32 v4, s31
	v_cmp_lt_u32_e64 s5, 2, v0
	s_clause 0x3
	buffer_load_dword v1, v4, s[0:3], 0 offen
	buffer_load_dword v2, v4, s[0:3], 0 offen offset:4
	buffer_load_dword v3, v4, s[0:3], 0 offen offset:8
	;; [unrolled: 1-line block ×3, first 2 shown]
	s_waitcnt vmcnt(0)
	ds_write_b128 v60, v[1:4]
	s_waitcnt lgkmcnt(0)
	s_waitcnt_vscnt null, 0x0
	s_barrier
	buffer_gl0_inv
	s_and_saveexec_b32 s8, s5
	s_cbranch_execz .LBB26_195
; %bb.188:
	ds_read_b128 v[1:4], v60
	s_andn2_b32 vcc_lo, exec_lo, s34
	s_cbranch_vccnz .LBB26_190
; %bb.189:
	s_clause 0x3
	buffer_load_dword v61, v59, s[0:3], 0 offen offset:8
	buffer_load_dword v62, v59, s[0:3], 0 offen offset:12
	buffer_load_dword v63, v59, s[0:3], 0 offen
	buffer_load_dword v64, v59, s[0:3], 0 offen offset:4
	s_waitcnt vmcnt(2) lgkmcnt(0)
	v_mul_f64 v[66:67], v[3:4], v[61:62]
	v_mul_f64 v[61:62], v[1:2], v[61:62]
	s_waitcnt vmcnt(0)
	v_fma_f64 v[1:2], v[1:2], v[63:64], -v[66:67]
	v_fma_f64 v[3:4], v[3:4], v[63:64], v[61:62]
.LBB26_190:
	s_and_saveexec_b32 s35, s4
	s_cbranch_execz .LBB26_194
; %bb.191:
	v_add_nc_u32_e32 v61, -3, v0
	s_movk_i32 s36, 0x1e0
	s_mov_b32 s4, 0
	s_mov_b32 s37, s30
	.p2align	6
.LBB26_192:                             ; =>This Inner Loop Header: Depth=1
	v_mov_b32_e32 v64, s37
	v_add_nc_u32_e32 v61, -1, v61
	s_add_i32 s37, s37, 16
	s_clause 0x3
	buffer_load_dword v62, v64, s[0:3], 0 offen offset:8
	buffer_load_dword v63, v64, s[0:3], 0 offen offset:12
	buffer_load_dword v70, v64, s[0:3], 0 offen
	buffer_load_dword v71, v64, s[0:3], 0 offen offset:4
	v_mov_b32_e32 v64, s36
	v_cmp_eq_u32_e32 vcc_lo, 0, v61
	s_add_i32 s36, s36, 16
	ds_read_b128 v[66:69], v64
	s_or_b32 s4, vcc_lo, s4
	s_waitcnt vmcnt(2) lgkmcnt(0)
	v_mul_f64 v[72:73], v[68:69], v[62:63]
	v_mul_f64 v[62:63], v[66:67], v[62:63]
	s_waitcnt vmcnt(0)
	v_fma_f64 v[66:67], v[66:67], v[70:71], -v[72:73]
	v_fma_f64 v[62:63], v[68:69], v[70:71], v[62:63]
	v_add_f64 v[1:2], v[1:2], v[66:67]
	v_add_f64 v[3:4], v[3:4], v[62:63]
	s_andn2_b32 exec_lo, exec_lo, s4
	s_cbranch_execnz .LBB26_192
; %bb.193:
	s_or_b32 exec_lo, exec_lo, s4
.LBB26_194:
	s_or_b32 exec_lo, exec_lo, s35
	v_mov_b32_e32 v61, 0
	ds_read_b128 v[61:64], v61 offset:32
	s_waitcnt lgkmcnt(0)
	v_mul_f64 v[66:67], v[3:4], v[63:64]
	v_mul_f64 v[63:64], v[1:2], v[63:64]
	v_fma_f64 v[1:2], v[1:2], v[61:62], -v[66:67]
	v_fma_f64 v[3:4], v[3:4], v[61:62], v[63:64]
	buffer_store_dword v2, off, s[0:3], 0 offset:36
	buffer_store_dword v1, off, s[0:3], 0 offset:32
	;; [unrolled: 1-line block ×4, first 2 shown]
.LBB26_195:
	s_or_b32 exec_lo, exec_lo, s8
	v_mov_b32_e32 v4, s33
	v_cmp_lt_u32_e64 s4, 1, v0
	s_clause 0x3
	buffer_load_dword v1, v4, s[0:3], 0 offen
	buffer_load_dword v2, v4, s[0:3], 0 offen offset:4
	buffer_load_dword v3, v4, s[0:3], 0 offen offset:8
	;; [unrolled: 1-line block ×3, first 2 shown]
	s_waitcnt vmcnt(0)
	ds_write_b128 v60, v[1:4]
	s_waitcnt lgkmcnt(0)
	s_waitcnt_vscnt null, 0x0
	s_barrier
	buffer_gl0_inv
	s_and_saveexec_b32 s8, s4
	s_cbranch_execz .LBB26_203
; %bb.196:
	ds_read_b128 v[1:4], v60
	s_andn2_b32 vcc_lo, exec_lo, s34
	s_cbranch_vccnz .LBB26_198
; %bb.197:
	s_clause 0x3
	buffer_load_dword v61, v59, s[0:3], 0 offen offset:8
	buffer_load_dword v62, v59, s[0:3], 0 offen offset:12
	buffer_load_dword v63, v59, s[0:3], 0 offen
	buffer_load_dword v64, v59, s[0:3], 0 offen offset:4
	s_waitcnt vmcnt(2) lgkmcnt(0)
	v_mul_f64 v[66:67], v[3:4], v[61:62]
	v_mul_f64 v[61:62], v[1:2], v[61:62]
	s_waitcnt vmcnt(0)
	v_fma_f64 v[1:2], v[1:2], v[63:64], -v[66:67]
	v_fma_f64 v[3:4], v[3:4], v[63:64], v[61:62]
.LBB26_198:
	s_and_saveexec_b32 s35, s5
	s_cbranch_execz .LBB26_202
; %bb.199:
	v_add_nc_u32_e32 v61, -2, v0
	s_movk_i32 s36, 0x1d0
	s_mov_b32 s5, 0
	s_mov_b32 s37, s31
	.p2align	6
.LBB26_200:                             ; =>This Inner Loop Header: Depth=1
	v_mov_b32_e32 v64, s37
	v_add_nc_u32_e32 v61, -1, v61
	s_add_i32 s37, s37, 16
	s_clause 0x3
	buffer_load_dword v62, v64, s[0:3], 0 offen offset:8
	buffer_load_dword v63, v64, s[0:3], 0 offen offset:12
	buffer_load_dword v70, v64, s[0:3], 0 offen
	buffer_load_dword v71, v64, s[0:3], 0 offen offset:4
	v_mov_b32_e32 v64, s36
	v_cmp_eq_u32_e32 vcc_lo, 0, v61
	s_add_i32 s36, s36, 16
	ds_read_b128 v[66:69], v64
	s_or_b32 s5, vcc_lo, s5
	s_waitcnt vmcnt(2) lgkmcnt(0)
	v_mul_f64 v[72:73], v[68:69], v[62:63]
	v_mul_f64 v[62:63], v[66:67], v[62:63]
	s_waitcnt vmcnt(0)
	v_fma_f64 v[66:67], v[66:67], v[70:71], -v[72:73]
	v_fma_f64 v[62:63], v[68:69], v[70:71], v[62:63]
	v_add_f64 v[1:2], v[1:2], v[66:67]
	v_add_f64 v[3:4], v[3:4], v[62:63]
	s_andn2_b32 exec_lo, exec_lo, s5
	s_cbranch_execnz .LBB26_200
; %bb.201:
	s_or_b32 exec_lo, exec_lo, s5
.LBB26_202:
	s_or_b32 exec_lo, exec_lo, s35
	v_mov_b32_e32 v61, 0
	ds_read_b128 v[61:64], v61 offset:16
	s_waitcnt lgkmcnt(0)
	v_mul_f64 v[66:67], v[3:4], v[63:64]
	v_mul_f64 v[63:64], v[1:2], v[63:64]
	v_fma_f64 v[1:2], v[1:2], v[61:62], -v[66:67]
	v_fma_f64 v[3:4], v[3:4], v[61:62], v[63:64]
	buffer_store_dword v2, off, s[0:3], 0 offset:20
	buffer_store_dword v1, off, s[0:3], 0 offset:16
	;; [unrolled: 1-line block ×4, first 2 shown]
.LBB26_203:
	s_or_b32 exec_lo, exec_lo, s8
	s_clause 0x3
	buffer_load_dword v1, off, s[0:3], 0
	buffer_load_dword v2, off, s[0:3], 0 offset:4
	buffer_load_dword v3, off, s[0:3], 0 offset:8
	buffer_load_dword v4, off, s[0:3], 0 offset:12
	s_mov_b32 s8, 0
	s_mov_b32 s5, 0
	s_mov_b32 s35, exec_lo
                                        ; implicit-def: $sgpr36
	s_waitcnt vmcnt(0)
	ds_write_b128 v60, v[1:4]
	s_waitcnt lgkmcnt(0)
	s_waitcnt_vscnt null, 0x0
	s_barrier
	buffer_gl0_inv
                                        ; implicit-def: $vgpr1_vgpr2
	v_cmpx_ne_u32_e32 0, v0
	s_cbranch_execz .LBB26_211
; %bb.204:
	ds_read_b128 v[1:4], v60
	s_andn2_b32 vcc_lo, exec_lo, s34
	s_cbranch_vccnz .LBB26_206
; %bb.205:
	s_clause 0x3
	buffer_load_dword v61, v59, s[0:3], 0 offen offset:8
	buffer_load_dword v62, v59, s[0:3], 0 offen offset:12
	buffer_load_dword v63, v59, s[0:3], 0 offen
	buffer_load_dword v64, v59, s[0:3], 0 offen offset:4
	s_waitcnt vmcnt(2) lgkmcnt(0)
	v_mul_f64 v[66:67], v[3:4], v[61:62]
	v_mul_f64 v[61:62], v[1:2], v[61:62]
	s_waitcnt vmcnt(0)
	v_fma_f64 v[1:2], v[1:2], v[63:64], -v[66:67]
	v_fma_f64 v[3:4], v[3:4], v[63:64], v[61:62]
.LBB26_206:
	s_and_saveexec_b32 s5, s4
	s_cbranch_execz .LBB26_210
; %bb.207:
	v_add_nc_u32_e32 v61, -1, v0
	s_movk_i32 s36, 0x1c0
	s_mov_b32 s4, 0
	s_mov_b32 s37, s33
	.p2align	6
.LBB26_208:                             ; =>This Inner Loop Header: Depth=1
	v_mov_b32_e32 v64, s37
	v_add_nc_u32_e32 v61, -1, v61
	s_add_i32 s37, s37, 16
	s_clause 0x3
	buffer_load_dword v62, v64, s[0:3], 0 offen offset:8
	buffer_load_dword v63, v64, s[0:3], 0 offen offset:12
	buffer_load_dword v70, v64, s[0:3], 0 offen
	buffer_load_dword v71, v64, s[0:3], 0 offen offset:4
	v_mov_b32_e32 v64, s36
	v_cmp_eq_u32_e32 vcc_lo, 0, v61
	s_add_i32 s36, s36, 16
	ds_read_b128 v[66:69], v64
	s_or_b32 s4, vcc_lo, s4
	s_waitcnt vmcnt(2) lgkmcnt(0)
	v_mul_f64 v[72:73], v[68:69], v[62:63]
	v_mul_f64 v[62:63], v[66:67], v[62:63]
	s_waitcnt vmcnt(0)
	v_fma_f64 v[66:67], v[66:67], v[70:71], -v[72:73]
	v_fma_f64 v[62:63], v[68:69], v[70:71], v[62:63]
	v_add_f64 v[1:2], v[1:2], v[66:67]
	v_add_f64 v[3:4], v[3:4], v[62:63]
	s_andn2_b32 exec_lo, exec_lo, s4
	s_cbranch_execnz .LBB26_208
; %bb.209:
	s_or_b32 exec_lo, exec_lo, s4
.LBB26_210:
	s_or_b32 exec_lo, exec_lo, s5
	v_mov_b32_e32 v61, 0
	s_mov_b32 s5, exec_lo
	s_or_b32 s36, 0, 8
	ds_read_b128 v[61:64], v61
	s_waitcnt lgkmcnt(0)
	v_mul_f64 v[66:67], v[3:4], v[63:64]
	v_mul_f64 v[63:64], v[1:2], v[63:64]
	v_fma_f64 v[66:67], v[1:2], v[61:62], -v[66:67]
	v_fma_f64 v[1:2], v[3:4], v[61:62], v[63:64]
	buffer_store_dword v67, off, s[0:3], 0 offset:4
	buffer_store_dword v66, off, s[0:3], 0
.LBB26_211:
	s_or_b32 exec_lo, exec_lo, s35
	s_and_b32 vcc_lo, exec_lo, s8
	s_cbranch_vccnz .LBB26_213
	s_branch .LBB26_416
.LBB26_212:
	s_mov_b32 s5, 0
                                        ; implicit-def: $vgpr1_vgpr2
                                        ; implicit-def: $sgpr36
	s_cbranch_execz .LBB26_416
.LBB26_213:
	v_mov_b32_e32 v4, s33
	v_cmp_eq_u32_e64 s4, 0, v0
	v_cndmask_b32_e64 v61, 0, 1, s34
	s_clause 0x3
	buffer_load_dword v1, v4, s[0:3], 0 offen
	buffer_load_dword v2, v4, s[0:3], 0 offen offset:4
	buffer_load_dword v3, v4, s[0:3], 0 offen offset:8
	;; [unrolled: 1-line block ×3, first 2 shown]
	s_waitcnt vmcnt(0)
	ds_write_b128 v60, v[1:4]
	s_waitcnt lgkmcnt(0)
	s_waitcnt_vscnt null, 0x0
	s_barrier
	buffer_gl0_inv
	s_and_saveexec_b32 s8, s4
	s_cbranch_execz .LBB26_217
; %bb.214:
	ds_read_b128 v[1:4], v60
	s_andn2_b32 vcc_lo, exec_lo, s34
	s_cbranch_vccnz .LBB26_216
; %bb.215:
	s_clause 0x3
	buffer_load_dword v62, v59, s[0:3], 0 offen offset:8
	buffer_load_dword v63, v59, s[0:3], 0 offen offset:12
	buffer_load_dword v66, v59, s[0:3], 0 offen
	buffer_load_dword v67, v59, s[0:3], 0 offen offset:4
	s_waitcnt vmcnt(2) lgkmcnt(0)
	v_mul_f64 v[68:69], v[3:4], v[62:63]
	v_mul_f64 v[62:63], v[1:2], v[62:63]
	s_waitcnt vmcnt(0)
	v_fma_f64 v[1:2], v[1:2], v[66:67], -v[68:69]
	v_fma_f64 v[3:4], v[3:4], v[66:67], v[62:63]
.LBB26_216:
	v_mov_b32_e32 v62, 0
	ds_read_b128 v[66:69], v62 offset:16
	s_waitcnt lgkmcnt(0)
	v_mul_f64 v[62:63], v[3:4], v[68:69]
	v_mul_f64 v[68:69], v[1:2], v[68:69]
	v_fma_f64 v[1:2], v[1:2], v[66:67], -v[62:63]
	v_fma_f64 v[3:4], v[3:4], v[66:67], v[68:69]
	buffer_store_dword v2, off, s[0:3], 0 offset:20
	buffer_store_dword v1, off, s[0:3], 0 offset:16
	;; [unrolled: 1-line block ×4, first 2 shown]
.LBB26_217:
	s_or_b32 exec_lo, exec_lo, s8
	v_mov_b32_e32 v4, s31
	s_mov_b32 s8, exec_lo
	s_clause 0x3
	buffer_load_dword v1, v4, s[0:3], 0 offen
	buffer_load_dword v2, v4, s[0:3], 0 offen offset:4
	buffer_load_dword v3, v4, s[0:3], 0 offen offset:8
	;; [unrolled: 1-line block ×3, first 2 shown]
	s_waitcnt vmcnt(0)
	ds_write_b128 v60, v[1:4]
	s_waitcnt lgkmcnt(0)
	s_waitcnt_vscnt null, 0x0
	s_barrier
	buffer_gl0_inv
	v_cmpx_gt_u32_e32 2, v0
	s_cbranch_execz .LBB26_223
; %bb.218:
	ds_read_b128 v[1:4], v60
	v_cmp_ne_u32_e32 vcc_lo, 1, v61
	s_cbranch_vccnz .LBB26_220
; %bb.219:
	s_clause 0x3
	buffer_load_dword v62, v59, s[0:3], 0 offen offset:8
	buffer_load_dword v63, v59, s[0:3], 0 offen offset:12
	buffer_load_dword v66, v59, s[0:3], 0 offen
	buffer_load_dword v67, v59, s[0:3], 0 offen offset:4
	s_waitcnt vmcnt(2) lgkmcnt(0)
	v_mul_f64 v[68:69], v[3:4], v[62:63]
	v_mul_f64 v[62:63], v[1:2], v[62:63]
	s_waitcnt vmcnt(0)
	v_fma_f64 v[1:2], v[1:2], v[66:67], -v[68:69]
	v_fma_f64 v[3:4], v[3:4], v[66:67], v[62:63]
.LBB26_220:
	s_and_saveexec_b32 s34, s4
	s_cbranch_execz .LBB26_222
; %bb.221:
	s_clause 0x3
	buffer_load_dword v62, off, s[0:3], 0 offset:24
	buffer_load_dword v63, off, s[0:3], 0 offset:28
	;; [unrolled: 1-line block ×4, first 2 shown]
	v_mov_b32_e32 v64, 0
	ds_read_b128 v[66:69], v64 offset:448
	s_waitcnt vmcnt(2) lgkmcnt(0)
	v_mul_f64 v[72:73], v[68:69], v[62:63]
	v_mul_f64 v[62:63], v[66:67], v[62:63]
	s_waitcnt vmcnt(0)
	v_fma_f64 v[66:67], v[66:67], v[70:71], -v[72:73]
	v_fma_f64 v[62:63], v[68:69], v[70:71], v[62:63]
	v_add_f64 v[1:2], v[1:2], v[66:67]
	v_add_f64 v[3:4], v[3:4], v[62:63]
.LBB26_222:
	s_or_b32 exec_lo, exec_lo, s34
	v_mov_b32_e32 v62, 0
	ds_read_b128 v[66:69], v62 offset:32
	s_waitcnt lgkmcnt(0)
	v_mul_f64 v[62:63], v[3:4], v[68:69]
	v_mul_f64 v[68:69], v[1:2], v[68:69]
	v_fma_f64 v[1:2], v[1:2], v[66:67], -v[62:63]
	v_fma_f64 v[3:4], v[3:4], v[66:67], v[68:69]
	buffer_store_dword v2, off, s[0:3], 0 offset:36
	buffer_store_dword v1, off, s[0:3], 0 offset:32
	;; [unrolled: 1-line block ×4, first 2 shown]
.LBB26_223:
	s_or_b32 exec_lo, exec_lo, s8
	v_mov_b32_e32 v4, s30
	s_mov_b32 s8, exec_lo
	s_clause 0x3
	buffer_load_dword v1, v4, s[0:3], 0 offen
	buffer_load_dword v2, v4, s[0:3], 0 offen offset:4
	buffer_load_dword v3, v4, s[0:3], 0 offen offset:8
	;; [unrolled: 1-line block ×3, first 2 shown]
	s_waitcnt vmcnt(0)
	ds_write_b128 v60, v[1:4]
	s_waitcnt lgkmcnt(0)
	s_waitcnt_vscnt null, 0x0
	s_barrier
	buffer_gl0_inv
	v_cmpx_gt_u32_e32 3, v0
	s_cbranch_execz .LBB26_231
; %bb.224:
	ds_read_b128 v[1:4], v60
	v_cmp_ne_u32_e32 vcc_lo, 1, v61
	s_cbranch_vccnz .LBB26_226
; %bb.225:
	s_clause 0x3
	buffer_load_dword v62, v59, s[0:3], 0 offen offset:8
	buffer_load_dword v63, v59, s[0:3], 0 offen offset:12
	buffer_load_dword v66, v59, s[0:3], 0 offen
	buffer_load_dword v67, v59, s[0:3], 0 offen offset:4
	s_waitcnt vmcnt(2) lgkmcnt(0)
	v_mul_f64 v[68:69], v[3:4], v[62:63]
	v_mul_f64 v[62:63], v[1:2], v[62:63]
	s_waitcnt vmcnt(0)
	v_fma_f64 v[1:2], v[1:2], v[66:67], -v[68:69]
	v_fma_f64 v[3:4], v[3:4], v[66:67], v[62:63]
.LBB26_226:
	s_mov_b32 s34, exec_lo
	v_cmpx_ne_u32_e32 2, v0
	s_cbranch_execz .LBB26_230
; %bb.227:
	s_clause 0x3
	buffer_load_dword v62, v59, s[0:3], 0 offen offset:24
	buffer_load_dword v63, v59, s[0:3], 0 offen offset:28
	;; [unrolled: 1-line block ×4, first 2 shown]
	ds_read_b128 v[66:69], v60 offset:16
	s_waitcnt vmcnt(2) lgkmcnt(0)
	v_mul_f64 v[72:73], v[68:69], v[62:63]
	v_mul_f64 v[62:63], v[66:67], v[62:63]
	s_waitcnt vmcnt(0)
	v_fma_f64 v[66:67], v[66:67], v[70:71], -v[72:73]
	v_fma_f64 v[62:63], v[68:69], v[70:71], v[62:63]
	v_add_f64 v[1:2], v[1:2], v[66:67]
	v_add_f64 v[3:4], v[3:4], v[62:63]
	s_and_saveexec_b32 s35, s4
	s_cbranch_execz .LBB26_229
; %bb.228:
	s_clause 0x3
	buffer_load_dword v62, off, s[0:3], 0 offset:40
	buffer_load_dword v63, off, s[0:3], 0 offset:44
	;; [unrolled: 1-line block ×4, first 2 shown]
	v_mov_b32_e32 v64, 0
	ds_read_b128 v[66:69], v64 offset:464
	s_waitcnt vmcnt(2) lgkmcnt(0)
	v_mul_f64 v[72:73], v[66:67], v[62:63]
	v_mul_f64 v[62:63], v[68:69], v[62:63]
	s_waitcnt vmcnt(0)
	v_fma_f64 v[68:69], v[68:69], v[70:71], v[72:73]
	v_fma_f64 v[62:63], v[66:67], v[70:71], -v[62:63]
	v_add_f64 v[3:4], v[3:4], v[68:69]
	v_add_f64 v[1:2], v[1:2], v[62:63]
.LBB26_229:
	s_or_b32 exec_lo, exec_lo, s35
.LBB26_230:
	s_or_b32 exec_lo, exec_lo, s34
	v_mov_b32_e32 v62, 0
	ds_read_b128 v[66:69], v62 offset:48
	s_waitcnt lgkmcnt(0)
	v_mul_f64 v[62:63], v[3:4], v[68:69]
	v_mul_f64 v[68:69], v[1:2], v[68:69]
	v_fma_f64 v[1:2], v[1:2], v[66:67], -v[62:63]
	v_fma_f64 v[3:4], v[3:4], v[66:67], v[68:69]
	buffer_store_dword v2, off, s[0:3], 0 offset:52
	buffer_store_dword v1, off, s[0:3], 0 offset:48
	;; [unrolled: 1-line block ×4, first 2 shown]
.LBB26_231:
	s_or_b32 exec_lo, exec_lo, s8
	v_mov_b32_e32 v4, s29
	s_mov_b32 s4, exec_lo
	s_clause 0x3
	buffer_load_dword v1, v4, s[0:3], 0 offen
	buffer_load_dword v2, v4, s[0:3], 0 offen offset:4
	buffer_load_dword v3, v4, s[0:3], 0 offen offset:8
	;; [unrolled: 1-line block ×3, first 2 shown]
	s_waitcnt vmcnt(0)
	ds_write_b128 v60, v[1:4]
	s_waitcnt lgkmcnt(0)
	s_waitcnt_vscnt null, 0x0
	s_barrier
	buffer_gl0_inv
	v_cmpx_gt_u32_e32 4, v0
	s_cbranch_execz .LBB26_239
; %bb.232:
	ds_read_b128 v[1:4], v60
	v_cmp_ne_u32_e32 vcc_lo, 1, v61
	s_cbranch_vccnz .LBB26_234
; %bb.233:
	s_clause 0x3
	buffer_load_dword v62, v59, s[0:3], 0 offen offset:8
	buffer_load_dword v63, v59, s[0:3], 0 offen offset:12
	buffer_load_dword v66, v59, s[0:3], 0 offen
	buffer_load_dword v67, v59, s[0:3], 0 offen offset:4
	s_waitcnt vmcnt(2) lgkmcnt(0)
	v_mul_f64 v[68:69], v[3:4], v[62:63]
	v_mul_f64 v[62:63], v[1:2], v[62:63]
	s_waitcnt vmcnt(0)
	v_fma_f64 v[1:2], v[1:2], v[66:67], -v[68:69]
	v_fma_f64 v[3:4], v[3:4], v[66:67], v[62:63]
.LBB26_234:
	s_mov_b32 s8, exec_lo
	v_cmpx_ne_u32_e32 3, v0
	s_cbranch_execz .LBB26_238
; %bb.235:
	v_add_nc_u32_e32 v62, 0x1c0, v65
	v_add3_u32 v63, 0, v65, 16
	v_mov_b32_e32 v64, v0
	s_mov_b32 s34, 0
	.p2align	6
.LBB26_236:                             ; =>This Inner Loop Header: Depth=1
	s_clause 0x3
	buffer_load_dword v70, v63, s[0:3], 0 offen offset:8
	buffer_load_dword v71, v63, s[0:3], 0 offen offset:12
	buffer_load_dword v72, v63, s[0:3], 0 offen
	buffer_load_dword v73, v63, s[0:3], 0 offen offset:4
	ds_read_b128 v[66:69], v62
	v_add_nc_u32_e32 v64, 1, v64
	v_add_nc_u32_e32 v62, 16, v62
	;; [unrolled: 1-line block ×3, first 2 shown]
	v_cmp_lt_u32_e32 vcc_lo, 2, v64
	s_or_b32 s34, vcc_lo, s34
	s_waitcnt vmcnt(2) lgkmcnt(0)
	v_mul_f64 v[74:75], v[68:69], v[70:71]
	v_mul_f64 v[70:71], v[66:67], v[70:71]
	s_waitcnt vmcnt(0)
	v_fma_f64 v[66:67], v[66:67], v[72:73], -v[74:75]
	v_fma_f64 v[68:69], v[68:69], v[72:73], v[70:71]
	v_add_f64 v[1:2], v[1:2], v[66:67]
	v_add_f64 v[3:4], v[3:4], v[68:69]
	s_andn2_b32 exec_lo, exec_lo, s34
	s_cbranch_execnz .LBB26_236
; %bb.237:
	s_or_b32 exec_lo, exec_lo, s34
.LBB26_238:
	s_or_b32 exec_lo, exec_lo, s8
	v_mov_b32_e32 v62, 0
	ds_read_b128 v[66:69], v62 offset:64
	s_waitcnt lgkmcnt(0)
	v_mul_f64 v[62:63], v[3:4], v[68:69]
	v_mul_f64 v[68:69], v[1:2], v[68:69]
	v_fma_f64 v[1:2], v[1:2], v[66:67], -v[62:63]
	v_fma_f64 v[3:4], v[3:4], v[66:67], v[68:69]
	buffer_store_dword v2, off, s[0:3], 0 offset:68
	buffer_store_dword v1, off, s[0:3], 0 offset:64
	;; [unrolled: 1-line block ×4, first 2 shown]
.LBB26_239:
	s_or_b32 exec_lo, exec_lo, s4
	v_mov_b32_e32 v4, s28
	s_mov_b32 s4, exec_lo
	s_clause 0x3
	buffer_load_dword v1, v4, s[0:3], 0 offen
	buffer_load_dword v2, v4, s[0:3], 0 offen offset:4
	buffer_load_dword v3, v4, s[0:3], 0 offen offset:8
	;; [unrolled: 1-line block ×3, first 2 shown]
	s_waitcnt vmcnt(0)
	ds_write_b128 v60, v[1:4]
	s_waitcnt lgkmcnt(0)
	s_waitcnt_vscnt null, 0x0
	s_barrier
	buffer_gl0_inv
	v_cmpx_gt_u32_e32 5, v0
	s_cbranch_execz .LBB26_247
; %bb.240:
	ds_read_b128 v[1:4], v60
	v_cmp_ne_u32_e32 vcc_lo, 1, v61
	s_cbranch_vccnz .LBB26_242
; %bb.241:
	s_clause 0x3
	buffer_load_dword v62, v59, s[0:3], 0 offen offset:8
	buffer_load_dword v63, v59, s[0:3], 0 offen offset:12
	buffer_load_dword v66, v59, s[0:3], 0 offen
	buffer_load_dword v67, v59, s[0:3], 0 offen offset:4
	s_waitcnt vmcnt(2) lgkmcnt(0)
	v_mul_f64 v[68:69], v[3:4], v[62:63]
	v_mul_f64 v[62:63], v[1:2], v[62:63]
	s_waitcnt vmcnt(0)
	v_fma_f64 v[1:2], v[1:2], v[66:67], -v[68:69]
	v_fma_f64 v[3:4], v[3:4], v[66:67], v[62:63]
.LBB26_242:
	s_mov_b32 s8, exec_lo
	v_cmpx_ne_u32_e32 4, v0
	s_cbranch_execz .LBB26_246
; %bb.243:
	v_add_nc_u32_e32 v62, 0x1c0, v65
	v_add3_u32 v63, 0, v65, 16
	v_mov_b32_e32 v64, v0
	s_mov_b32 s34, 0
	.p2align	6
.LBB26_244:                             ; =>This Inner Loop Header: Depth=1
	s_clause 0x3
	buffer_load_dword v70, v63, s[0:3], 0 offen offset:8
	buffer_load_dword v71, v63, s[0:3], 0 offen offset:12
	buffer_load_dword v72, v63, s[0:3], 0 offen
	buffer_load_dword v73, v63, s[0:3], 0 offen offset:4
	ds_read_b128 v[66:69], v62
	v_add_nc_u32_e32 v64, 1, v64
	v_add_nc_u32_e32 v62, 16, v62
	;; [unrolled: 1-line block ×3, first 2 shown]
	v_cmp_lt_u32_e32 vcc_lo, 3, v64
	s_or_b32 s34, vcc_lo, s34
	s_waitcnt vmcnt(2) lgkmcnt(0)
	v_mul_f64 v[74:75], v[68:69], v[70:71]
	v_mul_f64 v[70:71], v[66:67], v[70:71]
	s_waitcnt vmcnt(0)
	v_fma_f64 v[66:67], v[66:67], v[72:73], -v[74:75]
	v_fma_f64 v[68:69], v[68:69], v[72:73], v[70:71]
	v_add_f64 v[1:2], v[1:2], v[66:67]
	v_add_f64 v[3:4], v[3:4], v[68:69]
	s_andn2_b32 exec_lo, exec_lo, s34
	s_cbranch_execnz .LBB26_244
; %bb.245:
	s_or_b32 exec_lo, exec_lo, s34
.LBB26_246:
	s_or_b32 exec_lo, exec_lo, s8
	v_mov_b32_e32 v62, 0
	ds_read_b128 v[66:69], v62 offset:80
	s_waitcnt lgkmcnt(0)
	v_mul_f64 v[62:63], v[3:4], v[68:69]
	v_mul_f64 v[68:69], v[1:2], v[68:69]
	v_fma_f64 v[1:2], v[1:2], v[66:67], -v[62:63]
	v_fma_f64 v[3:4], v[3:4], v[66:67], v[68:69]
	buffer_store_dword v2, off, s[0:3], 0 offset:84
	buffer_store_dword v1, off, s[0:3], 0 offset:80
	;; [unrolled: 1-line block ×4, first 2 shown]
.LBB26_247:
	s_or_b32 exec_lo, exec_lo, s4
	v_mov_b32_e32 v4, s27
	s_mov_b32 s4, exec_lo
	s_clause 0x3
	buffer_load_dword v1, v4, s[0:3], 0 offen
	buffer_load_dword v2, v4, s[0:3], 0 offen offset:4
	buffer_load_dword v3, v4, s[0:3], 0 offen offset:8
	;; [unrolled: 1-line block ×3, first 2 shown]
	s_waitcnt vmcnt(0)
	ds_write_b128 v60, v[1:4]
	s_waitcnt lgkmcnt(0)
	s_waitcnt_vscnt null, 0x0
	s_barrier
	buffer_gl0_inv
	v_cmpx_gt_u32_e32 6, v0
	s_cbranch_execz .LBB26_255
; %bb.248:
	ds_read_b128 v[1:4], v60
	v_cmp_ne_u32_e32 vcc_lo, 1, v61
	s_cbranch_vccnz .LBB26_250
; %bb.249:
	s_clause 0x3
	buffer_load_dword v62, v59, s[0:3], 0 offen offset:8
	buffer_load_dword v63, v59, s[0:3], 0 offen offset:12
	buffer_load_dword v66, v59, s[0:3], 0 offen
	buffer_load_dword v67, v59, s[0:3], 0 offen offset:4
	s_waitcnt vmcnt(2) lgkmcnt(0)
	v_mul_f64 v[68:69], v[3:4], v[62:63]
	v_mul_f64 v[62:63], v[1:2], v[62:63]
	s_waitcnt vmcnt(0)
	v_fma_f64 v[1:2], v[1:2], v[66:67], -v[68:69]
	v_fma_f64 v[3:4], v[3:4], v[66:67], v[62:63]
.LBB26_250:
	s_mov_b32 s8, exec_lo
	v_cmpx_ne_u32_e32 5, v0
	s_cbranch_execz .LBB26_254
; %bb.251:
	v_add_nc_u32_e32 v62, 0x1c0, v65
	v_add3_u32 v63, 0, v65, 16
	v_mov_b32_e32 v64, v0
	s_mov_b32 s34, 0
	.p2align	6
.LBB26_252:                             ; =>This Inner Loop Header: Depth=1
	s_clause 0x3
	buffer_load_dword v70, v63, s[0:3], 0 offen offset:8
	buffer_load_dword v71, v63, s[0:3], 0 offen offset:12
	buffer_load_dword v72, v63, s[0:3], 0 offen
	buffer_load_dword v73, v63, s[0:3], 0 offen offset:4
	ds_read_b128 v[66:69], v62
	v_add_nc_u32_e32 v64, 1, v64
	v_add_nc_u32_e32 v62, 16, v62
	;; [unrolled: 1-line block ×3, first 2 shown]
	v_cmp_lt_u32_e32 vcc_lo, 4, v64
	s_or_b32 s34, vcc_lo, s34
	s_waitcnt vmcnt(2) lgkmcnt(0)
	v_mul_f64 v[74:75], v[68:69], v[70:71]
	v_mul_f64 v[70:71], v[66:67], v[70:71]
	s_waitcnt vmcnt(0)
	v_fma_f64 v[66:67], v[66:67], v[72:73], -v[74:75]
	v_fma_f64 v[68:69], v[68:69], v[72:73], v[70:71]
	v_add_f64 v[1:2], v[1:2], v[66:67]
	v_add_f64 v[3:4], v[3:4], v[68:69]
	s_andn2_b32 exec_lo, exec_lo, s34
	s_cbranch_execnz .LBB26_252
; %bb.253:
	s_or_b32 exec_lo, exec_lo, s34
.LBB26_254:
	s_or_b32 exec_lo, exec_lo, s8
	v_mov_b32_e32 v62, 0
	ds_read_b128 v[66:69], v62 offset:96
	s_waitcnt lgkmcnt(0)
	v_mul_f64 v[62:63], v[3:4], v[68:69]
	v_mul_f64 v[68:69], v[1:2], v[68:69]
	v_fma_f64 v[1:2], v[1:2], v[66:67], -v[62:63]
	v_fma_f64 v[3:4], v[3:4], v[66:67], v[68:69]
	buffer_store_dword v2, off, s[0:3], 0 offset:100
	buffer_store_dword v1, off, s[0:3], 0 offset:96
	;; [unrolled: 1-line block ×4, first 2 shown]
.LBB26_255:
	s_or_b32 exec_lo, exec_lo, s4
	v_mov_b32_e32 v4, s26
	s_mov_b32 s4, exec_lo
	s_clause 0x3
	buffer_load_dword v1, v4, s[0:3], 0 offen
	buffer_load_dword v2, v4, s[0:3], 0 offen offset:4
	buffer_load_dword v3, v4, s[0:3], 0 offen offset:8
	;; [unrolled: 1-line block ×3, first 2 shown]
	s_waitcnt vmcnt(0)
	ds_write_b128 v60, v[1:4]
	s_waitcnt lgkmcnt(0)
	s_waitcnt_vscnt null, 0x0
	s_barrier
	buffer_gl0_inv
	v_cmpx_gt_u32_e32 7, v0
	s_cbranch_execz .LBB26_263
; %bb.256:
	ds_read_b128 v[1:4], v60
	v_cmp_ne_u32_e32 vcc_lo, 1, v61
	s_cbranch_vccnz .LBB26_258
; %bb.257:
	s_clause 0x3
	buffer_load_dword v62, v59, s[0:3], 0 offen offset:8
	buffer_load_dword v63, v59, s[0:3], 0 offen offset:12
	buffer_load_dword v66, v59, s[0:3], 0 offen
	buffer_load_dword v67, v59, s[0:3], 0 offen offset:4
	s_waitcnt vmcnt(2) lgkmcnt(0)
	v_mul_f64 v[68:69], v[3:4], v[62:63]
	v_mul_f64 v[62:63], v[1:2], v[62:63]
	s_waitcnt vmcnt(0)
	v_fma_f64 v[1:2], v[1:2], v[66:67], -v[68:69]
	v_fma_f64 v[3:4], v[3:4], v[66:67], v[62:63]
.LBB26_258:
	s_mov_b32 s8, exec_lo
	v_cmpx_ne_u32_e32 6, v0
	s_cbranch_execz .LBB26_262
; %bb.259:
	v_add_nc_u32_e32 v62, 0x1c0, v65
	v_add3_u32 v63, 0, v65, 16
	v_mov_b32_e32 v64, v0
	s_mov_b32 s34, 0
	.p2align	6
.LBB26_260:                             ; =>This Inner Loop Header: Depth=1
	s_clause 0x3
	buffer_load_dword v70, v63, s[0:3], 0 offen offset:8
	buffer_load_dword v71, v63, s[0:3], 0 offen offset:12
	buffer_load_dword v72, v63, s[0:3], 0 offen
	buffer_load_dword v73, v63, s[0:3], 0 offen offset:4
	ds_read_b128 v[66:69], v62
	v_add_nc_u32_e32 v64, 1, v64
	v_add_nc_u32_e32 v62, 16, v62
	;; [unrolled: 1-line block ×3, first 2 shown]
	v_cmp_lt_u32_e32 vcc_lo, 5, v64
	s_or_b32 s34, vcc_lo, s34
	s_waitcnt vmcnt(2) lgkmcnt(0)
	v_mul_f64 v[74:75], v[68:69], v[70:71]
	v_mul_f64 v[70:71], v[66:67], v[70:71]
	s_waitcnt vmcnt(0)
	v_fma_f64 v[66:67], v[66:67], v[72:73], -v[74:75]
	v_fma_f64 v[68:69], v[68:69], v[72:73], v[70:71]
	v_add_f64 v[1:2], v[1:2], v[66:67]
	v_add_f64 v[3:4], v[3:4], v[68:69]
	s_andn2_b32 exec_lo, exec_lo, s34
	s_cbranch_execnz .LBB26_260
; %bb.261:
	s_or_b32 exec_lo, exec_lo, s34
.LBB26_262:
	s_or_b32 exec_lo, exec_lo, s8
	v_mov_b32_e32 v62, 0
	ds_read_b128 v[66:69], v62 offset:112
	s_waitcnt lgkmcnt(0)
	v_mul_f64 v[62:63], v[3:4], v[68:69]
	v_mul_f64 v[68:69], v[1:2], v[68:69]
	v_fma_f64 v[1:2], v[1:2], v[66:67], -v[62:63]
	v_fma_f64 v[3:4], v[3:4], v[66:67], v[68:69]
	buffer_store_dword v2, off, s[0:3], 0 offset:116
	buffer_store_dword v1, off, s[0:3], 0 offset:112
	;; [unrolled: 1-line block ×4, first 2 shown]
.LBB26_263:
	s_or_b32 exec_lo, exec_lo, s4
	v_mov_b32_e32 v4, s25
	s_mov_b32 s4, exec_lo
	s_clause 0x3
	buffer_load_dword v1, v4, s[0:3], 0 offen
	buffer_load_dword v2, v4, s[0:3], 0 offen offset:4
	buffer_load_dword v3, v4, s[0:3], 0 offen offset:8
	;; [unrolled: 1-line block ×3, first 2 shown]
	s_waitcnt vmcnt(0)
	ds_write_b128 v60, v[1:4]
	s_waitcnt lgkmcnt(0)
	s_waitcnt_vscnt null, 0x0
	s_barrier
	buffer_gl0_inv
	v_cmpx_gt_u32_e32 8, v0
	s_cbranch_execz .LBB26_271
; %bb.264:
	ds_read_b128 v[1:4], v60
	v_cmp_ne_u32_e32 vcc_lo, 1, v61
	s_cbranch_vccnz .LBB26_266
; %bb.265:
	s_clause 0x3
	buffer_load_dword v62, v59, s[0:3], 0 offen offset:8
	buffer_load_dword v63, v59, s[0:3], 0 offen offset:12
	buffer_load_dword v66, v59, s[0:3], 0 offen
	buffer_load_dword v67, v59, s[0:3], 0 offen offset:4
	s_waitcnt vmcnt(2) lgkmcnt(0)
	v_mul_f64 v[68:69], v[3:4], v[62:63]
	v_mul_f64 v[62:63], v[1:2], v[62:63]
	s_waitcnt vmcnt(0)
	v_fma_f64 v[1:2], v[1:2], v[66:67], -v[68:69]
	v_fma_f64 v[3:4], v[3:4], v[66:67], v[62:63]
.LBB26_266:
	s_mov_b32 s8, exec_lo
	v_cmpx_ne_u32_e32 7, v0
	s_cbranch_execz .LBB26_270
; %bb.267:
	v_add_nc_u32_e32 v62, 0x1c0, v65
	v_add3_u32 v63, 0, v65, 16
	v_mov_b32_e32 v64, v0
	s_mov_b32 s34, 0
	.p2align	6
.LBB26_268:                             ; =>This Inner Loop Header: Depth=1
	s_clause 0x3
	buffer_load_dword v70, v63, s[0:3], 0 offen offset:8
	buffer_load_dword v71, v63, s[0:3], 0 offen offset:12
	buffer_load_dword v72, v63, s[0:3], 0 offen
	buffer_load_dword v73, v63, s[0:3], 0 offen offset:4
	ds_read_b128 v[66:69], v62
	v_add_nc_u32_e32 v64, 1, v64
	v_add_nc_u32_e32 v62, 16, v62
	;; [unrolled: 1-line block ×3, first 2 shown]
	v_cmp_lt_u32_e32 vcc_lo, 6, v64
	s_or_b32 s34, vcc_lo, s34
	s_waitcnt vmcnt(2) lgkmcnt(0)
	v_mul_f64 v[74:75], v[68:69], v[70:71]
	v_mul_f64 v[70:71], v[66:67], v[70:71]
	s_waitcnt vmcnt(0)
	v_fma_f64 v[66:67], v[66:67], v[72:73], -v[74:75]
	v_fma_f64 v[68:69], v[68:69], v[72:73], v[70:71]
	v_add_f64 v[1:2], v[1:2], v[66:67]
	v_add_f64 v[3:4], v[3:4], v[68:69]
	s_andn2_b32 exec_lo, exec_lo, s34
	s_cbranch_execnz .LBB26_268
; %bb.269:
	s_or_b32 exec_lo, exec_lo, s34
.LBB26_270:
	s_or_b32 exec_lo, exec_lo, s8
	v_mov_b32_e32 v62, 0
	ds_read_b128 v[66:69], v62 offset:128
	s_waitcnt lgkmcnt(0)
	v_mul_f64 v[62:63], v[3:4], v[68:69]
	v_mul_f64 v[68:69], v[1:2], v[68:69]
	v_fma_f64 v[1:2], v[1:2], v[66:67], -v[62:63]
	v_fma_f64 v[3:4], v[3:4], v[66:67], v[68:69]
	buffer_store_dword v2, off, s[0:3], 0 offset:132
	buffer_store_dword v1, off, s[0:3], 0 offset:128
	;; [unrolled: 1-line block ×4, first 2 shown]
.LBB26_271:
	s_or_b32 exec_lo, exec_lo, s4
	v_mov_b32_e32 v4, s24
	s_mov_b32 s4, exec_lo
	s_clause 0x3
	buffer_load_dword v1, v4, s[0:3], 0 offen
	buffer_load_dword v2, v4, s[0:3], 0 offen offset:4
	buffer_load_dword v3, v4, s[0:3], 0 offen offset:8
	buffer_load_dword v4, v4, s[0:3], 0 offen offset:12
	s_waitcnt vmcnt(0)
	ds_write_b128 v60, v[1:4]
	s_waitcnt lgkmcnt(0)
	s_waitcnt_vscnt null, 0x0
	s_barrier
	buffer_gl0_inv
	v_cmpx_gt_u32_e32 9, v0
	s_cbranch_execz .LBB26_279
; %bb.272:
	ds_read_b128 v[1:4], v60
	v_cmp_ne_u32_e32 vcc_lo, 1, v61
	s_cbranch_vccnz .LBB26_274
; %bb.273:
	s_clause 0x3
	buffer_load_dword v62, v59, s[0:3], 0 offen offset:8
	buffer_load_dword v63, v59, s[0:3], 0 offen offset:12
	buffer_load_dword v66, v59, s[0:3], 0 offen
	buffer_load_dword v67, v59, s[0:3], 0 offen offset:4
	s_waitcnt vmcnt(2) lgkmcnt(0)
	v_mul_f64 v[68:69], v[3:4], v[62:63]
	v_mul_f64 v[62:63], v[1:2], v[62:63]
	s_waitcnt vmcnt(0)
	v_fma_f64 v[1:2], v[1:2], v[66:67], -v[68:69]
	v_fma_f64 v[3:4], v[3:4], v[66:67], v[62:63]
.LBB26_274:
	s_mov_b32 s8, exec_lo
	v_cmpx_ne_u32_e32 8, v0
	s_cbranch_execz .LBB26_278
; %bb.275:
	v_add_nc_u32_e32 v62, 0x1c0, v65
	v_add3_u32 v63, 0, v65, 16
	v_mov_b32_e32 v64, v0
	s_mov_b32 s34, 0
	.p2align	6
.LBB26_276:                             ; =>This Inner Loop Header: Depth=1
	s_clause 0x3
	buffer_load_dword v70, v63, s[0:3], 0 offen offset:8
	buffer_load_dword v71, v63, s[0:3], 0 offen offset:12
	buffer_load_dword v72, v63, s[0:3], 0 offen
	buffer_load_dword v73, v63, s[0:3], 0 offen offset:4
	ds_read_b128 v[66:69], v62
	v_add_nc_u32_e32 v64, 1, v64
	v_add_nc_u32_e32 v62, 16, v62
	;; [unrolled: 1-line block ×3, first 2 shown]
	v_cmp_lt_u32_e32 vcc_lo, 7, v64
	s_or_b32 s34, vcc_lo, s34
	s_waitcnt vmcnt(2) lgkmcnt(0)
	v_mul_f64 v[74:75], v[68:69], v[70:71]
	v_mul_f64 v[70:71], v[66:67], v[70:71]
	s_waitcnt vmcnt(0)
	v_fma_f64 v[66:67], v[66:67], v[72:73], -v[74:75]
	v_fma_f64 v[68:69], v[68:69], v[72:73], v[70:71]
	v_add_f64 v[1:2], v[1:2], v[66:67]
	v_add_f64 v[3:4], v[3:4], v[68:69]
	s_andn2_b32 exec_lo, exec_lo, s34
	s_cbranch_execnz .LBB26_276
; %bb.277:
	s_or_b32 exec_lo, exec_lo, s34
.LBB26_278:
	s_or_b32 exec_lo, exec_lo, s8
	v_mov_b32_e32 v62, 0
	ds_read_b128 v[66:69], v62 offset:144
	s_waitcnt lgkmcnt(0)
	v_mul_f64 v[62:63], v[3:4], v[68:69]
	v_mul_f64 v[68:69], v[1:2], v[68:69]
	v_fma_f64 v[1:2], v[1:2], v[66:67], -v[62:63]
	v_fma_f64 v[3:4], v[3:4], v[66:67], v[68:69]
	buffer_store_dword v2, off, s[0:3], 0 offset:148
	buffer_store_dword v1, off, s[0:3], 0 offset:144
	;; [unrolled: 1-line block ×4, first 2 shown]
.LBB26_279:
	s_or_b32 exec_lo, exec_lo, s4
	v_mov_b32_e32 v4, s23
	s_mov_b32 s4, exec_lo
	s_clause 0x3
	buffer_load_dword v1, v4, s[0:3], 0 offen
	buffer_load_dword v2, v4, s[0:3], 0 offen offset:4
	buffer_load_dword v3, v4, s[0:3], 0 offen offset:8
	;; [unrolled: 1-line block ×3, first 2 shown]
	s_waitcnt vmcnt(0)
	ds_write_b128 v60, v[1:4]
	s_waitcnt lgkmcnt(0)
	s_waitcnt_vscnt null, 0x0
	s_barrier
	buffer_gl0_inv
	v_cmpx_gt_u32_e32 10, v0
	s_cbranch_execz .LBB26_287
; %bb.280:
	ds_read_b128 v[1:4], v60
	v_cmp_ne_u32_e32 vcc_lo, 1, v61
	s_cbranch_vccnz .LBB26_282
; %bb.281:
	s_clause 0x3
	buffer_load_dword v62, v59, s[0:3], 0 offen offset:8
	buffer_load_dword v63, v59, s[0:3], 0 offen offset:12
	buffer_load_dword v66, v59, s[0:3], 0 offen
	buffer_load_dword v67, v59, s[0:3], 0 offen offset:4
	s_waitcnt vmcnt(2) lgkmcnt(0)
	v_mul_f64 v[68:69], v[3:4], v[62:63]
	v_mul_f64 v[62:63], v[1:2], v[62:63]
	s_waitcnt vmcnt(0)
	v_fma_f64 v[1:2], v[1:2], v[66:67], -v[68:69]
	v_fma_f64 v[3:4], v[3:4], v[66:67], v[62:63]
.LBB26_282:
	s_mov_b32 s8, exec_lo
	v_cmpx_ne_u32_e32 9, v0
	s_cbranch_execz .LBB26_286
; %bb.283:
	v_add_nc_u32_e32 v62, 0x1c0, v65
	v_add3_u32 v63, 0, v65, 16
	v_mov_b32_e32 v64, v0
	s_mov_b32 s34, 0
	.p2align	6
.LBB26_284:                             ; =>This Inner Loop Header: Depth=1
	s_clause 0x3
	buffer_load_dword v70, v63, s[0:3], 0 offen offset:8
	buffer_load_dword v71, v63, s[0:3], 0 offen offset:12
	buffer_load_dword v72, v63, s[0:3], 0 offen
	buffer_load_dword v73, v63, s[0:3], 0 offen offset:4
	ds_read_b128 v[66:69], v62
	v_add_nc_u32_e32 v64, 1, v64
	v_add_nc_u32_e32 v62, 16, v62
	;; [unrolled: 1-line block ×3, first 2 shown]
	v_cmp_lt_u32_e32 vcc_lo, 8, v64
	s_or_b32 s34, vcc_lo, s34
	s_waitcnt vmcnt(2) lgkmcnt(0)
	v_mul_f64 v[74:75], v[68:69], v[70:71]
	v_mul_f64 v[70:71], v[66:67], v[70:71]
	s_waitcnt vmcnt(0)
	v_fma_f64 v[66:67], v[66:67], v[72:73], -v[74:75]
	v_fma_f64 v[68:69], v[68:69], v[72:73], v[70:71]
	v_add_f64 v[1:2], v[1:2], v[66:67]
	v_add_f64 v[3:4], v[3:4], v[68:69]
	s_andn2_b32 exec_lo, exec_lo, s34
	s_cbranch_execnz .LBB26_284
; %bb.285:
	s_or_b32 exec_lo, exec_lo, s34
.LBB26_286:
	s_or_b32 exec_lo, exec_lo, s8
	v_mov_b32_e32 v62, 0
	ds_read_b128 v[66:69], v62 offset:160
	s_waitcnt lgkmcnt(0)
	v_mul_f64 v[62:63], v[3:4], v[68:69]
	v_mul_f64 v[68:69], v[1:2], v[68:69]
	v_fma_f64 v[1:2], v[1:2], v[66:67], -v[62:63]
	v_fma_f64 v[3:4], v[3:4], v[66:67], v[68:69]
	buffer_store_dword v2, off, s[0:3], 0 offset:164
	buffer_store_dword v1, off, s[0:3], 0 offset:160
	;; [unrolled: 1-line block ×4, first 2 shown]
.LBB26_287:
	s_or_b32 exec_lo, exec_lo, s4
	v_mov_b32_e32 v4, s22
	s_mov_b32 s4, exec_lo
	s_clause 0x3
	buffer_load_dword v1, v4, s[0:3], 0 offen
	buffer_load_dword v2, v4, s[0:3], 0 offen offset:4
	buffer_load_dword v3, v4, s[0:3], 0 offen offset:8
	;; [unrolled: 1-line block ×3, first 2 shown]
	s_waitcnt vmcnt(0)
	ds_write_b128 v60, v[1:4]
	s_waitcnt lgkmcnt(0)
	s_waitcnt_vscnt null, 0x0
	s_barrier
	buffer_gl0_inv
	v_cmpx_gt_u32_e32 11, v0
	s_cbranch_execz .LBB26_295
; %bb.288:
	ds_read_b128 v[1:4], v60
	v_cmp_ne_u32_e32 vcc_lo, 1, v61
	s_cbranch_vccnz .LBB26_290
; %bb.289:
	s_clause 0x3
	buffer_load_dword v62, v59, s[0:3], 0 offen offset:8
	buffer_load_dword v63, v59, s[0:3], 0 offen offset:12
	buffer_load_dword v66, v59, s[0:3], 0 offen
	buffer_load_dword v67, v59, s[0:3], 0 offen offset:4
	s_waitcnt vmcnt(2) lgkmcnt(0)
	v_mul_f64 v[68:69], v[3:4], v[62:63]
	v_mul_f64 v[62:63], v[1:2], v[62:63]
	s_waitcnt vmcnt(0)
	v_fma_f64 v[1:2], v[1:2], v[66:67], -v[68:69]
	v_fma_f64 v[3:4], v[3:4], v[66:67], v[62:63]
.LBB26_290:
	s_mov_b32 s8, exec_lo
	v_cmpx_ne_u32_e32 10, v0
	s_cbranch_execz .LBB26_294
; %bb.291:
	v_add_nc_u32_e32 v62, 0x1c0, v65
	v_add3_u32 v63, 0, v65, 16
	v_mov_b32_e32 v64, v0
	s_mov_b32 s34, 0
	.p2align	6
.LBB26_292:                             ; =>This Inner Loop Header: Depth=1
	s_clause 0x3
	buffer_load_dword v70, v63, s[0:3], 0 offen offset:8
	buffer_load_dword v71, v63, s[0:3], 0 offen offset:12
	buffer_load_dword v72, v63, s[0:3], 0 offen
	buffer_load_dword v73, v63, s[0:3], 0 offen offset:4
	ds_read_b128 v[66:69], v62
	v_add_nc_u32_e32 v64, 1, v64
	v_add_nc_u32_e32 v62, 16, v62
	;; [unrolled: 1-line block ×3, first 2 shown]
	v_cmp_lt_u32_e32 vcc_lo, 9, v64
	s_or_b32 s34, vcc_lo, s34
	s_waitcnt vmcnt(2) lgkmcnt(0)
	v_mul_f64 v[74:75], v[68:69], v[70:71]
	v_mul_f64 v[70:71], v[66:67], v[70:71]
	s_waitcnt vmcnt(0)
	v_fma_f64 v[66:67], v[66:67], v[72:73], -v[74:75]
	v_fma_f64 v[68:69], v[68:69], v[72:73], v[70:71]
	v_add_f64 v[1:2], v[1:2], v[66:67]
	v_add_f64 v[3:4], v[3:4], v[68:69]
	s_andn2_b32 exec_lo, exec_lo, s34
	s_cbranch_execnz .LBB26_292
; %bb.293:
	s_or_b32 exec_lo, exec_lo, s34
.LBB26_294:
	s_or_b32 exec_lo, exec_lo, s8
	v_mov_b32_e32 v62, 0
	ds_read_b128 v[66:69], v62 offset:176
	s_waitcnt lgkmcnt(0)
	v_mul_f64 v[62:63], v[3:4], v[68:69]
	v_mul_f64 v[68:69], v[1:2], v[68:69]
	v_fma_f64 v[1:2], v[1:2], v[66:67], -v[62:63]
	v_fma_f64 v[3:4], v[3:4], v[66:67], v[68:69]
	buffer_store_dword v2, off, s[0:3], 0 offset:180
	buffer_store_dword v1, off, s[0:3], 0 offset:176
	;; [unrolled: 1-line block ×4, first 2 shown]
.LBB26_295:
	s_or_b32 exec_lo, exec_lo, s4
	v_mov_b32_e32 v4, s21
	s_mov_b32 s4, exec_lo
	s_clause 0x3
	buffer_load_dword v1, v4, s[0:3], 0 offen
	buffer_load_dword v2, v4, s[0:3], 0 offen offset:4
	buffer_load_dword v3, v4, s[0:3], 0 offen offset:8
	;; [unrolled: 1-line block ×3, first 2 shown]
	s_waitcnt vmcnt(0)
	ds_write_b128 v60, v[1:4]
	s_waitcnt lgkmcnt(0)
	s_waitcnt_vscnt null, 0x0
	s_barrier
	buffer_gl0_inv
	v_cmpx_gt_u32_e32 12, v0
	s_cbranch_execz .LBB26_303
; %bb.296:
	ds_read_b128 v[1:4], v60
	v_cmp_ne_u32_e32 vcc_lo, 1, v61
	s_cbranch_vccnz .LBB26_298
; %bb.297:
	s_clause 0x3
	buffer_load_dword v62, v59, s[0:3], 0 offen offset:8
	buffer_load_dword v63, v59, s[0:3], 0 offen offset:12
	buffer_load_dword v66, v59, s[0:3], 0 offen
	buffer_load_dword v67, v59, s[0:3], 0 offen offset:4
	s_waitcnt vmcnt(2) lgkmcnt(0)
	v_mul_f64 v[68:69], v[3:4], v[62:63]
	v_mul_f64 v[62:63], v[1:2], v[62:63]
	s_waitcnt vmcnt(0)
	v_fma_f64 v[1:2], v[1:2], v[66:67], -v[68:69]
	v_fma_f64 v[3:4], v[3:4], v[66:67], v[62:63]
.LBB26_298:
	s_mov_b32 s8, exec_lo
	v_cmpx_ne_u32_e32 11, v0
	s_cbranch_execz .LBB26_302
; %bb.299:
	v_add_nc_u32_e32 v62, 0x1c0, v65
	v_add3_u32 v63, 0, v65, 16
	v_mov_b32_e32 v64, v0
	s_mov_b32 s34, 0
	.p2align	6
.LBB26_300:                             ; =>This Inner Loop Header: Depth=1
	s_clause 0x3
	buffer_load_dword v70, v63, s[0:3], 0 offen offset:8
	buffer_load_dword v71, v63, s[0:3], 0 offen offset:12
	buffer_load_dword v72, v63, s[0:3], 0 offen
	buffer_load_dword v73, v63, s[0:3], 0 offen offset:4
	ds_read_b128 v[66:69], v62
	v_add_nc_u32_e32 v64, 1, v64
	v_add_nc_u32_e32 v62, 16, v62
	;; [unrolled: 1-line block ×3, first 2 shown]
	v_cmp_lt_u32_e32 vcc_lo, 10, v64
	s_or_b32 s34, vcc_lo, s34
	s_waitcnt vmcnt(2) lgkmcnt(0)
	v_mul_f64 v[74:75], v[68:69], v[70:71]
	v_mul_f64 v[70:71], v[66:67], v[70:71]
	s_waitcnt vmcnt(0)
	v_fma_f64 v[66:67], v[66:67], v[72:73], -v[74:75]
	v_fma_f64 v[68:69], v[68:69], v[72:73], v[70:71]
	v_add_f64 v[1:2], v[1:2], v[66:67]
	v_add_f64 v[3:4], v[3:4], v[68:69]
	s_andn2_b32 exec_lo, exec_lo, s34
	s_cbranch_execnz .LBB26_300
; %bb.301:
	s_or_b32 exec_lo, exec_lo, s34
.LBB26_302:
	s_or_b32 exec_lo, exec_lo, s8
	v_mov_b32_e32 v62, 0
	ds_read_b128 v[66:69], v62 offset:192
	s_waitcnt lgkmcnt(0)
	v_mul_f64 v[62:63], v[3:4], v[68:69]
	v_mul_f64 v[68:69], v[1:2], v[68:69]
	v_fma_f64 v[1:2], v[1:2], v[66:67], -v[62:63]
	v_fma_f64 v[3:4], v[3:4], v[66:67], v[68:69]
	buffer_store_dword v2, off, s[0:3], 0 offset:196
	buffer_store_dword v1, off, s[0:3], 0 offset:192
	;; [unrolled: 1-line block ×4, first 2 shown]
.LBB26_303:
	s_or_b32 exec_lo, exec_lo, s4
	v_mov_b32_e32 v4, s20
	s_mov_b32 s4, exec_lo
	s_clause 0x3
	buffer_load_dword v1, v4, s[0:3], 0 offen
	buffer_load_dword v2, v4, s[0:3], 0 offen offset:4
	buffer_load_dword v3, v4, s[0:3], 0 offen offset:8
	;; [unrolled: 1-line block ×3, first 2 shown]
	s_waitcnt vmcnt(0)
	ds_write_b128 v60, v[1:4]
	s_waitcnt lgkmcnt(0)
	s_waitcnt_vscnt null, 0x0
	s_barrier
	buffer_gl0_inv
	v_cmpx_gt_u32_e32 13, v0
	s_cbranch_execz .LBB26_311
; %bb.304:
	ds_read_b128 v[1:4], v60
	v_cmp_ne_u32_e32 vcc_lo, 1, v61
	s_cbranch_vccnz .LBB26_306
; %bb.305:
	s_clause 0x3
	buffer_load_dword v62, v59, s[0:3], 0 offen offset:8
	buffer_load_dword v63, v59, s[0:3], 0 offen offset:12
	buffer_load_dword v66, v59, s[0:3], 0 offen
	buffer_load_dword v67, v59, s[0:3], 0 offen offset:4
	s_waitcnt vmcnt(2) lgkmcnt(0)
	v_mul_f64 v[68:69], v[3:4], v[62:63]
	v_mul_f64 v[62:63], v[1:2], v[62:63]
	s_waitcnt vmcnt(0)
	v_fma_f64 v[1:2], v[1:2], v[66:67], -v[68:69]
	v_fma_f64 v[3:4], v[3:4], v[66:67], v[62:63]
.LBB26_306:
	s_mov_b32 s8, exec_lo
	v_cmpx_ne_u32_e32 12, v0
	s_cbranch_execz .LBB26_310
; %bb.307:
	v_add_nc_u32_e32 v62, 0x1c0, v65
	v_add3_u32 v63, 0, v65, 16
	v_mov_b32_e32 v64, v0
	s_mov_b32 s34, 0
	.p2align	6
.LBB26_308:                             ; =>This Inner Loop Header: Depth=1
	s_clause 0x3
	buffer_load_dword v70, v63, s[0:3], 0 offen offset:8
	buffer_load_dword v71, v63, s[0:3], 0 offen offset:12
	buffer_load_dword v72, v63, s[0:3], 0 offen
	buffer_load_dword v73, v63, s[0:3], 0 offen offset:4
	ds_read_b128 v[66:69], v62
	v_add_nc_u32_e32 v64, 1, v64
	v_add_nc_u32_e32 v62, 16, v62
	;; [unrolled: 1-line block ×3, first 2 shown]
	v_cmp_lt_u32_e32 vcc_lo, 11, v64
	s_or_b32 s34, vcc_lo, s34
	s_waitcnt vmcnt(2) lgkmcnt(0)
	v_mul_f64 v[74:75], v[68:69], v[70:71]
	v_mul_f64 v[70:71], v[66:67], v[70:71]
	s_waitcnt vmcnt(0)
	v_fma_f64 v[66:67], v[66:67], v[72:73], -v[74:75]
	v_fma_f64 v[68:69], v[68:69], v[72:73], v[70:71]
	v_add_f64 v[1:2], v[1:2], v[66:67]
	v_add_f64 v[3:4], v[3:4], v[68:69]
	s_andn2_b32 exec_lo, exec_lo, s34
	s_cbranch_execnz .LBB26_308
; %bb.309:
	s_or_b32 exec_lo, exec_lo, s34
.LBB26_310:
	s_or_b32 exec_lo, exec_lo, s8
	v_mov_b32_e32 v62, 0
	ds_read_b128 v[66:69], v62 offset:208
	s_waitcnt lgkmcnt(0)
	v_mul_f64 v[62:63], v[3:4], v[68:69]
	v_mul_f64 v[68:69], v[1:2], v[68:69]
	v_fma_f64 v[1:2], v[1:2], v[66:67], -v[62:63]
	v_fma_f64 v[3:4], v[3:4], v[66:67], v[68:69]
	buffer_store_dword v2, off, s[0:3], 0 offset:212
	buffer_store_dword v1, off, s[0:3], 0 offset:208
	;; [unrolled: 1-line block ×4, first 2 shown]
.LBB26_311:
	s_or_b32 exec_lo, exec_lo, s4
	v_mov_b32_e32 v4, s19
	s_mov_b32 s4, exec_lo
	s_clause 0x3
	buffer_load_dword v1, v4, s[0:3], 0 offen
	buffer_load_dword v2, v4, s[0:3], 0 offen offset:4
	buffer_load_dword v3, v4, s[0:3], 0 offen offset:8
	;; [unrolled: 1-line block ×3, first 2 shown]
	s_waitcnt vmcnt(0)
	ds_write_b128 v60, v[1:4]
	s_waitcnt lgkmcnt(0)
	s_waitcnt_vscnt null, 0x0
	s_barrier
	buffer_gl0_inv
	v_cmpx_gt_u32_e32 14, v0
	s_cbranch_execz .LBB26_319
; %bb.312:
	ds_read_b128 v[1:4], v60
	v_cmp_ne_u32_e32 vcc_lo, 1, v61
	s_cbranch_vccnz .LBB26_314
; %bb.313:
	s_clause 0x3
	buffer_load_dword v62, v59, s[0:3], 0 offen offset:8
	buffer_load_dword v63, v59, s[0:3], 0 offen offset:12
	buffer_load_dword v66, v59, s[0:3], 0 offen
	buffer_load_dword v67, v59, s[0:3], 0 offen offset:4
	s_waitcnt vmcnt(2) lgkmcnt(0)
	v_mul_f64 v[68:69], v[3:4], v[62:63]
	v_mul_f64 v[62:63], v[1:2], v[62:63]
	s_waitcnt vmcnt(0)
	v_fma_f64 v[1:2], v[1:2], v[66:67], -v[68:69]
	v_fma_f64 v[3:4], v[3:4], v[66:67], v[62:63]
.LBB26_314:
	s_mov_b32 s8, exec_lo
	v_cmpx_ne_u32_e32 13, v0
	s_cbranch_execz .LBB26_318
; %bb.315:
	v_add_nc_u32_e32 v62, 0x1c0, v65
	v_add3_u32 v63, 0, v65, 16
	v_mov_b32_e32 v64, v0
	s_mov_b32 s34, 0
	.p2align	6
.LBB26_316:                             ; =>This Inner Loop Header: Depth=1
	s_clause 0x3
	buffer_load_dword v70, v63, s[0:3], 0 offen offset:8
	buffer_load_dword v71, v63, s[0:3], 0 offen offset:12
	buffer_load_dword v72, v63, s[0:3], 0 offen
	buffer_load_dword v73, v63, s[0:3], 0 offen offset:4
	ds_read_b128 v[66:69], v62
	v_add_nc_u32_e32 v64, 1, v64
	v_add_nc_u32_e32 v62, 16, v62
	;; [unrolled: 1-line block ×3, first 2 shown]
	v_cmp_lt_u32_e32 vcc_lo, 12, v64
	s_or_b32 s34, vcc_lo, s34
	s_waitcnt vmcnt(2) lgkmcnt(0)
	v_mul_f64 v[74:75], v[68:69], v[70:71]
	v_mul_f64 v[70:71], v[66:67], v[70:71]
	s_waitcnt vmcnt(0)
	v_fma_f64 v[66:67], v[66:67], v[72:73], -v[74:75]
	v_fma_f64 v[68:69], v[68:69], v[72:73], v[70:71]
	v_add_f64 v[1:2], v[1:2], v[66:67]
	v_add_f64 v[3:4], v[3:4], v[68:69]
	s_andn2_b32 exec_lo, exec_lo, s34
	s_cbranch_execnz .LBB26_316
; %bb.317:
	s_or_b32 exec_lo, exec_lo, s34
.LBB26_318:
	s_or_b32 exec_lo, exec_lo, s8
	v_mov_b32_e32 v62, 0
	ds_read_b128 v[66:69], v62 offset:224
	s_waitcnt lgkmcnt(0)
	v_mul_f64 v[62:63], v[3:4], v[68:69]
	v_mul_f64 v[68:69], v[1:2], v[68:69]
	v_fma_f64 v[1:2], v[1:2], v[66:67], -v[62:63]
	v_fma_f64 v[3:4], v[3:4], v[66:67], v[68:69]
	buffer_store_dword v2, off, s[0:3], 0 offset:228
	buffer_store_dword v1, off, s[0:3], 0 offset:224
	;; [unrolled: 1-line block ×4, first 2 shown]
.LBB26_319:
	s_or_b32 exec_lo, exec_lo, s4
	v_mov_b32_e32 v4, s18
	s_mov_b32 s4, exec_lo
	s_clause 0x3
	buffer_load_dword v1, v4, s[0:3], 0 offen
	buffer_load_dword v2, v4, s[0:3], 0 offen offset:4
	buffer_load_dword v3, v4, s[0:3], 0 offen offset:8
	;; [unrolled: 1-line block ×3, first 2 shown]
	s_waitcnt vmcnt(0)
	ds_write_b128 v60, v[1:4]
	s_waitcnt lgkmcnt(0)
	s_waitcnt_vscnt null, 0x0
	s_barrier
	buffer_gl0_inv
	v_cmpx_gt_u32_e32 15, v0
	s_cbranch_execz .LBB26_327
; %bb.320:
	ds_read_b128 v[1:4], v60
	v_cmp_ne_u32_e32 vcc_lo, 1, v61
	s_cbranch_vccnz .LBB26_322
; %bb.321:
	s_clause 0x3
	buffer_load_dword v62, v59, s[0:3], 0 offen offset:8
	buffer_load_dword v63, v59, s[0:3], 0 offen offset:12
	buffer_load_dword v66, v59, s[0:3], 0 offen
	buffer_load_dword v67, v59, s[0:3], 0 offen offset:4
	s_waitcnt vmcnt(2) lgkmcnt(0)
	v_mul_f64 v[68:69], v[3:4], v[62:63]
	v_mul_f64 v[62:63], v[1:2], v[62:63]
	s_waitcnt vmcnt(0)
	v_fma_f64 v[1:2], v[1:2], v[66:67], -v[68:69]
	v_fma_f64 v[3:4], v[3:4], v[66:67], v[62:63]
.LBB26_322:
	s_mov_b32 s8, exec_lo
	v_cmpx_ne_u32_e32 14, v0
	s_cbranch_execz .LBB26_326
; %bb.323:
	v_add_nc_u32_e32 v62, 0x1c0, v65
	v_add3_u32 v63, 0, v65, 16
	v_mov_b32_e32 v64, v0
	s_mov_b32 s34, 0
	.p2align	6
.LBB26_324:                             ; =>This Inner Loop Header: Depth=1
	s_clause 0x3
	buffer_load_dword v70, v63, s[0:3], 0 offen offset:8
	buffer_load_dword v71, v63, s[0:3], 0 offen offset:12
	buffer_load_dword v72, v63, s[0:3], 0 offen
	buffer_load_dword v73, v63, s[0:3], 0 offen offset:4
	ds_read_b128 v[66:69], v62
	v_add_nc_u32_e32 v64, 1, v64
	v_add_nc_u32_e32 v62, 16, v62
	v_add_nc_u32_e32 v63, 16, v63
	v_cmp_lt_u32_e32 vcc_lo, 13, v64
	s_or_b32 s34, vcc_lo, s34
	s_waitcnt vmcnt(2) lgkmcnt(0)
	v_mul_f64 v[74:75], v[68:69], v[70:71]
	v_mul_f64 v[70:71], v[66:67], v[70:71]
	s_waitcnt vmcnt(0)
	v_fma_f64 v[66:67], v[66:67], v[72:73], -v[74:75]
	v_fma_f64 v[68:69], v[68:69], v[72:73], v[70:71]
	v_add_f64 v[1:2], v[1:2], v[66:67]
	v_add_f64 v[3:4], v[3:4], v[68:69]
	s_andn2_b32 exec_lo, exec_lo, s34
	s_cbranch_execnz .LBB26_324
; %bb.325:
	s_or_b32 exec_lo, exec_lo, s34
.LBB26_326:
	s_or_b32 exec_lo, exec_lo, s8
	v_mov_b32_e32 v62, 0
	ds_read_b128 v[66:69], v62 offset:240
	s_waitcnt lgkmcnt(0)
	v_mul_f64 v[62:63], v[3:4], v[68:69]
	v_mul_f64 v[68:69], v[1:2], v[68:69]
	v_fma_f64 v[1:2], v[1:2], v[66:67], -v[62:63]
	v_fma_f64 v[3:4], v[3:4], v[66:67], v[68:69]
	buffer_store_dword v2, off, s[0:3], 0 offset:244
	buffer_store_dword v1, off, s[0:3], 0 offset:240
	;; [unrolled: 1-line block ×4, first 2 shown]
.LBB26_327:
	s_or_b32 exec_lo, exec_lo, s4
	v_mov_b32_e32 v4, s17
	s_mov_b32 s4, exec_lo
	s_clause 0x3
	buffer_load_dword v1, v4, s[0:3], 0 offen
	buffer_load_dword v2, v4, s[0:3], 0 offen offset:4
	buffer_load_dword v3, v4, s[0:3], 0 offen offset:8
	;; [unrolled: 1-line block ×3, first 2 shown]
	s_waitcnt vmcnt(0)
	ds_write_b128 v60, v[1:4]
	s_waitcnt lgkmcnt(0)
	s_waitcnt_vscnt null, 0x0
	s_barrier
	buffer_gl0_inv
	v_cmpx_gt_u32_e32 16, v0
	s_cbranch_execz .LBB26_335
; %bb.328:
	ds_read_b128 v[1:4], v60
	v_cmp_ne_u32_e32 vcc_lo, 1, v61
	s_cbranch_vccnz .LBB26_330
; %bb.329:
	s_clause 0x3
	buffer_load_dword v62, v59, s[0:3], 0 offen offset:8
	buffer_load_dword v63, v59, s[0:3], 0 offen offset:12
	buffer_load_dword v66, v59, s[0:3], 0 offen
	buffer_load_dword v67, v59, s[0:3], 0 offen offset:4
	s_waitcnt vmcnt(2) lgkmcnt(0)
	v_mul_f64 v[68:69], v[3:4], v[62:63]
	v_mul_f64 v[62:63], v[1:2], v[62:63]
	s_waitcnt vmcnt(0)
	v_fma_f64 v[1:2], v[1:2], v[66:67], -v[68:69]
	v_fma_f64 v[3:4], v[3:4], v[66:67], v[62:63]
.LBB26_330:
	s_mov_b32 s8, exec_lo
	v_cmpx_ne_u32_e32 15, v0
	s_cbranch_execz .LBB26_334
; %bb.331:
	v_add_nc_u32_e32 v62, 0x1c0, v65
	v_add3_u32 v63, 0, v65, 16
	v_mov_b32_e32 v64, v0
	s_mov_b32 s34, 0
	.p2align	6
.LBB26_332:                             ; =>This Inner Loop Header: Depth=1
	s_clause 0x3
	buffer_load_dword v70, v63, s[0:3], 0 offen offset:8
	buffer_load_dword v71, v63, s[0:3], 0 offen offset:12
	buffer_load_dword v72, v63, s[0:3], 0 offen
	buffer_load_dword v73, v63, s[0:3], 0 offen offset:4
	ds_read_b128 v[66:69], v62
	v_add_nc_u32_e32 v64, 1, v64
	v_add_nc_u32_e32 v62, 16, v62
	;; [unrolled: 1-line block ×3, first 2 shown]
	v_cmp_lt_u32_e32 vcc_lo, 14, v64
	s_or_b32 s34, vcc_lo, s34
	s_waitcnt vmcnt(2) lgkmcnt(0)
	v_mul_f64 v[74:75], v[68:69], v[70:71]
	v_mul_f64 v[70:71], v[66:67], v[70:71]
	s_waitcnt vmcnt(0)
	v_fma_f64 v[66:67], v[66:67], v[72:73], -v[74:75]
	v_fma_f64 v[68:69], v[68:69], v[72:73], v[70:71]
	v_add_f64 v[1:2], v[1:2], v[66:67]
	v_add_f64 v[3:4], v[3:4], v[68:69]
	s_andn2_b32 exec_lo, exec_lo, s34
	s_cbranch_execnz .LBB26_332
; %bb.333:
	s_or_b32 exec_lo, exec_lo, s34
.LBB26_334:
	s_or_b32 exec_lo, exec_lo, s8
	v_mov_b32_e32 v62, 0
	ds_read_b128 v[66:69], v62 offset:256
	s_waitcnt lgkmcnt(0)
	v_mul_f64 v[62:63], v[3:4], v[68:69]
	v_mul_f64 v[68:69], v[1:2], v[68:69]
	v_fma_f64 v[1:2], v[1:2], v[66:67], -v[62:63]
	v_fma_f64 v[3:4], v[3:4], v[66:67], v[68:69]
	buffer_store_dword v2, off, s[0:3], 0 offset:260
	buffer_store_dword v1, off, s[0:3], 0 offset:256
	;; [unrolled: 1-line block ×4, first 2 shown]
.LBB26_335:
	s_or_b32 exec_lo, exec_lo, s4
	v_mov_b32_e32 v4, s16
	s_mov_b32 s4, exec_lo
	s_clause 0x3
	buffer_load_dword v1, v4, s[0:3], 0 offen
	buffer_load_dword v2, v4, s[0:3], 0 offen offset:4
	buffer_load_dword v3, v4, s[0:3], 0 offen offset:8
	;; [unrolled: 1-line block ×3, first 2 shown]
	s_waitcnt vmcnt(0)
	ds_write_b128 v60, v[1:4]
	s_waitcnt lgkmcnt(0)
	s_waitcnt_vscnt null, 0x0
	s_barrier
	buffer_gl0_inv
	v_cmpx_gt_u32_e32 17, v0
	s_cbranch_execz .LBB26_343
; %bb.336:
	ds_read_b128 v[1:4], v60
	v_cmp_ne_u32_e32 vcc_lo, 1, v61
	s_cbranch_vccnz .LBB26_338
; %bb.337:
	s_clause 0x3
	buffer_load_dword v62, v59, s[0:3], 0 offen offset:8
	buffer_load_dword v63, v59, s[0:3], 0 offen offset:12
	buffer_load_dword v66, v59, s[0:3], 0 offen
	buffer_load_dword v67, v59, s[0:3], 0 offen offset:4
	s_waitcnt vmcnt(2) lgkmcnt(0)
	v_mul_f64 v[68:69], v[3:4], v[62:63]
	v_mul_f64 v[62:63], v[1:2], v[62:63]
	s_waitcnt vmcnt(0)
	v_fma_f64 v[1:2], v[1:2], v[66:67], -v[68:69]
	v_fma_f64 v[3:4], v[3:4], v[66:67], v[62:63]
.LBB26_338:
	s_mov_b32 s8, exec_lo
	v_cmpx_ne_u32_e32 16, v0
	s_cbranch_execz .LBB26_342
; %bb.339:
	v_add_nc_u32_e32 v62, 0x1c0, v65
	v_add3_u32 v63, 0, v65, 16
	v_mov_b32_e32 v64, v0
	s_mov_b32 s34, 0
	.p2align	6
.LBB26_340:                             ; =>This Inner Loop Header: Depth=1
	s_clause 0x3
	buffer_load_dword v70, v63, s[0:3], 0 offen offset:8
	buffer_load_dword v71, v63, s[0:3], 0 offen offset:12
	buffer_load_dword v72, v63, s[0:3], 0 offen
	buffer_load_dword v73, v63, s[0:3], 0 offen offset:4
	ds_read_b128 v[66:69], v62
	v_add_nc_u32_e32 v64, 1, v64
	v_add_nc_u32_e32 v62, 16, v62
	;; [unrolled: 1-line block ×3, first 2 shown]
	v_cmp_lt_u32_e32 vcc_lo, 15, v64
	s_or_b32 s34, vcc_lo, s34
	s_waitcnt vmcnt(2) lgkmcnt(0)
	v_mul_f64 v[74:75], v[68:69], v[70:71]
	v_mul_f64 v[70:71], v[66:67], v[70:71]
	s_waitcnt vmcnt(0)
	v_fma_f64 v[66:67], v[66:67], v[72:73], -v[74:75]
	v_fma_f64 v[68:69], v[68:69], v[72:73], v[70:71]
	v_add_f64 v[1:2], v[1:2], v[66:67]
	v_add_f64 v[3:4], v[3:4], v[68:69]
	s_andn2_b32 exec_lo, exec_lo, s34
	s_cbranch_execnz .LBB26_340
; %bb.341:
	s_or_b32 exec_lo, exec_lo, s34
.LBB26_342:
	s_or_b32 exec_lo, exec_lo, s8
	v_mov_b32_e32 v62, 0
	ds_read_b128 v[66:69], v62 offset:272
	s_waitcnt lgkmcnt(0)
	v_mul_f64 v[62:63], v[3:4], v[68:69]
	v_mul_f64 v[68:69], v[1:2], v[68:69]
	v_fma_f64 v[1:2], v[1:2], v[66:67], -v[62:63]
	v_fma_f64 v[3:4], v[3:4], v[66:67], v[68:69]
	buffer_store_dword v2, off, s[0:3], 0 offset:276
	buffer_store_dword v1, off, s[0:3], 0 offset:272
	;; [unrolled: 1-line block ×4, first 2 shown]
.LBB26_343:
	s_or_b32 exec_lo, exec_lo, s4
	v_mov_b32_e32 v4, s15
	s_mov_b32 s4, exec_lo
	s_clause 0x3
	buffer_load_dword v1, v4, s[0:3], 0 offen
	buffer_load_dword v2, v4, s[0:3], 0 offen offset:4
	buffer_load_dword v3, v4, s[0:3], 0 offen offset:8
	;; [unrolled: 1-line block ×3, first 2 shown]
	s_waitcnt vmcnt(0)
	ds_write_b128 v60, v[1:4]
	s_waitcnt lgkmcnt(0)
	s_waitcnt_vscnt null, 0x0
	s_barrier
	buffer_gl0_inv
	v_cmpx_gt_u32_e32 18, v0
	s_cbranch_execz .LBB26_351
; %bb.344:
	ds_read_b128 v[1:4], v60
	v_cmp_ne_u32_e32 vcc_lo, 1, v61
	s_cbranch_vccnz .LBB26_346
; %bb.345:
	s_clause 0x3
	buffer_load_dword v62, v59, s[0:3], 0 offen offset:8
	buffer_load_dword v63, v59, s[0:3], 0 offen offset:12
	buffer_load_dword v66, v59, s[0:3], 0 offen
	buffer_load_dword v67, v59, s[0:3], 0 offen offset:4
	s_waitcnt vmcnt(2) lgkmcnt(0)
	v_mul_f64 v[68:69], v[3:4], v[62:63]
	v_mul_f64 v[62:63], v[1:2], v[62:63]
	s_waitcnt vmcnt(0)
	v_fma_f64 v[1:2], v[1:2], v[66:67], -v[68:69]
	v_fma_f64 v[3:4], v[3:4], v[66:67], v[62:63]
.LBB26_346:
	s_mov_b32 s8, exec_lo
	v_cmpx_ne_u32_e32 17, v0
	s_cbranch_execz .LBB26_350
; %bb.347:
	v_add_nc_u32_e32 v62, 0x1c0, v65
	v_add3_u32 v63, 0, v65, 16
	v_mov_b32_e32 v64, v0
	s_mov_b32 s34, 0
	.p2align	6
.LBB26_348:                             ; =>This Inner Loop Header: Depth=1
	s_clause 0x3
	buffer_load_dword v70, v63, s[0:3], 0 offen offset:8
	buffer_load_dword v71, v63, s[0:3], 0 offen offset:12
	buffer_load_dword v72, v63, s[0:3], 0 offen
	buffer_load_dword v73, v63, s[0:3], 0 offen offset:4
	ds_read_b128 v[66:69], v62
	v_add_nc_u32_e32 v64, 1, v64
	v_add_nc_u32_e32 v62, 16, v62
	;; [unrolled: 1-line block ×3, first 2 shown]
	v_cmp_lt_u32_e32 vcc_lo, 16, v64
	s_or_b32 s34, vcc_lo, s34
	s_waitcnt vmcnt(2) lgkmcnt(0)
	v_mul_f64 v[74:75], v[68:69], v[70:71]
	v_mul_f64 v[70:71], v[66:67], v[70:71]
	s_waitcnt vmcnt(0)
	v_fma_f64 v[66:67], v[66:67], v[72:73], -v[74:75]
	v_fma_f64 v[68:69], v[68:69], v[72:73], v[70:71]
	v_add_f64 v[1:2], v[1:2], v[66:67]
	v_add_f64 v[3:4], v[3:4], v[68:69]
	s_andn2_b32 exec_lo, exec_lo, s34
	s_cbranch_execnz .LBB26_348
; %bb.349:
	s_or_b32 exec_lo, exec_lo, s34
.LBB26_350:
	s_or_b32 exec_lo, exec_lo, s8
	v_mov_b32_e32 v62, 0
	ds_read_b128 v[66:69], v62 offset:288
	s_waitcnt lgkmcnt(0)
	v_mul_f64 v[62:63], v[3:4], v[68:69]
	v_mul_f64 v[68:69], v[1:2], v[68:69]
	v_fma_f64 v[1:2], v[1:2], v[66:67], -v[62:63]
	v_fma_f64 v[3:4], v[3:4], v[66:67], v[68:69]
	buffer_store_dword v2, off, s[0:3], 0 offset:292
	buffer_store_dword v1, off, s[0:3], 0 offset:288
	;; [unrolled: 1-line block ×4, first 2 shown]
.LBB26_351:
	s_or_b32 exec_lo, exec_lo, s4
	v_mov_b32_e32 v4, s14
	s_mov_b32 s4, exec_lo
	s_clause 0x3
	buffer_load_dword v1, v4, s[0:3], 0 offen
	buffer_load_dword v2, v4, s[0:3], 0 offen offset:4
	buffer_load_dword v3, v4, s[0:3], 0 offen offset:8
	;; [unrolled: 1-line block ×3, first 2 shown]
	s_waitcnt vmcnt(0)
	ds_write_b128 v60, v[1:4]
	s_waitcnt lgkmcnt(0)
	s_waitcnt_vscnt null, 0x0
	s_barrier
	buffer_gl0_inv
	v_cmpx_gt_u32_e32 19, v0
	s_cbranch_execz .LBB26_359
; %bb.352:
	ds_read_b128 v[1:4], v60
	v_cmp_ne_u32_e32 vcc_lo, 1, v61
	s_cbranch_vccnz .LBB26_354
; %bb.353:
	s_clause 0x3
	buffer_load_dword v62, v59, s[0:3], 0 offen offset:8
	buffer_load_dword v63, v59, s[0:3], 0 offen offset:12
	buffer_load_dword v66, v59, s[0:3], 0 offen
	buffer_load_dword v67, v59, s[0:3], 0 offen offset:4
	s_waitcnt vmcnt(2) lgkmcnt(0)
	v_mul_f64 v[68:69], v[3:4], v[62:63]
	v_mul_f64 v[62:63], v[1:2], v[62:63]
	s_waitcnt vmcnt(0)
	v_fma_f64 v[1:2], v[1:2], v[66:67], -v[68:69]
	v_fma_f64 v[3:4], v[3:4], v[66:67], v[62:63]
.LBB26_354:
	s_mov_b32 s8, exec_lo
	v_cmpx_ne_u32_e32 18, v0
	s_cbranch_execz .LBB26_358
; %bb.355:
	v_add_nc_u32_e32 v62, 0x1c0, v65
	v_add3_u32 v63, 0, v65, 16
	v_mov_b32_e32 v64, v0
	s_mov_b32 s34, 0
	.p2align	6
.LBB26_356:                             ; =>This Inner Loop Header: Depth=1
	s_clause 0x3
	buffer_load_dword v70, v63, s[0:3], 0 offen offset:8
	buffer_load_dword v71, v63, s[0:3], 0 offen offset:12
	buffer_load_dword v72, v63, s[0:3], 0 offen
	buffer_load_dword v73, v63, s[0:3], 0 offen offset:4
	ds_read_b128 v[66:69], v62
	v_add_nc_u32_e32 v64, 1, v64
	v_add_nc_u32_e32 v62, 16, v62
	;; [unrolled: 1-line block ×3, first 2 shown]
	v_cmp_lt_u32_e32 vcc_lo, 17, v64
	s_or_b32 s34, vcc_lo, s34
	s_waitcnt vmcnt(2) lgkmcnt(0)
	v_mul_f64 v[74:75], v[68:69], v[70:71]
	v_mul_f64 v[70:71], v[66:67], v[70:71]
	s_waitcnt vmcnt(0)
	v_fma_f64 v[66:67], v[66:67], v[72:73], -v[74:75]
	v_fma_f64 v[68:69], v[68:69], v[72:73], v[70:71]
	v_add_f64 v[1:2], v[1:2], v[66:67]
	v_add_f64 v[3:4], v[3:4], v[68:69]
	s_andn2_b32 exec_lo, exec_lo, s34
	s_cbranch_execnz .LBB26_356
; %bb.357:
	s_or_b32 exec_lo, exec_lo, s34
.LBB26_358:
	s_or_b32 exec_lo, exec_lo, s8
	v_mov_b32_e32 v62, 0
	ds_read_b128 v[66:69], v62 offset:304
	s_waitcnt lgkmcnt(0)
	v_mul_f64 v[62:63], v[3:4], v[68:69]
	v_mul_f64 v[68:69], v[1:2], v[68:69]
	v_fma_f64 v[1:2], v[1:2], v[66:67], -v[62:63]
	v_fma_f64 v[3:4], v[3:4], v[66:67], v[68:69]
	buffer_store_dword v2, off, s[0:3], 0 offset:308
	buffer_store_dword v1, off, s[0:3], 0 offset:304
	;; [unrolled: 1-line block ×4, first 2 shown]
.LBB26_359:
	s_or_b32 exec_lo, exec_lo, s4
	v_mov_b32_e32 v4, s13
	s_mov_b32 s4, exec_lo
	s_clause 0x3
	buffer_load_dword v1, v4, s[0:3], 0 offen
	buffer_load_dword v2, v4, s[0:3], 0 offen offset:4
	buffer_load_dword v3, v4, s[0:3], 0 offen offset:8
	;; [unrolled: 1-line block ×3, first 2 shown]
	s_waitcnt vmcnt(0)
	ds_write_b128 v60, v[1:4]
	s_waitcnt lgkmcnt(0)
	s_waitcnt_vscnt null, 0x0
	s_barrier
	buffer_gl0_inv
	v_cmpx_gt_u32_e32 20, v0
	s_cbranch_execz .LBB26_367
; %bb.360:
	ds_read_b128 v[1:4], v60
	v_cmp_ne_u32_e32 vcc_lo, 1, v61
	s_cbranch_vccnz .LBB26_362
; %bb.361:
	s_clause 0x3
	buffer_load_dword v62, v59, s[0:3], 0 offen offset:8
	buffer_load_dword v63, v59, s[0:3], 0 offen offset:12
	buffer_load_dword v66, v59, s[0:3], 0 offen
	buffer_load_dword v67, v59, s[0:3], 0 offen offset:4
	s_waitcnt vmcnt(2) lgkmcnt(0)
	v_mul_f64 v[68:69], v[3:4], v[62:63]
	v_mul_f64 v[62:63], v[1:2], v[62:63]
	s_waitcnt vmcnt(0)
	v_fma_f64 v[1:2], v[1:2], v[66:67], -v[68:69]
	v_fma_f64 v[3:4], v[3:4], v[66:67], v[62:63]
.LBB26_362:
	s_mov_b32 s8, exec_lo
	v_cmpx_ne_u32_e32 19, v0
	s_cbranch_execz .LBB26_366
; %bb.363:
	v_add_nc_u32_e32 v62, 0x1c0, v65
	v_add3_u32 v63, 0, v65, 16
	v_mov_b32_e32 v64, v0
	s_mov_b32 s34, 0
	.p2align	6
.LBB26_364:                             ; =>This Inner Loop Header: Depth=1
	s_clause 0x3
	buffer_load_dword v70, v63, s[0:3], 0 offen offset:8
	buffer_load_dword v71, v63, s[0:3], 0 offen offset:12
	buffer_load_dword v72, v63, s[0:3], 0 offen
	buffer_load_dword v73, v63, s[0:3], 0 offen offset:4
	ds_read_b128 v[66:69], v62
	v_add_nc_u32_e32 v64, 1, v64
	v_add_nc_u32_e32 v62, 16, v62
	;; [unrolled: 1-line block ×3, first 2 shown]
	v_cmp_lt_u32_e32 vcc_lo, 18, v64
	s_or_b32 s34, vcc_lo, s34
	s_waitcnt vmcnt(2) lgkmcnt(0)
	v_mul_f64 v[74:75], v[68:69], v[70:71]
	v_mul_f64 v[70:71], v[66:67], v[70:71]
	s_waitcnt vmcnt(0)
	v_fma_f64 v[66:67], v[66:67], v[72:73], -v[74:75]
	v_fma_f64 v[68:69], v[68:69], v[72:73], v[70:71]
	v_add_f64 v[1:2], v[1:2], v[66:67]
	v_add_f64 v[3:4], v[3:4], v[68:69]
	s_andn2_b32 exec_lo, exec_lo, s34
	s_cbranch_execnz .LBB26_364
; %bb.365:
	s_or_b32 exec_lo, exec_lo, s34
.LBB26_366:
	s_or_b32 exec_lo, exec_lo, s8
	v_mov_b32_e32 v62, 0
	ds_read_b128 v[66:69], v62 offset:320
	s_waitcnt lgkmcnt(0)
	v_mul_f64 v[62:63], v[3:4], v[68:69]
	v_mul_f64 v[68:69], v[1:2], v[68:69]
	v_fma_f64 v[1:2], v[1:2], v[66:67], -v[62:63]
	v_fma_f64 v[3:4], v[3:4], v[66:67], v[68:69]
	buffer_store_dword v2, off, s[0:3], 0 offset:324
	buffer_store_dword v1, off, s[0:3], 0 offset:320
	;; [unrolled: 1-line block ×4, first 2 shown]
.LBB26_367:
	s_or_b32 exec_lo, exec_lo, s4
	v_mov_b32_e32 v4, s12
	s_mov_b32 s4, exec_lo
	s_clause 0x3
	buffer_load_dword v1, v4, s[0:3], 0 offen
	buffer_load_dword v2, v4, s[0:3], 0 offen offset:4
	buffer_load_dword v3, v4, s[0:3], 0 offen offset:8
	;; [unrolled: 1-line block ×3, first 2 shown]
	s_waitcnt vmcnt(0)
	ds_write_b128 v60, v[1:4]
	s_waitcnt lgkmcnt(0)
	s_waitcnt_vscnt null, 0x0
	s_barrier
	buffer_gl0_inv
	v_cmpx_gt_u32_e32 21, v0
	s_cbranch_execz .LBB26_375
; %bb.368:
	ds_read_b128 v[1:4], v60
	v_cmp_ne_u32_e32 vcc_lo, 1, v61
	s_cbranch_vccnz .LBB26_370
; %bb.369:
	s_clause 0x3
	buffer_load_dword v62, v59, s[0:3], 0 offen offset:8
	buffer_load_dword v63, v59, s[0:3], 0 offen offset:12
	buffer_load_dword v66, v59, s[0:3], 0 offen
	buffer_load_dword v67, v59, s[0:3], 0 offen offset:4
	s_waitcnt vmcnt(2) lgkmcnt(0)
	v_mul_f64 v[68:69], v[3:4], v[62:63]
	v_mul_f64 v[62:63], v[1:2], v[62:63]
	s_waitcnt vmcnt(0)
	v_fma_f64 v[1:2], v[1:2], v[66:67], -v[68:69]
	v_fma_f64 v[3:4], v[3:4], v[66:67], v[62:63]
.LBB26_370:
	s_mov_b32 s8, exec_lo
	v_cmpx_ne_u32_e32 20, v0
	s_cbranch_execz .LBB26_374
; %bb.371:
	v_add_nc_u32_e32 v62, 0x1c0, v65
	v_add3_u32 v63, 0, v65, 16
	v_mov_b32_e32 v64, v0
	s_mov_b32 s34, 0
	.p2align	6
.LBB26_372:                             ; =>This Inner Loop Header: Depth=1
	s_clause 0x3
	buffer_load_dword v70, v63, s[0:3], 0 offen offset:8
	buffer_load_dword v71, v63, s[0:3], 0 offen offset:12
	buffer_load_dword v72, v63, s[0:3], 0 offen
	buffer_load_dword v73, v63, s[0:3], 0 offen offset:4
	ds_read_b128 v[66:69], v62
	v_add_nc_u32_e32 v64, 1, v64
	v_add_nc_u32_e32 v62, 16, v62
	;; [unrolled: 1-line block ×3, first 2 shown]
	v_cmp_lt_u32_e32 vcc_lo, 19, v64
	s_or_b32 s34, vcc_lo, s34
	s_waitcnt vmcnt(2) lgkmcnt(0)
	v_mul_f64 v[74:75], v[68:69], v[70:71]
	v_mul_f64 v[70:71], v[66:67], v[70:71]
	s_waitcnt vmcnt(0)
	v_fma_f64 v[66:67], v[66:67], v[72:73], -v[74:75]
	v_fma_f64 v[68:69], v[68:69], v[72:73], v[70:71]
	v_add_f64 v[1:2], v[1:2], v[66:67]
	v_add_f64 v[3:4], v[3:4], v[68:69]
	s_andn2_b32 exec_lo, exec_lo, s34
	s_cbranch_execnz .LBB26_372
; %bb.373:
	s_or_b32 exec_lo, exec_lo, s34
.LBB26_374:
	s_or_b32 exec_lo, exec_lo, s8
	v_mov_b32_e32 v62, 0
	ds_read_b128 v[66:69], v62 offset:336
	s_waitcnt lgkmcnt(0)
	v_mul_f64 v[62:63], v[3:4], v[68:69]
	v_mul_f64 v[68:69], v[1:2], v[68:69]
	v_fma_f64 v[1:2], v[1:2], v[66:67], -v[62:63]
	v_fma_f64 v[3:4], v[3:4], v[66:67], v[68:69]
	buffer_store_dword v2, off, s[0:3], 0 offset:340
	buffer_store_dword v1, off, s[0:3], 0 offset:336
	buffer_store_dword v4, off, s[0:3], 0 offset:348
	buffer_store_dword v3, off, s[0:3], 0 offset:344
.LBB26_375:
	s_or_b32 exec_lo, exec_lo, s4
	v_mov_b32_e32 v4, s11
	s_mov_b32 s4, exec_lo
	s_clause 0x3
	buffer_load_dword v1, v4, s[0:3], 0 offen
	buffer_load_dword v2, v4, s[0:3], 0 offen offset:4
	buffer_load_dword v3, v4, s[0:3], 0 offen offset:8
	buffer_load_dword v4, v4, s[0:3], 0 offen offset:12
	s_waitcnt vmcnt(0)
	ds_write_b128 v60, v[1:4]
	s_waitcnt lgkmcnt(0)
	s_waitcnt_vscnt null, 0x0
	s_barrier
	buffer_gl0_inv
	v_cmpx_gt_u32_e32 22, v0
	s_cbranch_execz .LBB26_383
; %bb.376:
	ds_read_b128 v[1:4], v60
	v_cmp_ne_u32_e32 vcc_lo, 1, v61
	s_cbranch_vccnz .LBB26_378
; %bb.377:
	s_clause 0x3
	buffer_load_dword v62, v59, s[0:3], 0 offen offset:8
	buffer_load_dword v63, v59, s[0:3], 0 offen offset:12
	buffer_load_dword v66, v59, s[0:3], 0 offen
	buffer_load_dword v67, v59, s[0:3], 0 offen offset:4
	s_waitcnt vmcnt(2) lgkmcnt(0)
	v_mul_f64 v[68:69], v[3:4], v[62:63]
	v_mul_f64 v[62:63], v[1:2], v[62:63]
	s_waitcnt vmcnt(0)
	v_fma_f64 v[1:2], v[1:2], v[66:67], -v[68:69]
	v_fma_f64 v[3:4], v[3:4], v[66:67], v[62:63]
.LBB26_378:
	s_mov_b32 s8, exec_lo
	v_cmpx_ne_u32_e32 21, v0
	s_cbranch_execz .LBB26_382
; %bb.379:
	v_add_nc_u32_e32 v62, 0x1c0, v65
	v_add3_u32 v63, 0, v65, 16
	v_mov_b32_e32 v64, v0
	s_mov_b32 s34, 0
	.p2align	6
.LBB26_380:                             ; =>This Inner Loop Header: Depth=1
	s_clause 0x3
	buffer_load_dword v70, v63, s[0:3], 0 offen offset:8
	buffer_load_dword v71, v63, s[0:3], 0 offen offset:12
	buffer_load_dword v72, v63, s[0:3], 0 offen
	buffer_load_dword v73, v63, s[0:3], 0 offen offset:4
	ds_read_b128 v[66:69], v62
	v_add_nc_u32_e32 v64, 1, v64
	v_add_nc_u32_e32 v62, 16, v62
	v_add_nc_u32_e32 v63, 16, v63
	v_cmp_lt_u32_e32 vcc_lo, 20, v64
	s_or_b32 s34, vcc_lo, s34
	s_waitcnt vmcnt(2) lgkmcnt(0)
	v_mul_f64 v[74:75], v[68:69], v[70:71]
	v_mul_f64 v[70:71], v[66:67], v[70:71]
	s_waitcnt vmcnt(0)
	v_fma_f64 v[66:67], v[66:67], v[72:73], -v[74:75]
	v_fma_f64 v[68:69], v[68:69], v[72:73], v[70:71]
	v_add_f64 v[1:2], v[1:2], v[66:67]
	v_add_f64 v[3:4], v[3:4], v[68:69]
	s_andn2_b32 exec_lo, exec_lo, s34
	s_cbranch_execnz .LBB26_380
; %bb.381:
	s_or_b32 exec_lo, exec_lo, s34
.LBB26_382:
	s_or_b32 exec_lo, exec_lo, s8
	v_mov_b32_e32 v62, 0
	ds_read_b128 v[66:69], v62 offset:352
	s_waitcnt lgkmcnt(0)
	v_mul_f64 v[62:63], v[3:4], v[68:69]
	v_mul_f64 v[68:69], v[1:2], v[68:69]
	v_fma_f64 v[1:2], v[1:2], v[66:67], -v[62:63]
	v_fma_f64 v[3:4], v[3:4], v[66:67], v[68:69]
	buffer_store_dword v2, off, s[0:3], 0 offset:356
	buffer_store_dword v1, off, s[0:3], 0 offset:352
	;; [unrolled: 1-line block ×4, first 2 shown]
.LBB26_383:
	s_or_b32 exec_lo, exec_lo, s4
	v_mov_b32_e32 v4, s10
	s_mov_b32 s4, exec_lo
	s_clause 0x3
	buffer_load_dword v1, v4, s[0:3], 0 offen
	buffer_load_dword v2, v4, s[0:3], 0 offen offset:4
	buffer_load_dword v3, v4, s[0:3], 0 offen offset:8
	;; [unrolled: 1-line block ×3, first 2 shown]
	s_waitcnt vmcnt(0)
	ds_write_b128 v60, v[1:4]
	s_waitcnt lgkmcnt(0)
	s_waitcnt_vscnt null, 0x0
	s_barrier
	buffer_gl0_inv
	v_cmpx_gt_u32_e32 23, v0
	s_cbranch_execz .LBB26_391
; %bb.384:
	ds_read_b128 v[1:4], v60
	v_cmp_ne_u32_e32 vcc_lo, 1, v61
	s_cbranch_vccnz .LBB26_386
; %bb.385:
	s_clause 0x3
	buffer_load_dword v62, v59, s[0:3], 0 offen offset:8
	buffer_load_dword v63, v59, s[0:3], 0 offen offset:12
	buffer_load_dword v66, v59, s[0:3], 0 offen
	buffer_load_dword v67, v59, s[0:3], 0 offen offset:4
	s_waitcnt vmcnt(2) lgkmcnt(0)
	v_mul_f64 v[68:69], v[3:4], v[62:63]
	v_mul_f64 v[62:63], v[1:2], v[62:63]
	s_waitcnt vmcnt(0)
	v_fma_f64 v[1:2], v[1:2], v[66:67], -v[68:69]
	v_fma_f64 v[3:4], v[3:4], v[66:67], v[62:63]
.LBB26_386:
	s_mov_b32 s8, exec_lo
	v_cmpx_ne_u32_e32 22, v0
	s_cbranch_execz .LBB26_390
; %bb.387:
	v_add_nc_u32_e32 v62, 0x1c0, v65
	v_add3_u32 v63, 0, v65, 16
	v_mov_b32_e32 v64, v0
	s_mov_b32 s34, 0
	.p2align	6
.LBB26_388:                             ; =>This Inner Loop Header: Depth=1
	s_clause 0x3
	buffer_load_dword v70, v63, s[0:3], 0 offen offset:8
	buffer_load_dword v71, v63, s[0:3], 0 offen offset:12
	buffer_load_dword v72, v63, s[0:3], 0 offen
	buffer_load_dword v73, v63, s[0:3], 0 offen offset:4
	ds_read_b128 v[66:69], v62
	v_add_nc_u32_e32 v64, 1, v64
	v_add_nc_u32_e32 v62, 16, v62
	;; [unrolled: 1-line block ×3, first 2 shown]
	v_cmp_lt_u32_e32 vcc_lo, 21, v64
	s_or_b32 s34, vcc_lo, s34
	s_waitcnt vmcnt(2) lgkmcnt(0)
	v_mul_f64 v[74:75], v[68:69], v[70:71]
	v_mul_f64 v[70:71], v[66:67], v[70:71]
	s_waitcnt vmcnt(0)
	v_fma_f64 v[66:67], v[66:67], v[72:73], -v[74:75]
	v_fma_f64 v[68:69], v[68:69], v[72:73], v[70:71]
	v_add_f64 v[1:2], v[1:2], v[66:67]
	v_add_f64 v[3:4], v[3:4], v[68:69]
	s_andn2_b32 exec_lo, exec_lo, s34
	s_cbranch_execnz .LBB26_388
; %bb.389:
	s_or_b32 exec_lo, exec_lo, s34
.LBB26_390:
	s_or_b32 exec_lo, exec_lo, s8
	v_mov_b32_e32 v62, 0
	ds_read_b128 v[66:69], v62 offset:368
	s_waitcnt lgkmcnt(0)
	v_mul_f64 v[62:63], v[3:4], v[68:69]
	v_mul_f64 v[68:69], v[1:2], v[68:69]
	v_fma_f64 v[1:2], v[1:2], v[66:67], -v[62:63]
	v_fma_f64 v[3:4], v[3:4], v[66:67], v[68:69]
	buffer_store_dword v2, off, s[0:3], 0 offset:372
	buffer_store_dword v1, off, s[0:3], 0 offset:368
	;; [unrolled: 1-line block ×4, first 2 shown]
.LBB26_391:
	s_or_b32 exec_lo, exec_lo, s4
	v_mov_b32_e32 v4, s9
	s_mov_b32 s4, exec_lo
	s_clause 0x3
	buffer_load_dword v1, v4, s[0:3], 0 offen
	buffer_load_dword v2, v4, s[0:3], 0 offen offset:4
	buffer_load_dword v3, v4, s[0:3], 0 offen offset:8
	;; [unrolled: 1-line block ×3, first 2 shown]
	s_waitcnt vmcnt(0)
	ds_write_b128 v60, v[1:4]
	s_waitcnt lgkmcnt(0)
	s_waitcnt_vscnt null, 0x0
	s_barrier
	buffer_gl0_inv
	v_cmpx_gt_u32_e32 24, v0
	s_cbranch_execz .LBB26_399
; %bb.392:
	ds_read_b128 v[1:4], v60
	v_cmp_ne_u32_e32 vcc_lo, 1, v61
	s_cbranch_vccnz .LBB26_394
; %bb.393:
	s_clause 0x3
	buffer_load_dword v62, v59, s[0:3], 0 offen offset:8
	buffer_load_dword v63, v59, s[0:3], 0 offen offset:12
	buffer_load_dword v66, v59, s[0:3], 0 offen
	buffer_load_dword v67, v59, s[0:3], 0 offen offset:4
	s_waitcnt vmcnt(2) lgkmcnt(0)
	v_mul_f64 v[68:69], v[3:4], v[62:63]
	v_mul_f64 v[62:63], v[1:2], v[62:63]
	s_waitcnt vmcnt(0)
	v_fma_f64 v[1:2], v[1:2], v[66:67], -v[68:69]
	v_fma_f64 v[3:4], v[3:4], v[66:67], v[62:63]
.LBB26_394:
	s_mov_b32 s8, exec_lo
	v_cmpx_ne_u32_e32 23, v0
	s_cbranch_execz .LBB26_398
; %bb.395:
	v_add_nc_u32_e32 v62, 0x1c0, v65
	v_add3_u32 v63, 0, v65, 16
	v_mov_b32_e32 v64, v0
	s_mov_b32 s34, 0
	.p2align	6
.LBB26_396:                             ; =>This Inner Loop Header: Depth=1
	s_clause 0x3
	buffer_load_dword v70, v63, s[0:3], 0 offen offset:8
	buffer_load_dword v71, v63, s[0:3], 0 offen offset:12
	buffer_load_dword v72, v63, s[0:3], 0 offen
	buffer_load_dword v73, v63, s[0:3], 0 offen offset:4
	ds_read_b128 v[66:69], v62
	v_add_nc_u32_e32 v64, 1, v64
	v_add_nc_u32_e32 v62, 16, v62
	;; [unrolled: 1-line block ×3, first 2 shown]
	v_cmp_lt_u32_e32 vcc_lo, 22, v64
	s_or_b32 s34, vcc_lo, s34
	s_waitcnt vmcnt(2) lgkmcnt(0)
	v_mul_f64 v[74:75], v[68:69], v[70:71]
	v_mul_f64 v[70:71], v[66:67], v[70:71]
	s_waitcnt vmcnt(0)
	v_fma_f64 v[66:67], v[66:67], v[72:73], -v[74:75]
	v_fma_f64 v[68:69], v[68:69], v[72:73], v[70:71]
	v_add_f64 v[1:2], v[1:2], v[66:67]
	v_add_f64 v[3:4], v[3:4], v[68:69]
	s_andn2_b32 exec_lo, exec_lo, s34
	s_cbranch_execnz .LBB26_396
; %bb.397:
	s_or_b32 exec_lo, exec_lo, s34
.LBB26_398:
	s_or_b32 exec_lo, exec_lo, s8
	v_mov_b32_e32 v62, 0
	ds_read_b128 v[66:69], v62 offset:384
	s_waitcnt lgkmcnt(0)
	v_mul_f64 v[62:63], v[3:4], v[68:69]
	v_mul_f64 v[68:69], v[1:2], v[68:69]
	v_fma_f64 v[1:2], v[1:2], v[66:67], -v[62:63]
	v_fma_f64 v[3:4], v[3:4], v[66:67], v[68:69]
	buffer_store_dword v2, off, s[0:3], 0 offset:388
	buffer_store_dword v1, off, s[0:3], 0 offset:384
	;; [unrolled: 1-line block ×4, first 2 shown]
.LBB26_399:
	s_or_b32 exec_lo, exec_lo, s4
	v_mov_b32_e32 v4, s7
	v_cmp_gt_u32_e64 s4, 25, v0
	s_clause 0x3
	buffer_load_dword v1, v4, s[0:3], 0 offen
	buffer_load_dword v2, v4, s[0:3], 0 offen offset:4
	buffer_load_dword v3, v4, s[0:3], 0 offen offset:8
	;; [unrolled: 1-line block ×3, first 2 shown]
	s_waitcnt vmcnt(0)
	ds_write_b128 v60, v[1:4]
	s_waitcnt lgkmcnt(0)
	s_waitcnt_vscnt null, 0x0
	s_barrier
	buffer_gl0_inv
	s_and_saveexec_b32 s8, s4
	s_cbranch_execz .LBB26_407
; %bb.400:
	ds_read_b128 v[1:4], v60
	v_cmp_ne_u32_e32 vcc_lo, 1, v61
	s_cbranch_vccnz .LBB26_402
; %bb.401:
	s_clause 0x3
	buffer_load_dword v62, v59, s[0:3], 0 offen offset:8
	buffer_load_dword v63, v59, s[0:3], 0 offen offset:12
	buffer_load_dword v66, v59, s[0:3], 0 offen
	buffer_load_dword v67, v59, s[0:3], 0 offen offset:4
	s_waitcnt vmcnt(2) lgkmcnt(0)
	v_mul_f64 v[68:69], v[3:4], v[62:63]
	v_mul_f64 v[62:63], v[1:2], v[62:63]
	s_waitcnt vmcnt(0)
	v_fma_f64 v[1:2], v[1:2], v[66:67], -v[68:69]
	v_fma_f64 v[3:4], v[3:4], v[66:67], v[62:63]
.LBB26_402:
	s_mov_b32 s34, exec_lo
	v_cmpx_ne_u32_e32 24, v0
	s_cbranch_execz .LBB26_406
; %bb.403:
	v_add_nc_u32_e32 v62, 0x1c0, v65
	v_add3_u32 v63, 0, v65, 16
	v_mov_b32_e32 v64, v0
	s_mov_b32 s35, 0
	.p2align	6
.LBB26_404:                             ; =>This Inner Loop Header: Depth=1
	s_clause 0x3
	buffer_load_dword v70, v63, s[0:3], 0 offen offset:8
	buffer_load_dword v71, v63, s[0:3], 0 offen offset:12
	buffer_load_dword v72, v63, s[0:3], 0 offen
	buffer_load_dword v73, v63, s[0:3], 0 offen offset:4
	ds_read_b128 v[66:69], v62
	v_add_nc_u32_e32 v64, 1, v64
	v_add_nc_u32_e32 v62, 16, v62
	;; [unrolled: 1-line block ×3, first 2 shown]
	v_cmp_lt_u32_e32 vcc_lo, 23, v64
	s_or_b32 s35, vcc_lo, s35
	s_waitcnt vmcnt(2) lgkmcnt(0)
	v_mul_f64 v[74:75], v[68:69], v[70:71]
	v_mul_f64 v[70:71], v[66:67], v[70:71]
	s_waitcnt vmcnt(0)
	v_fma_f64 v[66:67], v[66:67], v[72:73], -v[74:75]
	v_fma_f64 v[68:69], v[68:69], v[72:73], v[70:71]
	v_add_f64 v[1:2], v[1:2], v[66:67]
	v_add_f64 v[3:4], v[3:4], v[68:69]
	s_andn2_b32 exec_lo, exec_lo, s35
	s_cbranch_execnz .LBB26_404
; %bb.405:
	s_or_b32 exec_lo, exec_lo, s35
.LBB26_406:
	s_or_b32 exec_lo, exec_lo, s34
	v_mov_b32_e32 v62, 0
	ds_read_b128 v[66:69], v62 offset:400
	s_waitcnt lgkmcnt(0)
	v_mul_f64 v[62:63], v[3:4], v[68:69]
	v_mul_f64 v[68:69], v[1:2], v[68:69]
	v_fma_f64 v[1:2], v[1:2], v[66:67], -v[62:63]
	v_fma_f64 v[3:4], v[3:4], v[66:67], v[68:69]
	buffer_store_dword v2, off, s[0:3], 0 offset:404
	buffer_store_dword v1, off, s[0:3], 0 offset:400
	;; [unrolled: 1-line block ×4, first 2 shown]
.LBB26_407:
	s_or_b32 exec_lo, exec_lo, s8
	v_mov_b32_e32 v4, s6
	s_mov_b32 s8, exec_lo
                                        ; implicit-def: $sgpr36
	s_clause 0x3
	buffer_load_dword v1, v4, s[0:3], 0 offen
	buffer_load_dword v2, v4, s[0:3], 0 offen offset:4
	buffer_load_dword v3, v4, s[0:3], 0 offen offset:8
	;; [unrolled: 1-line block ×3, first 2 shown]
	s_waitcnt vmcnt(0)
	ds_write_b128 v60, v[1:4]
	s_waitcnt lgkmcnt(0)
	s_waitcnt_vscnt null, 0x0
	s_barrier
	buffer_gl0_inv
                                        ; implicit-def: $vgpr1_vgpr2
	v_cmpx_ne_u32_e32 26, v0
	s_cbranch_execz .LBB26_415
; %bb.408:
	ds_read_b128 v[1:4], v60
	v_cmp_ne_u32_e32 vcc_lo, 1, v61
	s_cbranch_vccnz .LBB26_410
; %bb.409:
	s_clause 0x3
	buffer_load_dword v60, v59, s[0:3], 0 offen offset:8
	buffer_load_dword v61, v59, s[0:3], 0 offen offset:12
	buffer_load_dword v62, v59, s[0:3], 0 offen
	buffer_load_dword v63, v59, s[0:3], 0 offen offset:4
	s_waitcnt vmcnt(2) lgkmcnt(0)
	v_mul_f64 v[66:67], v[3:4], v[60:61]
	v_mul_f64 v[59:60], v[1:2], v[60:61]
	s_waitcnt vmcnt(0)
	v_fma_f64 v[1:2], v[1:2], v[62:63], -v[66:67]
	v_fma_f64 v[3:4], v[3:4], v[62:63], v[59:60]
.LBB26_410:
	s_and_saveexec_b32 s34, s4
	s_cbranch_execz .LBB26_414
; %bb.411:
	v_add_nc_u32_e32 v59, 0x1c0, v65
	v_add3_u32 v60, 0, v65, 16
	s_mov_b32 s4, 0
	.p2align	6
.LBB26_412:                             ; =>This Inner Loop Header: Depth=1
	s_clause 0x3
	buffer_load_dword v65, v60, s[0:3], 0 offen offset:8
	buffer_load_dword v66, v60, s[0:3], 0 offen offset:12
	buffer_load_dword v67, v60, s[0:3], 0 offen
	buffer_load_dword v68, v60, s[0:3], 0 offen offset:4
	ds_read_b128 v[61:64], v59
	v_add_nc_u32_e32 v0, 1, v0
	v_add_nc_u32_e32 v59, 16, v59
	;; [unrolled: 1-line block ×3, first 2 shown]
	v_cmp_lt_u32_e32 vcc_lo, 24, v0
	s_or_b32 s4, vcc_lo, s4
	s_waitcnt vmcnt(2) lgkmcnt(0)
	v_mul_f64 v[69:70], v[63:64], v[65:66]
	v_mul_f64 v[65:66], v[61:62], v[65:66]
	s_waitcnt vmcnt(0)
	v_fma_f64 v[61:62], v[61:62], v[67:68], -v[69:70]
	v_fma_f64 v[63:64], v[63:64], v[67:68], v[65:66]
	v_add_f64 v[1:2], v[1:2], v[61:62]
	v_add_f64 v[3:4], v[3:4], v[63:64]
	s_andn2_b32 exec_lo, exec_lo, s4
	s_cbranch_execnz .LBB26_412
; %bb.413:
	s_or_b32 exec_lo, exec_lo, s4
.LBB26_414:
	s_or_b32 exec_lo, exec_lo, s34
	v_mov_b32_e32 v0, 0
	s_movk_i32 s36, 0x1a8
	s_or_b32 s5, s5, exec_lo
	ds_read_b128 v[59:62], v0 offset:416
	s_waitcnt lgkmcnt(0)
	v_mul_f64 v[63:64], v[3:4], v[61:62]
	v_mul_f64 v[61:62], v[1:2], v[61:62]
	v_fma_f64 v[63:64], v[1:2], v[59:60], -v[63:64]
	v_fma_f64 v[1:2], v[3:4], v[59:60], v[61:62]
	buffer_store_dword v64, off, s[0:3], 0 offset:420
	buffer_store_dword v63, off, s[0:3], 0 offset:416
.LBB26_415:
	s_or_b32 exec_lo, exec_lo, s8
.LBB26_416:
	s_and_saveexec_b32 s4, s5
	s_cbranch_execz .LBB26_418
; %bb.417:
	v_mov_b32_e32 v0, s36
	buffer_store_dword v2, v0, s[0:3], 0 offen offset:4
	buffer_store_dword v1, v0, s[0:3], 0 offen
.LBB26_418:
	s_or_b32 exec_lo, exec_lo, s4
	s_clause 0x3
	buffer_load_dword v0, off, s[0:3], 0
	buffer_load_dword v1, off, s[0:3], 0 offset:4
	buffer_load_dword v2, off, s[0:3], 0 offset:8
	;; [unrolled: 1-line block ×3, first 2 shown]
	v_mov_b32_e32 v4, s33
	v_mov_b32_e32 v79, s24
	;; [unrolled: 1-line block ×4, first 2 shown]
	s_clause 0x3
	buffer_load_dword v59, v4, s[0:3], 0 offen
	buffer_load_dword v60, v4, s[0:3], 0 offen offset:4
	buffer_load_dword v61, v4, s[0:3], 0 offen offset:8
	;; [unrolled: 1-line block ×3, first 2 shown]
	v_mov_b32_e32 v4, s31
	v_mov_b32_e32 v82, s10
	;; [unrolled: 1-line block ×3, first 2 shown]
	s_clause 0x3
	buffer_load_dword v63, v4, s[0:3], 0 offen
	buffer_load_dword v64, v4, s[0:3], 0 offen offset:4
	buffer_load_dword v65, v4, s[0:3], 0 offen offset:8
	buffer_load_dword v66, v4, s[0:3], 0 offen offset:12
	v_mov_b32_e32 v4, s30
	s_clause 0x3
	buffer_load_dword v67, v4, s[0:3], 0 offen
	buffer_load_dword v68, v4, s[0:3], 0 offen offset:4
	buffer_load_dword v69, v4, s[0:3], 0 offen offset:8
	buffer_load_dword v70, v4, s[0:3], 0 offen offset:12
	v_mov_b32_e32 v4, s29
	;; [unrolled: 6-line block ×3, first 2 shown]
	s_waitcnt vmcnt(16)
	global_store_dwordx4 v[5:6], v[0:3], off
	s_clause 0x3
	buffer_load_dword v0, v4, s[0:3], 0 offen
	buffer_load_dword v1, v4, s[0:3], 0 offen offset:4
	buffer_load_dword v2, v4, s[0:3], 0 offen offset:8
	;; [unrolled: 1-line block ×3, first 2 shown]
	v_mov_b32_e32 v4, s27
	s_clause 0x3
	buffer_load_dword v75, v4, s[0:3], 0 offen
	buffer_load_dword v76, v4, s[0:3], 0 offen offset:4
	buffer_load_dword v77, v4, s[0:3], 0 offen offset:8
	;; [unrolled: 1-line block ×3, first 2 shown]
	s_waitcnt vmcnt(20)
	global_store_dwordx4 v[7:8], v[59:62], off
	v_mov_b32_e32 v7, s26
	v_mov_b32_e32 v8, s25
	s_clause 0x3
	buffer_load_dword v4, v7, s[0:3], 0 offen
	buffer_load_dword v5, v7, s[0:3], 0 offen offset:4
	buffer_load_dword v6, v7, s[0:3], 0 offen offset:8
	;; [unrolled: 1-line block ×3, first 2 shown]
	s_waitcnt vmcnt(20)
	global_store_dwordx4 v[49:50], v[63:66], off
	s_clause 0x7
	buffer_load_dword v59, v8, s[0:3], 0 offen
	buffer_load_dword v60, v8, s[0:3], 0 offen offset:4
	buffer_load_dword v61, v8, s[0:3], 0 offen offset:8
	;; [unrolled: 1-line block ×3, first 2 shown]
	buffer_load_dword v63, v79, s[0:3], 0 offen
	buffer_load_dword v64, v79, s[0:3], 0 offen offset:4
	buffer_load_dword v65, v79, s[0:3], 0 offen offset:8
	;; [unrolled: 1-line block ×3, first 2 shown]
	v_mov_b32_e32 v8, s23
	s_waitcnt vmcnt(24)
	global_store_dwordx4 v[47:48], v[67:70], off
	s_clause 0x3
	buffer_load_dword v47, v8, s[0:3], 0 offen
	buffer_load_dword v48, v8, s[0:3], 0 offen offset:4
	buffer_load_dword v49, v8, s[0:3], 0 offen offset:8
	;; [unrolled: 1-line block ×3, first 2 shown]
	v_mov_b32_e32 v8, s22
	v_mov_b32_e32 v79, s21
	s_waitcnt vmcnt(24)
	global_store_dwordx4 v[41:42], v[71:74], off
	s_clause 0x7
	buffer_load_dword v67, v8, s[0:3], 0 offen
	buffer_load_dword v68, v8, s[0:3], 0 offen offset:4
	buffer_load_dword v69, v8, s[0:3], 0 offen offset:8
	;; [unrolled: 1-line block ×3, first 2 shown]
	buffer_load_dword v71, v79, s[0:3], 0 offen
	buffer_load_dword v72, v79, s[0:3], 0 offen offset:4
	buffer_load_dword v73, v79, s[0:3], 0 offen offset:8
	;; [unrolled: 1-line block ×3, first 2 shown]
	v_mov_b32_e32 v8, s19
	v_mov_b32_e32 v79, s11
	s_waitcnt vmcnt(28)
	global_store_dwordx4 v[43:44], v[0:3], off
	v_mov_b32_e32 v3, s20
	v_mov_b32_e32 v43, s17
	;; [unrolled: 1-line block ×3, first 2 shown]
	s_clause 0x3
	buffer_load_dword v0, v3, s[0:3], 0 offen
	buffer_load_dword v1, v3, s[0:3], 0 offen offset:4
	buffer_load_dword v2, v3, s[0:3], 0 offen offset:8
	;; [unrolled: 1-line block ×3, first 2 shown]
	s_waitcnt vmcnt(28)
	global_store_dwordx4 v[39:40], v[75:78], off
	s_clause 0x3
	buffer_load_dword v39, v8, s[0:3], 0 offen
	buffer_load_dword v40, v8, s[0:3], 0 offen offset:4
	buffer_load_dword v41, v8, s[0:3], 0 offen offset:8
	;; [unrolled: 1-line block ×3, first 2 shown]
	v_mov_b32_e32 v8, s18
	v_mov_b32_e32 v75, s15
	;; [unrolled: 1-line block ×4, first 2 shown]
	s_waitcnt vmcnt(28)
	global_store_dwordx4 v[35:36], v[4:7], off
	s_waitcnt vmcnt(24)
	global_store_dwordx4 v[33:34], v[59:62], off
	s_clause 0x3
	buffer_load_dword v4, v8, s[0:3], 0 offen
	buffer_load_dword v5, v8, s[0:3], 0 offen offset:4
	buffer_load_dword v6, v8, s[0:3], 0 offen offset:8
	;; [unrolled: 1-line block ×3, first 2 shown]
	s_waitcnt vmcnt(24)
	global_store_dwordx4 v[29:30], v[63:66], off
	s_clause 0x7
	buffer_load_dword v33, v43, s[0:3], 0 offen
	buffer_load_dword v34, v43, s[0:3], 0 offen offset:4
	buffer_load_dword v35, v43, s[0:3], 0 offen offset:8
	;; [unrolled: 1-line block ×3, first 2 shown]
	buffer_load_dword v59, v44, s[0:3], 0 offen
	buffer_load_dword v60, v44, s[0:3], 0 offen offset:4
	buffer_load_dword v61, v44, s[0:3], 0 offen offset:8
	;; [unrolled: 1-line block ×3, first 2 shown]
	v_mov_b32_e32 v78, s12
	s_waitcnt vmcnt(28)
	global_store_dwordx4 v[25:26], v[47:50], off
	s_clause 0x7
	buffer_load_dword v47, v75, s[0:3], 0 offen
	buffer_load_dword v48, v75, s[0:3], 0 offen offset:4
	buffer_load_dword v49, v75, s[0:3], 0 offen offset:8
	buffer_load_dword v50, v75, s[0:3], 0 offen offset:12
	buffer_load_dword v63, v76, s[0:3], 0 offen
	buffer_load_dword v64, v76, s[0:3], 0 offen offset:4
	buffer_load_dword v65, v76, s[0:3], 0 offen offset:8
	buffer_load_dword v66, v76, s[0:3], 0 offen offset:12
	s_waitcnt vmcnt(32)
	global_store_dwordx4 v[21:22], v[67:70], off
	s_clause 0x7
	buffer_load_dword v67, v77, s[0:3], 0 offen
	buffer_load_dword v68, v77, s[0:3], 0 offen offset:4
	buffer_load_dword v69, v77, s[0:3], 0 offen offset:8
	buffer_load_dword v70, v77, s[0:3], 0 offen offset:12
	buffer_load_dword v75, v78, s[0:3], 0 offen
	buffer_load_dword v76, v78, s[0:3], 0 offen offset:4
	buffer_load_dword v77, v78, s[0:3], 0 offen offset:8
	buffer_load_dword v78, v78, s[0:3], 0 offen offset:12
	;; [unrolled: 11-line block ×4, first 2 shown]
	s_waitcnt vmcnt(44)
	global_store_dwordx4 v[9:10], v[39:42], off
	s_clause 0x3
	buffer_load_dword v39, v87, s[0:3], 0 offen
	buffer_load_dword v40, v87, s[0:3], 0 offen offset:4
	buffer_load_dword v41, v87, s[0:3], 0 offen offset:8
	;; [unrolled: 1-line block ×3, first 2 shown]
	s_waitcnt vmcnt(44)
	global_store_dwordx4 v[11:12], v[4:7], off
	s_waitcnt vmcnt(40)
	global_store_dwordx4 v[15:16], v[33:36], off
	;; [unrolled: 2-line block ×12, first 2 shown]
.LBB26_419:
	s_endpgm
	.section	.rodata,"a",@progbits
	.p2align	6, 0x0
	.amdhsa_kernel _ZN9rocsolver6v33100L18trti2_kernel_smallILi27E19rocblas_complex_numIdEPS3_EEv13rocblas_fill_17rocblas_diagonal_T1_iil
		.amdhsa_group_segment_fixed_size 864
		.amdhsa_private_segment_fixed_size 448
		.amdhsa_kernarg_size 32
		.amdhsa_user_sgpr_count 6
		.amdhsa_user_sgpr_private_segment_buffer 1
		.amdhsa_user_sgpr_dispatch_ptr 0
		.amdhsa_user_sgpr_queue_ptr 0
		.amdhsa_user_sgpr_kernarg_segment_ptr 1
		.amdhsa_user_sgpr_dispatch_id 0
		.amdhsa_user_sgpr_flat_scratch_init 0
		.amdhsa_user_sgpr_private_segment_size 0
		.amdhsa_wavefront_size32 1
		.amdhsa_uses_dynamic_stack 0
		.amdhsa_system_sgpr_private_segment_wavefront_offset 1
		.amdhsa_system_sgpr_workgroup_id_x 1
		.amdhsa_system_sgpr_workgroup_id_y 0
		.amdhsa_system_sgpr_workgroup_id_z 0
		.amdhsa_system_sgpr_workgroup_info 0
		.amdhsa_system_vgpr_workitem_id 0
		.amdhsa_next_free_vgpr 88
		.amdhsa_next_free_sgpr 45
		.amdhsa_reserve_vcc 1
		.amdhsa_reserve_flat_scratch 0
		.amdhsa_float_round_mode_32 0
		.amdhsa_float_round_mode_16_64 0
		.amdhsa_float_denorm_mode_32 3
		.amdhsa_float_denorm_mode_16_64 3
		.amdhsa_dx10_clamp 1
		.amdhsa_ieee_mode 1
		.amdhsa_fp16_overflow 0
		.amdhsa_workgroup_processor_mode 1
		.amdhsa_memory_ordered 1
		.amdhsa_forward_progress 1
		.amdhsa_shared_vgpr_count 0
		.amdhsa_exception_fp_ieee_invalid_op 0
		.amdhsa_exception_fp_denorm_src 0
		.amdhsa_exception_fp_ieee_div_zero 0
		.amdhsa_exception_fp_ieee_overflow 0
		.amdhsa_exception_fp_ieee_underflow 0
		.amdhsa_exception_fp_ieee_inexact 0
		.amdhsa_exception_int_div_zero 0
	.end_amdhsa_kernel
	.section	.text._ZN9rocsolver6v33100L18trti2_kernel_smallILi27E19rocblas_complex_numIdEPS3_EEv13rocblas_fill_17rocblas_diagonal_T1_iil,"axG",@progbits,_ZN9rocsolver6v33100L18trti2_kernel_smallILi27E19rocblas_complex_numIdEPS3_EEv13rocblas_fill_17rocblas_diagonal_T1_iil,comdat
.Lfunc_end26:
	.size	_ZN9rocsolver6v33100L18trti2_kernel_smallILi27E19rocblas_complex_numIdEPS3_EEv13rocblas_fill_17rocblas_diagonal_T1_iil, .Lfunc_end26-_ZN9rocsolver6v33100L18trti2_kernel_smallILi27E19rocblas_complex_numIdEPS3_EEv13rocblas_fill_17rocblas_diagonal_T1_iil
                                        ; -- End function
	.set _ZN9rocsolver6v33100L18trti2_kernel_smallILi27E19rocblas_complex_numIdEPS3_EEv13rocblas_fill_17rocblas_diagonal_T1_iil.num_vgpr, 88
	.set _ZN9rocsolver6v33100L18trti2_kernel_smallILi27E19rocblas_complex_numIdEPS3_EEv13rocblas_fill_17rocblas_diagonal_T1_iil.num_agpr, 0
	.set _ZN9rocsolver6v33100L18trti2_kernel_smallILi27E19rocblas_complex_numIdEPS3_EEv13rocblas_fill_17rocblas_diagonal_T1_iil.numbered_sgpr, 45
	.set _ZN9rocsolver6v33100L18trti2_kernel_smallILi27E19rocblas_complex_numIdEPS3_EEv13rocblas_fill_17rocblas_diagonal_T1_iil.num_named_barrier, 0
	.set _ZN9rocsolver6v33100L18trti2_kernel_smallILi27E19rocblas_complex_numIdEPS3_EEv13rocblas_fill_17rocblas_diagonal_T1_iil.private_seg_size, 448
	.set _ZN9rocsolver6v33100L18trti2_kernel_smallILi27E19rocblas_complex_numIdEPS3_EEv13rocblas_fill_17rocblas_diagonal_T1_iil.uses_vcc, 1
	.set _ZN9rocsolver6v33100L18trti2_kernel_smallILi27E19rocblas_complex_numIdEPS3_EEv13rocblas_fill_17rocblas_diagonal_T1_iil.uses_flat_scratch, 0
	.set _ZN9rocsolver6v33100L18trti2_kernel_smallILi27E19rocblas_complex_numIdEPS3_EEv13rocblas_fill_17rocblas_diagonal_T1_iil.has_dyn_sized_stack, 0
	.set _ZN9rocsolver6v33100L18trti2_kernel_smallILi27E19rocblas_complex_numIdEPS3_EEv13rocblas_fill_17rocblas_diagonal_T1_iil.has_recursion, 0
	.set _ZN9rocsolver6v33100L18trti2_kernel_smallILi27E19rocblas_complex_numIdEPS3_EEv13rocblas_fill_17rocblas_diagonal_T1_iil.has_indirect_call, 0
	.section	.AMDGPU.csdata,"",@progbits
; Kernel info:
; codeLenInByte = 27156
; TotalNumSgprs: 47
; NumVgprs: 88
; ScratchSize: 448
; MemoryBound: 0
; FloatMode: 240
; IeeeMode: 1
; LDSByteSize: 864 bytes/workgroup (compile time only)
; SGPRBlocks: 0
; VGPRBlocks: 10
; NumSGPRsForWavesPerEU: 47
; NumVGPRsForWavesPerEU: 88
; Occupancy: 10
; WaveLimiterHint : 0
; COMPUTE_PGM_RSRC2:SCRATCH_EN: 1
; COMPUTE_PGM_RSRC2:USER_SGPR: 6
; COMPUTE_PGM_RSRC2:TRAP_HANDLER: 0
; COMPUTE_PGM_RSRC2:TGID_X_EN: 1
; COMPUTE_PGM_RSRC2:TGID_Y_EN: 0
; COMPUTE_PGM_RSRC2:TGID_Z_EN: 0
; COMPUTE_PGM_RSRC2:TIDIG_COMP_CNT: 0
	.section	.text._ZN9rocsolver6v33100L18trti2_kernel_smallILi28E19rocblas_complex_numIdEPS3_EEv13rocblas_fill_17rocblas_diagonal_T1_iil,"axG",@progbits,_ZN9rocsolver6v33100L18trti2_kernel_smallILi28E19rocblas_complex_numIdEPS3_EEv13rocblas_fill_17rocblas_diagonal_T1_iil,comdat
	.globl	_ZN9rocsolver6v33100L18trti2_kernel_smallILi28E19rocblas_complex_numIdEPS3_EEv13rocblas_fill_17rocblas_diagonal_T1_iil ; -- Begin function _ZN9rocsolver6v33100L18trti2_kernel_smallILi28E19rocblas_complex_numIdEPS3_EEv13rocblas_fill_17rocblas_diagonal_T1_iil
	.p2align	8
	.type	_ZN9rocsolver6v33100L18trti2_kernel_smallILi28E19rocblas_complex_numIdEPS3_EEv13rocblas_fill_17rocblas_diagonal_T1_iil,@function
_ZN9rocsolver6v33100L18trti2_kernel_smallILi28E19rocblas_complex_numIdEPS3_EEv13rocblas_fill_17rocblas_diagonal_T1_iil: ; @_ZN9rocsolver6v33100L18trti2_kernel_smallILi28E19rocblas_complex_numIdEPS3_EEv13rocblas_fill_17rocblas_diagonal_T1_iil
; %bb.0:
	s_add_u32 s0, s0, s7
	s_addc_u32 s1, s1, 0
	s_mov_b32 s7, exec_lo
	v_cmpx_gt_u32_e32 28, v0
	s_cbranch_execz .LBB27_435
; %bb.1:
	s_load_dwordx8 s[8:15], s[4:5], 0x0
	s_ashr_i32 s7, s6, 31
	v_lshlrev_b32_e32 v67, 4, v0
	s_movk_i32 s16, 0xf0
	s_movk_i32 s17, 0x100
	;; [unrolled: 1-line block ×13, first 2 shown]
	s_waitcnt lgkmcnt(0)
	s_ashr_i32 s5, s12, 31
	s_mov_b32 s4, s12
	s_mul_hi_u32 s12, s14, s6
	s_mul_i32 s7, s14, s7
	s_mul_i32 s15, s15, s6
	s_add_i32 s7, s12, s7
	s_mul_i32 s6, s14, s6
	s_add_i32 s7, s7, s15
	v_add3_u32 v13, s13, s13, v0
	s_lshl_b64 s[6:7], s[6:7], 4
	s_mov_b32 s14, s13
	s_add_u32 s6, s10, s6
	s_addc_u32 s7, s11, s7
	s_lshl_b64 s[4:5], s[4:5], 4
	v_ashrrev_i32_e32 v14, 31, v13
	s_add_u32 s4, s6, s4
	s_addc_u32 s5, s7, s5
	v_add_co_u32 v21, s6, s4, v67
	s_ashr_i32 s15, s13, 31
	v_add_co_ci_u32_e64 v22, null, s5, 0, s6
	s_lshl_b64 s[6:7], s[14:15], 4
	v_lshlrev_b64 v[1:2], 4, v[13:14]
	v_add_co_u32 v19, vcc_lo, v21, s6
	v_add_co_ci_u32_e64 v20, null, s7, v22, vcc_lo
	global_load_dwordx4 v[9:12], v67, s[4:5]
	v_add_co_u32 v17, vcc_lo, s4, v1
	global_load_dwordx4 v[5:8], v[19:20], off
	v_add_co_ci_u32_e64 v18, null, s5, v2, vcc_lo
	v_add_nc_u32_e32 v13, s13, v13
	s_cmpk_lg_i32 s9, 0x84
	s_movk_i32 s6, 0x70
	global_load_dwordx4 v[1:4], v[17:18], off
	s_movk_i32 s7, 0x80
	v_add_nc_u32_e32 v15, s13, v13
	v_ashrrev_i32_e32 v14, 31, v13
	s_movk_i32 s10, 0x90
	s_movk_i32 s11, 0xa0
	s_movk_i32 s12, 0xb0
	v_add_nc_u32_e32 v26, s13, v15
	v_ashrrev_i32_e32 v16, 31, v15
	v_lshlrev_b64 v[13:14], 4, v[13:14]
	s_movk_i32 s14, 0xd0
	s_movk_i32 s15, 0xe0
	v_add_nc_u32_e32 v25, s13, v26
	v_lshlrev_b64 v[37:38], 4, v[15:16]
	v_ashrrev_i32_e32 v27, 31, v26
	s_cselect_b32 s36, -1, 0
	s_cmpk_eq_i32 s9, 0x84
	v_add_nc_u32_e32 v28, s13, v25
	v_lshlrev_b64 v[26:27], 4, v[26:27]
	v_add_nc_u32_e32 v30, s13, v28
	v_ashrrev_i32_e32 v29, 31, v28
	v_add_nc_u32_e32 v32, s13, v30
	v_ashrrev_i32_e32 v31, 31, v30
	;; [unrolled: 2-line block ×4, first 2 shown]
	v_add_nc_u32_e32 v39, s13, v36
	v_add_nc_u32_e32 v41, s13, v39
	v_ashrrev_i32_e32 v40, 31, v39
	v_add_nc_u32_e32 v43, s13, v41
	v_ashrrev_i32_e32 v42, 31, v41
	;; [unrolled: 2-line block ×15, first 2 shown]
	s_movk_i32 s13, 0xc0
	v_ashrrev_i32_e32 v24, 31, v23
	v_lshlrev_b64 v[23:24], 4, v[23:24]
	v_add_co_u32 v23, vcc_lo, s4, v23
	v_add_co_ci_u32_e64 v24, null, s5, v24, vcc_lo
	v_add_co_u32 v61, vcc_lo, s4, v13
	v_add_co_ci_u32_e64 v62, null, s5, v14, vcc_lo
	v_add_co_u32 v63, vcc_lo, s4, v37
	global_load_dwordx4 v[13:16], v[23:24], off
	v_add_co_ci_u32_e64 v64, null, s5, v38, vcc_lo
	v_add_co_u32 v57, vcc_lo, s4, v26
	v_add_co_ci_u32_e64 v58, null, s5, v27, vcc_lo
	v_ashrrev_i32_e32 v26, 31, v25
	v_lshlrev_b64 v[27:28], 4, v[28:29]
	v_ashrrev_i32_e32 v37, 31, v36
	s_waitcnt vmcnt(3)
	buffer_store_dword v12, off, s[0:3], 0 offset:12
	buffer_store_dword v11, off, s[0:3], 0 offset:8
	;; [unrolled: 1-line block ×3, first 2 shown]
	buffer_store_dword v9, off, s[0:3], 0
	global_load_dwordx4 v[9:12], v[61:62], off
	s_waitcnt vmcnt(3)
	buffer_store_dword v8, off, s[0:3], 0 offset:28
	buffer_store_dword v7, off, s[0:3], 0 offset:24
	;; [unrolled: 1-line block ×4, first 2 shown]
	global_load_dwordx4 v[5:8], v[63:64], off
	s_waitcnt vmcnt(3)
	buffer_store_dword v4, off, s[0:3], 0 offset:44
	buffer_store_dword v3, off, s[0:3], 0 offset:40
	;; [unrolled: 1-line block ×4, first 2 shown]
	global_load_dwordx4 v[1:4], v[57:58], off
	v_lshlrev_b64 v[25:26], 4, v[25:26]
	s_waitcnt vmcnt(2)
	buffer_store_dword v12, off, s[0:3], 0 offset:60
	buffer_store_dword v11, off, s[0:3], 0 offset:56
	buffer_store_dword v10, off, s[0:3], 0 offset:52
	buffer_store_dword v9, off, s[0:3], 0 offset:48
	v_add_co_u32 v59, vcc_lo, s4, v25
	v_add_co_ci_u32_e64 v60, null, s5, v26, vcc_lo
	v_lshlrev_b64 v[25:26], 4, v[30:31]
	v_add_co_u32 v55, vcc_lo, s4, v27
	v_add_co_ci_u32_e64 v56, null, s5, v28, vcc_lo
	global_load_dwordx4 v[9:12], v[59:60], off
	s_waitcnt vmcnt(2)
	buffer_store_dword v8, off, s[0:3], 0 offset:76
	buffer_store_dword v7, off, s[0:3], 0 offset:72
	;; [unrolled: 1-line block ×4, first 2 shown]
	v_add_co_u32 v47, vcc_lo, s4, v25
	global_load_dwordx4 v[5:8], v[55:56], off
	v_add_co_ci_u32_e64 v48, null, s5, v26, vcc_lo
	s_waitcnt vmcnt(2)
	buffer_store_dword v4, off, s[0:3], 0 offset:92
	buffer_store_dword v3, off, s[0:3], 0 offset:88
	;; [unrolled: 1-line block ×4, first 2 shown]
	v_lshlrev_b64 v[25:26], 4, v[32:33]
	v_lshlrev_b64 v[27:28], 4, v[34:35]
	global_load_dwordx4 v[1:4], v[47:48], off
	s_waitcnt vmcnt(2)
	buffer_store_dword v12, off, s[0:3], 0 offset:108
	buffer_store_dword v11, off, s[0:3], 0 offset:104
	;; [unrolled: 1-line block ×4, first 2 shown]
	v_add_co_u32 v33, vcc_lo, s4, v25
	v_add_co_ci_u32_e64 v34, null, s5, v26, vcc_lo
	v_lshlrev_b64 v[25:26], 4, v[36:37]
	v_add_co_u32 v9, vcc_lo, s4, v27
	global_load_dwordx4 v[29:32], v[33:34], off
	v_add_co_ci_u32_e64 v10, null, s5, v28, vcc_lo
	s_waitcnt vmcnt(2)
	buffer_store_dword v8, off, s[0:3], 0 offset:124
	buffer_store_dword v7, off, s[0:3], 0 offset:120
	;; [unrolled: 1-line block ×4, first 2 shown]
	v_add_co_u32 v5, vcc_lo, s4, v25
	v_add_co_ci_u32_e64 v6, null, s5, v26, vcc_lo
	global_load_dwordx4 v[35:38], v[9:10], off
	s_waitcnt vmcnt(2)
	buffer_store_dword v4, off, s[0:3], 0 offset:140
	buffer_store_dword v3, off, s[0:3], 0 offset:136
	;; [unrolled: 1-line block ×4, first 2 shown]
	v_lshlrev_b64 v[7:8], 4, v[39:40]
	global_load_dwordx4 v[1:4], v[5:6], off
	v_lshlrev_b64 v[11:12], 4, v[41:42]
	v_lshlrev_b64 v[25:26], 4, v[45:46]
	s_waitcnt vmcnt(2)
	buffer_store_dword v29, off, s[0:3], 0 offset:144
	buffer_store_dword v30, off, s[0:3], 0 offset:148
	;; [unrolled: 1-line block ×4, first 2 shown]
	v_add_co_u32 v27, vcc_lo, s4, v7
	v_add_co_ci_u32_e64 v28, null, s5, v8, vcc_lo
	v_lshlrev_b64 v[7:8], 4, v[43:44]
	v_add_co_u32 v11, vcc_lo, s4, v11
	global_load_dwordx4 v[39:42], v[27:28], off
	v_add_co_ci_u32_e64 v12, null, s5, v12, vcc_lo
	v_add_co_u32 v7, vcc_lo, s4, v7
	s_waitcnt vmcnt(2)
	buffer_store_dword v35, off, s[0:3], 0 offset:160
	buffer_store_dword v36, off, s[0:3], 0 offset:164
	;; [unrolled: 1-line block ×4, first 2 shown]
	v_add_co_ci_u32_e64 v8, null, s5, v8, vcc_lo
	global_load_dwordx4 v[35:38], v[11:12], off
	s_waitcnt vmcnt(2)
	buffer_store_dword v1, off, s[0:3], 0 offset:176
	buffer_store_dword v2, off, s[0:3], 0 offset:180
	;; [unrolled: 1-line block ×4, first 2 shown]
	v_lshlrev_b64 v[31:32], 4, v[49:50]
	global_load_dwordx4 v[1:4], v[7:8], off
	v_add_co_u32 v29, vcc_lo, s4, v25
	v_add_co_ci_u32_e64 v30, null, s5, v26, vcc_lo
	v_lshlrev_b64 v[49:50], 4, v[51:52]
	v_add_co_u32 v25, vcc_lo, s4, v31
	v_add_co_ci_u32_e64 v26, null, s5, v32, vcc_lo
	s_waitcnt vmcnt(2)
	buffer_store_dword v42, off, s[0:3], 0 offset:204
	buffer_store_dword v41, off, s[0:3], 0 offset:200
	;; [unrolled: 1-line block ×4, first 2 shown]
	global_load_dwordx4 v[39:42], v[29:30], off
	v_add_co_u32 v31, vcc_lo, s4, v49
	s_waitcnt vmcnt(2)
	buffer_store_dword v38, off, s[0:3], 0 offset:220
	buffer_store_dword v37, off, s[0:3], 0 offset:216
	;; [unrolled: 1-line block ×4, first 2 shown]
	v_add_co_ci_u32_e64 v32, null, s5, v50, vcc_lo
	global_load_dwordx4 v[43:46], v[25:26], off
	s_waitcnt vmcnt(2)
	buffer_store_dword v4, off, s[0:3], 0 offset:236
	buffer_store_dword v3, off, s[0:3], 0 offset:232
	;; [unrolled: 1-line block ×4, first 2 shown]
	v_lshlrev_b64 v[35:36], 4, v[53:54]
	global_load_dwordx4 v[1:4], v[31:32], off
	v_lshlrev_b64 v[37:38], 4, v[65:66]
	v_lshlrev_b64 v[53:54], 4, v[68:69]
	;; [unrolled: 1-line block ×3, first 2 shown]
	s_waitcnt vmcnt(2)
	buffer_store_dword v42, off, s[0:3], 0 offset:252
	buffer_store_dword v41, off, s[0:3], 0 offset:248
	buffer_store_dword v40, off, s[0:3], 0 offset:244
	buffer_store_dword v39, off, s[0:3], 0 offset:240
	v_add_co_u32 v35, vcc_lo, s4, v35
	v_add_co_ci_u32_e64 v36, null, s5, v36, vcc_lo
	v_add_co_u32 v37, vcc_lo, s4, v37
	v_add_co_ci_u32_e64 v38, null, s5, v38, vcc_lo
	global_load_dwordx4 v[49:52], v[35:36], off
	v_add_co_u32 v39, vcc_lo, s4, v53
	s_waitcnt vmcnt(2)
	buffer_store_dword v46, off, s[0:3], 0 offset:268
	buffer_store_dword v45, off, s[0:3], 0 offset:264
	;; [unrolled: 1-line block ×4, first 2 shown]
	v_add_co_ci_u32_e64 v40, null, s5, v54, vcc_lo
	global_load_dwordx4 v[68:71], v[37:38], off
	s_waitcnt vmcnt(2)
	buffer_store_dword v4, off, s[0:3], 0 offset:284
	buffer_store_dword v3, off, s[0:3], 0 offset:280
	;; [unrolled: 1-line block ×4, first 2 shown]
	v_lshlrev_b64 v[41:42], 4, v[72:73]
	global_load_dwordx4 v[1:4], v[39:40], off
	v_lshlrev_b64 v[43:44], 4, v[74:75]
	v_lshlrev_b64 v[45:46], 4, v[76:77]
	v_lshlrev_b64 v[76:77], 4, v[82:83]
	s_waitcnt vmcnt(2)
	buffer_store_dword v52, off, s[0:3], 0 offset:300
	buffer_store_dword v51, off, s[0:3], 0 offset:296
	;; [unrolled: 1-line block ×4, first 2 shown]
	v_add_co_u32 v41, vcc_lo, s4, v41
	v_add_co_ci_u32_e64 v42, null, s5, v42, vcc_lo
	v_add_co_u32 v43, vcc_lo, s4, v43
	v_add_co_ci_u32_e64 v44, null, s5, v44, vcc_lo
	global_load_dwordx4 v[51:54], v[41:42], off
	v_add_co_u32 v45, vcc_lo, s4, v45
	s_waitcnt vmcnt(2)
	buffer_store_dword v71, off, s[0:3], 0 offset:316
	buffer_store_dword v70, off, s[0:3], 0 offset:312
	;; [unrolled: 1-line block ×4, first 2 shown]
	v_add_co_ci_u32_e64 v46, null, s5, v46, vcc_lo
	global_load_dwordx4 v[68:71], v[43:44], off
	s_waitcnt vmcnt(2)
	buffer_store_dword v4, off, s[0:3], 0 offset:332
	buffer_store_dword v3, off, s[0:3], 0 offset:328
	;; [unrolled: 1-line block ×4, first 2 shown]
	v_lshlrev_b64 v[49:50], 4, v[78:79]
	global_load_dwordx4 v[1:4], v[45:46], off
	s_waitcnt vmcnt(2)
	buffer_store_dword v54, off, s[0:3], 0 offset:348
	buffer_store_dword v53, off, s[0:3], 0 offset:344
	buffer_store_dword v52, off, s[0:3], 0 offset:340
	buffer_store_dword v51, off, s[0:3], 0 offset:336
	v_add_co_u32 v49, vcc_lo, s4, v49
	v_add_co_ci_u32_e64 v50, null, s5, v50, vcc_lo
	v_add_co_u32 v51, vcc_lo, s4, v65
	v_add_co_ci_u32_e64 v52, null, s5, v66, vcc_lo
	global_load_dwordx4 v[72:75], v[49:50], off
	v_add_co_u32 v53, vcc_lo, s4, v76
	s_waitcnt vmcnt(2)
	buffer_store_dword v71, off, s[0:3], 0 offset:364
	buffer_store_dword v70, off, s[0:3], 0 offset:360
	;; [unrolled: 1-line block ×4, first 2 shown]
	v_add_co_ci_u32_e64 v54, null, s5, v77, vcc_lo
	global_load_dwordx4 v[68:71], v[51:52], off
	s_waitcnt vmcnt(2)
	buffer_store_dword v4, off, s[0:3], 0 offset:380
	buffer_store_dword v3, off, s[0:3], 0 offset:376
	;; [unrolled: 1-line block ×4, first 2 shown]
	s_movk_i32 s4, 0x50
	global_load_dwordx4 v[1:4], v[53:54], off
	s_movk_i32 s5, 0x60
	s_waitcnt vmcnt(2)
	buffer_store_dword v75, off, s[0:3], 0 offset:396
	buffer_store_dword v74, off, s[0:3], 0 offset:392
	buffer_store_dword v73, off, s[0:3], 0 offset:388
	buffer_store_dword v72, off, s[0:3], 0 offset:384
	s_waitcnt vmcnt(1)
	buffer_store_dword v71, off, s[0:3], 0 offset:412
	buffer_store_dword v70, off, s[0:3], 0 offset:408
	buffer_store_dword v69, off, s[0:3], 0 offset:404
	buffer_store_dword v68, off, s[0:3], 0 offset:400
	;; [unrolled: 5-line block ×3, first 2 shown]
	buffer_store_dword v16, off, s[0:3], 0 offset:444
	buffer_store_dword v15, off, s[0:3], 0 offset:440
	buffer_store_dword v14, off, s[0:3], 0 offset:436
	buffer_store_dword v13, off, s[0:3], 0 offset:432
	s_cbranch_scc1 .LBB27_7
; %bb.2:
	v_lshl_add_u32 v68, v0, 4, 0
                                        ; implicit-def: $vgpr15_vgpr16
                                        ; implicit-def: $vgpr3_vgpr4
	s_clause 0x3
	buffer_load_dword v13, v68, s[0:3], 0 offen
	buffer_load_dword v14, v68, s[0:3], 0 offen offset:4
	buffer_load_dword v65, v68, s[0:3], 0 offen offset:8
	;; [unrolled: 1-line block ×3, first 2 shown]
	s_waitcnt vmcnt(0)
	v_cmp_ngt_f64_e64 s9, |v[13:14]|, |v[65:66]|
	s_and_saveexec_b32 s19, s9
	s_xor_b32 s9, exec_lo, s19
	s_cbranch_execz .LBB27_4
; %bb.3:
	v_div_scale_f64 v[1:2], null, v[65:66], v[65:66], v[13:14]
	v_div_scale_f64 v[69:70], vcc_lo, v[13:14], v[65:66], v[13:14]
	v_rcp_f64_e32 v[3:4], v[1:2]
	v_fma_f64 v[15:16], -v[1:2], v[3:4], 1.0
	v_fma_f64 v[3:4], v[3:4], v[15:16], v[3:4]
	v_fma_f64 v[15:16], -v[1:2], v[3:4], 1.0
	v_fma_f64 v[3:4], v[3:4], v[15:16], v[3:4]
	v_mul_f64 v[15:16], v[69:70], v[3:4]
	v_fma_f64 v[1:2], -v[1:2], v[15:16], v[69:70]
	v_div_fmas_f64 v[1:2], v[1:2], v[3:4], v[15:16]
	v_div_fixup_f64 v[1:2], v[1:2], v[65:66], v[13:14]
	v_fma_f64 v[3:4], v[13:14], v[1:2], v[65:66]
	v_div_scale_f64 v[13:14], null, v[3:4], v[3:4], 1.0
	v_div_scale_f64 v[69:70], vcc_lo, 1.0, v[3:4], 1.0
	v_rcp_f64_e32 v[15:16], v[13:14]
	v_fma_f64 v[65:66], -v[13:14], v[15:16], 1.0
	v_fma_f64 v[15:16], v[15:16], v[65:66], v[15:16]
	v_fma_f64 v[65:66], -v[13:14], v[15:16], 1.0
	v_fma_f64 v[15:16], v[15:16], v[65:66], v[15:16]
	v_mul_f64 v[65:66], v[69:70], v[15:16]
	v_fma_f64 v[13:14], -v[13:14], v[65:66], v[69:70]
	v_div_fmas_f64 v[13:14], v[13:14], v[15:16], v[65:66]
                                        ; implicit-def: $vgpr65_vgpr66
	v_div_fixup_f64 v[3:4], v[13:14], v[3:4], 1.0
                                        ; implicit-def: $vgpr13_vgpr14
	v_mul_f64 v[15:16], v[1:2], v[3:4]
	v_xor_b32_e32 v4, 0x80000000, v4
	v_xor_b32_e32 v2, 0x80000000, v16
	v_mov_b32_e32 v1, v15
.LBB27_4:
	s_andn2_saveexec_b32 s9, s9
	s_cbranch_execz .LBB27_6
; %bb.5:
	v_div_scale_f64 v[1:2], null, v[13:14], v[13:14], v[65:66]
	v_div_scale_f64 v[69:70], vcc_lo, v[65:66], v[13:14], v[65:66]
	v_rcp_f64_e32 v[3:4], v[1:2]
	v_fma_f64 v[15:16], -v[1:2], v[3:4], 1.0
	v_fma_f64 v[3:4], v[3:4], v[15:16], v[3:4]
	v_fma_f64 v[15:16], -v[1:2], v[3:4], 1.0
	v_fma_f64 v[3:4], v[3:4], v[15:16], v[3:4]
	v_mul_f64 v[15:16], v[69:70], v[3:4]
	v_fma_f64 v[1:2], -v[1:2], v[15:16], v[69:70]
	v_div_fmas_f64 v[1:2], v[1:2], v[3:4], v[15:16]
	v_div_fixup_f64 v[1:2], v[1:2], v[13:14], v[65:66]
	v_fma_f64 v[3:4], v[65:66], v[1:2], v[13:14]
	v_div_scale_f64 v[13:14], null, v[3:4], v[3:4], 1.0
	v_rcp_f64_e32 v[15:16], v[13:14]
	v_fma_f64 v[65:66], -v[13:14], v[15:16], 1.0
	v_fma_f64 v[15:16], v[15:16], v[65:66], v[15:16]
	v_fma_f64 v[65:66], -v[13:14], v[15:16], 1.0
	v_fma_f64 v[15:16], v[15:16], v[65:66], v[15:16]
	v_div_scale_f64 v[65:66], vcc_lo, 1.0, v[3:4], 1.0
	v_mul_f64 v[69:70], v[65:66], v[15:16]
	v_fma_f64 v[13:14], -v[13:14], v[69:70], v[65:66]
	v_div_fmas_f64 v[13:14], v[13:14], v[15:16], v[69:70]
	v_div_fixup_f64 v[15:16], v[13:14], v[3:4], 1.0
	v_mul_f64 v[3:4], v[1:2], -v[15:16]
	v_xor_b32_e32 v2, 0x80000000, v16
	v_mov_b32_e32 v1, v15
.LBB27_6:
	s_or_b32 exec_lo, exec_lo, s9
	buffer_store_dword v4, v68, s[0:3], 0 offen offset:12
	v_xor_b32_e32 v4, 0x80000000, v4
	buffer_store_dword v16, v68, s[0:3], 0 offen offset:4
	buffer_store_dword v15, v68, s[0:3], 0 offen
	buffer_store_dword v3, v68, s[0:3], 0 offen offset:8
	s_branch .LBB27_8
.LBB27_7:
	v_mov_b32_e32 v1, 0
	v_mov_b32_e32 v3, 0
	;; [unrolled: 1-line block ×4, first 2 shown]
.LBB27_8:
	v_add_nc_u32_e32 v14, 0x1c0, v67
	v_mov_b32_e32 v13, v67
	s_mov_b32 s34, 16
	s_mov_b32 s35, 32
	;; [unrolled: 1-line block ×26, first 2 shown]
	s_cmpk_eq_i32 s8, 0x79
	ds_write_b128 v67, v[1:4]
	s_cbranch_scc1 .LBB27_220
; %bb.9:
	v_mov_b32_e32 v4, s9
	v_cmp_eq_u32_e64 s4, 27, v0
	s_clause 0x3
	buffer_load_dword v1, v4, s[0:3], 0 offen
	buffer_load_dword v2, v4, s[0:3], 0 offen offset:4
	buffer_load_dword v3, v4, s[0:3], 0 offen offset:8
	;; [unrolled: 1-line block ×3, first 2 shown]
	s_waitcnt vmcnt(0)
	ds_write_b128 v14, v[1:4]
	s_waitcnt lgkmcnt(0)
	s_waitcnt_vscnt null, 0x0
	s_barrier
	buffer_gl0_inv
	s_and_saveexec_b32 s5, s4
	s_cbranch_execz .LBB27_13
; %bb.10:
	ds_read_b128 v[1:4], v14
	s_andn2_b32 vcc_lo, exec_lo, s36
	s_cbranch_vccnz .LBB27_12
; %bb.11:
	s_clause 0x3
	buffer_load_dword v15, v13, s[0:3], 0 offen offset:8
	buffer_load_dword v16, v13, s[0:3], 0 offen offset:12
	buffer_load_dword v65, v13, s[0:3], 0 offen
	buffer_load_dword v66, v13, s[0:3], 0 offen offset:4
	s_waitcnt vmcnt(2) lgkmcnt(0)
	v_mul_f64 v[68:69], v[3:4], v[15:16]
	v_mul_f64 v[15:16], v[1:2], v[15:16]
	s_waitcnt vmcnt(0)
	v_fma_f64 v[1:2], v[1:2], v[65:66], -v[68:69]
	v_fma_f64 v[3:4], v[3:4], v[65:66], v[15:16]
.LBB27_12:
	v_mov_b32_e32 v15, 0
	ds_read_b128 v[68:71], v15 offset:416
	s_waitcnt lgkmcnt(0)
	v_mul_f64 v[15:16], v[3:4], v[70:71]
	v_mul_f64 v[65:66], v[1:2], v[70:71]
	v_fma_f64 v[1:2], v[1:2], v[68:69], -v[15:16]
	v_fma_f64 v[3:4], v[3:4], v[68:69], v[65:66]
	buffer_store_dword v2, off, s[0:3], 0 offset:420
	buffer_store_dword v1, off, s[0:3], 0 offset:416
	;; [unrolled: 1-line block ×4, first 2 shown]
.LBB27_13:
	s_or_b32 exec_lo, exec_lo, s5
	v_mov_b32_e32 v4, s10
	v_cmp_lt_u32_e64 s5, 25, v0
	s_clause 0x3
	buffer_load_dword v1, v4, s[0:3], 0 offen
	buffer_load_dword v2, v4, s[0:3], 0 offen offset:4
	buffer_load_dword v3, v4, s[0:3], 0 offen offset:8
	;; [unrolled: 1-line block ×3, first 2 shown]
	s_waitcnt vmcnt(0)
	ds_write_b128 v14, v[1:4]
	s_waitcnt lgkmcnt(0)
	s_waitcnt_vscnt null, 0x0
	s_barrier
	buffer_gl0_inv
	s_and_saveexec_b32 s6, s5
	s_cbranch_execz .LBB27_19
; %bb.14:
	ds_read_b128 v[1:4], v14
	s_andn2_b32 vcc_lo, exec_lo, s36
	s_cbranch_vccnz .LBB27_16
; %bb.15:
	s_clause 0x3
	buffer_load_dword v15, v13, s[0:3], 0 offen offset:8
	buffer_load_dword v16, v13, s[0:3], 0 offen offset:12
	buffer_load_dword v65, v13, s[0:3], 0 offen
	buffer_load_dword v66, v13, s[0:3], 0 offen offset:4
	s_waitcnt vmcnt(2) lgkmcnt(0)
	v_mul_f64 v[68:69], v[3:4], v[15:16]
	v_mul_f64 v[15:16], v[1:2], v[15:16]
	s_waitcnt vmcnt(0)
	v_fma_f64 v[1:2], v[1:2], v[65:66], -v[68:69]
	v_fma_f64 v[3:4], v[3:4], v[65:66], v[15:16]
.LBB27_16:
	s_and_saveexec_b32 s8, s4
	s_cbranch_execz .LBB27_18
; %bb.17:
	s_clause 0x3
	buffer_load_dword v15, off, s[0:3], 0 offset:424
	buffer_load_dword v16, off, s[0:3], 0 offset:428
	;; [unrolled: 1-line block ×4, first 2 shown]
	v_mov_b32_e32 v68, 0
	ds_read_b128 v[68:71], v68 offset:864
	s_waitcnt vmcnt(2) lgkmcnt(0)
	v_mul_f64 v[72:73], v[68:69], v[15:16]
	v_mul_f64 v[15:16], v[70:71], v[15:16]
	s_waitcnt vmcnt(0)
	v_fma_f64 v[70:71], v[70:71], v[65:66], v[72:73]
	v_fma_f64 v[15:16], v[68:69], v[65:66], -v[15:16]
	v_add_f64 v[3:4], v[3:4], v[70:71]
	v_add_f64 v[1:2], v[1:2], v[15:16]
.LBB27_18:
	s_or_b32 exec_lo, exec_lo, s8
	v_mov_b32_e32 v15, 0
	ds_read_b128 v[68:71], v15 offset:400
	s_waitcnt lgkmcnt(0)
	v_mul_f64 v[15:16], v[3:4], v[70:71]
	v_mul_f64 v[65:66], v[1:2], v[70:71]
	v_fma_f64 v[1:2], v[1:2], v[68:69], -v[15:16]
	v_fma_f64 v[3:4], v[3:4], v[68:69], v[65:66]
	buffer_store_dword v2, off, s[0:3], 0 offset:404
	buffer_store_dword v1, off, s[0:3], 0 offset:400
	;; [unrolled: 1-line block ×4, first 2 shown]
.LBB27_19:
	s_or_b32 exec_lo, exec_lo, s6
	v_mov_b32_e32 v4, s11
	v_cmp_lt_u32_e64 s4, 24, v0
	s_clause 0x3
	buffer_load_dword v1, v4, s[0:3], 0 offen
	buffer_load_dword v2, v4, s[0:3], 0 offen offset:4
	buffer_load_dword v3, v4, s[0:3], 0 offen offset:8
	;; [unrolled: 1-line block ×3, first 2 shown]
	s_waitcnt vmcnt(0)
	ds_write_b128 v14, v[1:4]
	s_waitcnt lgkmcnt(0)
	s_waitcnt_vscnt null, 0x0
	s_barrier
	buffer_gl0_inv
	s_and_saveexec_b32 s6, s4
	s_cbranch_execz .LBB27_27
; %bb.20:
	ds_read_b128 v[1:4], v14
	s_andn2_b32 vcc_lo, exec_lo, s36
	s_cbranch_vccnz .LBB27_22
; %bb.21:
	s_clause 0x3
	buffer_load_dword v15, v13, s[0:3], 0 offen offset:8
	buffer_load_dword v16, v13, s[0:3], 0 offen offset:12
	buffer_load_dword v65, v13, s[0:3], 0 offen
	buffer_load_dword v66, v13, s[0:3], 0 offen offset:4
	s_waitcnt vmcnt(2) lgkmcnt(0)
	v_mul_f64 v[68:69], v[3:4], v[15:16]
	v_mul_f64 v[15:16], v[1:2], v[15:16]
	s_waitcnt vmcnt(0)
	v_fma_f64 v[1:2], v[1:2], v[65:66], -v[68:69]
	v_fma_f64 v[3:4], v[3:4], v[65:66], v[15:16]
.LBB27_22:
	s_and_saveexec_b32 s8, s5
	s_cbranch_execz .LBB27_26
; %bb.23:
	v_subrev_nc_u32_e32 v15, 25, v0
	s_movk_i32 s37, 0x350
	s_mov_b32 s5, 0
	s_mov_b32 s38, s10
	.p2align	6
.LBB27_24:                              ; =>This Inner Loop Header: Depth=1
	v_mov_b32_e32 v16, s38
	v_add_nc_u32_e32 v15, -1, v15
	s_add_i32 s38, s38, 16
	s_clause 0x3
	buffer_load_dword v65, v16, s[0:3], 0 offen offset:8
	buffer_load_dword v66, v16, s[0:3], 0 offen offset:12
	buffer_load_dword v72, v16, s[0:3], 0 offen
	buffer_load_dword v73, v16, s[0:3], 0 offen offset:4
	v_mov_b32_e32 v16, s37
	v_cmp_eq_u32_e32 vcc_lo, 0, v15
	s_add_i32 s37, s37, 16
	ds_read_b128 v[68:71], v16
	s_or_b32 s5, vcc_lo, s5
	s_waitcnt vmcnt(2) lgkmcnt(0)
	v_mul_f64 v[74:75], v[70:71], v[65:66]
	v_mul_f64 v[65:66], v[68:69], v[65:66]
	s_waitcnt vmcnt(0)
	v_fma_f64 v[68:69], v[68:69], v[72:73], -v[74:75]
	v_fma_f64 v[65:66], v[70:71], v[72:73], v[65:66]
	v_add_f64 v[1:2], v[1:2], v[68:69]
	v_add_f64 v[3:4], v[3:4], v[65:66]
	s_andn2_b32 exec_lo, exec_lo, s5
	s_cbranch_execnz .LBB27_24
; %bb.25:
	s_or_b32 exec_lo, exec_lo, s5
.LBB27_26:
	s_or_b32 exec_lo, exec_lo, s8
	v_mov_b32_e32 v15, 0
	ds_read_b128 v[68:71], v15 offset:384
	s_waitcnt lgkmcnt(0)
	v_mul_f64 v[15:16], v[3:4], v[70:71]
	v_mul_f64 v[65:66], v[1:2], v[70:71]
	v_fma_f64 v[1:2], v[1:2], v[68:69], -v[15:16]
	v_fma_f64 v[3:4], v[3:4], v[68:69], v[65:66]
	buffer_store_dword v2, off, s[0:3], 0 offset:388
	buffer_store_dword v1, off, s[0:3], 0 offset:384
	;; [unrolled: 1-line block ×4, first 2 shown]
.LBB27_27:
	s_or_b32 exec_lo, exec_lo, s6
	v_mov_b32_e32 v4, s12
	v_cmp_lt_u32_e64 s5, 23, v0
	s_clause 0x3
	buffer_load_dword v1, v4, s[0:3], 0 offen
	buffer_load_dword v2, v4, s[0:3], 0 offen offset:4
	buffer_load_dword v3, v4, s[0:3], 0 offen offset:8
	;; [unrolled: 1-line block ×3, first 2 shown]
	s_waitcnt vmcnt(0)
	ds_write_b128 v14, v[1:4]
	s_waitcnt lgkmcnt(0)
	s_waitcnt_vscnt null, 0x0
	s_barrier
	buffer_gl0_inv
	s_and_saveexec_b32 s6, s5
	s_cbranch_execz .LBB27_35
; %bb.28:
	ds_read_b128 v[1:4], v14
	s_andn2_b32 vcc_lo, exec_lo, s36
	s_cbranch_vccnz .LBB27_30
; %bb.29:
	s_clause 0x3
	buffer_load_dword v15, v13, s[0:3], 0 offen offset:8
	buffer_load_dword v16, v13, s[0:3], 0 offen offset:12
	buffer_load_dword v65, v13, s[0:3], 0 offen
	buffer_load_dword v66, v13, s[0:3], 0 offen offset:4
	s_waitcnt vmcnt(2) lgkmcnt(0)
	v_mul_f64 v[68:69], v[3:4], v[15:16]
	v_mul_f64 v[15:16], v[1:2], v[15:16]
	s_waitcnt vmcnt(0)
	v_fma_f64 v[1:2], v[1:2], v[65:66], -v[68:69]
	v_fma_f64 v[3:4], v[3:4], v[65:66], v[15:16]
.LBB27_30:
	s_and_saveexec_b32 s8, s4
	s_cbranch_execz .LBB27_34
; %bb.31:
	v_subrev_nc_u32_e32 v15, 24, v0
	s_movk_i32 s37, 0x340
	s_mov_b32 s4, 0
	s_mov_b32 s38, s11
	.p2align	6
.LBB27_32:                              ; =>This Inner Loop Header: Depth=1
	v_mov_b32_e32 v16, s38
	v_add_nc_u32_e32 v15, -1, v15
	s_add_i32 s38, s38, 16
	s_clause 0x3
	buffer_load_dword v65, v16, s[0:3], 0 offen offset:8
	buffer_load_dword v66, v16, s[0:3], 0 offen offset:12
	buffer_load_dword v72, v16, s[0:3], 0 offen
	buffer_load_dword v73, v16, s[0:3], 0 offen offset:4
	v_mov_b32_e32 v16, s37
	v_cmp_eq_u32_e32 vcc_lo, 0, v15
	s_add_i32 s37, s37, 16
	ds_read_b128 v[68:71], v16
	s_or_b32 s4, vcc_lo, s4
	s_waitcnt vmcnt(2) lgkmcnt(0)
	v_mul_f64 v[74:75], v[70:71], v[65:66]
	v_mul_f64 v[65:66], v[68:69], v[65:66]
	s_waitcnt vmcnt(0)
	v_fma_f64 v[68:69], v[68:69], v[72:73], -v[74:75]
	v_fma_f64 v[65:66], v[70:71], v[72:73], v[65:66]
	v_add_f64 v[1:2], v[1:2], v[68:69]
	v_add_f64 v[3:4], v[3:4], v[65:66]
	s_andn2_b32 exec_lo, exec_lo, s4
	s_cbranch_execnz .LBB27_32
; %bb.33:
	s_or_b32 exec_lo, exec_lo, s4
.LBB27_34:
	s_or_b32 exec_lo, exec_lo, s8
	v_mov_b32_e32 v15, 0
	ds_read_b128 v[68:71], v15 offset:368
	s_waitcnt lgkmcnt(0)
	v_mul_f64 v[15:16], v[3:4], v[70:71]
	v_mul_f64 v[65:66], v[1:2], v[70:71]
	v_fma_f64 v[1:2], v[1:2], v[68:69], -v[15:16]
	v_fma_f64 v[3:4], v[3:4], v[68:69], v[65:66]
	buffer_store_dword v2, off, s[0:3], 0 offset:372
	buffer_store_dword v1, off, s[0:3], 0 offset:368
	;; [unrolled: 1-line block ×4, first 2 shown]
.LBB27_35:
	s_or_b32 exec_lo, exec_lo, s6
	v_mov_b32_e32 v4, s13
	v_cmp_lt_u32_e64 s4, 22, v0
	s_clause 0x3
	buffer_load_dword v1, v4, s[0:3], 0 offen
	buffer_load_dword v2, v4, s[0:3], 0 offen offset:4
	buffer_load_dword v3, v4, s[0:3], 0 offen offset:8
	;; [unrolled: 1-line block ×3, first 2 shown]
	s_waitcnt vmcnt(0)
	ds_write_b128 v14, v[1:4]
	s_waitcnt lgkmcnt(0)
	s_waitcnt_vscnt null, 0x0
	s_barrier
	buffer_gl0_inv
	s_and_saveexec_b32 s6, s4
	s_cbranch_execz .LBB27_43
; %bb.36:
	ds_read_b128 v[1:4], v14
	s_andn2_b32 vcc_lo, exec_lo, s36
	s_cbranch_vccnz .LBB27_38
; %bb.37:
	s_clause 0x3
	buffer_load_dword v15, v13, s[0:3], 0 offen offset:8
	buffer_load_dword v16, v13, s[0:3], 0 offen offset:12
	buffer_load_dword v65, v13, s[0:3], 0 offen
	buffer_load_dword v66, v13, s[0:3], 0 offen offset:4
	s_waitcnt vmcnt(2) lgkmcnt(0)
	v_mul_f64 v[68:69], v[3:4], v[15:16]
	v_mul_f64 v[15:16], v[1:2], v[15:16]
	s_waitcnt vmcnt(0)
	v_fma_f64 v[1:2], v[1:2], v[65:66], -v[68:69]
	v_fma_f64 v[3:4], v[3:4], v[65:66], v[15:16]
.LBB27_38:
	s_and_saveexec_b32 s8, s5
	s_cbranch_execz .LBB27_42
; %bb.39:
	v_subrev_nc_u32_e32 v15, 23, v0
	s_movk_i32 s37, 0x330
	s_mov_b32 s5, 0
	s_mov_b32 s38, s12
	.p2align	6
.LBB27_40:                              ; =>This Inner Loop Header: Depth=1
	v_mov_b32_e32 v16, s38
	v_add_nc_u32_e32 v15, -1, v15
	s_add_i32 s38, s38, 16
	s_clause 0x3
	buffer_load_dword v65, v16, s[0:3], 0 offen offset:8
	buffer_load_dword v66, v16, s[0:3], 0 offen offset:12
	buffer_load_dword v72, v16, s[0:3], 0 offen
	buffer_load_dword v73, v16, s[0:3], 0 offen offset:4
	v_mov_b32_e32 v16, s37
	v_cmp_eq_u32_e32 vcc_lo, 0, v15
	s_add_i32 s37, s37, 16
	ds_read_b128 v[68:71], v16
	s_or_b32 s5, vcc_lo, s5
	s_waitcnt vmcnt(2) lgkmcnt(0)
	v_mul_f64 v[74:75], v[70:71], v[65:66]
	v_mul_f64 v[65:66], v[68:69], v[65:66]
	s_waitcnt vmcnt(0)
	v_fma_f64 v[68:69], v[68:69], v[72:73], -v[74:75]
	v_fma_f64 v[65:66], v[70:71], v[72:73], v[65:66]
	v_add_f64 v[1:2], v[1:2], v[68:69]
	v_add_f64 v[3:4], v[3:4], v[65:66]
	s_andn2_b32 exec_lo, exec_lo, s5
	s_cbranch_execnz .LBB27_40
; %bb.41:
	s_or_b32 exec_lo, exec_lo, s5
.LBB27_42:
	s_or_b32 exec_lo, exec_lo, s8
	v_mov_b32_e32 v15, 0
	ds_read_b128 v[68:71], v15 offset:352
	s_waitcnt lgkmcnt(0)
	v_mul_f64 v[15:16], v[3:4], v[70:71]
	v_mul_f64 v[65:66], v[1:2], v[70:71]
	v_fma_f64 v[1:2], v[1:2], v[68:69], -v[15:16]
	v_fma_f64 v[3:4], v[3:4], v[68:69], v[65:66]
	buffer_store_dword v2, off, s[0:3], 0 offset:356
	buffer_store_dword v1, off, s[0:3], 0 offset:352
	;; [unrolled: 1-line block ×4, first 2 shown]
.LBB27_43:
	s_or_b32 exec_lo, exec_lo, s6
	v_mov_b32_e32 v4, s14
	v_cmp_lt_u32_e64 s5, 21, v0
	s_clause 0x3
	buffer_load_dword v1, v4, s[0:3], 0 offen
	buffer_load_dword v2, v4, s[0:3], 0 offen offset:4
	buffer_load_dword v3, v4, s[0:3], 0 offen offset:8
	;; [unrolled: 1-line block ×3, first 2 shown]
	s_waitcnt vmcnt(0)
	ds_write_b128 v14, v[1:4]
	s_waitcnt lgkmcnt(0)
	s_waitcnt_vscnt null, 0x0
	s_barrier
	buffer_gl0_inv
	s_and_saveexec_b32 s6, s5
	s_cbranch_execz .LBB27_51
; %bb.44:
	ds_read_b128 v[1:4], v14
	s_andn2_b32 vcc_lo, exec_lo, s36
	s_cbranch_vccnz .LBB27_46
; %bb.45:
	s_clause 0x3
	buffer_load_dword v15, v13, s[0:3], 0 offen offset:8
	buffer_load_dword v16, v13, s[0:3], 0 offen offset:12
	buffer_load_dword v65, v13, s[0:3], 0 offen
	buffer_load_dword v66, v13, s[0:3], 0 offen offset:4
	s_waitcnt vmcnt(2) lgkmcnt(0)
	v_mul_f64 v[68:69], v[3:4], v[15:16]
	v_mul_f64 v[15:16], v[1:2], v[15:16]
	s_waitcnt vmcnt(0)
	v_fma_f64 v[1:2], v[1:2], v[65:66], -v[68:69]
	v_fma_f64 v[3:4], v[3:4], v[65:66], v[15:16]
.LBB27_46:
	s_and_saveexec_b32 s8, s4
	s_cbranch_execz .LBB27_50
; %bb.47:
	v_subrev_nc_u32_e32 v15, 22, v0
	s_movk_i32 s37, 0x320
	s_mov_b32 s4, 0
	s_mov_b32 s38, s13
	.p2align	6
.LBB27_48:                              ; =>This Inner Loop Header: Depth=1
	v_mov_b32_e32 v16, s38
	v_add_nc_u32_e32 v15, -1, v15
	s_add_i32 s38, s38, 16
	s_clause 0x3
	buffer_load_dword v65, v16, s[0:3], 0 offen offset:8
	buffer_load_dword v66, v16, s[0:3], 0 offen offset:12
	buffer_load_dword v72, v16, s[0:3], 0 offen
	buffer_load_dword v73, v16, s[0:3], 0 offen offset:4
	v_mov_b32_e32 v16, s37
	v_cmp_eq_u32_e32 vcc_lo, 0, v15
	s_add_i32 s37, s37, 16
	ds_read_b128 v[68:71], v16
	s_or_b32 s4, vcc_lo, s4
	s_waitcnt vmcnt(2) lgkmcnt(0)
	v_mul_f64 v[74:75], v[70:71], v[65:66]
	v_mul_f64 v[65:66], v[68:69], v[65:66]
	s_waitcnt vmcnt(0)
	v_fma_f64 v[68:69], v[68:69], v[72:73], -v[74:75]
	v_fma_f64 v[65:66], v[70:71], v[72:73], v[65:66]
	v_add_f64 v[1:2], v[1:2], v[68:69]
	v_add_f64 v[3:4], v[3:4], v[65:66]
	s_andn2_b32 exec_lo, exec_lo, s4
	s_cbranch_execnz .LBB27_48
; %bb.49:
	s_or_b32 exec_lo, exec_lo, s4
.LBB27_50:
	s_or_b32 exec_lo, exec_lo, s8
	v_mov_b32_e32 v15, 0
	ds_read_b128 v[68:71], v15 offset:336
	s_waitcnt lgkmcnt(0)
	v_mul_f64 v[15:16], v[3:4], v[70:71]
	v_mul_f64 v[65:66], v[1:2], v[70:71]
	v_fma_f64 v[1:2], v[1:2], v[68:69], -v[15:16]
	v_fma_f64 v[3:4], v[3:4], v[68:69], v[65:66]
	buffer_store_dword v2, off, s[0:3], 0 offset:340
	buffer_store_dword v1, off, s[0:3], 0 offset:336
	;; [unrolled: 1-line block ×4, first 2 shown]
.LBB27_51:
	s_or_b32 exec_lo, exec_lo, s6
	v_mov_b32_e32 v4, s15
	v_cmp_lt_u32_e64 s4, 20, v0
	s_clause 0x3
	buffer_load_dword v1, v4, s[0:3], 0 offen
	buffer_load_dword v2, v4, s[0:3], 0 offen offset:4
	buffer_load_dword v3, v4, s[0:3], 0 offen offset:8
	;; [unrolled: 1-line block ×3, first 2 shown]
	s_waitcnt vmcnt(0)
	ds_write_b128 v14, v[1:4]
	s_waitcnt lgkmcnt(0)
	s_waitcnt_vscnt null, 0x0
	s_barrier
	buffer_gl0_inv
	s_and_saveexec_b32 s6, s4
	s_cbranch_execz .LBB27_59
; %bb.52:
	ds_read_b128 v[1:4], v14
	s_andn2_b32 vcc_lo, exec_lo, s36
	s_cbranch_vccnz .LBB27_54
; %bb.53:
	s_clause 0x3
	buffer_load_dword v15, v13, s[0:3], 0 offen offset:8
	buffer_load_dword v16, v13, s[0:3], 0 offen offset:12
	buffer_load_dword v65, v13, s[0:3], 0 offen
	buffer_load_dword v66, v13, s[0:3], 0 offen offset:4
	s_waitcnt vmcnt(2) lgkmcnt(0)
	v_mul_f64 v[68:69], v[3:4], v[15:16]
	v_mul_f64 v[15:16], v[1:2], v[15:16]
	s_waitcnt vmcnt(0)
	v_fma_f64 v[1:2], v[1:2], v[65:66], -v[68:69]
	v_fma_f64 v[3:4], v[3:4], v[65:66], v[15:16]
.LBB27_54:
	s_and_saveexec_b32 s8, s5
	s_cbranch_execz .LBB27_58
; %bb.55:
	v_subrev_nc_u32_e32 v15, 21, v0
	s_movk_i32 s37, 0x310
	s_mov_b32 s5, 0
	s_mov_b32 s38, s14
	.p2align	6
.LBB27_56:                              ; =>This Inner Loop Header: Depth=1
	v_mov_b32_e32 v16, s38
	v_add_nc_u32_e32 v15, -1, v15
	s_add_i32 s38, s38, 16
	s_clause 0x3
	buffer_load_dword v65, v16, s[0:3], 0 offen offset:8
	buffer_load_dword v66, v16, s[0:3], 0 offen offset:12
	buffer_load_dword v72, v16, s[0:3], 0 offen
	buffer_load_dword v73, v16, s[0:3], 0 offen offset:4
	v_mov_b32_e32 v16, s37
	v_cmp_eq_u32_e32 vcc_lo, 0, v15
	s_add_i32 s37, s37, 16
	ds_read_b128 v[68:71], v16
	s_or_b32 s5, vcc_lo, s5
	s_waitcnt vmcnt(2) lgkmcnt(0)
	v_mul_f64 v[74:75], v[70:71], v[65:66]
	v_mul_f64 v[65:66], v[68:69], v[65:66]
	s_waitcnt vmcnt(0)
	v_fma_f64 v[68:69], v[68:69], v[72:73], -v[74:75]
	v_fma_f64 v[65:66], v[70:71], v[72:73], v[65:66]
	v_add_f64 v[1:2], v[1:2], v[68:69]
	v_add_f64 v[3:4], v[3:4], v[65:66]
	s_andn2_b32 exec_lo, exec_lo, s5
	s_cbranch_execnz .LBB27_56
; %bb.57:
	s_or_b32 exec_lo, exec_lo, s5
.LBB27_58:
	s_or_b32 exec_lo, exec_lo, s8
	v_mov_b32_e32 v15, 0
	ds_read_b128 v[68:71], v15 offset:320
	s_waitcnt lgkmcnt(0)
	v_mul_f64 v[15:16], v[3:4], v[70:71]
	v_mul_f64 v[65:66], v[1:2], v[70:71]
	v_fma_f64 v[1:2], v[1:2], v[68:69], -v[15:16]
	v_fma_f64 v[3:4], v[3:4], v[68:69], v[65:66]
	buffer_store_dword v2, off, s[0:3], 0 offset:324
	buffer_store_dword v1, off, s[0:3], 0 offset:320
	buffer_store_dword v4, off, s[0:3], 0 offset:332
	buffer_store_dword v3, off, s[0:3], 0 offset:328
.LBB27_59:
	s_or_b32 exec_lo, exec_lo, s6
	v_mov_b32_e32 v4, s16
	v_cmp_lt_u32_e64 s5, 19, v0
	s_clause 0x3
	buffer_load_dword v1, v4, s[0:3], 0 offen
	buffer_load_dword v2, v4, s[0:3], 0 offen offset:4
	buffer_load_dword v3, v4, s[0:3], 0 offen offset:8
	;; [unrolled: 1-line block ×3, first 2 shown]
	s_waitcnt vmcnt(0)
	ds_write_b128 v14, v[1:4]
	s_waitcnt lgkmcnt(0)
	s_waitcnt_vscnt null, 0x0
	s_barrier
	buffer_gl0_inv
	s_and_saveexec_b32 s6, s5
	s_cbranch_execz .LBB27_67
; %bb.60:
	ds_read_b128 v[1:4], v14
	s_andn2_b32 vcc_lo, exec_lo, s36
	s_cbranch_vccnz .LBB27_62
; %bb.61:
	s_clause 0x3
	buffer_load_dword v15, v13, s[0:3], 0 offen offset:8
	buffer_load_dword v16, v13, s[0:3], 0 offen offset:12
	buffer_load_dword v65, v13, s[0:3], 0 offen
	buffer_load_dword v66, v13, s[0:3], 0 offen offset:4
	s_waitcnt vmcnt(2) lgkmcnt(0)
	v_mul_f64 v[68:69], v[3:4], v[15:16]
	v_mul_f64 v[15:16], v[1:2], v[15:16]
	s_waitcnt vmcnt(0)
	v_fma_f64 v[1:2], v[1:2], v[65:66], -v[68:69]
	v_fma_f64 v[3:4], v[3:4], v[65:66], v[15:16]
.LBB27_62:
	s_and_saveexec_b32 s8, s4
	s_cbranch_execz .LBB27_66
; %bb.63:
	v_subrev_nc_u32_e32 v15, 20, v0
	s_movk_i32 s37, 0x300
	s_mov_b32 s4, 0
	s_mov_b32 s38, s15
	.p2align	6
.LBB27_64:                              ; =>This Inner Loop Header: Depth=1
	v_mov_b32_e32 v16, s38
	v_add_nc_u32_e32 v15, -1, v15
	s_add_i32 s38, s38, 16
	s_clause 0x3
	buffer_load_dword v65, v16, s[0:3], 0 offen offset:8
	buffer_load_dword v66, v16, s[0:3], 0 offen offset:12
	buffer_load_dword v72, v16, s[0:3], 0 offen
	buffer_load_dword v73, v16, s[0:3], 0 offen offset:4
	v_mov_b32_e32 v16, s37
	v_cmp_eq_u32_e32 vcc_lo, 0, v15
	s_add_i32 s37, s37, 16
	ds_read_b128 v[68:71], v16
	s_or_b32 s4, vcc_lo, s4
	s_waitcnt vmcnt(2) lgkmcnt(0)
	v_mul_f64 v[74:75], v[70:71], v[65:66]
	v_mul_f64 v[65:66], v[68:69], v[65:66]
	s_waitcnt vmcnt(0)
	v_fma_f64 v[68:69], v[68:69], v[72:73], -v[74:75]
	v_fma_f64 v[65:66], v[70:71], v[72:73], v[65:66]
	v_add_f64 v[1:2], v[1:2], v[68:69]
	v_add_f64 v[3:4], v[3:4], v[65:66]
	s_andn2_b32 exec_lo, exec_lo, s4
	s_cbranch_execnz .LBB27_64
; %bb.65:
	s_or_b32 exec_lo, exec_lo, s4
.LBB27_66:
	s_or_b32 exec_lo, exec_lo, s8
	v_mov_b32_e32 v15, 0
	ds_read_b128 v[68:71], v15 offset:304
	s_waitcnt lgkmcnt(0)
	v_mul_f64 v[15:16], v[3:4], v[70:71]
	v_mul_f64 v[65:66], v[1:2], v[70:71]
	v_fma_f64 v[1:2], v[1:2], v[68:69], -v[15:16]
	v_fma_f64 v[3:4], v[3:4], v[68:69], v[65:66]
	buffer_store_dword v2, off, s[0:3], 0 offset:308
	buffer_store_dword v1, off, s[0:3], 0 offset:304
	;; [unrolled: 1-line block ×4, first 2 shown]
.LBB27_67:
	s_or_b32 exec_lo, exec_lo, s6
	v_mov_b32_e32 v4, s17
	v_cmp_lt_u32_e64 s4, 18, v0
	s_clause 0x3
	buffer_load_dword v1, v4, s[0:3], 0 offen
	buffer_load_dword v2, v4, s[0:3], 0 offen offset:4
	buffer_load_dword v3, v4, s[0:3], 0 offen offset:8
	;; [unrolled: 1-line block ×3, first 2 shown]
	s_waitcnt vmcnt(0)
	ds_write_b128 v14, v[1:4]
	s_waitcnt lgkmcnt(0)
	s_waitcnt_vscnt null, 0x0
	s_barrier
	buffer_gl0_inv
	s_and_saveexec_b32 s6, s4
	s_cbranch_execz .LBB27_75
; %bb.68:
	ds_read_b128 v[1:4], v14
	s_andn2_b32 vcc_lo, exec_lo, s36
	s_cbranch_vccnz .LBB27_70
; %bb.69:
	s_clause 0x3
	buffer_load_dword v15, v13, s[0:3], 0 offen offset:8
	buffer_load_dword v16, v13, s[0:3], 0 offen offset:12
	buffer_load_dword v65, v13, s[0:3], 0 offen
	buffer_load_dword v66, v13, s[0:3], 0 offen offset:4
	s_waitcnt vmcnt(2) lgkmcnt(0)
	v_mul_f64 v[68:69], v[3:4], v[15:16]
	v_mul_f64 v[15:16], v[1:2], v[15:16]
	s_waitcnt vmcnt(0)
	v_fma_f64 v[1:2], v[1:2], v[65:66], -v[68:69]
	v_fma_f64 v[3:4], v[3:4], v[65:66], v[15:16]
.LBB27_70:
	s_and_saveexec_b32 s8, s5
	s_cbranch_execz .LBB27_74
; %bb.71:
	v_subrev_nc_u32_e32 v15, 19, v0
	s_movk_i32 s37, 0x2f0
	s_mov_b32 s5, 0
	s_mov_b32 s38, s16
	.p2align	6
.LBB27_72:                              ; =>This Inner Loop Header: Depth=1
	v_mov_b32_e32 v16, s38
	v_add_nc_u32_e32 v15, -1, v15
	s_add_i32 s38, s38, 16
	s_clause 0x3
	buffer_load_dword v65, v16, s[0:3], 0 offen offset:8
	buffer_load_dword v66, v16, s[0:3], 0 offen offset:12
	buffer_load_dword v72, v16, s[0:3], 0 offen
	buffer_load_dword v73, v16, s[0:3], 0 offen offset:4
	v_mov_b32_e32 v16, s37
	v_cmp_eq_u32_e32 vcc_lo, 0, v15
	s_add_i32 s37, s37, 16
	ds_read_b128 v[68:71], v16
	s_or_b32 s5, vcc_lo, s5
	s_waitcnt vmcnt(2) lgkmcnt(0)
	v_mul_f64 v[74:75], v[70:71], v[65:66]
	v_mul_f64 v[65:66], v[68:69], v[65:66]
	s_waitcnt vmcnt(0)
	v_fma_f64 v[68:69], v[68:69], v[72:73], -v[74:75]
	v_fma_f64 v[65:66], v[70:71], v[72:73], v[65:66]
	v_add_f64 v[1:2], v[1:2], v[68:69]
	v_add_f64 v[3:4], v[3:4], v[65:66]
	s_andn2_b32 exec_lo, exec_lo, s5
	s_cbranch_execnz .LBB27_72
; %bb.73:
	s_or_b32 exec_lo, exec_lo, s5
.LBB27_74:
	s_or_b32 exec_lo, exec_lo, s8
	v_mov_b32_e32 v15, 0
	ds_read_b128 v[68:71], v15 offset:288
	s_waitcnt lgkmcnt(0)
	v_mul_f64 v[15:16], v[3:4], v[70:71]
	v_mul_f64 v[65:66], v[1:2], v[70:71]
	v_fma_f64 v[1:2], v[1:2], v[68:69], -v[15:16]
	v_fma_f64 v[3:4], v[3:4], v[68:69], v[65:66]
	buffer_store_dword v2, off, s[0:3], 0 offset:292
	buffer_store_dword v1, off, s[0:3], 0 offset:288
	;; [unrolled: 1-line block ×4, first 2 shown]
.LBB27_75:
	s_or_b32 exec_lo, exec_lo, s6
	v_mov_b32_e32 v4, s18
	v_cmp_lt_u32_e64 s5, 17, v0
	s_clause 0x3
	buffer_load_dword v1, v4, s[0:3], 0 offen
	buffer_load_dword v2, v4, s[0:3], 0 offen offset:4
	buffer_load_dword v3, v4, s[0:3], 0 offen offset:8
	;; [unrolled: 1-line block ×3, first 2 shown]
	s_waitcnt vmcnt(0)
	ds_write_b128 v14, v[1:4]
	s_waitcnt lgkmcnt(0)
	s_waitcnt_vscnt null, 0x0
	s_barrier
	buffer_gl0_inv
	s_and_saveexec_b32 s6, s5
	s_cbranch_execz .LBB27_83
; %bb.76:
	ds_read_b128 v[1:4], v14
	s_andn2_b32 vcc_lo, exec_lo, s36
	s_cbranch_vccnz .LBB27_78
; %bb.77:
	s_clause 0x3
	buffer_load_dword v15, v13, s[0:3], 0 offen offset:8
	buffer_load_dword v16, v13, s[0:3], 0 offen offset:12
	buffer_load_dword v65, v13, s[0:3], 0 offen
	buffer_load_dword v66, v13, s[0:3], 0 offen offset:4
	s_waitcnt vmcnt(2) lgkmcnt(0)
	v_mul_f64 v[68:69], v[3:4], v[15:16]
	v_mul_f64 v[15:16], v[1:2], v[15:16]
	s_waitcnt vmcnt(0)
	v_fma_f64 v[1:2], v[1:2], v[65:66], -v[68:69]
	v_fma_f64 v[3:4], v[3:4], v[65:66], v[15:16]
.LBB27_78:
	s_and_saveexec_b32 s8, s4
	s_cbranch_execz .LBB27_82
; %bb.79:
	v_subrev_nc_u32_e32 v15, 18, v0
	s_movk_i32 s37, 0x2e0
	s_mov_b32 s4, 0
	s_mov_b32 s38, s17
	.p2align	6
.LBB27_80:                              ; =>This Inner Loop Header: Depth=1
	v_mov_b32_e32 v16, s38
	v_add_nc_u32_e32 v15, -1, v15
	s_add_i32 s38, s38, 16
	s_clause 0x3
	buffer_load_dword v65, v16, s[0:3], 0 offen offset:8
	buffer_load_dword v66, v16, s[0:3], 0 offen offset:12
	buffer_load_dword v72, v16, s[0:3], 0 offen
	buffer_load_dword v73, v16, s[0:3], 0 offen offset:4
	v_mov_b32_e32 v16, s37
	v_cmp_eq_u32_e32 vcc_lo, 0, v15
	s_add_i32 s37, s37, 16
	ds_read_b128 v[68:71], v16
	s_or_b32 s4, vcc_lo, s4
	s_waitcnt vmcnt(2) lgkmcnt(0)
	v_mul_f64 v[74:75], v[70:71], v[65:66]
	v_mul_f64 v[65:66], v[68:69], v[65:66]
	s_waitcnt vmcnt(0)
	v_fma_f64 v[68:69], v[68:69], v[72:73], -v[74:75]
	v_fma_f64 v[65:66], v[70:71], v[72:73], v[65:66]
	v_add_f64 v[1:2], v[1:2], v[68:69]
	v_add_f64 v[3:4], v[3:4], v[65:66]
	s_andn2_b32 exec_lo, exec_lo, s4
	s_cbranch_execnz .LBB27_80
; %bb.81:
	s_or_b32 exec_lo, exec_lo, s4
.LBB27_82:
	s_or_b32 exec_lo, exec_lo, s8
	v_mov_b32_e32 v15, 0
	ds_read_b128 v[68:71], v15 offset:272
	s_waitcnt lgkmcnt(0)
	v_mul_f64 v[15:16], v[3:4], v[70:71]
	v_mul_f64 v[65:66], v[1:2], v[70:71]
	v_fma_f64 v[1:2], v[1:2], v[68:69], -v[15:16]
	v_fma_f64 v[3:4], v[3:4], v[68:69], v[65:66]
	buffer_store_dword v2, off, s[0:3], 0 offset:276
	buffer_store_dword v1, off, s[0:3], 0 offset:272
	;; [unrolled: 1-line block ×4, first 2 shown]
.LBB27_83:
	s_or_b32 exec_lo, exec_lo, s6
	v_mov_b32_e32 v4, s19
	v_cmp_lt_u32_e64 s4, 16, v0
	s_clause 0x3
	buffer_load_dword v1, v4, s[0:3], 0 offen
	buffer_load_dword v2, v4, s[0:3], 0 offen offset:4
	buffer_load_dword v3, v4, s[0:3], 0 offen offset:8
	;; [unrolled: 1-line block ×3, first 2 shown]
	s_waitcnt vmcnt(0)
	ds_write_b128 v14, v[1:4]
	s_waitcnt lgkmcnt(0)
	s_waitcnt_vscnt null, 0x0
	s_barrier
	buffer_gl0_inv
	s_and_saveexec_b32 s6, s4
	s_cbranch_execz .LBB27_91
; %bb.84:
	ds_read_b128 v[1:4], v14
	s_andn2_b32 vcc_lo, exec_lo, s36
	s_cbranch_vccnz .LBB27_86
; %bb.85:
	s_clause 0x3
	buffer_load_dword v15, v13, s[0:3], 0 offen offset:8
	buffer_load_dword v16, v13, s[0:3], 0 offen offset:12
	buffer_load_dword v65, v13, s[0:3], 0 offen
	buffer_load_dword v66, v13, s[0:3], 0 offen offset:4
	s_waitcnt vmcnt(2) lgkmcnt(0)
	v_mul_f64 v[68:69], v[3:4], v[15:16]
	v_mul_f64 v[15:16], v[1:2], v[15:16]
	s_waitcnt vmcnt(0)
	v_fma_f64 v[1:2], v[1:2], v[65:66], -v[68:69]
	v_fma_f64 v[3:4], v[3:4], v[65:66], v[15:16]
.LBB27_86:
	s_and_saveexec_b32 s8, s5
	s_cbranch_execz .LBB27_90
; %bb.87:
	v_subrev_nc_u32_e32 v15, 17, v0
	s_movk_i32 s37, 0x2d0
	s_mov_b32 s5, 0
	s_mov_b32 s38, s18
	.p2align	6
.LBB27_88:                              ; =>This Inner Loop Header: Depth=1
	v_mov_b32_e32 v16, s38
	v_add_nc_u32_e32 v15, -1, v15
	s_add_i32 s38, s38, 16
	s_clause 0x3
	buffer_load_dword v65, v16, s[0:3], 0 offen offset:8
	buffer_load_dword v66, v16, s[0:3], 0 offen offset:12
	buffer_load_dword v72, v16, s[0:3], 0 offen
	buffer_load_dword v73, v16, s[0:3], 0 offen offset:4
	v_mov_b32_e32 v16, s37
	v_cmp_eq_u32_e32 vcc_lo, 0, v15
	s_add_i32 s37, s37, 16
	ds_read_b128 v[68:71], v16
	s_or_b32 s5, vcc_lo, s5
	s_waitcnt vmcnt(2) lgkmcnt(0)
	v_mul_f64 v[74:75], v[70:71], v[65:66]
	v_mul_f64 v[65:66], v[68:69], v[65:66]
	s_waitcnt vmcnt(0)
	v_fma_f64 v[68:69], v[68:69], v[72:73], -v[74:75]
	v_fma_f64 v[65:66], v[70:71], v[72:73], v[65:66]
	v_add_f64 v[1:2], v[1:2], v[68:69]
	v_add_f64 v[3:4], v[3:4], v[65:66]
	s_andn2_b32 exec_lo, exec_lo, s5
	s_cbranch_execnz .LBB27_88
; %bb.89:
	s_or_b32 exec_lo, exec_lo, s5
.LBB27_90:
	s_or_b32 exec_lo, exec_lo, s8
	v_mov_b32_e32 v15, 0
	ds_read_b128 v[68:71], v15 offset:256
	s_waitcnt lgkmcnt(0)
	v_mul_f64 v[15:16], v[3:4], v[70:71]
	v_mul_f64 v[65:66], v[1:2], v[70:71]
	v_fma_f64 v[1:2], v[1:2], v[68:69], -v[15:16]
	v_fma_f64 v[3:4], v[3:4], v[68:69], v[65:66]
	buffer_store_dword v2, off, s[0:3], 0 offset:260
	buffer_store_dword v1, off, s[0:3], 0 offset:256
	;; [unrolled: 1-line block ×4, first 2 shown]
.LBB27_91:
	s_or_b32 exec_lo, exec_lo, s6
	v_mov_b32_e32 v4, s20
	v_cmp_lt_u32_e64 s5, 15, v0
	s_clause 0x3
	buffer_load_dword v1, v4, s[0:3], 0 offen
	buffer_load_dword v2, v4, s[0:3], 0 offen offset:4
	buffer_load_dword v3, v4, s[0:3], 0 offen offset:8
	;; [unrolled: 1-line block ×3, first 2 shown]
	s_waitcnt vmcnt(0)
	ds_write_b128 v14, v[1:4]
	s_waitcnt lgkmcnt(0)
	s_waitcnt_vscnt null, 0x0
	s_barrier
	buffer_gl0_inv
	s_and_saveexec_b32 s6, s5
	s_cbranch_execz .LBB27_99
; %bb.92:
	ds_read_b128 v[1:4], v14
	s_andn2_b32 vcc_lo, exec_lo, s36
	s_cbranch_vccnz .LBB27_94
; %bb.93:
	s_clause 0x3
	buffer_load_dword v15, v13, s[0:3], 0 offen offset:8
	buffer_load_dword v16, v13, s[0:3], 0 offen offset:12
	buffer_load_dword v65, v13, s[0:3], 0 offen
	buffer_load_dword v66, v13, s[0:3], 0 offen offset:4
	s_waitcnt vmcnt(2) lgkmcnt(0)
	v_mul_f64 v[68:69], v[3:4], v[15:16]
	v_mul_f64 v[15:16], v[1:2], v[15:16]
	s_waitcnt vmcnt(0)
	v_fma_f64 v[1:2], v[1:2], v[65:66], -v[68:69]
	v_fma_f64 v[3:4], v[3:4], v[65:66], v[15:16]
.LBB27_94:
	s_and_saveexec_b32 s8, s4
	s_cbranch_execz .LBB27_98
; %bb.95:
	v_add_nc_u32_e32 v15, -16, v0
	s_movk_i32 s37, 0x2c0
	s_mov_b32 s4, 0
	s_mov_b32 s38, s19
	.p2align	6
.LBB27_96:                              ; =>This Inner Loop Header: Depth=1
	v_mov_b32_e32 v16, s38
	v_add_nc_u32_e32 v15, -1, v15
	s_add_i32 s38, s38, 16
	s_clause 0x3
	buffer_load_dword v65, v16, s[0:3], 0 offen offset:8
	buffer_load_dword v66, v16, s[0:3], 0 offen offset:12
	buffer_load_dword v72, v16, s[0:3], 0 offen
	buffer_load_dword v73, v16, s[0:3], 0 offen offset:4
	v_mov_b32_e32 v16, s37
	v_cmp_eq_u32_e32 vcc_lo, 0, v15
	s_add_i32 s37, s37, 16
	ds_read_b128 v[68:71], v16
	s_or_b32 s4, vcc_lo, s4
	s_waitcnt vmcnt(2) lgkmcnt(0)
	v_mul_f64 v[74:75], v[70:71], v[65:66]
	v_mul_f64 v[65:66], v[68:69], v[65:66]
	s_waitcnt vmcnt(0)
	v_fma_f64 v[68:69], v[68:69], v[72:73], -v[74:75]
	v_fma_f64 v[65:66], v[70:71], v[72:73], v[65:66]
	v_add_f64 v[1:2], v[1:2], v[68:69]
	v_add_f64 v[3:4], v[3:4], v[65:66]
	s_andn2_b32 exec_lo, exec_lo, s4
	s_cbranch_execnz .LBB27_96
; %bb.97:
	s_or_b32 exec_lo, exec_lo, s4
.LBB27_98:
	s_or_b32 exec_lo, exec_lo, s8
	v_mov_b32_e32 v15, 0
	ds_read_b128 v[68:71], v15 offset:240
	s_waitcnt lgkmcnt(0)
	v_mul_f64 v[15:16], v[3:4], v[70:71]
	v_mul_f64 v[65:66], v[1:2], v[70:71]
	v_fma_f64 v[1:2], v[1:2], v[68:69], -v[15:16]
	v_fma_f64 v[3:4], v[3:4], v[68:69], v[65:66]
	buffer_store_dword v2, off, s[0:3], 0 offset:244
	buffer_store_dword v1, off, s[0:3], 0 offset:240
	;; [unrolled: 1-line block ×4, first 2 shown]
.LBB27_99:
	s_or_b32 exec_lo, exec_lo, s6
	v_mov_b32_e32 v4, s21
	v_cmp_lt_u32_e64 s4, 14, v0
	s_clause 0x3
	buffer_load_dword v1, v4, s[0:3], 0 offen
	buffer_load_dword v2, v4, s[0:3], 0 offen offset:4
	buffer_load_dword v3, v4, s[0:3], 0 offen offset:8
	;; [unrolled: 1-line block ×3, first 2 shown]
	s_waitcnt vmcnt(0)
	ds_write_b128 v14, v[1:4]
	s_waitcnt lgkmcnt(0)
	s_waitcnt_vscnt null, 0x0
	s_barrier
	buffer_gl0_inv
	s_and_saveexec_b32 s6, s4
	s_cbranch_execz .LBB27_107
; %bb.100:
	ds_read_b128 v[1:4], v14
	s_andn2_b32 vcc_lo, exec_lo, s36
	s_cbranch_vccnz .LBB27_102
; %bb.101:
	s_clause 0x3
	buffer_load_dword v15, v13, s[0:3], 0 offen offset:8
	buffer_load_dword v16, v13, s[0:3], 0 offen offset:12
	buffer_load_dword v65, v13, s[0:3], 0 offen
	buffer_load_dword v66, v13, s[0:3], 0 offen offset:4
	s_waitcnt vmcnt(2) lgkmcnt(0)
	v_mul_f64 v[68:69], v[3:4], v[15:16]
	v_mul_f64 v[15:16], v[1:2], v[15:16]
	s_waitcnt vmcnt(0)
	v_fma_f64 v[1:2], v[1:2], v[65:66], -v[68:69]
	v_fma_f64 v[3:4], v[3:4], v[65:66], v[15:16]
.LBB27_102:
	s_and_saveexec_b32 s8, s5
	s_cbranch_execz .LBB27_106
; %bb.103:
	v_add_nc_u32_e32 v15, -15, v0
	s_movk_i32 s37, 0x2b0
	s_mov_b32 s5, 0
	s_mov_b32 s38, s20
	.p2align	6
.LBB27_104:                             ; =>This Inner Loop Header: Depth=1
	v_mov_b32_e32 v16, s38
	v_add_nc_u32_e32 v15, -1, v15
	s_add_i32 s38, s38, 16
	s_clause 0x3
	buffer_load_dword v65, v16, s[0:3], 0 offen offset:8
	buffer_load_dword v66, v16, s[0:3], 0 offen offset:12
	buffer_load_dword v72, v16, s[0:3], 0 offen
	buffer_load_dword v73, v16, s[0:3], 0 offen offset:4
	v_mov_b32_e32 v16, s37
	v_cmp_eq_u32_e32 vcc_lo, 0, v15
	s_add_i32 s37, s37, 16
	ds_read_b128 v[68:71], v16
	s_or_b32 s5, vcc_lo, s5
	s_waitcnt vmcnt(2) lgkmcnt(0)
	v_mul_f64 v[74:75], v[70:71], v[65:66]
	v_mul_f64 v[65:66], v[68:69], v[65:66]
	s_waitcnt vmcnt(0)
	v_fma_f64 v[68:69], v[68:69], v[72:73], -v[74:75]
	v_fma_f64 v[65:66], v[70:71], v[72:73], v[65:66]
	v_add_f64 v[1:2], v[1:2], v[68:69]
	v_add_f64 v[3:4], v[3:4], v[65:66]
	s_andn2_b32 exec_lo, exec_lo, s5
	s_cbranch_execnz .LBB27_104
; %bb.105:
	s_or_b32 exec_lo, exec_lo, s5
.LBB27_106:
	s_or_b32 exec_lo, exec_lo, s8
	v_mov_b32_e32 v15, 0
	ds_read_b128 v[68:71], v15 offset:224
	s_waitcnt lgkmcnt(0)
	v_mul_f64 v[15:16], v[3:4], v[70:71]
	v_mul_f64 v[65:66], v[1:2], v[70:71]
	v_fma_f64 v[1:2], v[1:2], v[68:69], -v[15:16]
	v_fma_f64 v[3:4], v[3:4], v[68:69], v[65:66]
	buffer_store_dword v2, off, s[0:3], 0 offset:228
	buffer_store_dword v1, off, s[0:3], 0 offset:224
	;; [unrolled: 1-line block ×4, first 2 shown]
.LBB27_107:
	s_or_b32 exec_lo, exec_lo, s6
	v_mov_b32_e32 v4, s22
	v_cmp_lt_u32_e64 s5, 13, v0
	s_clause 0x3
	buffer_load_dword v1, v4, s[0:3], 0 offen
	buffer_load_dword v2, v4, s[0:3], 0 offen offset:4
	buffer_load_dword v3, v4, s[0:3], 0 offen offset:8
	;; [unrolled: 1-line block ×3, first 2 shown]
	s_waitcnt vmcnt(0)
	ds_write_b128 v14, v[1:4]
	s_waitcnt lgkmcnt(0)
	s_waitcnt_vscnt null, 0x0
	s_barrier
	buffer_gl0_inv
	s_and_saveexec_b32 s6, s5
	s_cbranch_execz .LBB27_115
; %bb.108:
	ds_read_b128 v[1:4], v14
	s_andn2_b32 vcc_lo, exec_lo, s36
	s_cbranch_vccnz .LBB27_110
; %bb.109:
	s_clause 0x3
	buffer_load_dword v15, v13, s[0:3], 0 offen offset:8
	buffer_load_dword v16, v13, s[0:3], 0 offen offset:12
	buffer_load_dword v65, v13, s[0:3], 0 offen
	buffer_load_dword v66, v13, s[0:3], 0 offen offset:4
	s_waitcnt vmcnt(2) lgkmcnt(0)
	v_mul_f64 v[68:69], v[3:4], v[15:16]
	v_mul_f64 v[15:16], v[1:2], v[15:16]
	s_waitcnt vmcnt(0)
	v_fma_f64 v[1:2], v[1:2], v[65:66], -v[68:69]
	v_fma_f64 v[3:4], v[3:4], v[65:66], v[15:16]
.LBB27_110:
	s_and_saveexec_b32 s8, s4
	s_cbranch_execz .LBB27_114
; %bb.111:
	v_add_nc_u32_e32 v15, -14, v0
	s_movk_i32 s37, 0x2a0
	s_mov_b32 s4, 0
	s_mov_b32 s38, s21
	.p2align	6
.LBB27_112:                             ; =>This Inner Loop Header: Depth=1
	v_mov_b32_e32 v16, s38
	v_add_nc_u32_e32 v15, -1, v15
	s_add_i32 s38, s38, 16
	s_clause 0x3
	buffer_load_dword v65, v16, s[0:3], 0 offen offset:8
	buffer_load_dword v66, v16, s[0:3], 0 offen offset:12
	buffer_load_dword v72, v16, s[0:3], 0 offen
	buffer_load_dword v73, v16, s[0:3], 0 offen offset:4
	v_mov_b32_e32 v16, s37
	v_cmp_eq_u32_e32 vcc_lo, 0, v15
	s_add_i32 s37, s37, 16
	ds_read_b128 v[68:71], v16
	s_or_b32 s4, vcc_lo, s4
	s_waitcnt vmcnt(2) lgkmcnt(0)
	v_mul_f64 v[74:75], v[70:71], v[65:66]
	v_mul_f64 v[65:66], v[68:69], v[65:66]
	s_waitcnt vmcnt(0)
	v_fma_f64 v[68:69], v[68:69], v[72:73], -v[74:75]
	v_fma_f64 v[65:66], v[70:71], v[72:73], v[65:66]
	v_add_f64 v[1:2], v[1:2], v[68:69]
	v_add_f64 v[3:4], v[3:4], v[65:66]
	s_andn2_b32 exec_lo, exec_lo, s4
	s_cbranch_execnz .LBB27_112
; %bb.113:
	s_or_b32 exec_lo, exec_lo, s4
.LBB27_114:
	s_or_b32 exec_lo, exec_lo, s8
	v_mov_b32_e32 v15, 0
	ds_read_b128 v[68:71], v15 offset:208
	s_waitcnt lgkmcnt(0)
	v_mul_f64 v[15:16], v[3:4], v[70:71]
	v_mul_f64 v[65:66], v[1:2], v[70:71]
	v_fma_f64 v[1:2], v[1:2], v[68:69], -v[15:16]
	v_fma_f64 v[3:4], v[3:4], v[68:69], v[65:66]
	buffer_store_dword v2, off, s[0:3], 0 offset:212
	buffer_store_dword v1, off, s[0:3], 0 offset:208
	;; [unrolled: 1-line block ×4, first 2 shown]
.LBB27_115:
	s_or_b32 exec_lo, exec_lo, s6
	v_mov_b32_e32 v4, s23
	v_cmp_lt_u32_e64 s4, 12, v0
	s_clause 0x3
	buffer_load_dword v1, v4, s[0:3], 0 offen
	buffer_load_dword v2, v4, s[0:3], 0 offen offset:4
	buffer_load_dword v3, v4, s[0:3], 0 offen offset:8
	;; [unrolled: 1-line block ×3, first 2 shown]
	s_waitcnt vmcnt(0)
	ds_write_b128 v14, v[1:4]
	s_waitcnt lgkmcnt(0)
	s_waitcnt_vscnt null, 0x0
	s_barrier
	buffer_gl0_inv
	s_and_saveexec_b32 s6, s4
	s_cbranch_execz .LBB27_123
; %bb.116:
	ds_read_b128 v[1:4], v14
	s_andn2_b32 vcc_lo, exec_lo, s36
	s_cbranch_vccnz .LBB27_118
; %bb.117:
	s_clause 0x3
	buffer_load_dword v15, v13, s[0:3], 0 offen offset:8
	buffer_load_dword v16, v13, s[0:3], 0 offen offset:12
	buffer_load_dword v65, v13, s[0:3], 0 offen
	buffer_load_dword v66, v13, s[0:3], 0 offen offset:4
	s_waitcnt vmcnt(2) lgkmcnt(0)
	v_mul_f64 v[68:69], v[3:4], v[15:16]
	v_mul_f64 v[15:16], v[1:2], v[15:16]
	s_waitcnt vmcnt(0)
	v_fma_f64 v[1:2], v[1:2], v[65:66], -v[68:69]
	v_fma_f64 v[3:4], v[3:4], v[65:66], v[15:16]
.LBB27_118:
	s_and_saveexec_b32 s8, s5
	s_cbranch_execz .LBB27_122
; %bb.119:
	v_add_nc_u32_e32 v15, -13, v0
	s_movk_i32 s37, 0x290
	s_mov_b32 s5, 0
	s_mov_b32 s38, s22
	.p2align	6
.LBB27_120:                             ; =>This Inner Loop Header: Depth=1
	v_mov_b32_e32 v16, s38
	v_add_nc_u32_e32 v15, -1, v15
	s_add_i32 s38, s38, 16
	s_clause 0x3
	buffer_load_dword v65, v16, s[0:3], 0 offen offset:8
	buffer_load_dword v66, v16, s[0:3], 0 offen offset:12
	buffer_load_dword v72, v16, s[0:3], 0 offen
	buffer_load_dword v73, v16, s[0:3], 0 offen offset:4
	v_mov_b32_e32 v16, s37
	v_cmp_eq_u32_e32 vcc_lo, 0, v15
	s_add_i32 s37, s37, 16
	ds_read_b128 v[68:71], v16
	s_or_b32 s5, vcc_lo, s5
	s_waitcnt vmcnt(2) lgkmcnt(0)
	v_mul_f64 v[74:75], v[70:71], v[65:66]
	v_mul_f64 v[65:66], v[68:69], v[65:66]
	s_waitcnt vmcnt(0)
	v_fma_f64 v[68:69], v[68:69], v[72:73], -v[74:75]
	v_fma_f64 v[65:66], v[70:71], v[72:73], v[65:66]
	v_add_f64 v[1:2], v[1:2], v[68:69]
	v_add_f64 v[3:4], v[3:4], v[65:66]
	s_andn2_b32 exec_lo, exec_lo, s5
	s_cbranch_execnz .LBB27_120
; %bb.121:
	s_or_b32 exec_lo, exec_lo, s5
.LBB27_122:
	s_or_b32 exec_lo, exec_lo, s8
	v_mov_b32_e32 v15, 0
	ds_read_b128 v[68:71], v15 offset:192
	s_waitcnt lgkmcnt(0)
	v_mul_f64 v[15:16], v[3:4], v[70:71]
	v_mul_f64 v[65:66], v[1:2], v[70:71]
	v_fma_f64 v[1:2], v[1:2], v[68:69], -v[15:16]
	v_fma_f64 v[3:4], v[3:4], v[68:69], v[65:66]
	buffer_store_dword v2, off, s[0:3], 0 offset:196
	buffer_store_dword v1, off, s[0:3], 0 offset:192
	;; [unrolled: 1-line block ×4, first 2 shown]
.LBB27_123:
	s_or_b32 exec_lo, exec_lo, s6
	v_mov_b32_e32 v4, s24
	v_cmp_lt_u32_e64 s5, 11, v0
	s_clause 0x3
	buffer_load_dword v1, v4, s[0:3], 0 offen
	buffer_load_dword v2, v4, s[0:3], 0 offen offset:4
	buffer_load_dword v3, v4, s[0:3], 0 offen offset:8
	;; [unrolled: 1-line block ×3, first 2 shown]
	s_waitcnt vmcnt(0)
	ds_write_b128 v14, v[1:4]
	s_waitcnt lgkmcnt(0)
	s_waitcnt_vscnt null, 0x0
	s_barrier
	buffer_gl0_inv
	s_and_saveexec_b32 s6, s5
	s_cbranch_execz .LBB27_131
; %bb.124:
	ds_read_b128 v[1:4], v14
	s_andn2_b32 vcc_lo, exec_lo, s36
	s_cbranch_vccnz .LBB27_126
; %bb.125:
	s_clause 0x3
	buffer_load_dword v15, v13, s[0:3], 0 offen offset:8
	buffer_load_dword v16, v13, s[0:3], 0 offen offset:12
	buffer_load_dword v65, v13, s[0:3], 0 offen
	buffer_load_dword v66, v13, s[0:3], 0 offen offset:4
	s_waitcnt vmcnt(2) lgkmcnt(0)
	v_mul_f64 v[68:69], v[3:4], v[15:16]
	v_mul_f64 v[15:16], v[1:2], v[15:16]
	s_waitcnt vmcnt(0)
	v_fma_f64 v[1:2], v[1:2], v[65:66], -v[68:69]
	v_fma_f64 v[3:4], v[3:4], v[65:66], v[15:16]
.LBB27_126:
	s_and_saveexec_b32 s8, s4
	s_cbranch_execz .LBB27_130
; %bb.127:
	v_add_nc_u32_e32 v15, -12, v0
	s_movk_i32 s37, 0x280
	s_mov_b32 s4, 0
	s_mov_b32 s38, s23
	.p2align	6
.LBB27_128:                             ; =>This Inner Loop Header: Depth=1
	v_mov_b32_e32 v16, s38
	v_add_nc_u32_e32 v15, -1, v15
	s_add_i32 s38, s38, 16
	s_clause 0x3
	buffer_load_dword v65, v16, s[0:3], 0 offen offset:8
	buffer_load_dword v66, v16, s[0:3], 0 offen offset:12
	buffer_load_dword v72, v16, s[0:3], 0 offen
	buffer_load_dword v73, v16, s[0:3], 0 offen offset:4
	v_mov_b32_e32 v16, s37
	v_cmp_eq_u32_e32 vcc_lo, 0, v15
	s_add_i32 s37, s37, 16
	ds_read_b128 v[68:71], v16
	s_or_b32 s4, vcc_lo, s4
	s_waitcnt vmcnt(2) lgkmcnt(0)
	v_mul_f64 v[74:75], v[70:71], v[65:66]
	v_mul_f64 v[65:66], v[68:69], v[65:66]
	s_waitcnt vmcnt(0)
	v_fma_f64 v[68:69], v[68:69], v[72:73], -v[74:75]
	v_fma_f64 v[65:66], v[70:71], v[72:73], v[65:66]
	v_add_f64 v[1:2], v[1:2], v[68:69]
	v_add_f64 v[3:4], v[3:4], v[65:66]
	s_andn2_b32 exec_lo, exec_lo, s4
	s_cbranch_execnz .LBB27_128
; %bb.129:
	s_or_b32 exec_lo, exec_lo, s4
.LBB27_130:
	s_or_b32 exec_lo, exec_lo, s8
	v_mov_b32_e32 v15, 0
	ds_read_b128 v[68:71], v15 offset:176
	s_waitcnt lgkmcnt(0)
	v_mul_f64 v[15:16], v[3:4], v[70:71]
	v_mul_f64 v[65:66], v[1:2], v[70:71]
	v_fma_f64 v[1:2], v[1:2], v[68:69], -v[15:16]
	v_fma_f64 v[3:4], v[3:4], v[68:69], v[65:66]
	buffer_store_dword v2, off, s[0:3], 0 offset:180
	buffer_store_dword v1, off, s[0:3], 0 offset:176
	buffer_store_dword v4, off, s[0:3], 0 offset:188
	buffer_store_dword v3, off, s[0:3], 0 offset:184
.LBB27_131:
	s_or_b32 exec_lo, exec_lo, s6
	v_mov_b32_e32 v4, s25
	v_cmp_lt_u32_e64 s4, 10, v0
	s_clause 0x3
	buffer_load_dword v1, v4, s[0:3], 0 offen
	buffer_load_dword v2, v4, s[0:3], 0 offen offset:4
	buffer_load_dword v3, v4, s[0:3], 0 offen offset:8
	;; [unrolled: 1-line block ×3, first 2 shown]
	s_waitcnt vmcnt(0)
	ds_write_b128 v14, v[1:4]
	s_waitcnt lgkmcnt(0)
	s_waitcnt_vscnt null, 0x0
	s_barrier
	buffer_gl0_inv
	s_and_saveexec_b32 s6, s4
	s_cbranch_execz .LBB27_139
; %bb.132:
	ds_read_b128 v[1:4], v14
	s_andn2_b32 vcc_lo, exec_lo, s36
	s_cbranch_vccnz .LBB27_134
; %bb.133:
	s_clause 0x3
	buffer_load_dword v15, v13, s[0:3], 0 offen offset:8
	buffer_load_dword v16, v13, s[0:3], 0 offen offset:12
	buffer_load_dword v65, v13, s[0:3], 0 offen
	buffer_load_dword v66, v13, s[0:3], 0 offen offset:4
	s_waitcnt vmcnt(2) lgkmcnt(0)
	v_mul_f64 v[68:69], v[3:4], v[15:16]
	v_mul_f64 v[15:16], v[1:2], v[15:16]
	s_waitcnt vmcnt(0)
	v_fma_f64 v[1:2], v[1:2], v[65:66], -v[68:69]
	v_fma_f64 v[3:4], v[3:4], v[65:66], v[15:16]
.LBB27_134:
	s_and_saveexec_b32 s8, s5
	s_cbranch_execz .LBB27_138
; %bb.135:
	v_add_nc_u32_e32 v15, -11, v0
	s_movk_i32 s37, 0x270
	s_mov_b32 s5, 0
	s_mov_b32 s38, s24
	.p2align	6
.LBB27_136:                             ; =>This Inner Loop Header: Depth=1
	v_mov_b32_e32 v16, s38
	v_add_nc_u32_e32 v15, -1, v15
	s_add_i32 s38, s38, 16
	s_clause 0x3
	buffer_load_dword v65, v16, s[0:3], 0 offen offset:8
	buffer_load_dword v66, v16, s[0:3], 0 offen offset:12
	buffer_load_dword v72, v16, s[0:3], 0 offen
	buffer_load_dword v73, v16, s[0:3], 0 offen offset:4
	v_mov_b32_e32 v16, s37
	v_cmp_eq_u32_e32 vcc_lo, 0, v15
	s_add_i32 s37, s37, 16
	ds_read_b128 v[68:71], v16
	s_or_b32 s5, vcc_lo, s5
	s_waitcnt vmcnt(2) lgkmcnt(0)
	v_mul_f64 v[74:75], v[70:71], v[65:66]
	v_mul_f64 v[65:66], v[68:69], v[65:66]
	s_waitcnt vmcnt(0)
	v_fma_f64 v[68:69], v[68:69], v[72:73], -v[74:75]
	v_fma_f64 v[65:66], v[70:71], v[72:73], v[65:66]
	v_add_f64 v[1:2], v[1:2], v[68:69]
	v_add_f64 v[3:4], v[3:4], v[65:66]
	s_andn2_b32 exec_lo, exec_lo, s5
	s_cbranch_execnz .LBB27_136
; %bb.137:
	s_or_b32 exec_lo, exec_lo, s5
.LBB27_138:
	s_or_b32 exec_lo, exec_lo, s8
	v_mov_b32_e32 v15, 0
	ds_read_b128 v[68:71], v15 offset:160
	s_waitcnt lgkmcnt(0)
	v_mul_f64 v[15:16], v[3:4], v[70:71]
	v_mul_f64 v[65:66], v[1:2], v[70:71]
	v_fma_f64 v[1:2], v[1:2], v[68:69], -v[15:16]
	v_fma_f64 v[3:4], v[3:4], v[68:69], v[65:66]
	buffer_store_dword v2, off, s[0:3], 0 offset:164
	buffer_store_dword v1, off, s[0:3], 0 offset:160
	;; [unrolled: 1-line block ×4, first 2 shown]
.LBB27_139:
	s_or_b32 exec_lo, exec_lo, s6
	v_mov_b32_e32 v4, s26
	v_cmp_lt_u32_e64 s5, 9, v0
	s_clause 0x3
	buffer_load_dword v1, v4, s[0:3], 0 offen
	buffer_load_dword v2, v4, s[0:3], 0 offen offset:4
	buffer_load_dword v3, v4, s[0:3], 0 offen offset:8
	;; [unrolled: 1-line block ×3, first 2 shown]
	s_waitcnt vmcnt(0)
	ds_write_b128 v14, v[1:4]
	s_waitcnt lgkmcnt(0)
	s_waitcnt_vscnt null, 0x0
	s_barrier
	buffer_gl0_inv
	s_and_saveexec_b32 s6, s5
	s_cbranch_execz .LBB27_147
; %bb.140:
	ds_read_b128 v[1:4], v14
	s_andn2_b32 vcc_lo, exec_lo, s36
	s_cbranch_vccnz .LBB27_142
; %bb.141:
	s_clause 0x3
	buffer_load_dword v15, v13, s[0:3], 0 offen offset:8
	buffer_load_dword v16, v13, s[0:3], 0 offen offset:12
	buffer_load_dword v65, v13, s[0:3], 0 offen
	buffer_load_dword v66, v13, s[0:3], 0 offen offset:4
	s_waitcnt vmcnt(2) lgkmcnt(0)
	v_mul_f64 v[68:69], v[3:4], v[15:16]
	v_mul_f64 v[15:16], v[1:2], v[15:16]
	s_waitcnt vmcnt(0)
	v_fma_f64 v[1:2], v[1:2], v[65:66], -v[68:69]
	v_fma_f64 v[3:4], v[3:4], v[65:66], v[15:16]
.LBB27_142:
	s_and_saveexec_b32 s8, s4
	s_cbranch_execz .LBB27_146
; %bb.143:
	v_add_nc_u32_e32 v15, -10, v0
	s_movk_i32 s37, 0x260
	s_mov_b32 s4, 0
	s_mov_b32 s38, s25
	.p2align	6
.LBB27_144:                             ; =>This Inner Loop Header: Depth=1
	v_mov_b32_e32 v16, s38
	v_add_nc_u32_e32 v15, -1, v15
	s_add_i32 s38, s38, 16
	s_clause 0x3
	buffer_load_dword v65, v16, s[0:3], 0 offen offset:8
	buffer_load_dword v66, v16, s[0:3], 0 offen offset:12
	buffer_load_dword v72, v16, s[0:3], 0 offen
	buffer_load_dword v73, v16, s[0:3], 0 offen offset:4
	v_mov_b32_e32 v16, s37
	v_cmp_eq_u32_e32 vcc_lo, 0, v15
	s_add_i32 s37, s37, 16
	ds_read_b128 v[68:71], v16
	s_or_b32 s4, vcc_lo, s4
	s_waitcnt vmcnt(2) lgkmcnt(0)
	v_mul_f64 v[74:75], v[70:71], v[65:66]
	v_mul_f64 v[65:66], v[68:69], v[65:66]
	s_waitcnt vmcnt(0)
	v_fma_f64 v[68:69], v[68:69], v[72:73], -v[74:75]
	v_fma_f64 v[65:66], v[70:71], v[72:73], v[65:66]
	v_add_f64 v[1:2], v[1:2], v[68:69]
	v_add_f64 v[3:4], v[3:4], v[65:66]
	s_andn2_b32 exec_lo, exec_lo, s4
	s_cbranch_execnz .LBB27_144
; %bb.145:
	s_or_b32 exec_lo, exec_lo, s4
.LBB27_146:
	s_or_b32 exec_lo, exec_lo, s8
	v_mov_b32_e32 v15, 0
	ds_read_b128 v[68:71], v15 offset:144
	s_waitcnt lgkmcnt(0)
	v_mul_f64 v[15:16], v[3:4], v[70:71]
	v_mul_f64 v[65:66], v[1:2], v[70:71]
	v_fma_f64 v[1:2], v[1:2], v[68:69], -v[15:16]
	v_fma_f64 v[3:4], v[3:4], v[68:69], v[65:66]
	buffer_store_dword v2, off, s[0:3], 0 offset:148
	buffer_store_dword v1, off, s[0:3], 0 offset:144
	;; [unrolled: 1-line block ×4, first 2 shown]
.LBB27_147:
	s_or_b32 exec_lo, exec_lo, s6
	v_mov_b32_e32 v4, s27
	v_cmp_lt_u32_e64 s4, 8, v0
	s_clause 0x3
	buffer_load_dword v1, v4, s[0:3], 0 offen
	buffer_load_dword v2, v4, s[0:3], 0 offen offset:4
	buffer_load_dword v3, v4, s[0:3], 0 offen offset:8
	buffer_load_dword v4, v4, s[0:3], 0 offen offset:12
	s_waitcnt vmcnt(0)
	ds_write_b128 v14, v[1:4]
	s_waitcnt lgkmcnt(0)
	s_waitcnt_vscnt null, 0x0
	s_barrier
	buffer_gl0_inv
	s_and_saveexec_b32 s6, s4
	s_cbranch_execz .LBB27_155
; %bb.148:
	ds_read_b128 v[1:4], v14
	s_andn2_b32 vcc_lo, exec_lo, s36
	s_cbranch_vccnz .LBB27_150
; %bb.149:
	s_clause 0x3
	buffer_load_dword v15, v13, s[0:3], 0 offen offset:8
	buffer_load_dword v16, v13, s[0:3], 0 offen offset:12
	buffer_load_dword v65, v13, s[0:3], 0 offen
	buffer_load_dword v66, v13, s[0:3], 0 offen offset:4
	s_waitcnt vmcnt(2) lgkmcnt(0)
	v_mul_f64 v[68:69], v[3:4], v[15:16]
	v_mul_f64 v[15:16], v[1:2], v[15:16]
	s_waitcnt vmcnt(0)
	v_fma_f64 v[1:2], v[1:2], v[65:66], -v[68:69]
	v_fma_f64 v[3:4], v[3:4], v[65:66], v[15:16]
.LBB27_150:
	s_and_saveexec_b32 s8, s5
	s_cbranch_execz .LBB27_154
; %bb.151:
	v_add_nc_u32_e32 v15, -9, v0
	s_movk_i32 s37, 0x250
	s_mov_b32 s5, 0
	s_mov_b32 s38, s26
	.p2align	6
.LBB27_152:                             ; =>This Inner Loop Header: Depth=1
	v_mov_b32_e32 v16, s38
	v_add_nc_u32_e32 v15, -1, v15
	s_add_i32 s38, s38, 16
	s_clause 0x3
	buffer_load_dword v65, v16, s[0:3], 0 offen offset:8
	buffer_load_dword v66, v16, s[0:3], 0 offen offset:12
	buffer_load_dword v72, v16, s[0:3], 0 offen
	buffer_load_dword v73, v16, s[0:3], 0 offen offset:4
	v_mov_b32_e32 v16, s37
	v_cmp_eq_u32_e32 vcc_lo, 0, v15
	s_add_i32 s37, s37, 16
	ds_read_b128 v[68:71], v16
	s_or_b32 s5, vcc_lo, s5
	s_waitcnt vmcnt(2) lgkmcnt(0)
	v_mul_f64 v[74:75], v[70:71], v[65:66]
	v_mul_f64 v[65:66], v[68:69], v[65:66]
	s_waitcnt vmcnt(0)
	v_fma_f64 v[68:69], v[68:69], v[72:73], -v[74:75]
	v_fma_f64 v[65:66], v[70:71], v[72:73], v[65:66]
	v_add_f64 v[1:2], v[1:2], v[68:69]
	v_add_f64 v[3:4], v[3:4], v[65:66]
	s_andn2_b32 exec_lo, exec_lo, s5
	s_cbranch_execnz .LBB27_152
; %bb.153:
	s_or_b32 exec_lo, exec_lo, s5
.LBB27_154:
	s_or_b32 exec_lo, exec_lo, s8
	v_mov_b32_e32 v15, 0
	ds_read_b128 v[68:71], v15 offset:128
	s_waitcnt lgkmcnt(0)
	v_mul_f64 v[15:16], v[3:4], v[70:71]
	v_mul_f64 v[65:66], v[1:2], v[70:71]
	v_fma_f64 v[1:2], v[1:2], v[68:69], -v[15:16]
	v_fma_f64 v[3:4], v[3:4], v[68:69], v[65:66]
	buffer_store_dword v2, off, s[0:3], 0 offset:132
	buffer_store_dword v1, off, s[0:3], 0 offset:128
	;; [unrolled: 1-line block ×4, first 2 shown]
.LBB27_155:
	s_or_b32 exec_lo, exec_lo, s6
	v_mov_b32_e32 v4, s28
	v_cmp_lt_u32_e64 s5, 7, v0
	s_clause 0x3
	buffer_load_dword v1, v4, s[0:3], 0 offen
	buffer_load_dword v2, v4, s[0:3], 0 offen offset:4
	buffer_load_dword v3, v4, s[0:3], 0 offen offset:8
	;; [unrolled: 1-line block ×3, first 2 shown]
	s_waitcnt vmcnt(0)
	ds_write_b128 v14, v[1:4]
	s_waitcnt lgkmcnt(0)
	s_waitcnt_vscnt null, 0x0
	s_barrier
	buffer_gl0_inv
	s_and_saveexec_b32 s6, s5
	s_cbranch_execz .LBB27_163
; %bb.156:
	ds_read_b128 v[1:4], v14
	s_andn2_b32 vcc_lo, exec_lo, s36
	s_cbranch_vccnz .LBB27_158
; %bb.157:
	s_clause 0x3
	buffer_load_dword v15, v13, s[0:3], 0 offen offset:8
	buffer_load_dword v16, v13, s[0:3], 0 offen offset:12
	buffer_load_dword v65, v13, s[0:3], 0 offen
	buffer_load_dword v66, v13, s[0:3], 0 offen offset:4
	s_waitcnt vmcnt(2) lgkmcnt(0)
	v_mul_f64 v[68:69], v[3:4], v[15:16]
	v_mul_f64 v[15:16], v[1:2], v[15:16]
	s_waitcnt vmcnt(0)
	v_fma_f64 v[1:2], v[1:2], v[65:66], -v[68:69]
	v_fma_f64 v[3:4], v[3:4], v[65:66], v[15:16]
.LBB27_158:
	s_and_saveexec_b32 s8, s4
	s_cbranch_execz .LBB27_162
; %bb.159:
	v_add_nc_u32_e32 v15, -8, v0
	s_movk_i32 s37, 0x240
	s_mov_b32 s4, 0
	s_mov_b32 s38, s27
	.p2align	6
.LBB27_160:                             ; =>This Inner Loop Header: Depth=1
	v_mov_b32_e32 v16, s38
	v_add_nc_u32_e32 v15, -1, v15
	s_add_i32 s38, s38, 16
	s_clause 0x3
	buffer_load_dword v65, v16, s[0:3], 0 offen offset:8
	buffer_load_dword v66, v16, s[0:3], 0 offen offset:12
	buffer_load_dword v72, v16, s[0:3], 0 offen
	buffer_load_dword v73, v16, s[0:3], 0 offen offset:4
	v_mov_b32_e32 v16, s37
	v_cmp_eq_u32_e32 vcc_lo, 0, v15
	s_add_i32 s37, s37, 16
	ds_read_b128 v[68:71], v16
	s_or_b32 s4, vcc_lo, s4
	s_waitcnt vmcnt(2) lgkmcnt(0)
	v_mul_f64 v[74:75], v[70:71], v[65:66]
	v_mul_f64 v[65:66], v[68:69], v[65:66]
	s_waitcnt vmcnt(0)
	v_fma_f64 v[68:69], v[68:69], v[72:73], -v[74:75]
	v_fma_f64 v[65:66], v[70:71], v[72:73], v[65:66]
	v_add_f64 v[1:2], v[1:2], v[68:69]
	v_add_f64 v[3:4], v[3:4], v[65:66]
	s_andn2_b32 exec_lo, exec_lo, s4
	s_cbranch_execnz .LBB27_160
; %bb.161:
	s_or_b32 exec_lo, exec_lo, s4
.LBB27_162:
	s_or_b32 exec_lo, exec_lo, s8
	v_mov_b32_e32 v15, 0
	ds_read_b128 v[68:71], v15 offset:112
	s_waitcnt lgkmcnt(0)
	v_mul_f64 v[15:16], v[3:4], v[70:71]
	v_mul_f64 v[65:66], v[1:2], v[70:71]
	v_fma_f64 v[1:2], v[1:2], v[68:69], -v[15:16]
	v_fma_f64 v[3:4], v[3:4], v[68:69], v[65:66]
	buffer_store_dword v2, off, s[0:3], 0 offset:116
	buffer_store_dword v1, off, s[0:3], 0 offset:112
	;; [unrolled: 1-line block ×4, first 2 shown]
.LBB27_163:
	s_or_b32 exec_lo, exec_lo, s6
	v_mov_b32_e32 v4, s29
	v_cmp_lt_u32_e64 s4, 6, v0
	s_clause 0x3
	buffer_load_dword v1, v4, s[0:3], 0 offen
	buffer_load_dword v2, v4, s[0:3], 0 offen offset:4
	buffer_load_dword v3, v4, s[0:3], 0 offen offset:8
	;; [unrolled: 1-line block ×3, first 2 shown]
	s_waitcnt vmcnt(0)
	ds_write_b128 v14, v[1:4]
	s_waitcnt lgkmcnt(0)
	s_waitcnt_vscnt null, 0x0
	s_barrier
	buffer_gl0_inv
	s_and_saveexec_b32 s6, s4
	s_cbranch_execz .LBB27_171
; %bb.164:
	ds_read_b128 v[1:4], v14
	s_andn2_b32 vcc_lo, exec_lo, s36
	s_cbranch_vccnz .LBB27_166
; %bb.165:
	s_clause 0x3
	buffer_load_dword v15, v13, s[0:3], 0 offen offset:8
	buffer_load_dword v16, v13, s[0:3], 0 offen offset:12
	buffer_load_dword v65, v13, s[0:3], 0 offen
	buffer_load_dword v66, v13, s[0:3], 0 offen offset:4
	s_waitcnt vmcnt(2) lgkmcnt(0)
	v_mul_f64 v[68:69], v[3:4], v[15:16]
	v_mul_f64 v[15:16], v[1:2], v[15:16]
	s_waitcnt vmcnt(0)
	v_fma_f64 v[1:2], v[1:2], v[65:66], -v[68:69]
	v_fma_f64 v[3:4], v[3:4], v[65:66], v[15:16]
.LBB27_166:
	s_and_saveexec_b32 s8, s5
	s_cbranch_execz .LBB27_170
; %bb.167:
	v_add_nc_u32_e32 v15, -7, v0
	s_movk_i32 s37, 0x230
	s_mov_b32 s5, 0
	s_mov_b32 s38, s28
	.p2align	6
.LBB27_168:                             ; =>This Inner Loop Header: Depth=1
	v_mov_b32_e32 v16, s38
	v_add_nc_u32_e32 v15, -1, v15
	s_add_i32 s38, s38, 16
	s_clause 0x3
	buffer_load_dword v65, v16, s[0:3], 0 offen offset:8
	buffer_load_dword v66, v16, s[0:3], 0 offen offset:12
	buffer_load_dword v72, v16, s[0:3], 0 offen
	buffer_load_dword v73, v16, s[0:3], 0 offen offset:4
	v_mov_b32_e32 v16, s37
	v_cmp_eq_u32_e32 vcc_lo, 0, v15
	s_add_i32 s37, s37, 16
	ds_read_b128 v[68:71], v16
	s_or_b32 s5, vcc_lo, s5
	s_waitcnt vmcnt(2) lgkmcnt(0)
	v_mul_f64 v[74:75], v[70:71], v[65:66]
	v_mul_f64 v[65:66], v[68:69], v[65:66]
	s_waitcnt vmcnt(0)
	v_fma_f64 v[68:69], v[68:69], v[72:73], -v[74:75]
	v_fma_f64 v[65:66], v[70:71], v[72:73], v[65:66]
	v_add_f64 v[1:2], v[1:2], v[68:69]
	v_add_f64 v[3:4], v[3:4], v[65:66]
	s_andn2_b32 exec_lo, exec_lo, s5
	s_cbranch_execnz .LBB27_168
; %bb.169:
	s_or_b32 exec_lo, exec_lo, s5
.LBB27_170:
	s_or_b32 exec_lo, exec_lo, s8
	v_mov_b32_e32 v15, 0
	ds_read_b128 v[68:71], v15 offset:96
	s_waitcnt lgkmcnt(0)
	v_mul_f64 v[15:16], v[3:4], v[70:71]
	v_mul_f64 v[65:66], v[1:2], v[70:71]
	v_fma_f64 v[1:2], v[1:2], v[68:69], -v[15:16]
	v_fma_f64 v[3:4], v[3:4], v[68:69], v[65:66]
	buffer_store_dword v2, off, s[0:3], 0 offset:100
	buffer_store_dword v1, off, s[0:3], 0 offset:96
	;; [unrolled: 1-line block ×4, first 2 shown]
.LBB27_171:
	s_or_b32 exec_lo, exec_lo, s6
	v_mov_b32_e32 v4, s30
	v_cmp_lt_u32_e64 s5, 5, v0
	s_clause 0x3
	buffer_load_dword v1, v4, s[0:3], 0 offen
	buffer_load_dword v2, v4, s[0:3], 0 offen offset:4
	buffer_load_dword v3, v4, s[0:3], 0 offen offset:8
	;; [unrolled: 1-line block ×3, first 2 shown]
	s_waitcnt vmcnt(0)
	ds_write_b128 v14, v[1:4]
	s_waitcnt lgkmcnt(0)
	s_waitcnt_vscnt null, 0x0
	s_barrier
	buffer_gl0_inv
	s_and_saveexec_b32 s6, s5
	s_cbranch_execz .LBB27_179
; %bb.172:
	ds_read_b128 v[1:4], v14
	s_andn2_b32 vcc_lo, exec_lo, s36
	s_cbranch_vccnz .LBB27_174
; %bb.173:
	s_clause 0x3
	buffer_load_dword v15, v13, s[0:3], 0 offen offset:8
	buffer_load_dword v16, v13, s[0:3], 0 offen offset:12
	buffer_load_dword v65, v13, s[0:3], 0 offen
	buffer_load_dword v66, v13, s[0:3], 0 offen offset:4
	s_waitcnt vmcnt(2) lgkmcnt(0)
	v_mul_f64 v[68:69], v[3:4], v[15:16]
	v_mul_f64 v[15:16], v[1:2], v[15:16]
	s_waitcnt vmcnt(0)
	v_fma_f64 v[1:2], v[1:2], v[65:66], -v[68:69]
	v_fma_f64 v[3:4], v[3:4], v[65:66], v[15:16]
.LBB27_174:
	s_and_saveexec_b32 s8, s4
	s_cbranch_execz .LBB27_178
; %bb.175:
	v_add_nc_u32_e32 v15, -6, v0
	s_movk_i32 s37, 0x220
	s_mov_b32 s4, 0
	s_mov_b32 s38, s29
	.p2align	6
.LBB27_176:                             ; =>This Inner Loop Header: Depth=1
	v_mov_b32_e32 v16, s38
	v_add_nc_u32_e32 v15, -1, v15
	s_add_i32 s38, s38, 16
	s_clause 0x3
	buffer_load_dword v65, v16, s[0:3], 0 offen offset:8
	buffer_load_dword v66, v16, s[0:3], 0 offen offset:12
	buffer_load_dword v72, v16, s[0:3], 0 offen
	buffer_load_dword v73, v16, s[0:3], 0 offen offset:4
	v_mov_b32_e32 v16, s37
	v_cmp_eq_u32_e32 vcc_lo, 0, v15
	s_add_i32 s37, s37, 16
	ds_read_b128 v[68:71], v16
	s_or_b32 s4, vcc_lo, s4
	s_waitcnt vmcnt(2) lgkmcnt(0)
	v_mul_f64 v[74:75], v[70:71], v[65:66]
	v_mul_f64 v[65:66], v[68:69], v[65:66]
	s_waitcnt vmcnt(0)
	v_fma_f64 v[68:69], v[68:69], v[72:73], -v[74:75]
	v_fma_f64 v[65:66], v[70:71], v[72:73], v[65:66]
	v_add_f64 v[1:2], v[1:2], v[68:69]
	v_add_f64 v[3:4], v[3:4], v[65:66]
	s_andn2_b32 exec_lo, exec_lo, s4
	s_cbranch_execnz .LBB27_176
; %bb.177:
	s_or_b32 exec_lo, exec_lo, s4
.LBB27_178:
	s_or_b32 exec_lo, exec_lo, s8
	v_mov_b32_e32 v15, 0
	ds_read_b128 v[68:71], v15 offset:80
	s_waitcnt lgkmcnt(0)
	v_mul_f64 v[15:16], v[3:4], v[70:71]
	v_mul_f64 v[65:66], v[1:2], v[70:71]
	v_fma_f64 v[1:2], v[1:2], v[68:69], -v[15:16]
	v_fma_f64 v[3:4], v[3:4], v[68:69], v[65:66]
	buffer_store_dword v2, off, s[0:3], 0 offset:84
	buffer_store_dword v1, off, s[0:3], 0 offset:80
	;; [unrolled: 1-line block ×4, first 2 shown]
.LBB27_179:
	s_or_b32 exec_lo, exec_lo, s6
	v_mov_b32_e32 v4, s31
	v_cmp_lt_u32_e64 s4, 4, v0
	s_clause 0x3
	buffer_load_dword v1, v4, s[0:3], 0 offen
	buffer_load_dword v2, v4, s[0:3], 0 offen offset:4
	buffer_load_dword v3, v4, s[0:3], 0 offen offset:8
	buffer_load_dword v4, v4, s[0:3], 0 offen offset:12
	s_waitcnt vmcnt(0)
	ds_write_b128 v14, v[1:4]
	s_waitcnt lgkmcnt(0)
	s_waitcnt_vscnt null, 0x0
	s_barrier
	buffer_gl0_inv
	s_and_saveexec_b32 s6, s4
	s_cbranch_execz .LBB27_187
; %bb.180:
	ds_read_b128 v[1:4], v14
	s_andn2_b32 vcc_lo, exec_lo, s36
	s_cbranch_vccnz .LBB27_182
; %bb.181:
	s_clause 0x3
	buffer_load_dword v15, v13, s[0:3], 0 offen offset:8
	buffer_load_dword v16, v13, s[0:3], 0 offen offset:12
	buffer_load_dword v65, v13, s[0:3], 0 offen
	buffer_load_dword v66, v13, s[0:3], 0 offen offset:4
	s_waitcnt vmcnt(2) lgkmcnt(0)
	v_mul_f64 v[68:69], v[3:4], v[15:16]
	v_mul_f64 v[15:16], v[1:2], v[15:16]
	s_waitcnt vmcnt(0)
	v_fma_f64 v[1:2], v[1:2], v[65:66], -v[68:69]
	v_fma_f64 v[3:4], v[3:4], v[65:66], v[15:16]
.LBB27_182:
	s_and_saveexec_b32 s8, s5
	s_cbranch_execz .LBB27_186
; %bb.183:
	v_add_nc_u32_e32 v15, -5, v0
	s_movk_i32 s37, 0x210
	s_mov_b32 s5, 0
	s_mov_b32 s38, s30
	.p2align	6
.LBB27_184:                             ; =>This Inner Loop Header: Depth=1
	v_mov_b32_e32 v16, s38
	v_add_nc_u32_e32 v15, -1, v15
	s_add_i32 s38, s38, 16
	s_clause 0x3
	buffer_load_dword v65, v16, s[0:3], 0 offen offset:8
	buffer_load_dword v66, v16, s[0:3], 0 offen offset:12
	buffer_load_dword v72, v16, s[0:3], 0 offen
	buffer_load_dword v73, v16, s[0:3], 0 offen offset:4
	v_mov_b32_e32 v16, s37
	v_cmp_eq_u32_e32 vcc_lo, 0, v15
	s_add_i32 s37, s37, 16
	ds_read_b128 v[68:71], v16
	s_or_b32 s5, vcc_lo, s5
	s_waitcnt vmcnt(2) lgkmcnt(0)
	v_mul_f64 v[74:75], v[70:71], v[65:66]
	v_mul_f64 v[65:66], v[68:69], v[65:66]
	s_waitcnt vmcnt(0)
	v_fma_f64 v[68:69], v[68:69], v[72:73], -v[74:75]
	v_fma_f64 v[65:66], v[70:71], v[72:73], v[65:66]
	v_add_f64 v[1:2], v[1:2], v[68:69]
	v_add_f64 v[3:4], v[3:4], v[65:66]
	s_andn2_b32 exec_lo, exec_lo, s5
	s_cbranch_execnz .LBB27_184
; %bb.185:
	s_or_b32 exec_lo, exec_lo, s5
.LBB27_186:
	s_or_b32 exec_lo, exec_lo, s8
	v_mov_b32_e32 v15, 0
	ds_read_b128 v[68:71], v15 offset:64
	s_waitcnt lgkmcnt(0)
	v_mul_f64 v[15:16], v[3:4], v[70:71]
	v_mul_f64 v[65:66], v[1:2], v[70:71]
	v_fma_f64 v[1:2], v[1:2], v[68:69], -v[15:16]
	v_fma_f64 v[3:4], v[3:4], v[68:69], v[65:66]
	buffer_store_dword v2, off, s[0:3], 0 offset:68
	buffer_store_dword v1, off, s[0:3], 0 offset:64
	;; [unrolled: 1-line block ×4, first 2 shown]
.LBB27_187:
	s_or_b32 exec_lo, exec_lo, s6
	v_mov_b32_e32 v4, s33
	v_cmp_lt_u32_e64 s5, 3, v0
	s_clause 0x3
	buffer_load_dword v1, v4, s[0:3], 0 offen
	buffer_load_dword v2, v4, s[0:3], 0 offen offset:4
	buffer_load_dword v3, v4, s[0:3], 0 offen offset:8
	;; [unrolled: 1-line block ×3, first 2 shown]
	s_waitcnt vmcnt(0)
	ds_write_b128 v14, v[1:4]
	s_waitcnt lgkmcnt(0)
	s_waitcnt_vscnt null, 0x0
	s_barrier
	buffer_gl0_inv
	s_and_saveexec_b32 s6, s5
	s_cbranch_execz .LBB27_195
; %bb.188:
	ds_read_b128 v[1:4], v14
	s_andn2_b32 vcc_lo, exec_lo, s36
	s_cbranch_vccnz .LBB27_190
; %bb.189:
	s_clause 0x3
	buffer_load_dword v15, v13, s[0:3], 0 offen offset:8
	buffer_load_dword v16, v13, s[0:3], 0 offen offset:12
	buffer_load_dword v65, v13, s[0:3], 0 offen
	buffer_load_dword v66, v13, s[0:3], 0 offen offset:4
	s_waitcnt vmcnt(2) lgkmcnt(0)
	v_mul_f64 v[68:69], v[3:4], v[15:16]
	v_mul_f64 v[15:16], v[1:2], v[15:16]
	s_waitcnt vmcnt(0)
	v_fma_f64 v[1:2], v[1:2], v[65:66], -v[68:69]
	v_fma_f64 v[3:4], v[3:4], v[65:66], v[15:16]
.LBB27_190:
	s_and_saveexec_b32 s8, s4
	s_cbranch_execz .LBB27_194
; %bb.191:
	v_add_nc_u32_e32 v15, -4, v0
	s_movk_i32 s37, 0x200
	s_mov_b32 s4, 0
	s_mov_b32 s38, s31
	.p2align	6
.LBB27_192:                             ; =>This Inner Loop Header: Depth=1
	v_mov_b32_e32 v16, s38
	v_add_nc_u32_e32 v15, -1, v15
	s_add_i32 s38, s38, 16
	s_clause 0x3
	buffer_load_dword v65, v16, s[0:3], 0 offen offset:8
	buffer_load_dword v66, v16, s[0:3], 0 offen offset:12
	buffer_load_dword v72, v16, s[0:3], 0 offen
	buffer_load_dword v73, v16, s[0:3], 0 offen offset:4
	v_mov_b32_e32 v16, s37
	v_cmp_eq_u32_e32 vcc_lo, 0, v15
	s_add_i32 s37, s37, 16
	ds_read_b128 v[68:71], v16
	s_or_b32 s4, vcc_lo, s4
	s_waitcnt vmcnt(2) lgkmcnt(0)
	v_mul_f64 v[74:75], v[70:71], v[65:66]
	v_mul_f64 v[65:66], v[68:69], v[65:66]
	s_waitcnt vmcnt(0)
	v_fma_f64 v[68:69], v[68:69], v[72:73], -v[74:75]
	v_fma_f64 v[65:66], v[70:71], v[72:73], v[65:66]
	v_add_f64 v[1:2], v[1:2], v[68:69]
	v_add_f64 v[3:4], v[3:4], v[65:66]
	s_andn2_b32 exec_lo, exec_lo, s4
	s_cbranch_execnz .LBB27_192
; %bb.193:
	s_or_b32 exec_lo, exec_lo, s4
.LBB27_194:
	s_or_b32 exec_lo, exec_lo, s8
	v_mov_b32_e32 v15, 0
	ds_read_b128 v[68:71], v15 offset:48
	s_waitcnt lgkmcnt(0)
	v_mul_f64 v[15:16], v[3:4], v[70:71]
	v_mul_f64 v[65:66], v[1:2], v[70:71]
	v_fma_f64 v[1:2], v[1:2], v[68:69], -v[15:16]
	v_fma_f64 v[3:4], v[3:4], v[68:69], v[65:66]
	buffer_store_dword v2, off, s[0:3], 0 offset:52
	buffer_store_dword v1, off, s[0:3], 0 offset:48
	;; [unrolled: 1-line block ×4, first 2 shown]
.LBB27_195:
	s_or_b32 exec_lo, exec_lo, s6
	v_mov_b32_e32 v4, s35
	v_cmp_lt_u32_e64 s6, 2, v0
	s_clause 0x3
	buffer_load_dword v1, v4, s[0:3], 0 offen
	buffer_load_dword v2, v4, s[0:3], 0 offen offset:4
	buffer_load_dword v3, v4, s[0:3], 0 offen offset:8
	;; [unrolled: 1-line block ×3, first 2 shown]
	s_waitcnt vmcnt(0)
	ds_write_b128 v14, v[1:4]
	s_waitcnt lgkmcnt(0)
	s_waitcnt_vscnt null, 0x0
	s_barrier
	buffer_gl0_inv
	s_and_saveexec_b32 s4, s6
	s_cbranch_execz .LBB27_203
; %bb.196:
	ds_read_b128 v[1:4], v14
	s_andn2_b32 vcc_lo, exec_lo, s36
	s_cbranch_vccnz .LBB27_198
; %bb.197:
	s_clause 0x3
	buffer_load_dword v15, v13, s[0:3], 0 offen offset:8
	buffer_load_dword v16, v13, s[0:3], 0 offen offset:12
	buffer_load_dword v65, v13, s[0:3], 0 offen
	buffer_load_dword v66, v13, s[0:3], 0 offen offset:4
	s_waitcnt vmcnt(2) lgkmcnt(0)
	v_mul_f64 v[68:69], v[3:4], v[15:16]
	v_mul_f64 v[15:16], v[1:2], v[15:16]
	s_waitcnt vmcnt(0)
	v_fma_f64 v[1:2], v[1:2], v[65:66], -v[68:69]
	v_fma_f64 v[3:4], v[3:4], v[65:66], v[15:16]
.LBB27_198:
	s_and_saveexec_b32 s8, s5
	s_cbranch_execz .LBB27_202
; %bb.199:
	v_add_nc_u32_e32 v15, -3, v0
	s_movk_i32 s37, 0x1f0
	s_mov_b32 s5, 0
	s_mov_b32 s38, s33
	.p2align	6
.LBB27_200:                             ; =>This Inner Loop Header: Depth=1
	v_mov_b32_e32 v16, s38
	v_add_nc_u32_e32 v15, -1, v15
	s_add_i32 s38, s38, 16
	s_clause 0x3
	buffer_load_dword v65, v16, s[0:3], 0 offen offset:8
	buffer_load_dword v66, v16, s[0:3], 0 offen offset:12
	buffer_load_dword v72, v16, s[0:3], 0 offen
	buffer_load_dword v73, v16, s[0:3], 0 offen offset:4
	v_mov_b32_e32 v16, s37
	v_cmp_eq_u32_e32 vcc_lo, 0, v15
	s_add_i32 s37, s37, 16
	ds_read_b128 v[68:71], v16
	s_or_b32 s5, vcc_lo, s5
	s_waitcnt vmcnt(2) lgkmcnt(0)
	v_mul_f64 v[74:75], v[70:71], v[65:66]
	v_mul_f64 v[65:66], v[68:69], v[65:66]
	s_waitcnt vmcnt(0)
	v_fma_f64 v[68:69], v[68:69], v[72:73], -v[74:75]
	v_fma_f64 v[65:66], v[70:71], v[72:73], v[65:66]
	v_add_f64 v[1:2], v[1:2], v[68:69]
	v_add_f64 v[3:4], v[3:4], v[65:66]
	s_andn2_b32 exec_lo, exec_lo, s5
	s_cbranch_execnz .LBB27_200
; %bb.201:
	s_or_b32 exec_lo, exec_lo, s5
.LBB27_202:
	s_or_b32 exec_lo, exec_lo, s8
	v_mov_b32_e32 v15, 0
	ds_read_b128 v[68:71], v15 offset:32
	s_waitcnt lgkmcnt(0)
	v_mul_f64 v[15:16], v[3:4], v[70:71]
	v_mul_f64 v[65:66], v[1:2], v[70:71]
	v_fma_f64 v[1:2], v[1:2], v[68:69], -v[15:16]
	v_fma_f64 v[3:4], v[3:4], v[68:69], v[65:66]
	buffer_store_dword v2, off, s[0:3], 0 offset:36
	buffer_store_dword v1, off, s[0:3], 0 offset:32
	;; [unrolled: 1-line block ×4, first 2 shown]
.LBB27_203:
	s_or_b32 exec_lo, exec_lo, s4
	v_mov_b32_e32 v4, s34
	v_cmp_lt_u32_e64 s4, 1, v0
	s_clause 0x3
	buffer_load_dword v1, v4, s[0:3], 0 offen
	buffer_load_dword v2, v4, s[0:3], 0 offen offset:4
	buffer_load_dword v3, v4, s[0:3], 0 offen offset:8
	;; [unrolled: 1-line block ×3, first 2 shown]
	s_waitcnt vmcnt(0)
	ds_write_b128 v14, v[1:4]
	s_waitcnt lgkmcnt(0)
	s_waitcnt_vscnt null, 0x0
	s_barrier
	buffer_gl0_inv
	s_and_saveexec_b32 s5, s4
	s_cbranch_execz .LBB27_211
; %bb.204:
	ds_read_b128 v[1:4], v14
	s_andn2_b32 vcc_lo, exec_lo, s36
	s_cbranch_vccnz .LBB27_206
; %bb.205:
	s_clause 0x3
	buffer_load_dword v15, v13, s[0:3], 0 offen offset:8
	buffer_load_dword v16, v13, s[0:3], 0 offen offset:12
	buffer_load_dword v65, v13, s[0:3], 0 offen
	buffer_load_dword v66, v13, s[0:3], 0 offen offset:4
	s_waitcnt vmcnt(2) lgkmcnt(0)
	v_mul_f64 v[68:69], v[3:4], v[15:16]
	v_mul_f64 v[15:16], v[1:2], v[15:16]
	s_waitcnt vmcnt(0)
	v_fma_f64 v[1:2], v[1:2], v[65:66], -v[68:69]
	v_fma_f64 v[3:4], v[3:4], v[65:66], v[15:16]
.LBB27_206:
	s_and_saveexec_b32 s8, s6
	s_cbranch_execz .LBB27_210
; %bb.207:
	v_add_nc_u32_e32 v15, -2, v0
	s_movk_i32 s37, 0x1e0
	s_mov_b32 s6, 0
	s_mov_b32 s38, s35
	.p2align	6
.LBB27_208:                             ; =>This Inner Loop Header: Depth=1
	v_mov_b32_e32 v16, s38
	v_add_nc_u32_e32 v15, -1, v15
	s_add_i32 s38, s38, 16
	s_clause 0x3
	buffer_load_dword v65, v16, s[0:3], 0 offen offset:8
	buffer_load_dword v66, v16, s[0:3], 0 offen offset:12
	buffer_load_dword v72, v16, s[0:3], 0 offen
	buffer_load_dword v73, v16, s[0:3], 0 offen offset:4
	v_mov_b32_e32 v16, s37
	v_cmp_eq_u32_e32 vcc_lo, 0, v15
	s_add_i32 s37, s37, 16
	ds_read_b128 v[68:71], v16
	s_or_b32 s6, vcc_lo, s6
	s_waitcnt vmcnt(2) lgkmcnt(0)
	v_mul_f64 v[74:75], v[70:71], v[65:66]
	v_mul_f64 v[65:66], v[68:69], v[65:66]
	s_waitcnt vmcnt(0)
	v_fma_f64 v[68:69], v[68:69], v[72:73], -v[74:75]
	v_fma_f64 v[65:66], v[70:71], v[72:73], v[65:66]
	v_add_f64 v[1:2], v[1:2], v[68:69]
	v_add_f64 v[3:4], v[3:4], v[65:66]
	s_andn2_b32 exec_lo, exec_lo, s6
	s_cbranch_execnz .LBB27_208
; %bb.209:
	s_or_b32 exec_lo, exec_lo, s6
.LBB27_210:
	s_or_b32 exec_lo, exec_lo, s8
	v_mov_b32_e32 v15, 0
	ds_read_b128 v[68:71], v15 offset:16
	s_waitcnt lgkmcnt(0)
	v_mul_f64 v[15:16], v[3:4], v[70:71]
	v_mul_f64 v[65:66], v[1:2], v[70:71]
	v_fma_f64 v[1:2], v[1:2], v[68:69], -v[15:16]
	v_fma_f64 v[3:4], v[3:4], v[68:69], v[65:66]
	buffer_store_dword v2, off, s[0:3], 0 offset:20
	buffer_store_dword v1, off, s[0:3], 0 offset:16
	;; [unrolled: 1-line block ×4, first 2 shown]
.LBB27_211:
	s_or_b32 exec_lo, exec_lo, s5
	s_clause 0x3
	buffer_load_dword v1, off, s[0:3], 0
	buffer_load_dword v2, off, s[0:3], 0 offset:4
	buffer_load_dword v3, off, s[0:3], 0 offset:8
	;; [unrolled: 1-line block ×3, first 2 shown]
	s_mov_b32 s6, 0
	s_mov_b32 s5, 0
	s_mov_b32 s8, exec_lo
                                        ; implicit-def: $sgpr37
	s_waitcnt vmcnt(0)
	ds_write_b128 v14, v[1:4]
	s_waitcnt lgkmcnt(0)
	s_waitcnt_vscnt null, 0x0
	s_barrier
	buffer_gl0_inv
                                        ; implicit-def: $vgpr1_vgpr2
	v_cmpx_ne_u32_e32 0, v0
	s_cbranch_execz .LBB27_219
; %bb.212:
	ds_read_b128 v[1:4], v14
	s_andn2_b32 vcc_lo, exec_lo, s36
	s_cbranch_vccnz .LBB27_214
; %bb.213:
	s_clause 0x3
	buffer_load_dword v15, v13, s[0:3], 0 offen offset:8
	buffer_load_dword v16, v13, s[0:3], 0 offen offset:12
	buffer_load_dword v65, v13, s[0:3], 0 offen
	buffer_load_dword v66, v13, s[0:3], 0 offen offset:4
	s_waitcnt vmcnt(2) lgkmcnt(0)
	v_mul_f64 v[68:69], v[3:4], v[15:16]
	v_mul_f64 v[15:16], v[1:2], v[15:16]
	s_waitcnt vmcnt(0)
	v_fma_f64 v[1:2], v[1:2], v[65:66], -v[68:69]
	v_fma_f64 v[3:4], v[3:4], v[65:66], v[15:16]
.LBB27_214:
	s_and_saveexec_b32 s5, s4
	s_cbranch_execz .LBB27_218
; %bb.215:
	v_add_nc_u32_e32 v15, -1, v0
	s_movk_i32 s37, 0x1d0
	s_mov_b32 s4, 0
	s_mov_b32 s38, s34
	.p2align	6
.LBB27_216:                             ; =>This Inner Loop Header: Depth=1
	v_mov_b32_e32 v16, s38
	v_add_nc_u32_e32 v15, -1, v15
	s_add_i32 s38, s38, 16
	s_clause 0x3
	buffer_load_dword v65, v16, s[0:3], 0 offen offset:8
	buffer_load_dword v66, v16, s[0:3], 0 offen offset:12
	buffer_load_dword v72, v16, s[0:3], 0 offen
	buffer_load_dword v73, v16, s[0:3], 0 offen offset:4
	v_mov_b32_e32 v16, s37
	v_cmp_eq_u32_e32 vcc_lo, 0, v15
	s_add_i32 s37, s37, 16
	ds_read_b128 v[68:71], v16
	s_or_b32 s4, vcc_lo, s4
	s_waitcnt vmcnt(2) lgkmcnt(0)
	v_mul_f64 v[74:75], v[70:71], v[65:66]
	v_mul_f64 v[65:66], v[68:69], v[65:66]
	s_waitcnt vmcnt(0)
	v_fma_f64 v[68:69], v[68:69], v[72:73], -v[74:75]
	v_fma_f64 v[65:66], v[70:71], v[72:73], v[65:66]
	v_add_f64 v[1:2], v[1:2], v[68:69]
	v_add_f64 v[3:4], v[3:4], v[65:66]
	s_andn2_b32 exec_lo, exec_lo, s4
	s_cbranch_execnz .LBB27_216
; %bb.217:
	s_or_b32 exec_lo, exec_lo, s4
.LBB27_218:
	s_or_b32 exec_lo, exec_lo, s5
	v_mov_b32_e32 v15, 0
	s_mov_b32 s5, exec_lo
	s_or_b32 s37, 0, 8
	ds_read_b128 v[68:71], v15
	s_waitcnt lgkmcnt(0)
	v_mul_f64 v[15:16], v[3:4], v[70:71]
	v_mul_f64 v[65:66], v[1:2], v[70:71]
	v_fma_f64 v[15:16], v[1:2], v[68:69], -v[15:16]
	v_fma_f64 v[1:2], v[3:4], v[68:69], v[65:66]
	buffer_store_dword v16, off, s[0:3], 0 offset:4
	buffer_store_dword v15, off, s[0:3], 0
.LBB27_219:
	s_or_b32 exec_lo, exec_lo, s8
	s_and_b32 vcc_lo, exec_lo, s6
	s_cbranch_vccnz .LBB27_221
	s_branch .LBB27_432
.LBB27_220:
	s_mov_b32 s5, 0
                                        ; implicit-def: $vgpr1_vgpr2
                                        ; implicit-def: $sgpr37
	s_cbranch_execz .LBB27_432
.LBB27_221:
	v_mov_b32_e32 v4, s34
	v_cmp_eq_u32_e64 s4, 0, v0
	v_cndmask_b32_e64 v15, 0, 1, s36
	s_clause 0x3
	buffer_load_dword v1, v4, s[0:3], 0 offen
	buffer_load_dword v2, v4, s[0:3], 0 offen offset:4
	buffer_load_dword v3, v4, s[0:3], 0 offen offset:8
	;; [unrolled: 1-line block ×3, first 2 shown]
	s_waitcnt vmcnt(0)
	ds_write_b128 v14, v[1:4]
	s_waitcnt lgkmcnt(0)
	s_waitcnt_vscnt null, 0x0
	s_barrier
	buffer_gl0_inv
	s_and_saveexec_b32 s6, s4
	s_cbranch_execz .LBB27_225
; %bb.222:
	ds_read_b128 v[1:4], v14
	s_andn2_b32 vcc_lo, exec_lo, s36
	s_cbranch_vccnz .LBB27_224
; %bb.223:
	s_clause 0x3
	buffer_load_dword v65, v13, s[0:3], 0 offen offset:8
	buffer_load_dword v66, v13, s[0:3], 0 offen offset:12
	buffer_load_dword v68, v13, s[0:3], 0 offen
	buffer_load_dword v69, v13, s[0:3], 0 offen offset:4
	s_waitcnt vmcnt(2) lgkmcnt(0)
	v_mul_f64 v[70:71], v[3:4], v[65:66]
	v_mul_f64 v[65:66], v[1:2], v[65:66]
	s_waitcnt vmcnt(0)
	v_fma_f64 v[1:2], v[1:2], v[68:69], -v[70:71]
	v_fma_f64 v[3:4], v[3:4], v[68:69], v[65:66]
.LBB27_224:
	v_mov_b32_e32 v16, 0
	ds_read_b128 v[68:71], v16 offset:16
	s_waitcnt lgkmcnt(0)
	v_mul_f64 v[65:66], v[3:4], v[70:71]
	v_mul_f64 v[70:71], v[1:2], v[70:71]
	v_fma_f64 v[1:2], v[1:2], v[68:69], -v[65:66]
	v_fma_f64 v[3:4], v[3:4], v[68:69], v[70:71]
	buffer_store_dword v2, off, s[0:3], 0 offset:20
	buffer_store_dword v1, off, s[0:3], 0 offset:16
	;; [unrolled: 1-line block ×4, first 2 shown]
.LBB27_225:
	s_or_b32 exec_lo, exec_lo, s6
	v_mov_b32_e32 v4, s35
	s_mov_b32 s6, exec_lo
	s_clause 0x3
	buffer_load_dword v1, v4, s[0:3], 0 offen
	buffer_load_dword v2, v4, s[0:3], 0 offen offset:4
	buffer_load_dword v3, v4, s[0:3], 0 offen offset:8
	;; [unrolled: 1-line block ×3, first 2 shown]
	s_waitcnt vmcnt(0)
	ds_write_b128 v14, v[1:4]
	s_waitcnt lgkmcnt(0)
	s_waitcnt_vscnt null, 0x0
	s_barrier
	buffer_gl0_inv
	v_cmpx_gt_u32_e32 2, v0
	s_cbranch_execz .LBB27_231
; %bb.226:
	ds_read_b128 v[1:4], v14
	v_cmp_ne_u32_e32 vcc_lo, 1, v15
	s_cbranch_vccnz .LBB27_228
; %bb.227:
	s_clause 0x3
	buffer_load_dword v65, v13, s[0:3], 0 offen offset:8
	buffer_load_dword v66, v13, s[0:3], 0 offen offset:12
	buffer_load_dword v68, v13, s[0:3], 0 offen
	buffer_load_dword v69, v13, s[0:3], 0 offen offset:4
	s_waitcnt vmcnt(2) lgkmcnt(0)
	v_mul_f64 v[70:71], v[3:4], v[65:66]
	v_mul_f64 v[65:66], v[1:2], v[65:66]
	s_waitcnt vmcnt(0)
	v_fma_f64 v[1:2], v[1:2], v[68:69], -v[70:71]
	v_fma_f64 v[3:4], v[3:4], v[68:69], v[65:66]
.LBB27_228:
	s_and_saveexec_b32 s8, s4
	s_cbranch_execz .LBB27_230
; %bb.229:
	s_clause 0x3
	buffer_load_dword v65, off, s[0:3], 0 offset:24
	buffer_load_dword v66, off, s[0:3], 0 offset:28
	;; [unrolled: 1-line block ×4, first 2 shown]
	v_mov_b32_e32 v16, 0
	ds_read_b128 v[68:71], v16 offset:464
	s_waitcnt vmcnt(2) lgkmcnt(0)
	v_mul_f64 v[74:75], v[70:71], v[65:66]
	v_mul_f64 v[65:66], v[68:69], v[65:66]
	s_waitcnt vmcnt(0)
	v_fma_f64 v[68:69], v[68:69], v[72:73], -v[74:75]
	v_fma_f64 v[65:66], v[70:71], v[72:73], v[65:66]
	v_add_f64 v[1:2], v[1:2], v[68:69]
	v_add_f64 v[3:4], v[3:4], v[65:66]
.LBB27_230:
	s_or_b32 exec_lo, exec_lo, s8
	v_mov_b32_e32 v16, 0
	ds_read_b128 v[68:71], v16 offset:32
	s_waitcnt lgkmcnt(0)
	v_mul_f64 v[65:66], v[3:4], v[70:71]
	v_mul_f64 v[70:71], v[1:2], v[70:71]
	v_fma_f64 v[1:2], v[1:2], v[68:69], -v[65:66]
	v_fma_f64 v[3:4], v[3:4], v[68:69], v[70:71]
	buffer_store_dword v2, off, s[0:3], 0 offset:36
	buffer_store_dword v1, off, s[0:3], 0 offset:32
	;; [unrolled: 1-line block ×4, first 2 shown]
.LBB27_231:
	s_or_b32 exec_lo, exec_lo, s6
	v_mov_b32_e32 v4, s33
	s_mov_b32 s6, exec_lo
	s_clause 0x3
	buffer_load_dword v1, v4, s[0:3], 0 offen
	buffer_load_dword v2, v4, s[0:3], 0 offen offset:4
	buffer_load_dword v3, v4, s[0:3], 0 offen offset:8
	;; [unrolled: 1-line block ×3, first 2 shown]
	s_waitcnt vmcnt(0)
	ds_write_b128 v14, v[1:4]
	s_waitcnt lgkmcnt(0)
	s_waitcnt_vscnt null, 0x0
	s_barrier
	buffer_gl0_inv
	v_cmpx_gt_u32_e32 3, v0
	s_cbranch_execz .LBB27_239
; %bb.232:
	ds_read_b128 v[1:4], v14
	v_cmp_ne_u32_e32 vcc_lo, 1, v15
	s_cbranch_vccnz .LBB27_234
; %bb.233:
	s_clause 0x3
	buffer_load_dword v65, v13, s[0:3], 0 offen offset:8
	buffer_load_dword v66, v13, s[0:3], 0 offen offset:12
	buffer_load_dword v68, v13, s[0:3], 0 offen
	buffer_load_dword v69, v13, s[0:3], 0 offen offset:4
	s_waitcnt vmcnt(2) lgkmcnt(0)
	v_mul_f64 v[70:71], v[3:4], v[65:66]
	v_mul_f64 v[65:66], v[1:2], v[65:66]
	s_waitcnt vmcnt(0)
	v_fma_f64 v[1:2], v[1:2], v[68:69], -v[70:71]
	v_fma_f64 v[3:4], v[3:4], v[68:69], v[65:66]
.LBB27_234:
	s_mov_b32 s8, exec_lo
	v_cmpx_ne_u32_e32 2, v0
	s_cbranch_execz .LBB27_238
; %bb.235:
	s_clause 0x3
	buffer_load_dword v65, v13, s[0:3], 0 offen offset:24
	buffer_load_dword v66, v13, s[0:3], 0 offen offset:28
	;; [unrolled: 1-line block ×4, first 2 shown]
	ds_read_b128 v[68:71], v14 offset:16
	s_waitcnt vmcnt(2) lgkmcnt(0)
	v_mul_f64 v[74:75], v[70:71], v[65:66]
	v_mul_f64 v[65:66], v[68:69], v[65:66]
	s_waitcnt vmcnt(0)
	v_fma_f64 v[68:69], v[68:69], v[72:73], -v[74:75]
	v_fma_f64 v[65:66], v[70:71], v[72:73], v[65:66]
	v_add_f64 v[1:2], v[1:2], v[68:69]
	v_add_f64 v[3:4], v[3:4], v[65:66]
	s_and_saveexec_b32 s36, s4
	s_cbranch_execz .LBB27_237
; %bb.236:
	s_clause 0x3
	buffer_load_dword v65, off, s[0:3], 0 offset:40
	buffer_load_dword v66, off, s[0:3], 0 offset:44
	;; [unrolled: 1-line block ×4, first 2 shown]
	v_mov_b32_e32 v16, 0
	ds_read_b128 v[68:71], v16 offset:480
	s_waitcnt vmcnt(2) lgkmcnt(0)
	v_mul_f64 v[74:75], v[68:69], v[65:66]
	v_mul_f64 v[65:66], v[70:71], v[65:66]
	s_waitcnt vmcnt(0)
	v_fma_f64 v[70:71], v[70:71], v[72:73], v[74:75]
	v_fma_f64 v[65:66], v[68:69], v[72:73], -v[65:66]
	v_add_f64 v[3:4], v[3:4], v[70:71]
	v_add_f64 v[1:2], v[1:2], v[65:66]
.LBB27_237:
	s_or_b32 exec_lo, exec_lo, s36
.LBB27_238:
	s_or_b32 exec_lo, exec_lo, s8
	v_mov_b32_e32 v16, 0
	ds_read_b128 v[68:71], v16 offset:48
	s_waitcnt lgkmcnt(0)
	v_mul_f64 v[65:66], v[3:4], v[70:71]
	v_mul_f64 v[70:71], v[1:2], v[70:71]
	v_fma_f64 v[1:2], v[1:2], v[68:69], -v[65:66]
	v_fma_f64 v[3:4], v[3:4], v[68:69], v[70:71]
	buffer_store_dword v2, off, s[0:3], 0 offset:52
	buffer_store_dword v1, off, s[0:3], 0 offset:48
	;; [unrolled: 1-line block ×4, first 2 shown]
.LBB27_239:
	s_or_b32 exec_lo, exec_lo, s6
	v_mov_b32_e32 v4, s31
	s_mov_b32 s4, exec_lo
	s_clause 0x3
	buffer_load_dword v1, v4, s[0:3], 0 offen
	buffer_load_dword v2, v4, s[0:3], 0 offen offset:4
	buffer_load_dword v3, v4, s[0:3], 0 offen offset:8
	;; [unrolled: 1-line block ×3, first 2 shown]
	s_waitcnt vmcnt(0)
	ds_write_b128 v14, v[1:4]
	s_waitcnt lgkmcnt(0)
	s_waitcnt_vscnt null, 0x0
	s_barrier
	buffer_gl0_inv
	v_cmpx_gt_u32_e32 4, v0
	s_cbranch_execz .LBB27_247
; %bb.240:
	ds_read_b128 v[1:4], v14
	v_cmp_ne_u32_e32 vcc_lo, 1, v15
	s_cbranch_vccnz .LBB27_242
; %bb.241:
	s_clause 0x3
	buffer_load_dword v65, v13, s[0:3], 0 offen offset:8
	buffer_load_dword v66, v13, s[0:3], 0 offen offset:12
	buffer_load_dword v68, v13, s[0:3], 0 offen
	buffer_load_dword v69, v13, s[0:3], 0 offen offset:4
	s_waitcnt vmcnt(2) lgkmcnt(0)
	v_mul_f64 v[70:71], v[3:4], v[65:66]
	v_mul_f64 v[65:66], v[1:2], v[65:66]
	s_waitcnt vmcnt(0)
	v_fma_f64 v[1:2], v[1:2], v[68:69], -v[70:71]
	v_fma_f64 v[3:4], v[3:4], v[68:69], v[65:66]
.LBB27_242:
	s_mov_b32 s6, exec_lo
	v_cmpx_ne_u32_e32 3, v0
	s_cbranch_execz .LBB27_246
; %bb.243:
	v_add_nc_u32_e32 v16, 0x1d0, v67
	v_add3_u32 v65, 0, v67, 16
	v_mov_b32_e32 v66, v0
	s_mov_b32 s8, 0
	.p2align	6
.LBB27_244:                             ; =>This Inner Loop Header: Depth=1
	s_clause 0x3
	buffer_load_dword v72, v65, s[0:3], 0 offen offset:8
	buffer_load_dword v73, v65, s[0:3], 0 offen offset:12
	buffer_load_dword v74, v65, s[0:3], 0 offen
	buffer_load_dword v75, v65, s[0:3], 0 offen offset:4
	ds_read_b128 v[68:71], v16
	v_add_nc_u32_e32 v66, 1, v66
	v_add_nc_u32_e32 v16, 16, v16
	;; [unrolled: 1-line block ×3, first 2 shown]
	v_cmp_lt_u32_e32 vcc_lo, 2, v66
	s_or_b32 s8, vcc_lo, s8
	s_waitcnt vmcnt(2) lgkmcnt(0)
	v_mul_f64 v[76:77], v[70:71], v[72:73]
	v_mul_f64 v[72:73], v[68:69], v[72:73]
	s_waitcnt vmcnt(0)
	v_fma_f64 v[68:69], v[68:69], v[74:75], -v[76:77]
	v_fma_f64 v[70:71], v[70:71], v[74:75], v[72:73]
	v_add_f64 v[1:2], v[1:2], v[68:69]
	v_add_f64 v[3:4], v[3:4], v[70:71]
	s_andn2_b32 exec_lo, exec_lo, s8
	s_cbranch_execnz .LBB27_244
; %bb.245:
	s_or_b32 exec_lo, exec_lo, s8
.LBB27_246:
	s_or_b32 exec_lo, exec_lo, s6
	v_mov_b32_e32 v16, 0
	ds_read_b128 v[68:71], v16 offset:64
	s_waitcnt lgkmcnt(0)
	v_mul_f64 v[65:66], v[3:4], v[70:71]
	v_mul_f64 v[70:71], v[1:2], v[70:71]
	v_fma_f64 v[1:2], v[1:2], v[68:69], -v[65:66]
	v_fma_f64 v[3:4], v[3:4], v[68:69], v[70:71]
	buffer_store_dword v2, off, s[0:3], 0 offset:68
	buffer_store_dword v1, off, s[0:3], 0 offset:64
	;; [unrolled: 1-line block ×4, first 2 shown]
.LBB27_247:
	s_or_b32 exec_lo, exec_lo, s4
	v_mov_b32_e32 v4, s30
	s_mov_b32 s4, exec_lo
	s_clause 0x3
	buffer_load_dword v1, v4, s[0:3], 0 offen
	buffer_load_dword v2, v4, s[0:3], 0 offen offset:4
	buffer_load_dword v3, v4, s[0:3], 0 offen offset:8
	;; [unrolled: 1-line block ×3, first 2 shown]
	s_waitcnt vmcnt(0)
	ds_write_b128 v14, v[1:4]
	s_waitcnt lgkmcnt(0)
	s_waitcnt_vscnt null, 0x0
	s_barrier
	buffer_gl0_inv
	v_cmpx_gt_u32_e32 5, v0
	s_cbranch_execz .LBB27_255
; %bb.248:
	ds_read_b128 v[1:4], v14
	v_cmp_ne_u32_e32 vcc_lo, 1, v15
	s_cbranch_vccnz .LBB27_250
; %bb.249:
	s_clause 0x3
	buffer_load_dword v65, v13, s[0:3], 0 offen offset:8
	buffer_load_dword v66, v13, s[0:3], 0 offen offset:12
	buffer_load_dword v68, v13, s[0:3], 0 offen
	buffer_load_dword v69, v13, s[0:3], 0 offen offset:4
	s_waitcnt vmcnt(2) lgkmcnt(0)
	v_mul_f64 v[70:71], v[3:4], v[65:66]
	v_mul_f64 v[65:66], v[1:2], v[65:66]
	s_waitcnt vmcnt(0)
	v_fma_f64 v[1:2], v[1:2], v[68:69], -v[70:71]
	v_fma_f64 v[3:4], v[3:4], v[68:69], v[65:66]
.LBB27_250:
	s_mov_b32 s6, exec_lo
	v_cmpx_ne_u32_e32 4, v0
	s_cbranch_execz .LBB27_254
; %bb.251:
	v_add_nc_u32_e32 v16, 0x1d0, v67
	v_add3_u32 v65, 0, v67, 16
	v_mov_b32_e32 v66, v0
	s_mov_b32 s8, 0
	.p2align	6
.LBB27_252:                             ; =>This Inner Loop Header: Depth=1
	s_clause 0x3
	buffer_load_dword v72, v65, s[0:3], 0 offen offset:8
	buffer_load_dword v73, v65, s[0:3], 0 offen offset:12
	buffer_load_dword v74, v65, s[0:3], 0 offen
	buffer_load_dword v75, v65, s[0:3], 0 offen offset:4
	ds_read_b128 v[68:71], v16
	v_add_nc_u32_e32 v66, 1, v66
	v_add_nc_u32_e32 v16, 16, v16
	;; [unrolled: 1-line block ×3, first 2 shown]
	v_cmp_lt_u32_e32 vcc_lo, 3, v66
	s_or_b32 s8, vcc_lo, s8
	s_waitcnt vmcnt(2) lgkmcnt(0)
	v_mul_f64 v[76:77], v[70:71], v[72:73]
	v_mul_f64 v[72:73], v[68:69], v[72:73]
	s_waitcnt vmcnt(0)
	v_fma_f64 v[68:69], v[68:69], v[74:75], -v[76:77]
	v_fma_f64 v[70:71], v[70:71], v[74:75], v[72:73]
	v_add_f64 v[1:2], v[1:2], v[68:69]
	v_add_f64 v[3:4], v[3:4], v[70:71]
	s_andn2_b32 exec_lo, exec_lo, s8
	s_cbranch_execnz .LBB27_252
; %bb.253:
	s_or_b32 exec_lo, exec_lo, s8
.LBB27_254:
	s_or_b32 exec_lo, exec_lo, s6
	v_mov_b32_e32 v16, 0
	ds_read_b128 v[68:71], v16 offset:80
	s_waitcnt lgkmcnt(0)
	v_mul_f64 v[65:66], v[3:4], v[70:71]
	v_mul_f64 v[70:71], v[1:2], v[70:71]
	v_fma_f64 v[1:2], v[1:2], v[68:69], -v[65:66]
	v_fma_f64 v[3:4], v[3:4], v[68:69], v[70:71]
	buffer_store_dword v2, off, s[0:3], 0 offset:84
	buffer_store_dword v1, off, s[0:3], 0 offset:80
	;; [unrolled: 1-line block ×4, first 2 shown]
.LBB27_255:
	s_or_b32 exec_lo, exec_lo, s4
	v_mov_b32_e32 v4, s29
	s_mov_b32 s4, exec_lo
	s_clause 0x3
	buffer_load_dword v1, v4, s[0:3], 0 offen
	buffer_load_dword v2, v4, s[0:3], 0 offen offset:4
	buffer_load_dword v3, v4, s[0:3], 0 offen offset:8
	;; [unrolled: 1-line block ×3, first 2 shown]
	s_waitcnt vmcnt(0)
	ds_write_b128 v14, v[1:4]
	s_waitcnt lgkmcnt(0)
	s_waitcnt_vscnt null, 0x0
	s_barrier
	buffer_gl0_inv
	v_cmpx_gt_u32_e32 6, v0
	s_cbranch_execz .LBB27_263
; %bb.256:
	ds_read_b128 v[1:4], v14
	v_cmp_ne_u32_e32 vcc_lo, 1, v15
	s_cbranch_vccnz .LBB27_258
; %bb.257:
	s_clause 0x3
	buffer_load_dword v65, v13, s[0:3], 0 offen offset:8
	buffer_load_dword v66, v13, s[0:3], 0 offen offset:12
	buffer_load_dword v68, v13, s[0:3], 0 offen
	buffer_load_dword v69, v13, s[0:3], 0 offen offset:4
	s_waitcnt vmcnt(2) lgkmcnt(0)
	v_mul_f64 v[70:71], v[3:4], v[65:66]
	v_mul_f64 v[65:66], v[1:2], v[65:66]
	s_waitcnt vmcnt(0)
	v_fma_f64 v[1:2], v[1:2], v[68:69], -v[70:71]
	v_fma_f64 v[3:4], v[3:4], v[68:69], v[65:66]
.LBB27_258:
	s_mov_b32 s6, exec_lo
	v_cmpx_ne_u32_e32 5, v0
	s_cbranch_execz .LBB27_262
; %bb.259:
	v_add_nc_u32_e32 v16, 0x1d0, v67
	v_add3_u32 v65, 0, v67, 16
	v_mov_b32_e32 v66, v0
	s_mov_b32 s8, 0
	.p2align	6
.LBB27_260:                             ; =>This Inner Loop Header: Depth=1
	s_clause 0x3
	buffer_load_dword v72, v65, s[0:3], 0 offen offset:8
	buffer_load_dword v73, v65, s[0:3], 0 offen offset:12
	buffer_load_dword v74, v65, s[0:3], 0 offen
	buffer_load_dword v75, v65, s[0:3], 0 offen offset:4
	ds_read_b128 v[68:71], v16
	v_add_nc_u32_e32 v66, 1, v66
	v_add_nc_u32_e32 v16, 16, v16
	;; [unrolled: 1-line block ×3, first 2 shown]
	v_cmp_lt_u32_e32 vcc_lo, 4, v66
	s_or_b32 s8, vcc_lo, s8
	s_waitcnt vmcnt(2) lgkmcnt(0)
	v_mul_f64 v[76:77], v[70:71], v[72:73]
	v_mul_f64 v[72:73], v[68:69], v[72:73]
	s_waitcnt vmcnt(0)
	v_fma_f64 v[68:69], v[68:69], v[74:75], -v[76:77]
	v_fma_f64 v[70:71], v[70:71], v[74:75], v[72:73]
	v_add_f64 v[1:2], v[1:2], v[68:69]
	v_add_f64 v[3:4], v[3:4], v[70:71]
	s_andn2_b32 exec_lo, exec_lo, s8
	s_cbranch_execnz .LBB27_260
; %bb.261:
	s_or_b32 exec_lo, exec_lo, s8
.LBB27_262:
	s_or_b32 exec_lo, exec_lo, s6
	v_mov_b32_e32 v16, 0
	ds_read_b128 v[68:71], v16 offset:96
	s_waitcnt lgkmcnt(0)
	v_mul_f64 v[65:66], v[3:4], v[70:71]
	v_mul_f64 v[70:71], v[1:2], v[70:71]
	v_fma_f64 v[1:2], v[1:2], v[68:69], -v[65:66]
	v_fma_f64 v[3:4], v[3:4], v[68:69], v[70:71]
	buffer_store_dword v2, off, s[0:3], 0 offset:100
	buffer_store_dword v1, off, s[0:3], 0 offset:96
	;; [unrolled: 1-line block ×4, first 2 shown]
.LBB27_263:
	s_or_b32 exec_lo, exec_lo, s4
	v_mov_b32_e32 v4, s28
	s_mov_b32 s4, exec_lo
	s_clause 0x3
	buffer_load_dword v1, v4, s[0:3], 0 offen
	buffer_load_dword v2, v4, s[0:3], 0 offen offset:4
	buffer_load_dword v3, v4, s[0:3], 0 offen offset:8
	;; [unrolled: 1-line block ×3, first 2 shown]
	s_waitcnt vmcnt(0)
	ds_write_b128 v14, v[1:4]
	s_waitcnt lgkmcnt(0)
	s_waitcnt_vscnt null, 0x0
	s_barrier
	buffer_gl0_inv
	v_cmpx_gt_u32_e32 7, v0
	s_cbranch_execz .LBB27_271
; %bb.264:
	ds_read_b128 v[1:4], v14
	v_cmp_ne_u32_e32 vcc_lo, 1, v15
	s_cbranch_vccnz .LBB27_266
; %bb.265:
	s_clause 0x3
	buffer_load_dword v65, v13, s[0:3], 0 offen offset:8
	buffer_load_dword v66, v13, s[0:3], 0 offen offset:12
	buffer_load_dword v68, v13, s[0:3], 0 offen
	buffer_load_dword v69, v13, s[0:3], 0 offen offset:4
	s_waitcnt vmcnt(2) lgkmcnt(0)
	v_mul_f64 v[70:71], v[3:4], v[65:66]
	v_mul_f64 v[65:66], v[1:2], v[65:66]
	s_waitcnt vmcnt(0)
	v_fma_f64 v[1:2], v[1:2], v[68:69], -v[70:71]
	v_fma_f64 v[3:4], v[3:4], v[68:69], v[65:66]
.LBB27_266:
	s_mov_b32 s6, exec_lo
	v_cmpx_ne_u32_e32 6, v0
	s_cbranch_execz .LBB27_270
; %bb.267:
	v_add_nc_u32_e32 v16, 0x1d0, v67
	v_add3_u32 v65, 0, v67, 16
	v_mov_b32_e32 v66, v0
	s_mov_b32 s8, 0
	.p2align	6
.LBB27_268:                             ; =>This Inner Loop Header: Depth=1
	s_clause 0x3
	buffer_load_dword v72, v65, s[0:3], 0 offen offset:8
	buffer_load_dword v73, v65, s[0:3], 0 offen offset:12
	buffer_load_dword v74, v65, s[0:3], 0 offen
	buffer_load_dword v75, v65, s[0:3], 0 offen offset:4
	ds_read_b128 v[68:71], v16
	v_add_nc_u32_e32 v66, 1, v66
	v_add_nc_u32_e32 v16, 16, v16
	;; [unrolled: 1-line block ×3, first 2 shown]
	v_cmp_lt_u32_e32 vcc_lo, 5, v66
	s_or_b32 s8, vcc_lo, s8
	s_waitcnt vmcnt(2) lgkmcnt(0)
	v_mul_f64 v[76:77], v[70:71], v[72:73]
	v_mul_f64 v[72:73], v[68:69], v[72:73]
	s_waitcnt vmcnt(0)
	v_fma_f64 v[68:69], v[68:69], v[74:75], -v[76:77]
	v_fma_f64 v[70:71], v[70:71], v[74:75], v[72:73]
	v_add_f64 v[1:2], v[1:2], v[68:69]
	v_add_f64 v[3:4], v[3:4], v[70:71]
	s_andn2_b32 exec_lo, exec_lo, s8
	s_cbranch_execnz .LBB27_268
; %bb.269:
	s_or_b32 exec_lo, exec_lo, s8
.LBB27_270:
	s_or_b32 exec_lo, exec_lo, s6
	v_mov_b32_e32 v16, 0
	ds_read_b128 v[68:71], v16 offset:112
	s_waitcnt lgkmcnt(0)
	v_mul_f64 v[65:66], v[3:4], v[70:71]
	v_mul_f64 v[70:71], v[1:2], v[70:71]
	v_fma_f64 v[1:2], v[1:2], v[68:69], -v[65:66]
	v_fma_f64 v[3:4], v[3:4], v[68:69], v[70:71]
	buffer_store_dword v2, off, s[0:3], 0 offset:116
	buffer_store_dword v1, off, s[0:3], 0 offset:112
	;; [unrolled: 1-line block ×4, first 2 shown]
.LBB27_271:
	s_or_b32 exec_lo, exec_lo, s4
	v_mov_b32_e32 v4, s27
	s_mov_b32 s4, exec_lo
	s_clause 0x3
	buffer_load_dword v1, v4, s[0:3], 0 offen
	buffer_load_dword v2, v4, s[0:3], 0 offen offset:4
	buffer_load_dword v3, v4, s[0:3], 0 offen offset:8
	buffer_load_dword v4, v4, s[0:3], 0 offen offset:12
	s_waitcnt vmcnt(0)
	ds_write_b128 v14, v[1:4]
	s_waitcnt lgkmcnt(0)
	s_waitcnt_vscnt null, 0x0
	s_barrier
	buffer_gl0_inv
	v_cmpx_gt_u32_e32 8, v0
	s_cbranch_execz .LBB27_279
; %bb.272:
	ds_read_b128 v[1:4], v14
	v_cmp_ne_u32_e32 vcc_lo, 1, v15
	s_cbranch_vccnz .LBB27_274
; %bb.273:
	s_clause 0x3
	buffer_load_dword v65, v13, s[0:3], 0 offen offset:8
	buffer_load_dword v66, v13, s[0:3], 0 offen offset:12
	buffer_load_dword v68, v13, s[0:3], 0 offen
	buffer_load_dword v69, v13, s[0:3], 0 offen offset:4
	s_waitcnt vmcnt(2) lgkmcnt(0)
	v_mul_f64 v[70:71], v[3:4], v[65:66]
	v_mul_f64 v[65:66], v[1:2], v[65:66]
	s_waitcnt vmcnt(0)
	v_fma_f64 v[1:2], v[1:2], v[68:69], -v[70:71]
	v_fma_f64 v[3:4], v[3:4], v[68:69], v[65:66]
.LBB27_274:
	s_mov_b32 s6, exec_lo
	v_cmpx_ne_u32_e32 7, v0
	s_cbranch_execz .LBB27_278
; %bb.275:
	v_add_nc_u32_e32 v16, 0x1d0, v67
	v_add3_u32 v65, 0, v67, 16
	v_mov_b32_e32 v66, v0
	s_mov_b32 s8, 0
	.p2align	6
.LBB27_276:                             ; =>This Inner Loop Header: Depth=1
	s_clause 0x3
	buffer_load_dword v72, v65, s[0:3], 0 offen offset:8
	buffer_load_dword v73, v65, s[0:3], 0 offen offset:12
	buffer_load_dword v74, v65, s[0:3], 0 offen
	buffer_load_dword v75, v65, s[0:3], 0 offen offset:4
	ds_read_b128 v[68:71], v16
	v_add_nc_u32_e32 v66, 1, v66
	v_add_nc_u32_e32 v16, 16, v16
	;; [unrolled: 1-line block ×3, first 2 shown]
	v_cmp_lt_u32_e32 vcc_lo, 6, v66
	s_or_b32 s8, vcc_lo, s8
	s_waitcnt vmcnt(2) lgkmcnt(0)
	v_mul_f64 v[76:77], v[70:71], v[72:73]
	v_mul_f64 v[72:73], v[68:69], v[72:73]
	s_waitcnt vmcnt(0)
	v_fma_f64 v[68:69], v[68:69], v[74:75], -v[76:77]
	v_fma_f64 v[70:71], v[70:71], v[74:75], v[72:73]
	v_add_f64 v[1:2], v[1:2], v[68:69]
	v_add_f64 v[3:4], v[3:4], v[70:71]
	s_andn2_b32 exec_lo, exec_lo, s8
	s_cbranch_execnz .LBB27_276
; %bb.277:
	s_or_b32 exec_lo, exec_lo, s8
.LBB27_278:
	s_or_b32 exec_lo, exec_lo, s6
	v_mov_b32_e32 v16, 0
	ds_read_b128 v[68:71], v16 offset:128
	s_waitcnt lgkmcnt(0)
	v_mul_f64 v[65:66], v[3:4], v[70:71]
	v_mul_f64 v[70:71], v[1:2], v[70:71]
	v_fma_f64 v[1:2], v[1:2], v[68:69], -v[65:66]
	v_fma_f64 v[3:4], v[3:4], v[68:69], v[70:71]
	buffer_store_dword v2, off, s[0:3], 0 offset:132
	buffer_store_dword v1, off, s[0:3], 0 offset:128
	;; [unrolled: 1-line block ×4, first 2 shown]
.LBB27_279:
	s_or_b32 exec_lo, exec_lo, s4
	v_mov_b32_e32 v4, s26
	s_mov_b32 s4, exec_lo
	s_clause 0x3
	buffer_load_dword v1, v4, s[0:3], 0 offen
	buffer_load_dword v2, v4, s[0:3], 0 offen offset:4
	buffer_load_dword v3, v4, s[0:3], 0 offen offset:8
	;; [unrolled: 1-line block ×3, first 2 shown]
	s_waitcnt vmcnt(0)
	ds_write_b128 v14, v[1:4]
	s_waitcnt lgkmcnt(0)
	s_waitcnt_vscnt null, 0x0
	s_barrier
	buffer_gl0_inv
	v_cmpx_gt_u32_e32 9, v0
	s_cbranch_execz .LBB27_287
; %bb.280:
	ds_read_b128 v[1:4], v14
	v_cmp_ne_u32_e32 vcc_lo, 1, v15
	s_cbranch_vccnz .LBB27_282
; %bb.281:
	s_clause 0x3
	buffer_load_dword v65, v13, s[0:3], 0 offen offset:8
	buffer_load_dword v66, v13, s[0:3], 0 offen offset:12
	buffer_load_dword v68, v13, s[0:3], 0 offen
	buffer_load_dword v69, v13, s[0:3], 0 offen offset:4
	s_waitcnt vmcnt(2) lgkmcnt(0)
	v_mul_f64 v[70:71], v[3:4], v[65:66]
	v_mul_f64 v[65:66], v[1:2], v[65:66]
	s_waitcnt vmcnt(0)
	v_fma_f64 v[1:2], v[1:2], v[68:69], -v[70:71]
	v_fma_f64 v[3:4], v[3:4], v[68:69], v[65:66]
.LBB27_282:
	s_mov_b32 s6, exec_lo
	v_cmpx_ne_u32_e32 8, v0
	s_cbranch_execz .LBB27_286
; %bb.283:
	v_add_nc_u32_e32 v16, 0x1d0, v67
	v_add3_u32 v65, 0, v67, 16
	v_mov_b32_e32 v66, v0
	s_mov_b32 s8, 0
	.p2align	6
.LBB27_284:                             ; =>This Inner Loop Header: Depth=1
	s_clause 0x3
	buffer_load_dword v72, v65, s[0:3], 0 offen offset:8
	buffer_load_dword v73, v65, s[0:3], 0 offen offset:12
	buffer_load_dword v74, v65, s[0:3], 0 offen
	buffer_load_dword v75, v65, s[0:3], 0 offen offset:4
	ds_read_b128 v[68:71], v16
	v_add_nc_u32_e32 v66, 1, v66
	v_add_nc_u32_e32 v16, 16, v16
	v_add_nc_u32_e32 v65, 16, v65
	v_cmp_lt_u32_e32 vcc_lo, 7, v66
	s_or_b32 s8, vcc_lo, s8
	s_waitcnt vmcnt(2) lgkmcnt(0)
	v_mul_f64 v[76:77], v[70:71], v[72:73]
	v_mul_f64 v[72:73], v[68:69], v[72:73]
	s_waitcnt vmcnt(0)
	v_fma_f64 v[68:69], v[68:69], v[74:75], -v[76:77]
	v_fma_f64 v[70:71], v[70:71], v[74:75], v[72:73]
	v_add_f64 v[1:2], v[1:2], v[68:69]
	v_add_f64 v[3:4], v[3:4], v[70:71]
	s_andn2_b32 exec_lo, exec_lo, s8
	s_cbranch_execnz .LBB27_284
; %bb.285:
	s_or_b32 exec_lo, exec_lo, s8
.LBB27_286:
	s_or_b32 exec_lo, exec_lo, s6
	v_mov_b32_e32 v16, 0
	ds_read_b128 v[68:71], v16 offset:144
	s_waitcnt lgkmcnt(0)
	v_mul_f64 v[65:66], v[3:4], v[70:71]
	v_mul_f64 v[70:71], v[1:2], v[70:71]
	v_fma_f64 v[1:2], v[1:2], v[68:69], -v[65:66]
	v_fma_f64 v[3:4], v[3:4], v[68:69], v[70:71]
	buffer_store_dword v2, off, s[0:3], 0 offset:148
	buffer_store_dword v1, off, s[0:3], 0 offset:144
	;; [unrolled: 1-line block ×4, first 2 shown]
.LBB27_287:
	s_or_b32 exec_lo, exec_lo, s4
	v_mov_b32_e32 v4, s25
	s_mov_b32 s4, exec_lo
	s_clause 0x3
	buffer_load_dword v1, v4, s[0:3], 0 offen
	buffer_load_dword v2, v4, s[0:3], 0 offen offset:4
	buffer_load_dword v3, v4, s[0:3], 0 offen offset:8
	;; [unrolled: 1-line block ×3, first 2 shown]
	s_waitcnt vmcnt(0)
	ds_write_b128 v14, v[1:4]
	s_waitcnt lgkmcnt(0)
	s_waitcnt_vscnt null, 0x0
	s_barrier
	buffer_gl0_inv
	v_cmpx_gt_u32_e32 10, v0
	s_cbranch_execz .LBB27_295
; %bb.288:
	ds_read_b128 v[1:4], v14
	v_cmp_ne_u32_e32 vcc_lo, 1, v15
	s_cbranch_vccnz .LBB27_290
; %bb.289:
	s_clause 0x3
	buffer_load_dword v65, v13, s[0:3], 0 offen offset:8
	buffer_load_dword v66, v13, s[0:3], 0 offen offset:12
	buffer_load_dword v68, v13, s[0:3], 0 offen
	buffer_load_dword v69, v13, s[0:3], 0 offen offset:4
	s_waitcnt vmcnt(2) lgkmcnt(0)
	v_mul_f64 v[70:71], v[3:4], v[65:66]
	v_mul_f64 v[65:66], v[1:2], v[65:66]
	s_waitcnt vmcnt(0)
	v_fma_f64 v[1:2], v[1:2], v[68:69], -v[70:71]
	v_fma_f64 v[3:4], v[3:4], v[68:69], v[65:66]
.LBB27_290:
	s_mov_b32 s6, exec_lo
	v_cmpx_ne_u32_e32 9, v0
	s_cbranch_execz .LBB27_294
; %bb.291:
	v_add_nc_u32_e32 v16, 0x1d0, v67
	v_add3_u32 v65, 0, v67, 16
	v_mov_b32_e32 v66, v0
	s_mov_b32 s8, 0
	.p2align	6
.LBB27_292:                             ; =>This Inner Loop Header: Depth=1
	s_clause 0x3
	buffer_load_dword v72, v65, s[0:3], 0 offen offset:8
	buffer_load_dword v73, v65, s[0:3], 0 offen offset:12
	buffer_load_dword v74, v65, s[0:3], 0 offen
	buffer_load_dword v75, v65, s[0:3], 0 offen offset:4
	ds_read_b128 v[68:71], v16
	v_add_nc_u32_e32 v66, 1, v66
	v_add_nc_u32_e32 v16, 16, v16
	;; [unrolled: 1-line block ×3, first 2 shown]
	v_cmp_lt_u32_e32 vcc_lo, 8, v66
	s_or_b32 s8, vcc_lo, s8
	s_waitcnt vmcnt(2) lgkmcnt(0)
	v_mul_f64 v[76:77], v[70:71], v[72:73]
	v_mul_f64 v[72:73], v[68:69], v[72:73]
	s_waitcnt vmcnt(0)
	v_fma_f64 v[68:69], v[68:69], v[74:75], -v[76:77]
	v_fma_f64 v[70:71], v[70:71], v[74:75], v[72:73]
	v_add_f64 v[1:2], v[1:2], v[68:69]
	v_add_f64 v[3:4], v[3:4], v[70:71]
	s_andn2_b32 exec_lo, exec_lo, s8
	s_cbranch_execnz .LBB27_292
; %bb.293:
	s_or_b32 exec_lo, exec_lo, s8
.LBB27_294:
	s_or_b32 exec_lo, exec_lo, s6
	v_mov_b32_e32 v16, 0
	ds_read_b128 v[68:71], v16 offset:160
	s_waitcnt lgkmcnt(0)
	v_mul_f64 v[65:66], v[3:4], v[70:71]
	v_mul_f64 v[70:71], v[1:2], v[70:71]
	v_fma_f64 v[1:2], v[1:2], v[68:69], -v[65:66]
	v_fma_f64 v[3:4], v[3:4], v[68:69], v[70:71]
	buffer_store_dword v2, off, s[0:3], 0 offset:164
	buffer_store_dword v1, off, s[0:3], 0 offset:160
	;; [unrolled: 1-line block ×4, first 2 shown]
.LBB27_295:
	s_or_b32 exec_lo, exec_lo, s4
	v_mov_b32_e32 v4, s24
	s_mov_b32 s4, exec_lo
	s_clause 0x3
	buffer_load_dword v1, v4, s[0:3], 0 offen
	buffer_load_dword v2, v4, s[0:3], 0 offen offset:4
	buffer_load_dword v3, v4, s[0:3], 0 offen offset:8
	;; [unrolled: 1-line block ×3, first 2 shown]
	s_waitcnt vmcnt(0)
	ds_write_b128 v14, v[1:4]
	s_waitcnt lgkmcnt(0)
	s_waitcnt_vscnt null, 0x0
	s_barrier
	buffer_gl0_inv
	v_cmpx_gt_u32_e32 11, v0
	s_cbranch_execz .LBB27_303
; %bb.296:
	ds_read_b128 v[1:4], v14
	v_cmp_ne_u32_e32 vcc_lo, 1, v15
	s_cbranch_vccnz .LBB27_298
; %bb.297:
	s_clause 0x3
	buffer_load_dword v65, v13, s[0:3], 0 offen offset:8
	buffer_load_dword v66, v13, s[0:3], 0 offen offset:12
	buffer_load_dword v68, v13, s[0:3], 0 offen
	buffer_load_dword v69, v13, s[0:3], 0 offen offset:4
	s_waitcnt vmcnt(2) lgkmcnt(0)
	v_mul_f64 v[70:71], v[3:4], v[65:66]
	v_mul_f64 v[65:66], v[1:2], v[65:66]
	s_waitcnt vmcnt(0)
	v_fma_f64 v[1:2], v[1:2], v[68:69], -v[70:71]
	v_fma_f64 v[3:4], v[3:4], v[68:69], v[65:66]
.LBB27_298:
	s_mov_b32 s6, exec_lo
	v_cmpx_ne_u32_e32 10, v0
	s_cbranch_execz .LBB27_302
; %bb.299:
	v_add_nc_u32_e32 v16, 0x1d0, v67
	v_add3_u32 v65, 0, v67, 16
	v_mov_b32_e32 v66, v0
	s_mov_b32 s8, 0
	.p2align	6
.LBB27_300:                             ; =>This Inner Loop Header: Depth=1
	s_clause 0x3
	buffer_load_dword v72, v65, s[0:3], 0 offen offset:8
	buffer_load_dword v73, v65, s[0:3], 0 offen offset:12
	buffer_load_dword v74, v65, s[0:3], 0 offen
	buffer_load_dword v75, v65, s[0:3], 0 offen offset:4
	ds_read_b128 v[68:71], v16
	v_add_nc_u32_e32 v66, 1, v66
	v_add_nc_u32_e32 v16, 16, v16
	;; [unrolled: 1-line block ×3, first 2 shown]
	v_cmp_lt_u32_e32 vcc_lo, 9, v66
	s_or_b32 s8, vcc_lo, s8
	s_waitcnt vmcnt(2) lgkmcnt(0)
	v_mul_f64 v[76:77], v[70:71], v[72:73]
	v_mul_f64 v[72:73], v[68:69], v[72:73]
	s_waitcnt vmcnt(0)
	v_fma_f64 v[68:69], v[68:69], v[74:75], -v[76:77]
	v_fma_f64 v[70:71], v[70:71], v[74:75], v[72:73]
	v_add_f64 v[1:2], v[1:2], v[68:69]
	v_add_f64 v[3:4], v[3:4], v[70:71]
	s_andn2_b32 exec_lo, exec_lo, s8
	s_cbranch_execnz .LBB27_300
; %bb.301:
	s_or_b32 exec_lo, exec_lo, s8
.LBB27_302:
	s_or_b32 exec_lo, exec_lo, s6
	v_mov_b32_e32 v16, 0
	ds_read_b128 v[68:71], v16 offset:176
	s_waitcnt lgkmcnt(0)
	v_mul_f64 v[65:66], v[3:4], v[70:71]
	v_mul_f64 v[70:71], v[1:2], v[70:71]
	v_fma_f64 v[1:2], v[1:2], v[68:69], -v[65:66]
	v_fma_f64 v[3:4], v[3:4], v[68:69], v[70:71]
	buffer_store_dword v2, off, s[0:3], 0 offset:180
	buffer_store_dword v1, off, s[0:3], 0 offset:176
	;; [unrolled: 1-line block ×4, first 2 shown]
.LBB27_303:
	s_or_b32 exec_lo, exec_lo, s4
	v_mov_b32_e32 v4, s23
	s_mov_b32 s4, exec_lo
	s_clause 0x3
	buffer_load_dword v1, v4, s[0:3], 0 offen
	buffer_load_dword v2, v4, s[0:3], 0 offen offset:4
	buffer_load_dword v3, v4, s[0:3], 0 offen offset:8
	;; [unrolled: 1-line block ×3, first 2 shown]
	s_waitcnt vmcnt(0)
	ds_write_b128 v14, v[1:4]
	s_waitcnt lgkmcnt(0)
	s_waitcnt_vscnt null, 0x0
	s_barrier
	buffer_gl0_inv
	v_cmpx_gt_u32_e32 12, v0
	s_cbranch_execz .LBB27_311
; %bb.304:
	ds_read_b128 v[1:4], v14
	v_cmp_ne_u32_e32 vcc_lo, 1, v15
	s_cbranch_vccnz .LBB27_306
; %bb.305:
	s_clause 0x3
	buffer_load_dword v65, v13, s[0:3], 0 offen offset:8
	buffer_load_dword v66, v13, s[0:3], 0 offen offset:12
	buffer_load_dword v68, v13, s[0:3], 0 offen
	buffer_load_dword v69, v13, s[0:3], 0 offen offset:4
	s_waitcnt vmcnt(2) lgkmcnt(0)
	v_mul_f64 v[70:71], v[3:4], v[65:66]
	v_mul_f64 v[65:66], v[1:2], v[65:66]
	s_waitcnt vmcnt(0)
	v_fma_f64 v[1:2], v[1:2], v[68:69], -v[70:71]
	v_fma_f64 v[3:4], v[3:4], v[68:69], v[65:66]
.LBB27_306:
	s_mov_b32 s6, exec_lo
	v_cmpx_ne_u32_e32 11, v0
	s_cbranch_execz .LBB27_310
; %bb.307:
	v_add_nc_u32_e32 v16, 0x1d0, v67
	v_add3_u32 v65, 0, v67, 16
	v_mov_b32_e32 v66, v0
	s_mov_b32 s8, 0
	.p2align	6
.LBB27_308:                             ; =>This Inner Loop Header: Depth=1
	s_clause 0x3
	buffer_load_dword v72, v65, s[0:3], 0 offen offset:8
	buffer_load_dword v73, v65, s[0:3], 0 offen offset:12
	buffer_load_dword v74, v65, s[0:3], 0 offen
	buffer_load_dword v75, v65, s[0:3], 0 offen offset:4
	ds_read_b128 v[68:71], v16
	v_add_nc_u32_e32 v66, 1, v66
	v_add_nc_u32_e32 v16, 16, v16
	;; [unrolled: 1-line block ×3, first 2 shown]
	v_cmp_lt_u32_e32 vcc_lo, 10, v66
	s_or_b32 s8, vcc_lo, s8
	s_waitcnt vmcnt(2) lgkmcnt(0)
	v_mul_f64 v[76:77], v[70:71], v[72:73]
	v_mul_f64 v[72:73], v[68:69], v[72:73]
	s_waitcnt vmcnt(0)
	v_fma_f64 v[68:69], v[68:69], v[74:75], -v[76:77]
	v_fma_f64 v[70:71], v[70:71], v[74:75], v[72:73]
	v_add_f64 v[1:2], v[1:2], v[68:69]
	v_add_f64 v[3:4], v[3:4], v[70:71]
	s_andn2_b32 exec_lo, exec_lo, s8
	s_cbranch_execnz .LBB27_308
; %bb.309:
	s_or_b32 exec_lo, exec_lo, s8
.LBB27_310:
	s_or_b32 exec_lo, exec_lo, s6
	v_mov_b32_e32 v16, 0
	ds_read_b128 v[68:71], v16 offset:192
	s_waitcnt lgkmcnt(0)
	v_mul_f64 v[65:66], v[3:4], v[70:71]
	v_mul_f64 v[70:71], v[1:2], v[70:71]
	v_fma_f64 v[1:2], v[1:2], v[68:69], -v[65:66]
	v_fma_f64 v[3:4], v[3:4], v[68:69], v[70:71]
	buffer_store_dword v2, off, s[0:3], 0 offset:196
	buffer_store_dword v1, off, s[0:3], 0 offset:192
	;; [unrolled: 1-line block ×4, first 2 shown]
.LBB27_311:
	s_or_b32 exec_lo, exec_lo, s4
	v_mov_b32_e32 v4, s22
	s_mov_b32 s4, exec_lo
	s_clause 0x3
	buffer_load_dword v1, v4, s[0:3], 0 offen
	buffer_load_dword v2, v4, s[0:3], 0 offen offset:4
	buffer_load_dword v3, v4, s[0:3], 0 offen offset:8
	;; [unrolled: 1-line block ×3, first 2 shown]
	s_waitcnt vmcnt(0)
	ds_write_b128 v14, v[1:4]
	s_waitcnt lgkmcnt(0)
	s_waitcnt_vscnt null, 0x0
	s_barrier
	buffer_gl0_inv
	v_cmpx_gt_u32_e32 13, v0
	s_cbranch_execz .LBB27_319
; %bb.312:
	ds_read_b128 v[1:4], v14
	v_cmp_ne_u32_e32 vcc_lo, 1, v15
	s_cbranch_vccnz .LBB27_314
; %bb.313:
	s_clause 0x3
	buffer_load_dword v65, v13, s[0:3], 0 offen offset:8
	buffer_load_dword v66, v13, s[0:3], 0 offen offset:12
	buffer_load_dword v68, v13, s[0:3], 0 offen
	buffer_load_dword v69, v13, s[0:3], 0 offen offset:4
	s_waitcnt vmcnt(2) lgkmcnt(0)
	v_mul_f64 v[70:71], v[3:4], v[65:66]
	v_mul_f64 v[65:66], v[1:2], v[65:66]
	s_waitcnt vmcnt(0)
	v_fma_f64 v[1:2], v[1:2], v[68:69], -v[70:71]
	v_fma_f64 v[3:4], v[3:4], v[68:69], v[65:66]
.LBB27_314:
	s_mov_b32 s6, exec_lo
	v_cmpx_ne_u32_e32 12, v0
	s_cbranch_execz .LBB27_318
; %bb.315:
	v_add_nc_u32_e32 v16, 0x1d0, v67
	v_add3_u32 v65, 0, v67, 16
	v_mov_b32_e32 v66, v0
	s_mov_b32 s8, 0
	.p2align	6
.LBB27_316:                             ; =>This Inner Loop Header: Depth=1
	s_clause 0x3
	buffer_load_dword v72, v65, s[0:3], 0 offen offset:8
	buffer_load_dword v73, v65, s[0:3], 0 offen offset:12
	buffer_load_dword v74, v65, s[0:3], 0 offen
	buffer_load_dword v75, v65, s[0:3], 0 offen offset:4
	ds_read_b128 v[68:71], v16
	v_add_nc_u32_e32 v66, 1, v66
	v_add_nc_u32_e32 v16, 16, v16
	;; [unrolled: 1-line block ×3, first 2 shown]
	v_cmp_lt_u32_e32 vcc_lo, 11, v66
	s_or_b32 s8, vcc_lo, s8
	s_waitcnt vmcnt(2) lgkmcnt(0)
	v_mul_f64 v[76:77], v[70:71], v[72:73]
	v_mul_f64 v[72:73], v[68:69], v[72:73]
	s_waitcnt vmcnt(0)
	v_fma_f64 v[68:69], v[68:69], v[74:75], -v[76:77]
	v_fma_f64 v[70:71], v[70:71], v[74:75], v[72:73]
	v_add_f64 v[1:2], v[1:2], v[68:69]
	v_add_f64 v[3:4], v[3:4], v[70:71]
	s_andn2_b32 exec_lo, exec_lo, s8
	s_cbranch_execnz .LBB27_316
; %bb.317:
	s_or_b32 exec_lo, exec_lo, s8
.LBB27_318:
	s_or_b32 exec_lo, exec_lo, s6
	v_mov_b32_e32 v16, 0
	ds_read_b128 v[68:71], v16 offset:208
	s_waitcnt lgkmcnt(0)
	v_mul_f64 v[65:66], v[3:4], v[70:71]
	v_mul_f64 v[70:71], v[1:2], v[70:71]
	v_fma_f64 v[1:2], v[1:2], v[68:69], -v[65:66]
	v_fma_f64 v[3:4], v[3:4], v[68:69], v[70:71]
	buffer_store_dword v2, off, s[0:3], 0 offset:212
	buffer_store_dword v1, off, s[0:3], 0 offset:208
	;; [unrolled: 1-line block ×4, first 2 shown]
.LBB27_319:
	s_or_b32 exec_lo, exec_lo, s4
	v_mov_b32_e32 v4, s21
	s_mov_b32 s4, exec_lo
	s_clause 0x3
	buffer_load_dword v1, v4, s[0:3], 0 offen
	buffer_load_dword v2, v4, s[0:3], 0 offen offset:4
	buffer_load_dword v3, v4, s[0:3], 0 offen offset:8
	;; [unrolled: 1-line block ×3, first 2 shown]
	s_waitcnt vmcnt(0)
	ds_write_b128 v14, v[1:4]
	s_waitcnt lgkmcnt(0)
	s_waitcnt_vscnt null, 0x0
	s_barrier
	buffer_gl0_inv
	v_cmpx_gt_u32_e32 14, v0
	s_cbranch_execz .LBB27_327
; %bb.320:
	ds_read_b128 v[1:4], v14
	v_cmp_ne_u32_e32 vcc_lo, 1, v15
	s_cbranch_vccnz .LBB27_322
; %bb.321:
	s_clause 0x3
	buffer_load_dword v65, v13, s[0:3], 0 offen offset:8
	buffer_load_dword v66, v13, s[0:3], 0 offen offset:12
	buffer_load_dword v68, v13, s[0:3], 0 offen
	buffer_load_dword v69, v13, s[0:3], 0 offen offset:4
	s_waitcnt vmcnt(2) lgkmcnt(0)
	v_mul_f64 v[70:71], v[3:4], v[65:66]
	v_mul_f64 v[65:66], v[1:2], v[65:66]
	s_waitcnt vmcnt(0)
	v_fma_f64 v[1:2], v[1:2], v[68:69], -v[70:71]
	v_fma_f64 v[3:4], v[3:4], v[68:69], v[65:66]
.LBB27_322:
	s_mov_b32 s6, exec_lo
	v_cmpx_ne_u32_e32 13, v0
	s_cbranch_execz .LBB27_326
; %bb.323:
	v_add_nc_u32_e32 v16, 0x1d0, v67
	v_add3_u32 v65, 0, v67, 16
	v_mov_b32_e32 v66, v0
	s_mov_b32 s8, 0
	.p2align	6
.LBB27_324:                             ; =>This Inner Loop Header: Depth=1
	s_clause 0x3
	buffer_load_dword v72, v65, s[0:3], 0 offen offset:8
	buffer_load_dword v73, v65, s[0:3], 0 offen offset:12
	buffer_load_dword v74, v65, s[0:3], 0 offen
	buffer_load_dword v75, v65, s[0:3], 0 offen offset:4
	ds_read_b128 v[68:71], v16
	v_add_nc_u32_e32 v66, 1, v66
	v_add_nc_u32_e32 v16, 16, v16
	;; [unrolled: 1-line block ×3, first 2 shown]
	v_cmp_lt_u32_e32 vcc_lo, 12, v66
	s_or_b32 s8, vcc_lo, s8
	s_waitcnt vmcnt(2) lgkmcnt(0)
	v_mul_f64 v[76:77], v[70:71], v[72:73]
	v_mul_f64 v[72:73], v[68:69], v[72:73]
	s_waitcnt vmcnt(0)
	v_fma_f64 v[68:69], v[68:69], v[74:75], -v[76:77]
	v_fma_f64 v[70:71], v[70:71], v[74:75], v[72:73]
	v_add_f64 v[1:2], v[1:2], v[68:69]
	v_add_f64 v[3:4], v[3:4], v[70:71]
	s_andn2_b32 exec_lo, exec_lo, s8
	s_cbranch_execnz .LBB27_324
; %bb.325:
	s_or_b32 exec_lo, exec_lo, s8
.LBB27_326:
	s_or_b32 exec_lo, exec_lo, s6
	v_mov_b32_e32 v16, 0
	ds_read_b128 v[68:71], v16 offset:224
	s_waitcnt lgkmcnt(0)
	v_mul_f64 v[65:66], v[3:4], v[70:71]
	v_mul_f64 v[70:71], v[1:2], v[70:71]
	v_fma_f64 v[1:2], v[1:2], v[68:69], -v[65:66]
	v_fma_f64 v[3:4], v[3:4], v[68:69], v[70:71]
	buffer_store_dword v2, off, s[0:3], 0 offset:228
	buffer_store_dword v1, off, s[0:3], 0 offset:224
	;; [unrolled: 1-line block ×4, first 2 shown]
.LBB27_327:
	s_or_b32 exec_lo, exec_lo, s4
	v_mov_b32_e32 v4, s20
	s_mov_b32 s4, exec_lo
	s_clause 0x3
	buffer_load_dword v1, v4, s[0:3], 0 offen
	buffer_load_dword v2, v4, s[0:3], 0 offen offset:4
	buffer_load_dword v3, v4, s[0:3], 0 offen offset:8
	;; [unrolled: 1-line block ×3, first 2 shown]
	s_waitcnt vmcnt(0)
	ds_write_b128 v14, v[1:4]
	s_waitcnt lgkmcnt(0)
	s_waitcnt_vscnt null, 0x0
	s_barrier
	buffer_gl0_inv
	v_cmpx_gt_u32_e32 15, v0
	s_cbranch_execz .LBB27_335
; %bb.328:
	ds_read_b128 v[1:4], v14
	v_cmp_ne_u32_e32 vcc_lo, 1, v15
	s_cbranch_vccnz .LBB27_330
; %bb.329:
	s_clause 0x3
	buffer_load_dword v65, v13, s[0:3], 0 offen offset:8
	buffer_load_dword v66, v13, s[0:3], 0 offen offset:12
	buffer_load_dword v68, v13, s[0:3], 0 offen
	buffer_load_dword v69, v13, s[0:3], 0 offen offset:4
	s_waitcnt vmcnt(2) lgkmcnt(0)
	v_mul_f64 v[70:71], v[3:4], v[65:66]
	v_mul_f64 v[65:66], v[1:2], v[65:66]
	s_waitcnt vmcnt(0)
	v_fma_f64 v[1:2], v[1:2], v[68:69], -v[70:71]
	v_fma_f64 v[3:4], v[3:4], v[68:69], v[65:66]
.LBB27_330:
	s_mov_b32 s6, exec_lo
	v_cmpx_ne_u32_e32 14, v0
	s_cbranch_execz .LBB27_334
; %bb.331:
	v_add_nc_u32_e32 v16, 0x1d0, v67
	v_add3_u32 v65, 0, v67, 16
	v_mov_b32_e32 v66, v0
	s_mov_b32 s8, 0
	.p2align	6
.LBB27_332:                             ; =>This Inner Loop Header: Depth=1
	s_clause 0x3
	buffer_load_dword v72, v65, s[0:3], 0 offen offset:8
	buffer_load_dword v73, v65, s[0:3], 0 offen offset:12
	buffer_load_dword v74, v65, s[0:3], 0 offen
	buffer_load_dword v75, v65, s[0:3], 0 offen offset:4
	ds_read_b128 v[68:71], v16
	v_add_nc_u32_e32 v66, 1, v66
	v_add_nc_u32_e32 v16, 16, v16
	;; [unrolled: 1-line block ×3, first 2 shown]
	v_cmp_lt_u32_e32 vcc_lo, 13, v66
	s_or_b32 s8, vcc_lo, s8
	s_waitcnt vmcnt(2) lgkmcnt(0)
	v_mul_f64 v[76:77], v[70:71], v[72:73]
	v_mul_f64 v[72:73], v[68:69], v[72:73]
	s_waitcnt vmcnt(0)
	v_fma_f64 v[68:69], v[68:69], v[74:75], -v[76:77]
	v_fma_f64 v[70:71], v[70:71], v[74:75], v[72:73]
	v_add_f64 v[1:2], v[1:2], v[68:69]
	v_add_f64 v[3:4], v[3:4], v[70:71]
	s_andn2_b32 exec_lo, exec_lo, s8
	s_cbranch_execnz .LBB27_332
; %bb.333:
	s_or_b32 exec_lo, exec_lo, s8
.LBB27_334:
	s_or_b32 exec_lo, exec_lo, s6
	v_mov_b32_e32 v16, 0
	ds_read_b128 v[68:71], v16 offset:240
	s_waitcnt lgkmcnt(0)
	v_mul_f64 v[65:66], v[3:4], v[70:71]
	v_mul_f64 v[70:71], v[1:2], v[70:71]
	v_fma_f64 v[1:2], v[1:2], v[68:69], -v[65:66]
	v_fma_f64 v[3:4], v[3:4], v[68:69], v[70:71]
	buffer_store_dword v2, off, s[0:3], 0 offset:244
	buffer_store_dword v1, off, s[0:3], 0 offset:240
	;; [unrolled: 1-line block ×4, first 2 shown]
.LBB27_335:
	s_or_b32 exec_lo, exec_lo, s4
	v_mov_b32_e32 v4, s19
	s_mov_b32 s4, exec_lo
	s_clause 0x3
	buffer_load_dword v1, v4, s[0:3], 0 offen
	buffer_load_dword v2, v4, s[0:3], 0 offen offset:4
	buffer_load_dword v3, v4, s[0:3], 0 offen offset:8
	;; [unrolled: 1-line block ×3, first 2 shown]
	s_waitcnt vmcnt(0)
	ds_write_b128 v14, v[1:4]
	s_waitcnt lgkmcnt(0)
	s_waitcnt_vscnt null, 0x0
	s_barrier
	buffer_gl0_inv
	v_cmpx_gt_u32_e32 16, v0
	s_cbranch_execz .LBB27_343
; %bb.336:
	ds_read_b128 v[1:4], v14
	v_cmp_ne_u32_e32 vcc_lo, 1, v15
	s_cbranch_vccnz .LBB27_338
; %bb.337:
	s_clause 0x3
	buffer_load_dword v65, v13, s[0:3], 0 offen offset:8
	buffer_load_dword v66, v13, s[0:3], 0 offen offset:12
	buffer_load_dword v68, v13, s[0:3], 0 offen
	buffer_load_dword v69, v13, s[0:3], 0 offen offset:4
	s_waitcnt vmcnt(2) lgkmcnt(0)
	v_mul_f64 v[70:71], v[3:4], v[65:66]
	v_mul_f64 v[65:66], v[1:2], v[65:66]
	s_waitcnt vmcnt(0)
	v_fma_f64 v[1:2], v[1:2], v[68:69], -v[70:71]
	v_fma_f64 v[3:4], v[3:4], v[68:69], v[65:66]
.LBB27_338:
	s_mov_b32 s6, exec_lo
	v_cmpx_ne_u32_e32 15, v0
	s_cbranch_execz .LBB27_342
; %bb.339:
	v_add_nc_u32_e32 v16, 0x1d0, v67
	v_add3_u32 v65, 0, v67, 16
	v_mov_b32_e32 v66, v0
	s_mov_b32 s8, 0
	.p2align	6
.LBB27_340:                             ; =>This Inner Loop Header: Depth=1
	s_clause 0x3
	buffer_load_dword v72, v65, s[0:3], 0 offen offset:8
	buffer_load_dword v73, v65, s[0:3], 0 offen offset:12
	buffer_load_dword v74, v65, s[0:3], 0 offen
	buffer_load_dword v75, v65, s[0:3], 0 offen offset:4
	ds_read_b128 v[68:71], v16
	v_add_nc_u32_e32 v66, 1, v66
	v_add_nc_u32_e32 v16, 16, v16
	;; [unrolled: 1-line block ×3, first 2 shown]
	v_cmp_lt_u32_e32 vcc_lo, 14, v66
	s_or_b32 s8, vcc_lo, s8
	s_waitcnt vmcnt(2) lgkmcnt(0)
	v_mul_f64 v[76:77], v[70:71], v[72:73]
	v_mul_f64 v[72:73], v[68:69], v[72:73]
	s_waitcnt vmcnt(0)
	v_fma_f64 v[68:69], v[68:69], v[74:75], -v[76:77]
	v_fma_f64 v[70:71], v[70:71], v[74:75], v[72:73]
	v_add_f64 v[1:2], v[1:2], v[68:69]
	v_add_f64 v[3:4], v[3:4], v[70:71]
	s_andn2_b32 exec_lo, exec_lo, s8
	s_cbranch_execnz .LBB27_340
; %bb.341:
	s_or_b32 exec_lo, exec_lo, s8
.LBB27_342:
	s_or_b32 exec_lo, exec_lo, s6
	v_mov_b32_e32 v16, 0
	ds_read_b128 v[68:71], v16 offset:256
	s_waitcnt lgkmcnt(0)
	v_mul_f64 v[65:66], v[3:4], v[70:71]
	v_mul_f64 v[70:71], v[1:2], v[70:71]
	v_fma_f64 v[1:2], v[1:2], v[68:69], -v[65:66]
	v_fma_f64 v[3:4], v[3:4], v[68:69], v[70:71]
	buffer_store_dword v2, off, s[0:3], 0 offset:260
	buffer_store_dword v1, off, s[0:3], 0 offset:256
	;; [unrolled: 1-line block ×4, first 2 shown]
.LBB27_343:
	s_or_b32 exec_lo, exec_lo, s4
	v_mov_b32_e32 v4, s18
	s_mov_b32 s4, exec_lo
	s_clause 0x3
	buffer_load_dword v1, v4, s[0:3], 0 offen
	buffer_load_dword v2, v4, s[0:3], 0 offen offset:4
	buffer_load_dword v3, v4, s[0:3], 0 offen offset:8
	;; [unrolled: 1-line block ×3, first 2 shown]
	s_waitcnt vmcnt(0)
	ds_write_b128 v14, v[1:4]
	s_waitcnt lgkmcnt(0)
	s_waitcnt_vscnt null, 0x0
	s_barrier
	buffer_gl0_inv
	v_cmpx_gt_u32_e32 17, v0
	s_cbranch_execz .LBB27_351
; %bb.344:
	ds_read_b128 v[1:4], v14
	v_cmp_ne_u32_e32 vcc_lo, 1, v15
	s_cbranch_vccnz .LBB27_346
; %bb.345:
	s_clause 0x3
	buffer_load_dword v65, v13, s[0:3], 0 offen offset:8
	buffer_load_dword v66, v13, s[0:3], 0 offen offset:12
	buffer_load_dword v68, v13, s[0:3], 0 offen
	buffer_load_dword v69, v13, s[0:3], 0 offen offset:4
	s_waitcnt vmcnt(2) lgkmcnt(0)
	v_mul_f64 v[70:71], v[3:4], v[65:66]
	v_mul_f64 v[65:66], v[1:2], v[65:66]
	s_waitcnt vmcnt(0)
	v_fma_f64 v[1:2], v[1:2], v[68:69], -v[70:71]
	v_fma_f64 v[3:4], v[3:4], v[68:69], v[65:66]
.LBB27_346:
	s_mov_b32 s6, exec_lo
	v_cmpx_ne_u32_e32 16, v0
	s_cbranch_execz .LBB27_350
; %bb.347:
	v_add_nc_u32_e32 v16, 0x1d0, v67
	v_add3_u32 v65, 0, v67, 16
	v_mov_b32_e32 v66, v0
	s_mov_b32 s8, 0
	.p2align	6
.LBB27_348:                             ; =>This Inner Loop Header: Depth=1
	s_clause 0x3
	buffer_load_dword v72, v65, s[0:3], 0 offen offset:8
	buffer_load_dword v73, v65, s[0:3], 0 offen offset:12
	buffer_load_dword v74, v65, s[0:3], 0 offen
	buffer_load_dword v75, v65, s[0:3], 0 offen offset:4
	ds_read_b128 v[68:71], v16
	v_add_nc_u32_e32 v66, 1, v66
	v_add_nc_u32_e32 v16, 16, v16
	;; [unrolled: 1-line block ×3, first 2 shown]
	v_cmp_lt_u32_e32 vcc_lo, 15, v66
	s_or_b32 s8, vcc_lo, s8
	s_waitcnt vmcnt(2) lgkmcnt(0)
	v_mul_f64 v[76:77], v[70:71], v[72:73]
	v_mul_f64 v[72:73], v[68:69], v[72:73]
	s_waitcnt vmcnt(0)
	v_fma_f64 v[68:69], v[68:69], v[74:75], -v[76:77]
	v_fma_f64 v[70:71], v[70:71], v[74:75], v[72:73]
	v_add_f64 v[1:2], v[1:2], v[68:69]
	v_add_f64 v[3:4], v[3:4], v[70:71]
	s_andn2_b32 exec_lo, exec_lo, s8
	s_cbranch_execnz .LBB27_348
; %bb.349:
	s_or_b32 exec_lo, exec_lo, s8
.LBB27_350:
	s_or_b32 exec_lo, exec_lo, s6
	v_mov_b32_e32 v16, 0
	ds_read_b128 v[68:71], v16 offset:272
	s_waitcnt lgkmcnt(0)
	v_mul_f64 v[65:66], v[3:4], v[70:71]
	v_mul_f64 v[70:71], v[1:2], v[70:71]
	v_fma_f64 v[1:2], v[1:2], v[68:69], -v[65:66]
	v_fma_f64 v[3:4], v[3:4], v[68:69], v[70:71]
	buffer_store_dword v2, off, s[0:3], 0 offset:276
	buffer_store_dword v1, off, s[0:3], 0 offset:272
	;; [unrolled: 1-line block ×4, first 2 shown]
.LBB27_351:
	s_or_b32 exec_lo, exec_lo, s4
	v_mov_b32_e32 v4, s17
	s_mov_b32 s4, exec_lo
	s_clause 0x3
	buffer_load_dword v1, v4, s[0:3], 0 offen
	buffer_load_dword v2, v4, s[0:3], 0 offen offset:4
	buffer_load_dword v3, v4, s[0:3], 0 offen offset:8
	;; [unrolled: 1-line block ×3, first 2 shown]
	s_waitcnt vmcnt(0)
	ds_write_b128 v14, v[1:4]
	s_waitcnt lgkmcnt(0)
	s_waitcnt_vscnt null, 0x0
	s_barrier
	buffer_gl0_inv
	v_cmpx_gt_u32_e32 18, v0
	s_cbranch_execz .LBB27_359
; %bb.352:
	ds_read_b128 v[1:4], v14
	v_cmp_ne_u32_e32 vcc_lo, 1, v15
	s_cbranch_vccnz .LBB27_354
; %bb.353:
	s_clause 0x3
	buffer_load_dword v65, v13, s[0:3], 0 offen offset:8
	buffer_load_dword v66, v13, s[0:3], 0 offen offset:12
	buffer_load_dword v68, v13, s[0:3], 0 offen
	buffer_load_dword v69, v13, s[0:3], 0 offen offset:4
	s_waitcnt vmcnt(2) lgkmcnt(0)
	v_mul_f64 v[70:71], v[3:4], v[65:66]
	v_mul_f64 v[65:66], v[1:2], v[65:66]
	s_waitcnt vmcnt(0)
	v_fma_f64 v[1:2], v[1:2], v[68:69], -v[70:71]
	v_fma_f64 v[3:4], v[3:4], v[68:69], v[65:66]
.LBB27_354:
	s_mov_b32 s6, exec_lo
	v_cmpx_ne_u32_e32 17, v0
	s_cbranch_execz .LBB27_358
; %bb.355:
	v_add_nc_u32_e32 v16, 0x1d0, v67
	v_add3_u32 v65, 0, v67, 16
	v_mov_b32_e32 v66, v0
	s_mov_b32 s8, 0
	.p2align	6
.LBB27_356:                             ; =>This Inner Loop Header: Depth=1
	s_clause 0x3
	buffer_load_dword v72, v65, s[0:3], 0 offen offset:8
	buffer_load_dword v73, v65, s[0:3], 0 offen offset:12
	buffer_load_dword v74, v65, s[0:3], 0 offen
	buffer_load_dword v75, v65, s[0:3], 0 offen offset:4
	ds_read_b128 v[68:71], v16
	v_add_nc_u32_e32 v66, 1, v66
	v_add_nc_u32_e32 v16, 16, v16
	;; [unrolled: 1-line block ×3, first 2 shown]
	v_cmp_lt_u32_e32 vcc_lo, 16, v66
	s_or_b32 s8, vcc_lo, s8
	s_waitcnt vmcnt(2) lgkmcnt(0)
	v_mul_f64 v[76:77], v[70:71], v[72:73]
	v_mul_f64 v[72:73], v[68:69], v[72:73]
	s_waitcnt vmcnt(0)
	v_fma_f64 v[68:69], v[68:69], v[74:75], -v[76:77]
	v_fma_f64 v[70:71], v[70:71], v[74:75], v[72:73]
	v_add_f64 v[1:2], v[1:2], v[68:69]
	v_add_f64 v[3:4], v[3:4], v[70:71]
	s_andn2_b32 exec_lo, exec_lo, s8
	s_cbranch_execnz .LBB27_356
; %bb.357:
	s_or_b32 exec_lo, exec_lo, s8
.LBB27_358:
	s_or_b32 exec_lo, exec_lo, s6
	v_mov_b32_e32 v16, 0
	ds_read_b128 v[68:71], v16 offset:288
	s_waitcnt lgkmcnt(0)
	v_mul_f64 v[65:66], v[3:4], v[70:71]
	v_mul_f64 v[70:71], v[1:2], v[70:71]
	v_fma_f64 v[1:2], v[1:2], v[68:69], -v[65:66]
	v_fma_f64 v[3:4], v[3:4], v[68:69], v[70:71]
	buffer_store_dword v2, off, s[0:3], 0 offset:292
	buffer_store_dword v1, off, s[0:3], 0 offset:288
	;; [unrolled: 1-line block ×4, first 2 shown]
.LBB27_359:
	s_or_b32 exec_lo, exec_lo, s4
	v_mov_b32_e32 v4, s16
	s_mov_b32 s4, exec_lo
	s_clause 0x3
	buffer_load_dword v1, v4, s[0:3], 0 offen
	buffer_load_dword v2, v4, s[0:3], 0 offen offset:4
	buffer_load_dword v3, v4, s[0:3], 0 offen offset:8
	;; [unrolled: 1-line block ×3, first 2 shown]
	s_waitcnt vmcnt(0)
	ds_write_b128 v14, v[1:4]
	s_waitcnt lgkmcnt(0)
	s_waitcnt_vscnt null, 0x0
	s_barrier
	buffer_gl0_inv
	v_cmpx_gt_u32_e32 19, v0
	s_cbranch_execz .LBB27_367
; %bb.360:
	ds_read_b128 v[1:4], v14
	v_cmp_ne_u32_e32 vcc_lo, 1, v15
	s_cbranch_vccnz .LBB27_362
; %bb.361:
	s_clause 0x3
	buffer_load_dword v65, v13, s[0:3], 0 offen offset:8
	buffer_load_dword v66, v13, s[0:3], 0 offen offset:12
	buffer_load_dword v68, v13, s[0:3], 0 offen
	buffer_load_dword v69, v13, s[0:3], 0 offen offset:4
	s_waitcnt vmcnt(2) lgkmcnt(0)
	v_mul_f64 v[70:71], v[3:4], v[65:66]
	v_mul_f64 v[65:66], v[1:2], v[65:66]
	s_waitcnt vmcnt(0)
	v_fma_f64 v[1:2], v[1:2], v[68:69], -v[70:71]
	v_fma_f64 v[3:4], v[3:4], v[68:69], v[65:66]
.LBB27_362:
	s_mov_b32 s6, exec_lo
	v_cmpx_ne_u32_e32 18, v0
	s_cbranch_execz .LBB27_366
; %bb.363:
	v_add_nc_u32_e32 v16, 0x1d0, v67
	v_add3_u32 v65, 0, v67, 16
	v_mov_b32_e32 v66, v0
	s_mov_b32 s8, 0
	.p2align	6
.LBB27_364:                             ; =>This Inner Loop Header: Depth=1
	s_clause 0x3
	buffer_load_dword v72, v65, s[0:3], 0 offen offset:8
	buffer_load_dword v73, v65, s[0:3], 0 offen offset:12
	buffer_load_dword v74, v65, s[0:3], 0 offen
	buffer_load_dword v75, v65, s[0:3], 0 offen offset:4
	ds_read_b128 v[68:71], v16
	v_add_nc_u32_e32 v66, 1, v66
	v_add_nc_u32_e32 v16, 16, v16
	;; [unrolled: 1-line block ×3, first 2 shown]
	v_cmp_lt_u32_e32 vcc_lo, 17, v66
	s_or_b32 s8, vcc_lo, s8
	s_waitcnt vmcnt(2) lgkmcnt(0)
	v_mul_f64 v[76:77], v[70:71], v[72:73]
	v_mul_f64 v[72:73], v[68:69], v[72:73]
	s_waitcnt vmcnt(0)
	v_fma_f64 v[68:69], v[68:69], v[74:75], -v[76:77]
	v_fma_f64 v[70:71], v[70:71], v[74:75], v[72:73]
	v_add_f64 v[1:2], v[1:2], v[68:69]
	v_add_f64 v[3:4], v[3:4], v[70:71]
	s_andn2_b32 exec_lo, exec_lo, s8
	s_cbranch_execnz .LBB27_364
; %bb.365:
	s_or_b32 exec_lo, exec_lo, s8
.LBB27_366:
	s_or_b32 exec_lo, exec_lo, s6
	v_mov_b32_e32 v16, 0
	ds_read_b128 v[68:71], v16 offset:304
	s_waitcnt lgkmcnt(0)
	v_mul_f64 v[65:66], v[3:4], v[70:71]
	v_mul_f64 v[70:71], v[1:2], v[70:71]
	v_fma_f64 v[1:2], v[1:2], v[68:69], -v[65:66]
	v_fma_f64 v[3:4], v[3:4], v[68:69], v[70:71]
	buffer_store_dword v2, off, s[0:3], 0 offset:308
	buffer_store_dword v1, off, s[0:3], 0 offset:304
	;; [unrolled: 1-line block ×4, first 2 shown]
.LBB27_367:
	s_or_b32 exec_lo, exec_lo, s4
	v_mov_b32_e32 v4, s15
	s_mov_b32 s4, exec_lo
	s_clause 0x3
	buffer_load_dword v1, v4, s[0:3], 0 offen
	buffer_load_dword v2, v4, s[0:3], 0 offen offset:4
	buffer_load_dword v3, v4, s[0:3], 0 offen offset:8
	;; [unrolled: 1-line block ×3, first 2 shown]
	s_waitcnt vmcnt(0)
	ds_write_b128 v14, v[1:4]
	s_waitcnt lgkmcnt(0)
	s_waitcnt_vscnt null, 0x0
	s_barrier
	buffer_gl0_inv
	v_cmpx_gt_u32_e32 20, v0
	s_cbranch_execz .LBB27_375
; %bb.368:
	ds_read_b128 v[1:4], v14
	v_cmp_ne_u32_e32 vcc_lo, 1, v15
	s_cbranch_vccnz .LBB27_370
; %bb.369:
	s_clause 0x3
	buffer_load_dword v65, v13, s[0:3], 0 offen offset:8
	buffer_load_dword v66, v13, s[0:3], 0 offen offset:12
	buffer_load_dword v68, v13, s[0:3], 0 offen
	buffer_load_dword v69, v13, s[0:3], 0 offen offset:4
	s_waitcnt vmcnt(2) lgkmcnt(0)
	v_mul_f64 v[70:71], v[3:4], v[65:66]
	v_mul_f64 v[65:66], v[1:2], v[65:66]
	s_waitcnt vmcnt(0)
	v_fma_f64 v[1:2], v[1:2], v[68:69], -v[70:71]
	v_fma_f64 v[3:4], v[3:4], v[68:69], v[65:66]
.LBB27_370:
	s_mov_b32 s6, exec_lo
	v_cmpx_ne_u32_e32 19, v0
	s_cbranch_execz .LBB27_374
; %bb.371:
	v_add_nc_u32_e32 v16, 0x1d0, v67
	v_add3_u32 v65, 0, v67, 16
	v_mov_b32_e32 v66, v0
	s_mov_b32 s8, 0
	.p2align	6
.LBB27_372:                             ; =>This Inner Loop Header: Depth=1
	s_clause 0x3
	buffer_load_dword v72, v65, s[0:3], 0 offen offset:8
	buffer_load_dword v73, v65, s[0:3], 0 offen offset:12
	buffer_load_dword v74, v65, s[0:3], 0 offen
	buffer_load_dword v75, v65, s[0:3], 0 offen offset:4
	ds_read_b128 v[68:71], v16
	v_add_nc_u32_e32 v66, 1, v66
	v_add_nc_u32_e32 v16, 16, v16
	;; [unrolled: 1-line block ×3, first 2 shown]
	v_cmp_lt_u32_e32 vcc_lo, 18, v66
	s_or_b32 s8, vcc_lo, s8
	s_waitcnt vmcnt(2) lgkmcnt(0)
	v_mul_f64 v[76:77], v[70:71], v[72:73]
	v_mul_f64 v[72:73], v[68:69], v[72:73]
	s_waitcnt vmcnt(0)
	v_fma_f64 v[68:69], v[68:69], v[74:75], -v[76:77]
	v_fma_f64 v[70:71], v[70:71], v[74:75], v[72:73]
	v_add_f64 v[1:2], v[1:2], v[68:69]
	v_add_f64 v[3:4], v[3:4], v[70:71]
	s_andn2_b32 exec_lo, exec_lo, s8
	s_cbranch_execnz .LBB27_372
; %bb.373:
	s_or_b32 exec_lo, exec_lo, s8
.LBB27_374:
	s_or_b32 exec_lo, exec_lo, s6
	v_mov_b32_e32 v16, 0
	ds_read_b128 v[68:71], v16 offset:320
	s_waitcnt lgkmcnt(0)
	v_mul_f64 v[65:66], v[3:4], v[70:71]
	v_mul_f64 v[70:71], v[1:2], v[70:71]
	v_fma_f64 v[1:2], v[1:2], v[68:69], -v[65:66]
	v_fma_f64 v[3:4], v[3:4], v[68:69], v[70:71]
	buffer_store_dword v2, off, s[0:3], 0 offset:324
	buffer_store_dword v1, off, s[0:3], 0 offset:320
	;; [unrolled: 1-line block ×4, first 2 shown]
.LBB27_375:
	s_or_b32 exec_lo, exec_lo, s4
	v_mov_b32_e32 v4, s14
	s_mov_b32 s4, exec_lo
	s_clause 0x3
	buffer_load_dword v1, v4, s[0:3], 0 offen
	buffer_load_dword v2, v4, s[0:3], 0 offen offset:4
	buffer_load_dword v3, v4, s[0:3], 0 offen offset:8
	;; [unrolled: 1-line block ×3, first 2 shown]
	s_waitcnt vmcnt(0)
	ds_write_b128 v14, v[1:4]
	s_waitcnt lgkmcnt(0)
	s_waitcnt_vscnt null, 0x0
	s_barrier
	buffer_gl0_inv
	v_cmpx_gt_u32_e32 21, v0
	s_cbranch_execz .LBB27_383
; %bb.376:
	ds_read_b128 v[1:4], v14
	v_cmp_ne_u32_e32 vcc_lo, 1, v15
	s_cbranch_vccnz .LBB27_378
; %bb.377:
	s_clause 0x3
	buffer_load_dword v65, v13, s[0:3], 0 offen offset:8
	buffer_load_dword v66, v13, s[0:3], 0 offen offset:12
	buffer_load_dword v68, v13, s[0:3], 0 offen
	buffer_load_dword v69, v13, s[0:3], 0 offen offset:4
	s_waitcnt vmcnt(2) lgkmcnt(0)
	v_mul_f64 v[70:71], v[3:4], v[65:66]
	v_mul_f64 v[65:66], v[1:2], v[65:66]
	s_waitcnt vmcnt(0)
	v_fma_f64 v[1:2], v[1:2], v[68:69], -v[70:71]
	v_fma_f64 v[3:4], v[3:4], v[68:69], v[65:66]
.LBB27_378:
	s_mov_b32 s6, exec_lo
	v_cmpx_ne_u32_e32 20, v0
	s_cbranch_execz .LBB27_382
; %bb.379:
	v_add_nc_u32_e32 v16, 0x1d0, v67
	v_add3_u32 v65, 0, v67, 16
	v_mov_b32_e32 v66, v0
	s_mov_b32 s8, 0
	.p2align	6
.LBB27_380:                             ; =>This Inner Loop Header: Depth=1
	s_clause 0x3
	buffer_load_dword v72, v65, s[0:3], 0 offen offset:8
	buffer_load_dword v73, v65, s[0:3], 0 offen offset:12
	buffer_load_dword v74, v65, s[0:3], 0 offen
	buffer_load_dword v75, v65, s[0:3], 0 offen offset:4
	ds_read_b128 v[68:71], v16
	v_add_nc_u32_e32 v66, 1, v66
	v_add_nc_u32_e32 v16, 16, v16
	;; [unrolled: 1-line block ×3, first 2 shown]
	v_cmp_lt_u32_e32 vcc_lo, 19, v66
	s_or_b32 s8, vcc_lo, s8
	s_waitcnt vmcnt(2) lgkmcnt(0)
	v_mul_f64 v[76:77], v[70:71], v[72:73]
	v_mul_f64 v[72:73], v[68:69], v[72:73]
	s_waitcnt vmcnt(0)
	v_fma_f64 v[68:69], v[68:69], v[74:75], -v[76:77]
	v_fma_f64 v[70:71], v[70:71], v[74:75], v[72:73]
	v_add_f64 v[1:2], v[1:2], v[68:69]
	v_add_f64 v[3:4], v[3:4], v[70:71]
	s_andn2_b32 exec_lo, exec_lo, s8
	s_cbranch_execnz .LBB27_380
; %bb.381:
	s_or_b32 exec_lo, exec_lo, s8
.LBB27_382:
	s_or_b32 exec_lo, exec_lo, s6
	v_mov_b32_e32 v16, 0
	ds_read_b128 v[68:71], v16 offset:336
	s_waitcnt lgkmcnt(0)
	v_mul_f64 v[65:66], v[3:4], v[70:71]
	v_mul_f64 v[70:71], v[1:2], v[70:71]
	v_fma_f64 v[1:2], v[1:2], v[68:69], -v[65:66]
	v_fma_f64 v[3:4], v[3:4], v[68:69], v[70:71]
	buffer_store_dword v2, off, s[0:3], 0 offset:340
	buffer_store_dword v1, off, s[0:3], 0 offset:336
	;; [unrolled: 1-line block ×4, first 2 shown]
.LBB27_383:
	s_or_b32 exec_lo, exec_lo, s4
	v_mov_b32_e32 v4, s13
	s_mov_b32 s4, exec_lo
	s_clause 0x3
	buffer_load_dword v1, v4, s[0:3], 0 offen
	buffer_load_dword v2, v4, s[0:3], 0 offen offset:4
	buffer_load_dword v3, v4, s[0:3], 0 offen offset:8
	buffer_load_dword v4, v4, s[0:3], 0 offen offset:12
	s_waitcnt vmcnt(0)
	ds_write_b128 v14, v[1:4]
	s_waitcnt lgkmcnt(0)
	s_waitcnt_vscnt null, 0x0
	s_barrier
	buffer_gl0_inv
	v_cmpx_gt_u32_e32 22, v0
	s_cbranch_execz .LBB27_391
; %bb.384:
	ds_read_b128 v[1:4], v14
	v_cmp_ne_u32_e32 vcc_lo, 1, v15
	s_cbranch_vccnz .LBB27_386
; %bb.385:
	s_clause 0x3
	buffer_load_dword v65, v13, s[0:3], 0 offen offset:8
	buffer_load_dword v66, v13, s[0:3], 0 offen offset:12
	buffer_load_dword v68, v13, s[0:3], 0 offen
	buffer_load_dword v69, v13, s[0:3], 0 offen offset:4
	s_waitcnt vmcnt(2) lgkmcnt(0)
	v_mul_f64 v[70:71], v[3:4], v[65:66]
	v_mul_f64 v[65:66], v[1:2], v[65:66]
	s_waitcnt vmcnt(0)
	v_fma_f64 v[1:2], v[1:2], v[68:69], -v[70:71]
	v_fma_f64 v[3:4], v[3:4], v[68:69], v[65:66]
.LBB27_386:
	s_mov_b32 s6, exec_lo
	v_cmpx_ne_u32_e32 21, v0
	s_cbranch_execz .LBB27_390
; %bb.387:
	v_add_nc_u32_e32 v16, 0x1d0, v67
	v_add3_u32 v65, 0, v67, 16
	v_mov_b32_e32 v66, v0
	s_mov_b32 s8, 0
	.p2align	6
.LBB27_388:                             ; =>This Inner Loop Header: Depth=1
	s_clause 0x3
	buffer_load_dword v72, v65, s[0:3], 0 offen offset:8
	buffer_load_dword v73, v65, s[0:3], 0 offen offset:12
	buffer_load_dword v74, v65, s[0:3], 0 offen
	buffer_load_dword v75, v65, s[0:3], 0 offen offset:4
	ds_read_b128 v[68:71], v16
	v_add_nc_u32_e32 v66, 1, v66
	v_add_nc_u32_e32 v16, 16, v16
	;; [unrolled: 1-line block ×3, first 2 shown]
	v_cmp_lt_u32_e32 vcc_lo, 20, v66
	s_or_b32 s8, vcc_lo, s8
	s_waitcnt vmcnt(2) lgkmcnt(0)
	v_mul_f64 v[76:77], v[70:71], v[72:73]
	v_mul_f64 v[72:73], v[68:69], v[72:73]
	s_waitcnt vmcnt(0)
	v_fma_f64 v[68:69], v[68:69], v[74:75], -v[76:77]
	v_fma_f64 v[70:71], v[70:71], v[74:75], v[72:73]
	v_add_f64 v[1:2], v[1:2], v[68:69]
	v_add_f64 v[3:4], v[3:4], v[70:71]
	s_andn2_b32 exec_lo, exec_lo, s8
	s_cbranch_execnz .LBB27_388
; %bb.389:
	s_or_b32 exec_lo, exec_lo, s8
.LBB27_390:
	s_or_b32 exec_lo, exec_lo, s6
	v_mov_b32_e32 v16, 0
	ds_read_b128 v[68:71], v16 offset:352
	s_waitcnt lgkmcnt(0)
	v_mul_f64 v[65:66], v[3:4], v[70:71]
	v_mul_f64 v[70:71], v[1:2], v[70:71]
	v_fma_f64 v[1:2], v[1:2], v[68:69], -v[65:66]
	v_fma_f64 v[3:4], v[3:4], v[68:69], v[70:71]
	buffer_store_dword v2, off, s[0:3], 0 offset:356
	buffer_store_dword v1, off, s[0:3], 0 offset:352
	;; [unrolled: 1-line block ×4, first 2 shown]
.LBB27_391:
	s_or_b32 exec_lo, exec_lo, s4
	v_mov_b32_e32 v4, s12
	s_mov_b32 s4, exec_lo
	s_clause 0x3
	buffer_load_dword v1, v4, s[0:3], 0 offen
	buffer_load_dword v2, v4, s[0:3], 0 offen offset:4
	buffer_load_dword v3, v4, s[0:3], 0 offen offset:8
	;; [unrolled: 1-line block ×3, first 2 shown]
	s_waitcnt vmcnt(0)
	ds_write_b128 v14, v[1:4]
	s_waitcnt lgkmcnt(0)
	s_waitcnt_vscnt null, 0x0
	s_barrier
	buffer_gl0_inv
	v_cmpx_gt_u32_e32 23, v0
	s_cbranch_execz .LBB27_399
; %bb.392:
	ds_read_b128 v[1:4], v14
	v_cmp_ne_u32_e32 vcc_lo, 1, v15
	s_cbranch_vccnz .LBB27_394
; %bb.393:
	s_clause 0x3
	buffer_load_dword v65, v13, s[0:3], 0 offen offset:8
	buffer_load_dword v66, v13, s[0:3], 0 offen offset:12
	buffer_load_dword v68, v13, s[0:3], 0 offen
	buffer_load_dword v69, v13, s[0:3], 0 offen offset:4
	s_waitcnt vmcnt(2) lgkmcnt(0)
	v_mul_f64 v[70:71], v[3:4], v[65:66]
	v_mul_f64 v[65:66], v[1:2], v[65:66]
	s_waitcnt vmcnt(0)
	v_fma_f64 v[1:2], v[1:2], v[68:69], -v[70:71]
	v_fma_f64 v[3:4], v[3:4], v[68:69], v[65:66]
.LBB27_394:
	s_mov_b32 s6, exec_lo
	v_cmpx_ne_u32_e32 22, v0
	s_cbranch_execz .LBB27_398
; %bb.395:
	v_add_nc_u32_e32 v16, 0x1d0, v67
	v_add3_u32 v65, 0, v67, 16
	v_mov_b32_e32 v66, v0
	s_mov_b32 s8, 0
	.p2align	6
.LBB27_396:                             ; =>This Inner Loop Header: Depth=1
	s_clause 0x3
	buffer_load_dword v72, v65, s[0:3], 0 offen offset:8
	buffer_load_dword v73, v65, s[0:3], 0 offen offset:12
	buffer_load_dword v74, v65, s[0:3], 0 offen
	buffer_load_dword v75, v65, s[0:3], 0 offen offset:4
	ds_read_b128 v[68:71], v16
	v_add_nc_u32_e32 v66, 1, v66
	v_add_nc_u32_e32 v16, 16, v16
	;; [unrolled: 1-line block ×3, first 2 shown]
	v_cmp_lt_u32_e32 vcc_lo, 21, v66
	s_or_b32 s8, vcc_lo, s8
	s_waitcnt vmcnt(2) lgkmcnt(0)
	v_mul_f64 v[76:77], v[70:71], v[72:73]
	v_mul_f64 v[72:73], v[68:69], v[72:73]
	s_waitcnt vmcnt(0)
	v_fma_f64 v[68:69], v[68:69], v[74:75], -v[76:77]
	v_fma_f64 v[70:71], v[70:71], v[74:75], v[72:73]
	v_add_f64 v[1:2], v[1:2], v[68:69]
	v_add_f64 v[3:4], v[3:4], v[70:71]
	s_andn2_b32 exec_lo, exec_lo, s8
	s_cbranch_execnz .LBB27_396
; %bb.397:
	s_or_b32 exec_lo, exec_lo, s8
.LBB27_398:
	s_or_b32 exec_lo, exec_lo, s6
	v_mov_b32_e32 v16, 0
	ds_read_b128 v[68:71], v16 offset:368
	s_waitcnt lgkmcnt(0)
	v_mul_f64 v[65:66], v[3:4], v[70:71]
	v_mul_f64 v[70:71], v[1:2], v[70:71]
	v_fma_f64 v[1:2], v[1:2], v[68:69], -v[65:66]
	v_fma_f64 v[3:4], v[3:4], v[68:69], v[70:71]
	buffer_store_dword v2, off, s[0:3], 0 offset:372
	buffer_store_dword v1, off, s[0:3], 0 offset:368
	;; [unrolled: 1-line block ×4, first 2 shown]
.LBB27_399:
	s_or_b32 exec_lo, exec_lo, s4
	v_mov_b32_e32 v4, s11
	s_mov_b32 s4, exec_lo
	s_clause 0x3
	buffer_load_dword v1, v4, s[0:3], 0 offen
	buffer_load_dword v2, v4, s[0:3], 0 offen offset:4
	buffer_load_dword v3, v4, s[0:3], 0 offen offset:8
	;; [unrolled: 1-line block ×3, first 2 shown]
	s_waitcnt vmcnt(0)
	ds_write_b128 v14, v[1:4]
	s_waitcnt lgkmcnt(0)
	s_waitcnt_vscnt null, 0x0
	s_barrier
	buffer_gl0_inv
	v_cmpx_gt_u32_e32 24, v0
	s_cbranch_execz .LBB27_407
; %bb.400:
	ds_read_b128 v[1:4], v14
	v_cmp_ne_u32_e32 vcc_lo, 1, v15
	s_cbranch_vccnz .LBB27_402
; %bb.401:
	s_clause 0x3
	buffer_load_dword v65, v13, s[0:3], 0 offen offset:8
	buffer_load_dword v66, v13, s[0:3], 0 offen offset:12
	buffer_load_dword v68, v13, s[0:3], 0 offen
	buffer_load_dword v69, v13, s[0:3], 0 offen offset:4
	s_waitcnt vmcnt(2) lgkmcnt(0)
	v_mul_f64 v[70:71], v[3:4], v[65:66]
	v_mul_f64 v[65:66], v[1:2], v[65:66]
	s_waitcnt vmcnt(0)
	v_fma_f64 v[1:2], v[1:2], v[68:69], -v[70:71]
	v_fma_f64 v[3:4], v[3:4], v[68:69], v[65:66]
.LBB27_402:
	s_mov_b32 s6, exec_lo
	v_cmpx_ne_u32_e32 23, v0
	s_cbranch_execz .LBB27_406
; %bb.403:
	v_add_nc_u32_e32 v16, 0x1d0, v67
	v_add3_u32 v65, 0, v67, 16
	v_mov_b32_e32 v66, v0
	s_mov_b32 s8, 0
	.p2align	6
.LBB27_404:                             ; =>This Inner Loop Header: Depth=1
	s_clause 0x3
	buffer_load_dword v72, v65, s[0:3], 0 offen offset:8
	buffer_load_dword v73, v65, s[0:3], 0 offen offset:12
	buffer_load_dword v74, v65, s[0:3], 0 offen
	buffer_load_dword v75, v65, s[0:3], 0 offen offset:4
	ds_read_b128 v[68:71], v16
	v_add_nc_u32_e32 v66, 1, v66
	v_add_nc_u32_e32 v16, 16, v16
	;; [unrolled: 1-line block ×3, first 2 shown]
	v_cmp_lt_u32_e32 vcc_lo, 22, v66
	s_or_b32 s8, vcc_lo, s8
	s_waitcnt vmcnt(2) lgkmcnt(0)
	v_mul_f64 v[76:77], v[70:71], v[72:73]
	v_mul_f64 v[72:73], v[68:69], v[72:73]
	s_waitcnt vmcnt(0)
	v_fma_f64 v[68:69], v[68:69], v[74:75], -v[76:77]
	v_fma_f64 v[70:71], v[70:71], v[74:75], v[72:73]
	v_add_f64 v[1:2], v[1:2], v[68:69]
	v_add_f64 v[3:4], v[3:4], v[70:71]
	s_andn2_b32 exec_lo, exec_lo, s8
	s_cbranch_execnz .LBB27_404
; %bb.405:
	s_or_b32 exec_lo, exec_lo, s8
.LBB27_406:
	s_or_b32 exec_lo, exec_lo, s6
	v_mov_b32_e32 v16, 0
	ds_read_b128 v[68:71], v16 offset:384
	s_waitcnt lgkmcnt(0)
	v_mul_f64 v[65:66], v[3:4], v[70:71]
	v_mul_f64 v[70:71], v[1:2], v[70:71]
	v_fma_f64 v[1:2], v[1:2], v[68:69], -v[65:66]
	v_fma_f64 v[3:4], v[3:4], v[68:69], v[70:71]
	buffer_store_dword v2, off, s[0:3], 0 offset:388
	buffer_store_dword v1, off, s[0:3], 0 offset:384
	;; [unrolled: 1-line block ×4, first 2 shown]
.LBB27_407:
	s_or_b32 exec_lo, exec_lo, s4
	v_mov_b32_e32 v4, s10
	s_mov_b32 s4, exec_lo
	s_clause 0x3
	buffer_load_dword v1, v4, s[0:3], 0 offen
	buffer_load_dword v2, v4, s[0:3], 0 offen offset:4
	buffer_load_dword v3, v4, s[0:3], 0 offen offset:8
	buffer_load_dword v4, v4, s[0:3], 0 offen offset:12
	s_waitcnt vmcnt(0)
	ds_write_b128 v14, v[1:4]
	s_waitcnt lgkmcnt(0)
	s_waitcnt_vscnt null, 0x0
	s_barrier
	buffer_gl0_inv
	v_cmpx_gt_u32_e32 25, v0
	s_cbranch_execz .LBB27_415
; %bb.408:
	ds_read_b128 v[1:4], v14
	v_cmp_ne_u32_e32 vcc_lo, 1, v15
	s_cbranch_vccnz .LBB27_410
; %bb.409:
	s_clause 0x3
	buffer_load_dword v65, v13, s[0:3], 0 offen offset:8
	buffer_load_dword v66, v13, s[0:3], 0 offen offset:12
	buffer_load_dword v68, v13, s[0:3], 0 offen
	buffer_load_dword v69, v13, s[0:3], 0 offen offset:4
	s_waitcnt vmcnt(2) lgkmcnt(0)
	v_mul_f64 v[70:71], v[3:4], v[65:66]
	v_mul_f64 v[65:66], v[1:2], v[65:66]
	s_waitcnt vmcnt(0)
	v_fma_f64 v[1:2], v[1:2], v[68:69], -v[70:71]
	v_fma_f64 v[3:4], v[3:4], v[68:69], v[65:66]
.LBB27_410:
	s_mov_b32 s6, exec_lo
	v_cmpx_ne_u32_e32 24, v0
	s_cbranch_execz .LBB27_414
; %bb.411:
	v_add_nc_u32_e32 v16, 0x1d0, v67
	v_add3_u32 v65, 0, v67, 16
	v_mov_b32_e32 v66, v0
	s_mov_b32 s8, 0
	.p2align	6
.LBB27_412:                             ; =>This Inner Loop Header: Depth=1
	s_clause 0x3
	buffer_load_dword v72, v65, s[0:3], 0 offen offset:8
	buffer_load_dword v73, v65, s[0:3], 0 offen offset:12
	buffer_load_dword v74, v65, s[0:3], 0 offen
	buffer_load_dword v75, v65, s[0:3], 0 offen offset:4
	ds_read_b128 v[68:71], v16
	v_add_nc_u32_e32 v66, 1, v66
	v_add_nc_u32_e32 v16, 16, v16
	;; [unrolled: 1-line block ×3, first 2 shown]
	v_cmp_lt_u32_e32 vcc_lo, 23, v66
	s_or_b32 s8, vcc_lo, s8
	s_waitcnt vmcnt(2) lgkmcnt(0)
	v_mul_f64 v[76:77], v[70:71], v[72:73]
	v_mul_f64 v[72:73], v[68:69], v[72:73]
	s_waitcnt vmcnt(0)
	v_fma_f64 v[68:69], v[68:69], v[74:75], -v[76:77]
	v_fma_f64 v[70:71], v[70:71], v[74:75], v[72:73]
	v_add_f64 v[1:2], v[1:2], v[68:69]
	v_add_f64 v[3:4], v[3:4], v[70:71]
	s_andn2_b32 exec_lo, exec_lo, s8
	s_cbranch_execnz .LBB27_412
; %bb.413:
	s_or_b32 exec_lo, exec_lo, s8
.LBB27_414:
	s_or_b32 exec_lo, exec_lo, s6
	v_mov_b32_e32 v16, 0
	ds_read_b128 v[68:71], v16 offset:400
	s_waitcnt lgkmcnt(0)
	v_mul_f64 v[65:66], v[3:4], v[70:71]
	v_mul_f64 v[70:71], v[1:2], v[70:71]
	v_fma_f64 v[1:2], v[1:2], v[68:69], -v[65:66]
	v_fma_f64 v[3:4], v[3:4], v[68:69], v[70:71]
	buffer_store_dword v2, off, s[0:3], 0 offset:404
	buffer_store_dword v1, off, s[0:3], 0 offset:400
	;; [unrolled: 1-line block ×4, first 2 shown]
.LBB27_415:
	s_or_b32 exec_lo, exec_lo, s4
	v_mov_b32_e32 v4, s9
	v_cmp_gt_u32_e64 s4, 26, v0
	s_clause 0x3
	buffer_load_dword v1, v4, s[0:3], 0 offen
	buffer_load_dword v2, v4, s[0:3], 0 offen offset:4
	buffer_load_dword v3, v4, s[0:3], 0 offen offset:8
	;; [unrolled: 1-line block ×3, first 2 shown]
	s_waitcnt vmcnt(0)
	ds_write_b128 v14, v[1:4]
	s_waitcnt lgkmcnt(0)
	s_waitcnt_vscnt null, 0x0
	s_barrier
	buffer_gl0_inv
	s_and_saveexec_b32 s6, s4
	s_cbranch_execz .LBB27_423
; %bb.416:
	ds_read_b128 v[1:4], v14
	v_cmp_ne_u32_e32 vcc_lo, 1, v15
	s_cbranch_vccnz .LBB27_418
; %bb.417:
	s_clause 0x3
	buffer_load_dword v65, v13, s[0:3], 0 offen offset:8
	buffer_load_dword v66, v13, s[0:3], 0 offen offset:12
	buffer_load_dword v68, v13, s[0:3], 0 offen
	buffer_load_dword v69, v13, s[0:3], 0 offen offset:4
	s_waitcnt vmcnt(2) lgkmcnt(0)
	v_mul_f64 v[70:71], v[3:4], v[65:66]
	v_mul_f64 v[65:66], v[1:2], v[65:66]
	s_waitcnt vmcnt(0)
	v_fma_f64 v[1:2], v[1:2], v[68:69], -v[70:71]
	v_fma_f64 v[3:4], v[3:4], v[68:69], v[65:66]
.LBB27_418:
	s_mov_b32 s8, exec_lo
	v_cmpx_ne_u32_e32 25, v0
	s_cbranch_execz .LBB27_422
; %bb.419:
	v_add_nc_u32_e32 v16, 0x1d0, v67
	v_add3_u32 v65, 0, v67, 16
	v_mov_b32_e32 v66, v0
	s_mov_b32 s36, 0
	.p2align	6
.LBB27_420:                             ; =>This Inner Loop Header: Depth=1
	s_clause 0x3
	buffer_load_dword v72, v65, s[0:3], 0 offen offset:8
	buffer_load_dword v73, v65, s[0:3], 0 offen offset:12
	buffer_load_dword v74, v65, s[0:3], 0 offen
	buffer_load_dword v75, v65, s[0:3], 0 offen offset:4
	ds_read_b128 v[68:71], v16
	v_add_nc_u32_e32 v66, 1, v66
	v_add_nc_u32_e32 v16, 16, v16
	;; [unrolled: 1-line block ×3, first 2 shown]
	v_cmp_lt_u32_e32 vcc_lo, 24, v66
	s_or_b32 s36, vcc_lo, s36
	s_waitcnt vmcnt(2) lgkmcnt(0)
	v_mul_f64 v[76:77], v[70:71], v[72:73]
	v_mul_f64 v[72:73], v[68:69], v[72:73]
	s_waitcnt vmcnt(0)
	v_fma_f64 v[68:69], v[68:69], v[74:75], -v[76:77]
	v_fma_f64 v[70:71], v[70:71], v[74:75], v[72:73]
	v_add_f64 v[1:2], v[1:2], v[68:69]
	v_add_f64 v[3:4], v[3:4], v[70:71]
	s_andn2_b32 exec_lo, exec_lo, s36
	s_cbranch_execnz .LBB27_420
; %bb.421:
	s_or_b32 exec_lo, exec_lo, s36
.LBB27_422:
	s_or_b32 exec_lo, exec_lo, s8
	v_mov_b32_e32 v16, 0
	ds_read_b128 v[68:71], v16 offset:416
	s_waitcnt lgkmcnt(0)
	v_mul_f64 v[65:66], v[3:4], v[70:71]
	v_mul_f64 v[70:71], v[1:2], v[70:71]
	v_fma_f64 v[1:2], v[1:2], v[68:69], -v[65:66]
	v_fma_f64 v[3:4], v[3:4], v[68:69], v[70:71]
	buffer_store_dword v2, off, s[0:3], 0 offset:420
	buffer_store_dword v1, off, s[0:3], 0 offset:416
	;; [unrolled: 1-line block ×4, first 2 shown]
.LBB27_423:
	s_or_b32 exec_lo, exec_lo, s6
	v_mov_b32_e32 v4, s7
	s_mov_b32 s6, exec_lo
                                        ; implicit-def: $sgpr37
	s_clause 0x3
	buffer_load_dword v1, v4, s[0:3], 0 offen
	buffer_load_dword v2, v4, s[0:3], 0 offen offset:4
	buffer_load_dword v3, v4, s[0:3], 0 offen offset:8
	;; [unrolled: 1-line block ×3, first 2 shown]
	s_waitcnt vmcnt(0)
	ds_write_b128 v14, v[1:4]
	s_waitcnt lgkmcnt(0)
	s_waitcnt_vscnt null, 0x0
	s_barrier
	buffer_gl0_inv
                                        ; implicit-def: $vgpr1_vgpr2
	v_cmpx_ne_u32_e32 27, v0
	s_cbranch_execz .LBB27_431
; %bb.424:
	ds_read_b128 v[1:4], v14
	v_cmp_ne_u32_e32 vcc_lo, 1, v15
	s_cbranch_vccnz .LBB27_426
; %bb.425:
	s_clause 0x3
	buffer_load_dword v14, v13, s[0:3], 0 offen offset:8
	buffer_load_dword v15, v13, s[0:3], 0 offen offset:12
	buffer_load_dword v65, v13, s[0:3], 0 offen
	buffer_load_dword v66, v13, s[0:3], 0 offen offset:4
	s_waitcnt vmcnt(2) lgkmcnt(0)
	v_mul_f64 v[68:69], v[3:4], v[14:15]
	v_mul_f64 v[13:14], v[1:2], v[14:15]
	s_waitcnt vmcnt(0)
	v_fma_f64 v[1:2], v[1:2], v[65:66], -v[68:69]
	v_fma_f64 v[3:4], v[3:4], v[65:66], v[13:14]
.LBB27_426:
	s_and_saveexec_b32 s8, s4
	s_cbranch_execz .LBB27_430
; %bb.427:
	v_add_nc_u32_e32 v13, 0x1d0, v67
	v_add3_u32 v14, 0, v67, 16
	s_mov_b32 s4, 0
	.p2align	6
.LBB27_428:                             ; =>This Inner Loop Header: Depth=1
	s_clause 0x3
	buffer_load_dword v15, v14, s[0:3], 0 offen offset:8
	buffer_load_dword v16, v14, s[0:3], 0 offen offset:12
	buffer_load_dword v69, v14, s[0:3], 0 offen
	buffer_load_dword v70, v14, s[0:3], 0 offen offset:4
	ds_read_b128 v[65:68], v13
	v_add_nc_u32_e32 v0, 1, v0
	v_add_nc_u32_e32 v13, 16, v13
	;; [unrolled: 1-line block ×3, first 2 shown]
	v_cmp_lt_u32_e32 vcc_lo, 25, v0
	s_or_b32 s4, vcc_lo, s4
	s_waitcnt vmcnt(2) lgkmcnt(0)
	v_mul_f64 v[71:72], v[67:68], v[15:16]
	v_mul_f64 v[15:16], v[65:66], v[15:16]
	s_waitcnt vmcnt(0)
	v_fma_f64 v[65:66], v[65:66], v[69:70], -v[71:72]
	v_fma_f64 v[15:16], v[67:68], v[69:70], v[15:16]
	v_add_f64 v[1:2], v[1:2], v[65:66]
	v_add_f64 v[3:4], v[3:4], v[15:16]
	s_andn2_b32 exec_lo, exec_lo, s4
	s_cbranch_execnz .LBB27_428
; %bb.429:
	s_or_b32 exec_lo, exec_lo, s4
.LBB27_430:
	s_or_b32 exec_lo, exec_lo, s8
	v_mov_b32_e32 v0, 0
	s_movk_i32 s37, 0x1b8
	s_or_b32 s5, s5, exec_lo
	ds_read_b128 v[13:16], v0 offset:432
	s_waitcnt lgkmcnt(0)
	v_mul_f64 v[65:66], v[3:4], v[15:16]
	v_mul_f64 v[15:16], v[1:2], v[15:16]
	v_fma_f64 v[65:66], v[1:2], v[13:14], -v[65:66]
	v_fma_f64 v[1:2], v[3:4], v[13:14], v[15:16]
	buffer_store_dword v66, off, s[0:3], 0 offset:436
	buffer_store_dword v65, off, s[0:3], 0 offset:432
.LBB27_431:
	s_or_b32 exec_lo, exec_lo, s6
.LBB27_432:
	s_and_saveexec_b32 s4, s5
	s_cbranch_execz .LBB27_434
; %bb.433:
	v_mov_b32_e32 v0, s37
	buffer_store_dword v2, v0, s[0:3], 0 offen offset:4
	buffer_store_dword v1, v0, s[0:3], 0 offen
.LBB27_434:
	s_or_b32 exec_lo, exec_lo, s4
	v_mov_b32_e32 v3, s35
	v_mov_b32_e32 v16, s33
	;; [unrolled: 1-line block ×5, first 2 shown]
	s_clause 0x13
	buffer_load_dword v0, v3, s[0:3], 0 offen
	buffer_load_dword v1, v3, s[0:3], 0 offen offset:4
	buffer_load_dword v2, v3, s[0:3], 0 offen offset:8
	buffer_load_dword v3, v3, s[0:3], 0 offen offset:12
	buffer_load_dword v13, v16, s[0:3], 0 offen
	buffer_load_dword v14, v16, s[0:3], 0 offen offset:4
	buffer_load_dword v15, v16, s[0:3], 0 offen offset:8
	buffer_load_dword v16, v16, s[0:3], 0 offen offset:12
	;; [unrolled: 4-line block ×4, first 2 shown]
	buffer_load_dword v73, off, s[0:3], 0
	buffer_load_dword v74, off, s[0:3], 0 offset:4
	buffer_load_dword v75, off, s[0:3], 0 offset:8
	;; [unrolled: 1-line block ×3, first 2 shown]
	v_mov_b32_e32 v4, s30
	v_mov_b32_e32 v83, s11
	;; [unrolled: 1-line block ×4, first 2 shown]
	s_waitcnt vmcnt(0)
	global_store_dwordx4 v[21:22], v[73:76], off
	s_clause 0x3
	buffer_load_dword v73, v4, s[0:3], 0 offen
	buffer_load_dword v74, v4, s[0:3], 0 offen offset:4
	buffer_load_dword v75, v4, s[0:3], 0 offen offset:8
	;; [unrolled: 1-line block ×3, first 2 shown]
	v_mov_b32_e32 v4, s29
	global_store_dwordx4 v[19:20], v[69:72], off
	s_clause 0x3
	buffer_load_dword v19, v4, s[0:3], 0 offen
	buffer_load_dword v20, v4, s[0:3], 0 offen offset:4
	buffer_load_dword v21, v4, s[0:3], 0 offen offset:8
	;; [unrolled: 1-line block ×3, first 2 shown]
	v_mov_b32_e32 v4, s28
	s_clause 0x3
	buffer_load_dword v69, v4, s[0:3], 0 offen
	buffer_load_dword v70, v4, s[0:3], 0 offen offset:4
	buffer_load_dword v71, v4, s[0:3], 0 offen offset:8
	;; [unrolled: 1-line block ×3, first 2 shown]
	global_store_dwordx4 v[17:18], v[0:3], off
	v_mov_b32_e32 v3, s27
	v_mov_b32_e32 v4, s26
	s_clause 0x3
	buffer_load_dword v0, v3, s[0:3], 0 offen
	buffer_load_dword v1, v3, s[0:3], 0 offen offset:4
	buffer_load_dword v2, v3, s[0:3], 0 offen offset:8
	;; [unrolled: 1-line block ×3, first 2 shown]
	v_mov_b32_e32 v17, s25
	global_store_dwordx4 v[61:62], v[13:16], off
	s_clause 0x7
	buffer_load_dword v13, v4, s[0:3], 0 offen
	buffer_load_dword v14, v4, s[0:3], 0 offen offset:4
	buffer_load_dword v15, v4, s[0:3], 0 offen offset:8
	buffer_load_dword v16, v4, s[0:3], 0 offen offset:12
	buffer_load_dword v77, v17, s[0:3], 0 offen
	buffer_load_dword v78, v17, s[0:3], 0 offen offset:4
	buffer_load_dword v79, v17, s[0:3], 0 offen offset:8
	;; [unrolled: 1-line block ×3, first 2 shown]
	v_mov_b32_e32 v4, s24
	global_store_dwordx4 v[63:64], v[65:68], off
	s_clause 0x3
	buffer_load_dword v61, v4, s[0:3], 0 offen
	buffer_load_dword v62, v4, s[0:3], 0 offen offset:4
	buffer_load_dword v63, v4, s[0:3], 0 offen offset:8
	;; [unrolled: 1-line block ×3, first 2 shown]
	v_mov_b32_e32 v4, s23
	v_mov_b32_e32 v17, s22
	s_waitcnt vmcnt(24)
	global_store_dwordx4 v[57:58], v[73:76], off
	s_clause 0x7
	buffer_load_dword v65, v4, s[0:3], 0 offen
	buffer_load_dword v66, v4, s[0:3], 0 offen offset:4
	buffer_load_dword v67, v4, s[0:3], 0 offen offset:8
	;; [unrolled: 1-line block ×3, first 2 shown]
	buffer_load_dword v73, v17, s[0:3], 0 offen
	buffer_load_dword v74, v17, s[0:3], 0 offen offset:4
	buffer_load_dword v75, v17, s[0:3], 0 offen offset:8
	buffer_load_dword v76, v17, s[0:3], 0 offen offset:12
	v_mov_b32_e32 v4, s21
	s_waitcnt vmcnt(28)
	global_store_dwordx4 v[59:60], v[19:22], off
	s_clause 0x3
	buffer_load_dword v17, v4, s[0:3], 0 offen
	buffer_load_dword v18, v4, s[0:3], 0 offen offset:4
	buffer_load_dword v19, v4, s[0:3], 0 offen offset:8
	buffer_load_dword v20, v4, s[0:3], 0 offen offset:12
	v_mov_b32_e32 v4, s20
	v_mov_b32_e32 v22, s17
	;; [unrolled: 1-line block ×3, first 2 shown]
	s_waitcnt vmcnt(28)
	global_store_dwordx4 v[55:56], v[69:72], off
	s_clause 0x3
	buffer_load_dword v55, v4, s[0:3], 0 offen
	buffer_load_dword v56, v4, s[0:3], 0 offen offset:4
	buffer_load_dword v57, v4, s[0:3], 0 offen offset:8
	;; [unrolled: 1-line block ×3, first 2 shown]
	v_mov_b32_e32 v4, s19
	v_mov_b32_e32 v72, s16
	s_waitcnt vmcnt(28)
	global_store_dwordx4 v[47:48], v[0:3], off
	v_mov_b32_e32 v47, s15
	s_waitcnt vmcnt(24)
	global_store_dwordx4 v[33:34], v[13:16], off
	s_waitcnt vmcnt(20)
	global_store_dwordx4 v[9:10], v[77:80], off
	v_mov_b32_e32 v33, s9
	s_clause 0x7
	buffer_load_dword v0, v4, s[0:3], 0 offen
	buffer_load_dword v1, v4, s[0:3], 0 offen offset:4
	buffer_load_dword v2, v4, s[0:3], 0 offen offset:8
	;; [unrolled: 1-line block ×3, first 2 shown]
	buffer_load_dword v13, v21, s[0:3], 0 offen
	buffer_load_dword v14, v21, s[0:3], 0 offen offset:4
	buffer_load_dword v15, v21, s[0:3], 0 offen offset:8
	;; [unrolled: 1-line block ×3, first 2 shown]
	v_mov_b32_e32 v48, s14
	v_mov_b32_e32 v34, s7
	s_waitcnt vmcnt(24)
	global_store_dwordx4 v[5:6], v[61:64], off
	s_clause 0x7
	buffer_load_dword v59, v22, s[0:3], 0 offen
	buffer_load_dword v60, v22, s[0:3], 0 offen offset:4
	buffer_load_dword v61, v22, s[0:3], 0 offen offset:8
	buffer_load_dword v62, v22, s[0:3], 0 offen offset:12
	buffer_load_dword v69, v72, s[0:3], 0 offen
	buffer_load_dword v70, v72, s[0:3], 0 offen offset:4
	buffer_load_dword v71, v72, s[0:3], 0 offen offset:8
	buffer_load_dword v72, v72, s[0:3], 0 offen offset:12
	s_waitcnt vmcnt(28)
	global_store_dwordx4 v[27:28], v[65:68], off
	s_clause 0x7
	buffer_load_dword v63, v47, s[0:3], 0 offen
	buffer_load_dword v64, v47, s[0:3], 0 offen offset:4
	buffer_load_dword v65, v47, s[0:3], 0 offen offset:8
	buffer_load_dword v66, v47, s[0:3], 0 offen offset:12
	buffer_load_dword v77, v48, s[0:3], 0 offen
	buffer_load_dword v78, v48, s[0:3], 0 offen offset:4
	buffer_load_dword v79, v48, s[0:3], 0 offen offset:8
	buffer_load_dword v80, v48, s[0:3], 0 offen offset:12
	;; [unrolled: 11-line block ×5, first 2 shown]
	s_waitcnt vmcnt(44)
	global_store_dwordx4 v[25:26], v[0:3], off
	s_waitcnt vmcnt(40)
	global_store_dwordx4 v[31:32], v[13:16], off
	;; [unrolled: 2-line block ×12, first 2 shown]
.LBB27_435:
	s_endpgm
	.section	.rodata,"a",@progbits
	.p2align	6, 0x0
	.amdhsa_kernel _ZN9rocsolver6v33100L18trti2_kernel_smallILi28E19rocblas_complex_numIdEPS3_EEv13rocblas_fill_17rocblas_diagonal_T1_iil
		.amdhsa_group_segment_fixed_size 896
		.amdhsa_private_segment_fixed_size 464
		.amdhsa_kernarg_size 32
		.amdhsa_user_sgpr_count 6
		.amdhsa_user_sgpr_private_segment_buffer 1
		.amdhsa_user_sgpr_dispatch_ptr 0
		.amdhsa_user_sgpr_queue_ptr 0
		.amdhsa_user_sgpr_kernarg_segment_ptr 1
		.amdhsa_user_sgpr_dispatch_id 0
		.amdhsa_user_sgpr_flat_scratch_init 0
		.amdhsa_user_sgpr_private_segment_size 0
		.amdhsa_wavefront_size32 1
		.amdhsa_uses_dynamic_stack 0
		.amdhsa_system_sgpr_private_segment_wavefront_offset 1
		.amdhsa_system_sgpr_workgroup_id_x 1
		.amdhsa_system_sgpr_workgroup_id_y 0
		.amdhsa_system_sgpr_workgroup_id_z 0
		.amdhsa_system_sgpr_workgroup_info 0
		.amdhsa_system_vgpr_workitem_id 0
		.amdhsa_next_free_vgpr 85
		.amdhsa_next_free_sgpr 47
		.amdhsa_reserve_vcc 1
		.amdhsa_reserve_flat_scratch 0
		.amdhsa_float_round_mode_32 0
		.amdhsa_float_round_mode_16_64 0
		.amdhsa_float_denorm_mode_32 3
		.amdhsa_float_denorm_mode_16_64 3
		.amdhsa_dx10_clamp 1
		.amdhsa_ieee_mode 1
		.amdhsa_fp16_overflow 0
		.amdhsa_workgroup_processor_mode 1
		.amdhsa_memory_ordered 1
		.amdhsa_forward_progress 1
		.amdhsa_shared_vgpr_count 0
		.amdhsa_exception_fp_ieee_invalid_op 0
		.amdhsa_exception_fp_denorm_src 0
		.amdhsa_exception_fp_ieee_div_zero 0
		.amdhsa_exception_fp_ieee_overflow 0
		.amdhsa_exception_fp_ieee_underflow 0
		.amdhsa_exception_fp_ieee_inexact 0
		.amdhsa_exception_int_div_zero 0
	.end_amdhsa_kernel
	.section	.text._ZN9rocsolver6v33100L18trti2_kernel_smallILi28E19rocblas_complex_numIdEPS3_EEv13rocblas_fill_17rocblas_diagonal_T1_iil,"axG",@progbits,_ZN9rocsolver6v33100L18trti2_kernel_smallILi28E19rocblas_complex_numIdEPS3_EEv13rocblas_fill_17rocblas_diagonal_T1_iil,comdat
.Lfunc_end27:
	.size	_ZN9rocsolver6v33100L18trti2_kernel_smallILi28E19rocblas_complex_numIdEPS3_EEv13rocblas_fill_17rocblas_diagonal_T1_iil, .Lfunc_end27-_ZN9rocsolver6v33100L18trti2_kernel_smallILi28E19rocblas_complex_numIdEPS3_EEv13rocblas_fill_17rocblas_diagonal_T1_iil
                                        ; -- End function
	.set _ZN9rocsolver6v33100L18trti2_kernel_smallILi28E19rocblas_complex_numIdEPS3_EEv13rocblas_fill_17rocblas_diagonal_T1_iil.num_vgpr, 85
	.set _ZN9rocsolver6v33100L18trti2_kernel_smallILi28E19rocblas_complex_numIdEPS3_EEv13rocblas_fill_17rocblas_diagonal_T1_iil.num_agpr, 0
	.set _ZN9rocsolver6v33100L18trti2_kernel_smallILi28E19rocblas_complex_numIdEPS3_EEv13rocblas_fill_17rocblas_diagonal_T1_iil.numbered_sgpr, 47
	.set _ZN9rocsolver6v33100L18trti2_kernel_smallILi28E19rocblas_complex_numIdEPS3_EEv13rocblas_fill_17rocblas_diagonal_T1_iil.num_named_barrier, 0
	.set _ZN9rocsolver6v33100L18trti2_kernel_smallILi28E19rocblas_complex_numIdEPS3_EEv13rocblas_fill_17rocblas_diagonal_T1_iil.private_seg_size, 464
	.set _ZN9rocsolver6v33100L18trti2_kernel_smallILi28E19rocblas_complex_numIdEPS3_EEv13rocblas_fill_17rocblas_diagonal_T1_iil.uses_vcc, 1
	.set _ZN9rocsolver6v33100L18trti2_kernel_smallILi28E19rocblas_complex_numIdEPS3_EEv13rocblas_fill_17rocblas_diagonal_T1_iil.uses_flat_scratch, 0
	.set _ZN9rocsolver6v33100L18trti2_kernel_smallILi28E19rocblas_complex_numIdEPS3_EEv13rocblas_fill_17rocblas_diagonal_T1_iil.has_dyn_sized_stack, 0
	.set _ZN9rocsolver6v33100L18trti2_kernel_smallILi28E19rocblas_complex_numIdEPS3_EEv13rocblas_fill_17rocblas_diagonal_T1_iil.has_recursion, 0
	.set _ZN9rocsolver6v33100L18trti2_kernel_smallILi28E19rocblas_complex_numIdEPS3_EEv13rocblas_fill_17rocblas_diagonal_T1_iil.has_indirect_call, 0
	.section	.AMDGPU.csdata,"",@progbits
; Kernel info:
; codeLenInByte = 28132
; TotalNumSgprs: 49
; NumVgprs: 85
; ScratchSize: 464
; MemoryBound: 0
; FloatMode: 240
; IeeeMode: 1
; LDSByteSize: 896 bytes/workgroup (compile time only)
; SGPRBlocks: 0
; VGPRBlocks: 10
; NumSGPRsForWavesPerEU: 49
; NumVGPRsForWavesPerEU: 85
; Occupancy: 10
; WaveLimiterHint : 0
; COMPUTE_PGM_RSRC2:SCRATCH_EN: 1
; COMPUTE_PGM_RSRC2:USER_SGPR: 6
; COMPUTE_PGM_RSRC2:TRAP_HANDLER: 0
; COMPUTE_PGM_RSRC2:TGID_X_EN: 1
; COMPUTE_PGM_RSRC2:TGID_Y_EN: 0
; COMPUTE_PGM_RSRC2:TGID_Z_EN: 0
; COMPUTE_PGM_RSRC2:TIDIG_COMP_CNT: 0
	.section	.text._ZN9rocsolver6v33100L18trti2_kernel_smallILi29E19rocblas_complex_numIdEPS3_EEv13rocblas_fill_17rocblas_diagonal_T1_iil,"axG",@progbits,_ZN9rocsolver6v33100L18trti2_kernel_smallILi29E19rocblas_complex_numIdEPS3_EEv13rocblas_fill_17rocblas_diagonal_T1_iil,comdat
	.globl	_ZN9rocsolver6v33100L18trti2_kernel_smallILi29E19rocblas_complex_numIdEPS3_EEv13rocblas_fill_17rocblas_diagonal_T1_iil ; -- Begin function _ZN9rocsolver6v33100L18trti2_kernel_smallILi29E19rocblas_complex_numIdEPS3_EEv13rocblas_fill_17rocblas_diagonal_T1_iil
	.p2align	8
	.type	_ZN9rocsolver6v33100L18trti2_kernel_smallILi29E19rocblas_complex_numIdEPS3_EEv13rocblas_fill_17rocblas_diagonal_T1_iil,@function
_ZN9rocsolver6v33100L18trti2_kernel_smallILi29E19rocblas_complex_numIdEPS3_EEv13rocblas_fill_17rocblas_diagonal_T1_iil: ; @_ZN9rocsolver6v33100L18trti2_kernel_smallILi29E19rocblas_complex_numIdEPS3_EEv13rocblas_fill_17rocblas_diagonal_T1_iil
; %bb.0:
	s_add_u32 s0, s0, s7
	s_addc_u32 s1, s1, 0
	s_mov_b32 s7, exec_lo
	v_cmpx_gt_u32_e32 29, v0
	s_cbranch_execz .LBB28_451
; %bb.1:
	s_load_dwordx8 s[8:15], s[4:5], 0x0
	s_ashr_i32 s7, s6, 31
	v_lshlrev_b32_e32 v87, 4, v0
	s_movk_i32 s16, 0xf0
	s_movk_i32 s17, 0x100
	;; [unrolled: 1-line block ×14, first 2 shown]
	s_waitcnt lgkmcnt(0)
	s_ashr_i32 s5, s12, 31
	s_mov_b32 s4, s12
	s_mul_hi_u32 s12, s14, s6
	s_mul_i32 s7, s14, s7
	s_mul_i32 s15, s15, s6
	s_add_i32 s7, s12, s7
	v_add3_u32 v1, s13, s13, v0
	s_mul_i32 s6, s14, s6
	s_add_i32 s7, s7, s15
	s_mov_b32 s14, s13
	s_lshl_b64 s[6:7], s[6:7], 4
	v_add_nc_u32_e32 v5, s13, v1
	s_add_u32 s6, s10, s6
	v_ashrrev_i32_e32 v2, 31, v1
	s_addc_u32 s7, s11, s7
	s_lshl_b64 s[4:5], s[4:5], 4
	v_add_nc_u32_e32 v21, s13, v5
	s_add_u32 s4, s6, s4
	s_addc_u32 s5, s7, s5
	v_lshlrev_b64 v[7:8], 4, v[1:2]
	v_add_co_u32 v41, s6, s4, v87
	global_load_dwordx4 v[1:4], v87, s[4:5]
	s_ashr_i32 s15, s13, 31
	v_ashrrev_i32_e32 v6, 31, v5
	v_add_co_ci_u32_e64 v42, null, s5, 0, s6
	s_lshl_b64 s[6:7], s[14:15], 4
	v_ashrrev_i32_e32 v22, 31, v21
	v_add_co_u32 v43, vcc_lo, v41, s6
	v_lshlrev_b64 v[5:6], 4, v[5:6]
	v_add_co_ci_u32_e64 v44, null, s7, v42, vcc_lo
	v_add_co_u32 v35, vcc_lo, s4, v7
	v_add_co_ci_u32_e64 v36, null, s5, v8, vcc_lo
	v_lshlrev_b64 v[7:8], 4, v[21:22]
	global_load_dwordx4 v[17:20], v[43:44], off
	v_add_co_u32 v33, vcc_lo, s4, v5
	v_add_co_ci_u32_e64 v34, null, s5, v6, vcc_lo
	v_add_co_u32 v29, vcc_lo, s4, v7
	global_load_dwordx4 v[13:16], v[35:36], off
	v_add_co_ci_u32_e64 v30, null, s5, v8, vcc_lo
	s_clause 0x1
	global_load_dwordx4 v[9:12], v[33:34], off
	global_load_dwordx4 v[5:8], v[29:30], off
	v_add_nc_u32_e32 v21, s13, v21
	s_cmpk_lg_i32 s9, 0x84
	s_movk_i32 s6, 0x70
	s_movk_i32 s7, 0x80
	;; [unrolled: 1-line block ×3, first 2 shown]
	v_add_nc_u32_e32 v23, s13, v21
	v_ashrrev_i32_e32 v22, 31, v21
	s_movk_i32 s11, 0xa0
	s_movk_i32 s12, 0xb0
	;; [unrolled: 1-line block ×3, first 2 shown]
	v_add_nc_u32_e32 v25, s13, v23
	v_ashrrev_i32_e32 v24, 31, v23
	v_lshlrev_b64 v[21:22], 4, v[21:22]
	s_movk_i32 s15, 0xe0
	s_cselect_b32 s36, -1, 0
	v_add_nc_u32_e32 v27, s13, v25
	v_ashrrev_i32_e32 v26, 31, v25
	v_lshlrev_b64 v[23:24], 4, v[23:24]
	v_add_co_u32 v39, vcc_lo, s4, v21
	v_add_nc_u32_e32 v45, s13, v27
	v_ashrrev_i32_e32 v28, 31, v27
	v_lshlrev_b64 v[37:38], 4, v[25:26]
	v_add_co_ci_u32_e64 v40, null, s5, v22, vcc_lo
	v_add_nc_u32_e32 v49, s13, v45
	v_ashrrev_i32_e32 v46, 31, v45
	v_lshlrev_b64 v[47:48], 4, v[27:28]
	v_add_co_u32 v31, vcc_lo, s4, v23
	v_add_nc_u32_e32 v53, s13, v49
	v_lshlrev_b64 v[51:52], 4, v[45:46]
	v_add_co_ci_u32_e64 v32, null, s5, v24, vcc_lo
	v_add_co_u32 v37, vcc_lo, s4, v37
	v_ashrrev_i32_e32 v54, 31, v53
	v_add_nc_u32_e32 v55, s13, v53
	v_add_co_ci_u32_e64 v38, null, s5, v38, vcc_lo
	v_add_co_u32 v45, vcc_lo, s4, v47
	v_add_co_ci_u32_e64 v46, null, s5, v48, vcc_lo
	v_add_co_u32 v47, vcc_lo, s4, v51
	v_add_co_ci_u32_e64 v48, null, s5, v52, vcc_lo
	v_lshlrev_b64 v[51:52], 4, v[53:54]
	v_add_nc_u32_e32 v53, s13, v55
	v_ashrrev_i32_e32 v50, 31, v49
	v_ashrrev_i32_e32 v56, 31, v55
	s_clause 0x1
	global_load_dwordx4 v[25:28], v[39:40], off
	global_load_dwordx4 v[21:24], v[31:32], off
	s_cmpk_eq_i32 s9, 0x84
	v_add_nc_u32_e32 v57, s13, v53
	v_lshlrev_b64 v[49:50], 4, v[49:50]
	v_ashrrev_i32_e32 v54, 31, v53
	v_lshlrev_b64 v[55:56], 4, v[55:56]
	v_add_nc_u32_e32 v61, s13, v57
	v_ashrrev_i32_e32 v58, 31, v57
	v_add_co_u32 v49, vcc_lo, s4, v49
	v_lshlrev_b64 v[59:60], 4, v[53:54]
	v_add_co_ci_u32_e64 v50, null, s5, v50, vcc_lo
	v_add_co_u32 v51, vcc_lo, s4, v51
	v_ashrrev_i32_e32 v62, 31, v61
	v_add_nc_u32_e32 v63, s13, v61
	v_add_co_ci_u32_e64 v52, null, s5, v52, vcc_lo
	v_add_co_u32 v53, vcc_lo, s4, v55
	v_add_co_ci_u32_e64 v54, null, s5, v56, vcc_lo
	v_add_co_u32 v55, vcc_lo, s4, v59
	v_add_co_ci_u32_e64 v56, null, s5, v60, vcc_lo
	v_lshlrev_b64 v[59:60], 4, v[61:62]
	v_add_nc_u32_e32 v61, s13, v63
	v_ashrrev_i32_e32 v64, 31, v63
	v_lshlrev_b64 v[57:58], 4, v[57:58]
	v_add_nc_u32_e32 v65, s13, v61
	v_ashrrev_i32_e32 v62, 31, v61
	v_lshlrev_b64 v[63:64], 4, v[63:64]
	v_add_co_u32 v57, vcc_lo, s4, v57
	v_add_nc_u32_e32 v69, s13, v65
	v_lshlrev_b64 v[67:68], 4, v[61:62]
	v_add_co_ci_u32_e64 v58, null, s5, v58, vcc_lo
	v_add_co_u32 v59, vcc_lo, s4, v59
	v_ashrrev_i32_e32 v70, 31, v69
	v_add_nc_u32_e32 v71, s13, v69
	v_add_co_ci_u32_e64 v60, null, s5, v60, vcc_lo
	v_add_co_u32 v61, vcc_lo, s4, v63
	v_add_co_ci_u32_e64 v62, null, s5, v64, vcc_lo
	v_add_co_u32 v63, vcc_lo, s4, v67
	v_add_co_ci_u32_e64 v64, null, s5, v68, vcc_lo
	v_lshlrev_b64 v[67:68], 4, v[69:70]
	v_add_nc_u32_e32 v69, s13, v71
	v_ashrrev_i32_e32 v66, 31, v65
	v_ashrrev_i32_e32 v72, 31, v71
	v_add_nc_u32_e32 v73, s13, v69
	v_lshlrev_b64 v[65:66], 4, v[65:66]
	v_ashrrev_i32_e32 v70, 31, v69
	v_lshlrev_b64 v[71:72], 4, v[71:72]
	v_add_nc_u32_e32 v77, s13, v73
	v_ashrrev_i32_e32 v74, 31, v73
	v_add_co_u32 v65, vcc_lo, s4, v65
	v_lshlrev_b64 v[75:76], 4, v[69:70]
	v_add_co_ci_u32_e64 v66, null, s5, v66, vcc_lo
	v_add_co_u32 v67, vcc_lo, s4, v67
	v_ashrrev_i32_e32 v78, 31, v77
	v_add_nc_u32_e32 v79, s13, v77
	v_add_co_ci_u32_e64 v68, null, s5, v68, vcc_lo
	v_add_co_u32 v69, vcc_lo, s4, v71
	v_add_co_ci_u32_e64 v70, null, s5, v72, vcc_lo
	v_add_co_u32 v71, vcc_lo, s4, v75
	v_add_co_ci_u32_e64 v72, null, s5, v76, vcc_lo
	v_lshlrev_b64 v[75:76], 4, v[77:78]
	v_add_nc_u32_e32 v77, s13, v79
	v_ashrrev_i32_e32 v80, 31, v79
	v_lshlrev_b64 v[73:74], 4, v[73:74]
	v_add_nc_u32_e32 v81, s13, v77
	v_ashrrev_i32_e32 v78, 31, v77
	v_lshlrev_b64 v[79:80], 4, v[79:80]
	v_add_co_u32 v73, vcc_lo, s4, v73
	v_add_nc_u32_e32 v85, s13, v81
	v_lshlrev_b64 v[83:84], 4, v[77:78]
	v_ashrrev_i32_e32 v82, 31, v81
	v_add_co_ci_u32_e64 v74, null, s5, v74, vcc_lo
	v_add_nc_u32_e32 v88, s13, v85
	v_add_co_u32 v75, vcc_lo, s4, v75
	v_ashrrev_i32_e32 v86, 31, v85
	v_add_co_ci_u32_e64 v76, null, s5, v76, vcc_lo
	v_add_co_u32 v77, vcc_lo, s4, v79
	v_ashrrev_i32_e32 v89, 31, v88
	v_add_co_ci_u32_e64 v78, null, s5, v80, vcc_lo
	v_lshlrev_b64 v[81:82], 4, v[81:82]
	v_add_co_u32 v79, vcc_lo, s4, v83
	v_add_co_ci_u32_e64 v80, null, s5, v84, vcc_lo
	v_lshlrev_b64 v[83:84], 4, v[85:86]
	v_lshlrev_b64 v[88:89], 4, v[88:89]
	v_add_co_u32 v81, vcc_lo, s4, v81
	v_add_co_ci_u32_e64 v82, null, s5, v82, vcc_lo
	v_add_co_u32 v85, vcc_lo, s4, v83
	v_add_co_ci_u32_e64 v86, null, s5, v84, vcc_lo
	;; [unrolled: 2-line block ×3, first 2 shown]
	global_load_dwordx4 v[88:91], v[37:38], off
	s_movk_i32 s4, 0x50
	s_movk_i32 s5, 0x60
	;; [unrolled: 1-line block ×3, first 2 shown]
	s_waitcnt vmcnt(7)
	buffer_store_dword v4, off, s[0:3], 0 offset:12
	buffer_store_dword v3, off, s[0:3], 0 offset:8
	;; [unrolled: 1-line block ×3, first 2 shown]
	buffer_store_dword v1, off, s[0:3], 0
	global_load_dwordx4 v[1:4], v[45:46], off
	s_waitcnt vmcnt(7)
	buffer_store_dword v20, off, s[0:3], 0 offset:28
	buffer_store_dword v19, off, s[0:3], 0 offset:24
	buffer_store_dword v18, off, s[0:3], 0 offset:20
	buffer_store_dword v17, off, s[0:3], 0 offset:16
	global_load_dwordx4 v[17:20], v[47:48], off
	s_waitcnt vmcnt(7)
	buffer_store_dword v16, off, s[0:3], 0 offset:44
	buffer_store_dword v15, off, s[0:3], 0 offset:40
	buffer_store_dword v14, off, s[0:3], 0 offset:36
	buffer_store_dword v13, off, s[0:3], 0 offset:32
	;; [unrolled: 6-line block ×13, first 2 shown]
	s_waitcnt vmcnt(6)
	buffer_store_dword v24, off, s[0:3], 0 offset:236
	buffer_store_dword v23, off, s[0:3], 0 offset:232
	;; [unrolled: 1-line block ×4, first 2 shown]
	s_clause 0x1
	global_load_dwordx4 v[21:24], v[71:72], off
	global_load_dwordx4 v[25:28], v[73:74], off
	s_waitcnt vmcnt(7)
	buffer_store_dword v91, off, s[0:3], 0 offset:252
	buffer_store_dword v90, off, s[0:3], 0 offset:248
	;; [unrolled: 1-line block ×4, first 2 shown]
	s_waitcnt vmcnt(6)
	buffer_store_dword v4, off, s[0:3], 0 offset:268
	buffer_store_dword v3, off, s[0:3], 0 offset:264
	;; [unrolled: 1-line block ×4, first 2 shown]
	s_clause 0x1
	global_load_dwordx4 v[1:4], v[75:76], off
	global_load_dwordx4 v[88:91], v[77:78], off
	s_waitcnt vmcnt(7)
	buffer_store_dword v20, off, s[0:3], 0 offset:284
	buffer_store_dword v19, off, s[0:3], 0 offset:280
	buffer_store_dword v18, off, s[0:3], 0 offset:276
	buffer_store_dword v17, off, s[0:3], 0 offset:272
	global_load_dwordx4 v[17:20], v[79:80], off
	s_waitcnt vmcnt(7)
	buffer_store_dword v16, off, s[0:3], 0 offset:300
	buffer_store_dword v15, off, s[0:3], 0 offset:296
	buffer_store_dword v14, off, s[0:3], 0 offset:292
	buffer_store_dword v13, off, s[0:3], 0 offset:288
	;; [unrolled: 6-line block ×5, first 2 shown]
	s_waitcnt vmcnt(6)
	buffer_store_dword v28, off, s[0:3], 0 offset:364
	buffer_store_dword v27, off, s[0:3], 0 offset:360
	buffer_store_dword v26, off, s[0:3], 0 offset:356
	buffer_store_dword v25, off, s[0:3], 0 offset:352
	s_waitcnt vmcnt(5)
	buffer_store_dword v4, off, s[0:3], 0 offset:380
	buffer_store_dword v3, off, s[0:3], 0 offset:376
	buffer_store_dword v2, off, s[0:3], 0 offset:372
	buffer_store_dword v1, off, s[0:3], 0 offset:368
	;; [unrolled: 5-line block ×7, first 2 shown]
	s_cbranch_scc1 .LBB28_7
; %bb.2:
	v_lshl_add_u32 v11, v0, 4, 0
                                        ; implicit-def: $vgpr7_vgpr8
                                        ; implicit-def: $vgpr3_vgpr4
	s_clause 0x3
	buffer_load_dword v5, v11, s[0:3], 0 offen
	buffer_load_dword v6, v11, s[0:3], 0 offen offset:4
	buffer_load_dword v9, v11, s[0:3], 0 offen offset:8
	buffer_load_dword v10, v11, s[0:3], 0 offen offset:12
	s_waitcnt vmcnt(0)
	v_cmp_ngt_f64_e64 s9, |v[5:6]|, |v[9:10]|
	s_and_saveexec_b32 s19, s9
	s_xor_b32 s9, exec_lo, s19
	s_cbranch_execz .LBB28_4
; %bb.3:
	v_div_scale_f64 v[1:2], null, v[9:10], v[9:10], v[5:6]
	v_div_scale_f64 v[12:13], vcc_lo, v[5:6], v[9:10], v[5:6]
	v_rcp_f64_e32 v[3:4], v[1:2]
	v_fma_f64 v[7:8], -v[1:2], v[3:4], 1.0
	v_fma_f64 v[3:4], v[3:4], v[7:8], v[3:4]
	v_fma_f64 v[7:8], -v[1:2], v[3:4], 1.0
	v_fma_f64 v[3:4], v[3:4], v[7:8], v[3:4]
	v_mul_f64 v[7:8], v[12:13], v[3:4]
	v_fma_f64 v[1:2], -v[1:2], v[7:8], v[12:13]
	v_div_fmas_f64 v[1:2], v[1:2], v[3:4], v[7:8]
	v_div_fixup_f64 v[1:2], v[1:2], v[9:10], v[5:6]
	v_fma_f64 v[3:4], v[5:6], v[1:2], v[9:10]
	v_div_scale_f64 v[5:6], null, v[3:4], v[3:4], 1.0
	v_div_scale_f64 v[12:13], vcc_lo, 1.0, v[3:4], 1.0
	v_rcp_f64_e32 v[7:8], v[5:6]
	v_fma_f64 v[9:10], -v[5:6], v[7:8], 1.0
	v_fma_f64 v[7:8], v[7:8], v[9:10], v[7:8]
	v_fma_f64 v[9:10], -v[5:6], v[7:8], 1.0
	v_fma_f64 v[7:8], v[7:8], v[9:10], v[7:8]
	v_mul_f64 v[9:10], v[12:13], v[7:8]
	v_fma_f64 v[5:6], -v[5:6], v[9:10], v[12:13]
	v_div_fmas_f64 v[5:6], v[5:6], v[7:8], v[9:10]
                                        ; implicit-def: $vgpr9_vgpr10
	v_div_fixup_f64 v[3:4], v[5:6], v[3:4], 1.0
                                        ; implicit-def: $vgpr5_vgpr6
	v_mul_f64 v[7:8], v[1:2], v[3:4]
	v_xor_b32_e32 v4, 0x80000000, v4
	v_xor_b32_e32 v2, 0x80000000, v8
	v_mov_b32_e32 v1, v7
.LBB28_4:
	s_andn2_saveexec_b32 s9, s9
	s_cbranch_execz .LBB28_6
; %bb.5:
	v_div_scale_f64 v[1:2], null, v[5:6], v[5:6], v[9:10]
	v_div_scale_f64 v[12:13], vcc_lo, v[9:10], v[5:6], v[9:10]
	v_rcp_f64_e32 v[3:4], v[1:2]
	v_fma_f64 v[7:8], -v[1:2], v[3:4], 1.0
	v_fma_f64 v[3:4], v[3:4], v[7:8], v[3:4]
	v_fma_f64 v[7:8], -v[1:2], v[3:4], 1.0
	v_fma_f64 v[3:4], v[3:4], v[7:8], v[3:4]
	v_mul_f64 v[7:8], v[12:13], v[3:4]
	v_fma_f64 v[1:2], -v[1:2], v[7:8], v[12:13]
	v_div_fmas_f64 v[1:2], v[1:2], v[3:4], v[7:8]
	v_div_fixup_f64 v[1:2], v[1:2], v[5:6], v[9:10]
	v_fma_f64 v[3:4], v[9:10], v[1:2], v[5:6]
	v_div_scale_f64 v[5:6], null, v[3:4], v[3:4], 1.0
	v_rcp_f64_e32 v[7:8], v[5:6]
	v_fma_f64 v[9:10], -v[5:6], v[7:8], 1.0
	v_fma_f64 v[7:8], v[7:8], v[9:10], v[7:8]
	v_fma_f64 v[9:10], -v[5:6], v[7:8], 1.0
	v_fma_f64 v[7:8], v[7:8], v[9:10], v[7:8]
	v_div_scale_f64 v[9:10], vcc_lo, 1.0, v[3:4], 1.0
	v_mul_f64 v[12:13], v[9:10], v[7:8]
	v_fma_f64 v[5:6], -v[5:6], v[12:13], v[9:10]
	v_div_fmas_f64 v[5:6], v[5:6], v[7:8], v[12:13]
	v_div_fixup_f64 v[7:8], v[5:6], v[3:4], 1.0
	v_mul_f64 v[3:4], v[1:2], -v[7:8]
	v_xor_b32_e32 v2, 0x80000000, v8
	v_mov_b32_e32 v1, v7
.LBB28_6:
	s_or_b32 exec_lo, exec_lo, s9
	buffer_store_dword v4, v11, s[0:3], 0 offen offset:12
	v_xor_b32_e32 v4, 0x80000000, v4
	buffer_store_dword v8, v11, s[0:3], 0 offen offset:4
	buffer_store_dword v7, v11, s[0:3], 0 offen
	buffer_store_dword v3, v11, s[0:3], 0 offen offset:8
	s_branch .LBB28_8
.LBB28_7:
	v_mov_b32_e32 v1, 0
	v_mov_b32_e32 v3, 0
	;; [unrolled: 1-line block ×4, first 2 shown]
.LBB28_8:
	v_add_nc_u32_e32 v6, 0x1d0, v87
	v_mov_b32_e32 v5, v87
	s_mov_b32 s35, 16
	s_mov_b32 s34, 32
	;; [unrolled: 1-line block ×27, first 2 shown]
	s_cmpk_eq_i32 s8, 0x79
	ds_write_b128 v87, v[1:4]
	s_cbranch_scc1 .LBB28_228
; %bb.9:
	v_mov_b32_e32 v4, s7
	v_cmp_eq_u32_e64 s4, 28, v0
	s_clause 0x3
	buffer_load_dword v1, v4, s[0:3], 0 offen
	buffer_load_dword v2, v4, s[0:3], 0 offen offset:4
	buffer_load_dword v3, v4, s[0:3], 0 offen offset:8
	;; [unrolled: 1-line block ×3, first 2 shown]
	s_waitcnt vmcnt(0)
	ds_write_b128 v6, v[1:4]
	s_waitcnt lgkmcnt(0)
	s_waitcnt_vscnt null, 0x0
	s_barrier
	buffer_gl0_inv
	s_and_saveexec_b32 s5, s4
	s_cbranch_execz .LBB28_13
; %bb.10:
	ds_read_b128 v[1:4], v6
	s_andn2_b32 vcc_lo, exec_lo, s36
	s_cbranch_vccnz .LBB28_12
; %bb.11:
	s_clause 0x3
	buffer_load_dword v7, v5, s[0:3], 0 offen offset:8
	buffer_load_dword v8, v5, s[0:3], 0 offen offset:12
	buffer_load_dword v9, v5, s[0:3], 0 offen
	buffer_load_dword v10, v5, s[0:3], 0 offen offset:4
	s_waitcnt vmcnt(2) lgkmcnt(0)
	v_mul_f64 v[11:12], v[3:4], v[7:8]
	v_mul_f64 v[7:8], v[1:2], v[7:8]
	s_waitcnt vmcnt(0)
	v_fma_f64 v[1:2], v[1:2], v[9:10], -v[11:12]
	v_fma_f64 v[3:4], v[3:4], v[9:10], v[7:8]
.LBB28_12:
	v_mov_b32_e32 v7, 0
	ds_read_b128 v[7:10], v7 offset:432
	s_waitcnt lgkmcnt(0)
	v_mul_f64 v[11:12], v[3:4], v[9:10]
	v_mul_f64 v[9:10], v[1:2], v[9:10]
	v_fma_f64 v[1:2], v[1:2], v[7:8], -v[11:12]
	v_fma_f64 v[3:4], v[3:4], v[7:8], v[9:10]
	buffer_store_dword v2, off, s[0:3], 0 offset:436
	buffer_store_dword v1, off, s[0:3], 0 offset:432
	;; [unrolled: 1-line block ×4, first 2 shown]
.LBB28_13:
	s_or_b32 exec_lo, exec_lo, s5
	v_mov_b32_e32 v4, s9
	v_cmp_lt_u32_e64 s5, 26, v0
	s_clause 0x3
	buffer_load_dword v1, v4, s[0:3], 0 offen
	buffer_load_dword v2, v4, s[0:3], 0 offen offset:4
	buffer_load_dword v3, v4, s[0:3], 0 offen offset:8
	;; [unrolled: 1-line block ×3, first 2 shown]
	s_waitcnt vmcnt(0)
	ds_write_b128 v6, v[1:4]
	s_waitcnt lgkmcnt(0)
	s_waitcnt_vscnt null, 0x0
	s_barrier
	buffer_gl0_inv
	s_and_saveexec_b32 s8, s5
	s_cbranch_execz .LBB28_19
; %bb.14:
	ds_read_b128 v[1:4], v6
	s_andn2_b32 vcc_lo, exec_lo, s36
	s_cbranch_vccnz .LBB28_16
; %bb.15:
	s_clause 0x3
	buffer_load_dword v7, v5, s[0:3], 0 offen offset:8
	buffer_load_dword v8, v5, s[0:3], 0 offen offset:12
	buffer_load_dword v9, v5, s[0:3], 0 offen
	buffer_load_dword v10, v5, s[0:3], 0 offen offset:4
	s_waitcnt vmcnt(2) lgkmcnt(0)
	v_mul_f64 v[11:12], v[3:4], v[7:8]
	v_mul_f64 v[7:8], v[1:2], v[7:8]
	s_waitcnt vmcnt(0)
	v_fma_f64 v[1:2], v[1:2], v[9:10], -v[11:12]
	v_fma_f64 v[3:4], v[3:4], v[9:10], v[7:8]
.LBB28_16:
	s_and_saveexec_b32 s37, s4
	s_cbranch_execz .LBB28_18
; %bb.17:
	s_clause 0x3
	buffer_load_dword v11, off, s[0:3], 0 offset:440
	buffer_load_dword v12, off, s[0:3], 0 offset:444
	;; [unrolled: 1-line block ×4, first 2 shown]
	v_mov_b32_e32 v7, 0
	ds_read_b128 v[7:10], v7 offset:896
	s_waitcnt vmcnt(2) lgkmcnt(0)
	v_mul_f64 v[15:16], v[7:8], v[11:12]
	v_mul_f64 v[11:12], v[9:10], v[11:12]
	s_waitcnt vmcnt(0)
	v_fma_f64 v[9:10], v[9:10], v[13:14], v[15:16]
	v_fma_f64 v[7:8], v[7:8], v[13:14], -v[11:12]
	v_add_f64 v[3:4], v[3:4], v[9:10]
	v_add_f64 v[1:2], v[1:2], v[7:8]
.LBB28_18:
	s_or_b32 exec_lo, exec_lo, s37
	v_mov_b32_e32 v7, 0
	ds_read_b128 v[7:10], v7 offset:416
	s_waitcnt lgkmcnt(0)
	v_mul_f64 v[11:12], v[3:4], v[9:10]
	v_mul_f64 v[9:10], v[1:2], v[9:10]
	v_fma_f64 v[1:2], v[1:2], v[7:8], -v[11:12]
	v_fma_f64 v[3:4], v[3:4], v[7:8], v[9:10]
	buffer_store_dword v2, off, s[0:3], 0 offset:420
	buffer_store_dword v1, off, s[0:3], 0 offset:416
	;; [unrolled: 1-line block ×4, first 2 shown]
.LBB28_19:
	s_or_b32 exec_lo, exec_lo, s8
	v_mov_b32_e32 v4, s10
	v_cmp_lt_u32_e64 s4, 25, v0
	s_clause 0x3
	buffer_load_dword v1, v4, s[0:3], 0 offen
	buffer_load_dword v2, v4, s[0:3], 0 offen offset:4
	buffer_load_dword v3, v4, s[0:3], 0 offen offset:8
	;; [unrolled: 1-line block ×3, first 2 shown]
	s_waitcnt vmcnt(0)
	ds_write_b128 v6, v[1:4]
	s_waitcnt lgkmcnt(0)
	s_waitcnt_vscnt null, 0x0
	s_barrier
	buffer_gl0_inv
	s_and_saveexec_b32 s8, s4
	s_cbranch_execz .LBB28_27
; %bb.20:
	ds_read_b128 v[1:4], v6
	s_andn2_b32 vcc_lo, exec_lo, s36
	s_cbranch_vccnz .LBB28_22
; %bb.21:
	s_clause 0x3
	buffer_load_dword v7, v5, s[0:3], 0 offen offset:8
	buffer_load_dword v8, v5, s[0:3], 0 offen offset:12
	buffer_load_dword v9, v5, s[0:3], 0 offen
	buffer_load_dword v10, v5, s[0:3], 0 offen offset:4
	s_waitcnt vmcnt(2) lgkmcnt(0)
	v_mul_f64 v[11:12], v[3:4], v[7:8]
	v_mul_f64 v[7:8], v[1:2], v[7:8]
	s_waitcnt vmcnt(0)
	v_fma_f64 v[1:2], v[1:2], v[9:10], -v[11:12]
	v_fma_f64 v[3:4], v[3:4], v[9:10], v[7:8]
.LBB28_22:
	s_and_saveexec_b32 s37, s5
	s_cbranch_execz .LBB28_26
; %bb.23:
	v_subrev_nc_u32_e32 v7, 26, v0
	s_movk_i32 s38, 0x370
	s_mov_b32 s5, 0
	s_mov_b32 s39, s9
	.p2align	6
.LBB28_24:                              ; =>This Inner Loop Header: Depth=1
	v_mov_b32_e32 v8, s39
	v_add_nc_u32_e32 v7, -1, v7
	s_add_i32 s39, s39, 16
	s_clause 0x3
	buffer_load_dword v12, v8, s[0:3], 0 offen offset:8
	buffer_load_dword v13, v8, s[0:3], 0 offen offset:12
	buffer_load_dword v14, v8, s[0:3], 0 offen
	buffer_load_dword v15, v8, s[0:3], 0 offen offset:4
	v_mov_b32_e32 v8, s38
	v_cmp_eq_u32_e32 vcc_lo, 0, v7
	s_add_i32 s38, s38, 16
	ds_read_b128 v[8:11], v8
	s_or_b32 s5, vcc_lo, s5
	s_waitcnt vmcnt(2) lgkmcnt(0)
	v_mul_f64 v[16:17], v[10:11], v[12:13]
	v_mul_f64 v[12:13], v[8:9], v[12:13]
	s_waitcnt vmcnt(0)
	v_fma_f64 v[8:9], v[8:9], v[14:15], -v[16:17]
	v_fma_f64 v[10:11], v[10:11], v[14:15], v[12:13]
	v_add_f64 v[1:2], v[1:2], v[8:9]
	v_add_f64 v[3:4], v[3:4], v[10:11]
	s_andn2_b32 exec_lo, exec_lo, s5
	s_cbranch_execnz .LBB28_24
; %bb.25:
	s_or_b32 exec_lo, exec_lo, s5
.LBB28_26:
	s_or_b32 exec_lo, exec_lo, s37
	v_mov_b32_e32 v7, 0
	ds_read_b128 v[7:10], v7 offset:400
	s_waitcnt lgkmcnt(0)
	v_mul_f64 v[11:12], v[3:4], v[9:10]
	v_mul_f64 v[9:10], v[1:2], v[9:10]
	v_fma_f64 v[1:2], v[1:2], v[7:8], -v[11:12]
	v_fma_f64 v[3:4], v[3:4], v[7:8], v[9:10]
	buffer_store_dword v2, off, s[0:3], 0 offset:404
	buffer_store_dword v1, off, s[0:3], 0 offset:400
	;; [unrolled: 1-line block ×4, first 2 shown]
.LBB28_27:
	s_or_b32 exec_lo, exec_lo, s8
	v_mov_b32_e32 v4, s11
	v_cmp_lt_u32_e64 s5, 24, v0
	s_clause 0x3
	buffer_load_dword v1, v4, s[0:3], 0 offen
	buffer_load_dword v2, v4, s[0:3], 0 offen offset:4
	buffer_load_dword v3, v4, s[0:3], 0 offen offset:8
	;; [unrolled: 1-line block ×3, first 2 shown]
	s_waitcnt vmcnt(0)
	ds_write_b128 v6, v[1:4]
	s_waitcnt lgkmcnt(0)
	s_waitcnt_vscnt null, 0x0
	s_barrier
	buffer_gl0_inv
	s_and_saveexec_b32 s8, s5
	s_cbranch_execz .LBB28_35
; %bb.28:
	ds_read_b128 v[1:4], v6
	s_andn2_b32 vcc_lo, exec_lo, s36
	s_cbranch_vccnz .LBB28_30
; %bb.29:
	s_clause 0x3
	buffer_load_dword v7, v5, s[0:3], 0 offen offset:8
	buffer_load_dword v8, v5, s[0:3], 0 offen offset:12
	buffer_load_dword v9, v5, s[0:3], 0 offen
	buffer_load_dword v10, v5, s[0:3], 0 offen offset:4
	s_waitcnt vmcnt(2) lgkmcnt(0)
	v_mul_f64 v[11:12], v[3:4], v[7:8]
	v_mul_f64 v[7:8], v[1:2], v[7:8]
	s_waitcnt vmcnt(0)
	v_fma_f64 v[1:2], v[1:2], v[9:10], -v[11:12]
	v_fma_f64 v[3:4], v[3:4], v[9:10], v[7:8]
.LBB28_30:
	s_and_saveexec_b32 s37, s4
	s_cbranch_execz .LBB28_34
; %bb.31:
	v_subrev_nc_u32_e32 v7, 25, v0
	s_movk_i32 s38, 0x360
	s_mov_b32 s4, 0
	s_mov_b32 s39, s10
	.p2align	6
.LBB28_32:                              ; =>This Inner Loop Header: Depth=1
	v_mov_b32_e32 v8, s39
	v_add_nc_u32_e32 v7, -1, v7
	s_add_i32 s39, s39, 16
	s_clause 0x3
	buffer_load_dword v12, v8, s[0:3], 0 offen offset:8
	buffer_load_dword v13, v8, s[0:3], 0 offen offset:12
	buffer_load_dword v14, v8, s[0:3], 0 offen
	buffer_load_dword v15, v8, s[0:3], 0 offen offset:4
	v_mov_b32_e32 v8, s38
	v_cmp_eq_u32_e32 vcc_lo, 0, v7
	s_add_i32 s38, s38, 16
	ds_read_b128 v[8:11], v8
	s_or_b32 s4, vcc_lo, s4
	s_waitcnt vmcnt(2) lgkmcnt(0)
	v_mul_f64 v[16:17], v[10:11], v[12:13]
	v_mul_f64 v[12:13], v[8:9], v[12:13]
	s_waitcnt vmcnt(0)
	v_fma_f64 v[8:9], v[8:9], v[14:15], -v[16:17]
	v_fma_f64 v[10:11], v[10:11], v[14:15], v[12:13]
	v_add_f64 v[1:2], v[1:2], v[8:9]
	v_add_f64 v[3:4], v[3:4], v[10:11]
	s_andn2_b32 exec_lo, exec_lo, s4
	s_cbranch_execnz .LBB28_32
; %bb.33:
	s_or_b32 exec_lo, exec_lo, s4
.LBB28_34:
	s_or_b32 exec_lo, exec_lo, s37
	v_mov_b32_e32 v7, 0
	ds_read_b128 v[7:10], v7 offset:384
	s_waitcnt lgkmcnt(0)
	v_mul_f64 v[11:12], v[3:4], v[9:10]
	v_mul_f64 v[9:10], v[1:2], v[9:10]
	v_fma_f64 v[1:2], v[1:2], v[7:8], -v[11:12]
	v_fma_f64 v[3:4], v[3:4], v[7:8], v[9:10]
	buffer_store_dword v2, off, s[0:3], 0 offset:388
	buffer_store_dword v1, off, s[0:3], 0 offset:384
	;; [unrolled: 1-line block ×4, first 2 shown]
.LBB28_35:
	s_or_b32 exec_lo, exec_lo, s8
	v_mov_b32_e32 v4, s12
	v_cmp_lt_u32_e64 s4, 23, v0
	s_clause 0x3
	buffer_load_dword v1, v4, s[0:3], 0 offen
	buffer_load_dword v2, v4, s[0:3], 0 offen offset:4
	buffer_load_dword v3, v4, s[0:3], 0 offen offset:8
	;; [unrolled: 1-line block ×3, first 2 shown]
	s_waitcnt vmcnt(0)
	ds_write_b128 v6, v[1:4]
	s_waitcnt lgkmcnt(0)
	s_waitcnt_vscnt null, 0x0
	s_barrier
	buffer_gl0_inv
	s_and_saveexec_b32 s8, s4
	s_cbranch_execz .LBB28_43
; %bb.36:
	ds_read_b128 v[1:4], v6
	s_andn2_b32 vcc_lo, exec_lo, s36
	s_cbranch_vccnz .LBB28_38
; %bb.37:
	s_clause 0x3
	buffer_load_dword v7, v5, s[0:3], 0 offen offset:8
	buffer_load_dword v8, v5, s[0:3], 0 offen offset:12
	buffer_load_dword v9, v5, s[0:3], 0 offen
	buffer_load_dword v10, v5, s[0:3], 0 offen offset:4
	s_waitcnt vmcnt(2) lgkmcnt(0)
	v_mul_f64 v[11:12], v[3:4], v[7:8]
	v_mul_f64 v[7:8], v[1:2], v[7:8]
	s_waitcnt vmcnt(0)
	v_fma_f64 v[1:2], v[1:2], v[9:10], -v[11:12]
	v_fma_f64 v[3:4], v[3:4], v[9:10], v[7:8]
.LBB28_38:
	s_and_saveexec_b32 s37, s5
	s_cbranch_execz .LBB28_42
; %bb.39:
	v_subrev_nc_u32_e32 v7, 24, v0
	s_movk_i32 s38, 0x350
	s_mov_b32 s5, 0
	s_mov_b32 s39, s11
	.p2align	6
.LBB28_40:                              ; =>This Inner Loop Header: Depth=1
	v_mov_b32_e32 v8, s39
	v_add_nc_u32_e32 v7, -1, v7
	s_add_i32 s39, s39, 16
	s_clause 0x3
	buffer_load_dword v12, v8, s[0:3], 0 offen offset:8
	buffer_load_dword v13, v8, s[0:3], 0 offen offset:12
	buffer_load_dword v14, v8, s[0:3], 0 offen
	buffer_load_dword v15, v8, s[0:3], 0 offen offset:4
	v_mov_b32_e32 v8, s38
	v_cmp_eq_u32_e32 vcc_lo, 0, v7
	s_add_i32 s38, s38, 16
	ds_read_b128 v[8:11], v8
	s_or_b32 s5, vcc_lo, s5
	s_waitcnt vmcnt(2) lgkmcnt(0)
	v_mul_f64 v[16:17], v[10:11], v[12:13]
	v_mul_f64 v[12:13], v[8:9], v[12:13]
	s_waitcnt vmcnt(0)
	v_fma_f64 v[8:9], v[8:9], v[14:15], -v[16:17]
	v_fma_f64 v[10:11], v[10:11], v[14:15], v[12:13]
	v_add_f64 v[1:2], v[1:2], v[8:9]
	v_add_f64 v[3:4], v[3:4], v[10:11]
	s_andn2_b32 exec_lo, exec_lo, s5
	s_cbranch_execnz .LBB28_40
; %bb.41:
	s_or_b32 exec_lo, exec_lo, s5
.LBB28_42:
	s_or_b32 exec_lo, exec_lo, s37
	v_mov_b32_e32 v7, 0
	ds_read_b128 v[7:10], v7 offset:368
	s_waitcnt lgkmcnt(0)
	v_mul_f64 v[11:12], v[3:4], v[9:10]
	v_mul_f64 v[9:10], v[1:2], v[9:10]
	v_fma_f64 v[1:2], v[1:2], v[7:8], -v[11:12]
	v_fma_f64 v[3:4], v[3:4], v[7:8], v[9:10]
	buffer_store_dword v2, off, s[0:3], 0 offset:372
	buffer_store_dword v1, off, s[0:3], 0 offset:368
	;; [unrolled: 1-line block ×4, first 2 shown]
.LBB28_43:
	s_or_b32 exec_lo, exec_lo, s8
	v_mov_b32_e32 v4, s13
	v_cmp_lt_u32_e64 s5, 22, v0
	s_clause 0x3
	buffer_load_dword v1, v4, s[0:3], 0 offen
	buffer_load_dword v2, v4, s[0:3], 0 offen offset:4
	buffer_load_dword v3, v4, s[0:3], 0 offen offset:8
	;; [unrolled: 1-line block ×3, first 2 shown]
	s_waitcnt vmcnt(0)
	ds_write_b128 v6, v[1:4]
	s_waitcnt lgkmcnt(0)
	s_waitcnt_vscnt null, 0x0
	s_barrier
	buffer_gl0_inv
	s_and_saveexec_b32 s8, s5
	s_cbranch_execz .LBB28_51
; %bb.44:
	ds_read_b128 v[1:4], v6
	s_andn2_b32 vcc_lo, exec_lo, s36
	s_cbranch_vccnz .LBB28_46
; %bb.45:
	s_clause 0x3
	buffer_load_dword v7, v5, s[0:3], 0 offen offset:8
	buffer_load_dword v8, v5, s[0:3], 0 offen offset:12
	buffer_load_dword v9, v5, s[0:3], 0 offen
	buffer_load_dword v10, v5, s[0:3], 0 offen offset:4
	s_waitcnt vmcnt(2) lgkmcnt(0)
	v_mul_f64 v[11:12], v[3:4], v[7:8]
	v_mul_f64 v[7:8], v[1:2], v[7:8]
	s_waitcnt vmcnt(0)
	v_fma_f64 v[1:2], v[1:2], v[9:10], -v[11:12]
	v_fma_f64 v[3:4], v[3:4], v[9:10], v[7:8]
.LBB28_46:
	s_and_saveexec_b32 s37, s4
	s_cbranch_execz .LBB28_50
; %bb.47:
	v_subrev_nc_u32_e32 v7, 23, v0
	s_movk_i32 s38, 0x340
	s_mov_b32 s4, 0
	s_mov_b32 s39, s12
	.p2align	6
.LBB28_48:                              ; =>This Inner Loop Header: Depth=1
	v_mov_b32_e32 v8, s39
	v_add_nc_u32_e32 v7, -1, v7
	s_add_i32 s39, s39, 16
	s_clause 0x3
	buffer_load_dword v12, v8, s[0:3], 0 offen offset:8
	buffer_load_dword v13, v8, s[0:3], 0 offen offset:12
	buffer_load_dword v14, v8, s[0:3], 0 offen
	buffer_load_dword v15, v8, s[0:3], 0 offen offset:4
	v_mov_b32_e32 v8, s38
	v_cmp_eq_u32_e32 vcc_lo, 0, v7
	s_add_i32 s38, s38, 16
	ds_read_b128 v[8:11], v8
	s_or_b32 s4, vcc_lo, s4
	s_waitcnt vmcnt(2) lgkmcnt(0)
	v_mul_f64 v[16:17], v[10:11], v[12:13]
	v_mul_f64 v[12:13], v[8:9], v[12:13]
	s_waitcnt vmcnt(0)
	v_fma_f64 v[8:9], v[8:9], v[14:15], -v[16:17]
	v_fma_f64 v[10:11], v[10:11], v[14:15], v[12:13]
	v_add_f64 v[1:2], v[1:2], v[8:9]
	v_add_f64 v[3:4], v[3:4], v[10:11]
	s_andn2_b32 exec_lo, exec_lo, s4
	s_cbranch_execnz .LBB28_48
; %bb.49:
	s_or_b32 exec_lo, exec_lo, s4
.LBB28_50:
	s_or_b32 exec_lo, exec_lo, s37
	v_mov_b32_e32 v7, 0
	ds_read_b128 v[7:10], v7 offset:352
	s_waitcnt lgkmcnt(0)
	v_mul_f64 v[11:12], v[3:4], v[9:10]
	v_mul_f64 v[9:10], v[1:2], v[9:10]
	v_fma_f64 v[1:2], v[1:2], v[7:8], -v[11:12]
	v_fma_f64 v[3:4], v[3:4], v[7:8], v[9:10]
	buffer_store_dword v2, off, s[0:3], 0 offset:356
	buffer_store_dword v1, off, s[0:3], 0 offset:352
	;; [unrolled: 1-line block ×4, first 2 shown]
.LBB28_51:
	s_or_b32 exec_lo, exec_lo, s8
	v_mov_b32_e32 v4, s14
	v_cmp_lt_u32_e64 s4, 21, v0
	s_clause 0x3
	buffer_load_dword v1, v4, s[0:3], 0 offen
	buffer_load_dword v2, v4, s[0:3], 0 offen offset:4
	buffer_load_dword v3, v4, s[0:3], 0 offen offset:8
	;; [unrolled: 1-line block ×3, first 2 shown]
	s_waitcnt vmcnt(0)
	ds_write_b128 v6, v[1:4]
	s_waitcnt lgkmcnt(0)
	s_waitcnt_vscnt null, 0x0
	s_barrier
	buffer_gl0_inv
	s_and_saveexec_b32 s8, s4
	s_cbranch_execz .LBB28_59
; %bb.52:
	ds_read_b128 v[1:4], v6
	s_andn2_b32 vcc_lo, exec_lo, s36
	s_cbranch_vccnz .LBB28_54
; %bb.53:
	s_clause 0x3
	buffer_load_dword v7, v5, s[0:3], 0 offen offset:8
	buffer_load_dword v8, v5, s[0:3], 0 offen offset:12
	buffer_load_dword v9, v5, s[0:3], 0 offen
	buffer_load_dword v10, v5, s[0:3], 0 offen offset:4
	s_waitcnt vmcnt(2) lgkmcnt(0)
	v_mul_f64 v[11:12], v[3:4], v[7:8]
	v_mul_f64 v[7:8], v[1:2], v[7:8]
	s_waitcnt vmcnt(0)
	v_fma_f64 v[1:2], v[1:2], v[9:10], -v[11:12]
	v_fma_f64 v[3:4], v[3:4], v[9:10], v[7:8]
.LBB28_54:
	s_and_saveexec_b32 s37, s5
	s_cbranch_execz .LBB28_58
; %bb.55:
	v_subrev_nc_u32_e32 v7, 22, v0
	s_movk_i32 s38, 0x330
	s_mov_b32 s5, 0
	s_mov_b32 s39, s13
	.p2align	6
.LBB28_56:                              ; =>This Inner Loop Header: Depth=1
	v_mov_b32_e32 v8, s39
	v_add_nc_u32_e32 v7, -1, v7
	s_add_i32 s39, s39, 16
	s_clause 0x3
	buffer_load_dword v12, v8, s[0:3], 0 offen offset:8
	buffer_load_dword v13, v8, s[0:3], 0 offen offset:12
	buffer_load_dword v14, v8, s[0:3], 0 offen
	buffer_load_dword v15, v8, s[0:3], 0 offen offset:4
	v_mov_b32_e32 v8, s38
	v_cmp_eq_u32_e32 vcc_lo, 0, v7
	s_add_i32 s38, s38, 16
	ds_read_b128 v[8:11], v8
	s_or_b32 s5, vcc_lo, s5
	s_waitcnt vmcnt(2) lgkmcnt(0)
	v_mul_f64 v[16:17], v[10:11], v[12:13]
	v_mul_f64 v[12:13], v[8:9], v[12:13]
	s_waitcnt vmcnt(0)
	v_fma_f64 v[8:9], v[8:9], v[14:15], -v[16:17]
	v_fma_f64 v[10:11], v[10:11], v[14:15], v[12:13]
	v_add_f64 v[1:2], v[1:2], v[8:9]
	v_add_f64 v[3:4], v[3:4], v[10:11]
	s_andn2_b32 exec_lo, exec_lo, s5
	s_cbranch_execnz .LBB28_56
; %bb.57:
	s_or_b32 exec_lo, exec_lo, s5
.LBB28_58:
	s_or_b32 exec_lo, exec_lo, s37
	v_mov_b32_e32 v7, 0
	ds_read_b128 v[7:10], v7 offset:336
	s_waitcnt lgkmcnt(0)
	v_mul_f64 v[11:12], v[3:4], v[9:10]
	v_mul_f64 v[9:10], v[1:2], v[9:10]
	v_fma_f64 v[1:2], v[1:2], v[7:8], -v[11:12]
	v_fma_f64 v[3:4], v[3:4], v[7:8], v[9:10]
	buffer_store_dword v2, off, s[0:3], 0 offset:340
	buffer_store_dword v1, off, s[0:3], 0 offset:336
	;; [unrolled: 1-line block ×4, first 2 shown]
.LBB28_59:
	s_or_b32 exec_lo, exec_lo, s8
	v_mov_b32_e32 v4, s15
	v_cmp_lt_u32_e64 s5, 20, v0
	s_clause 0x3
	buffer_load_dword v1, v4, s[0:3], 0 offen
	buffer_load_dword v2, v4, s[0:3], 0 offen offset:4
	buffer_load_dword v3, v4, s[0:3], 0 offen offset:8
	;; [unrolled: 1-line block ×3, first 2 shown]
	s_waitcnt vmcnt(0)
	ds_write_b128 v6, v[1:4]
	s_waitcnt lgkmcnt(0)
	s_waitcnt_vscnt null, 0x0
	s_barrier
	buffer_gl0_inv
	s_and_saveexec_b32 s8, s5
	s_cbranch_execz .LBB28_67
; %bb.60:
	ds_read_b128 v[1:4], v6
	s_andn2_b32 vcc_lo, exec_lo, s36
	s_cbranch_vccnz .LBB28_62
; %bb.61:
	s_clause 0x3
	buffer_load_dword v7, v5, s[0:3], 0 offen offset:8
	buffer_load_dword v8, v5, s[0:3], 0 offen offset:12
	buffer_load_dword v9, v5, s[0:3], 0 offen
	buffer_load_dword v10, v5, s[0:3], 0 offen offset:4
	s_waitcnt vmcnt(2) lgkmcnt(0)
	v_mul_f64 v[11:12], v[3:4], v[7:8]
	v_mul_f64 v[7:8], v[1:2], v[7:8]
	s_waitcnt vmcnt(0)
	v_fma_f64 v[1:2], v[1:2], v[9:10], -v[11:12]
	v_fma_f64 v[3:4], v[3:4], v[9:10], v[7:8]
.LBB28_62:
	s_and_saveexec_b32 s37, s4
	s_cbranch_execz .LBB28_66
; %bb.63:
	v_subrev_nc_u32_e32 v7, 21, v0
	s_movk_i32 s38, 0x320
	s_mov_b32 s4, 0
	s_mov_b32 s39, s14
	.p2align	6
.LBB28_64:                              ; =>This Inner Loop Header: Depth=1
	v_mov_b32_e32 v8, s39
	v_add_nc_u32_e32 v7, -1, v7
	s_add_i32 s39, s39, 16
	s_clause 0x3
	buffer_load_dword v12, v8, s[0:3], 0 offen offset:8
	buffer_load_dword v13, v8, s[0:3], 0 offen offset:12
	buffer_load_dword v14, v8, s[0:3], 0 offen
	buffer_load_dword v15, v8, s[0:3], 0 offen offset:4
	v_mov_b32_e32 v8, s38
	v_cmp_eq_u32_e32 vcc_lo, 0, v7
	s_add_i32 s38, s38, 16
	ds_read_b128 v[8:11], v8
	s_or_b32 s4, vcc_lo, s4
	s_waitcnt vmcnt(2) lgkmcnt(0)
	v_mul_f64 v[16:17], v[10:11], v[12:13]
	v_mul_f64 v[12:13], v[8:9], v[12:13]
	s_waitcnt vmcnt(0)
	v_fma_f64 v[8:9], v[8:9], v[14:15], -v[16:17]
	v_fma_f64 v[10:11], v[10:11], v[14:15], v[12:13]
	v_add_f64 v[1:2], v[1:2], v[8:9]
	v_add_f64 v[3:4], v[3:4], v[10:11]
	s_andn2_b32 exec_lo, exec_lo, s4
	s_cbranch_execnz .LBB28_64
; %bb.65:
	s_or_b32 exec_lo, exec_lo, s4
.LBB28_66:
	s_or_b32 exec_lo, exec_lo, s37
	v_mov_b32_e32 v7, 0
	ds_read_b128 v[7:10], v7 offset:320
	s_waitcnt lgkmcnt(0)
	v_mul_f64 v[11:12], v[3:4], v[9:10]
	v_mul_f64 v[9:10], v[1:2], v[9:10]
	v_fma_f64 v[1:2], v[1:2], v[7:8], -v[11:12]
	v_fma_f64 v[3:4], v[3:4], v[7:8], v[9:10]
	buffer_store_dword v2, off, s[0:3], 0 offset:324
	buffer_store_dword v1, off, s[0:3], 0 offset:320
	;; [unrolled: 1-line block ×4, first 2 shown]
.LBB28_67:
	s_or_b32 exec_lo, exec_lo, s8
	v_mov_b32_e32 v4, s16
	v_cmp_lt_u32_e64 s4, 19, v0
	s_clause 0x3
	buffer_load_dword v1, v4, s[0:3], 0 offen
	buffer_load_dword v2, v4, s[0:3], 0 offen offset:4
	buffer_load_dword v3, v4, s[0:3], 0 offen offset:8
	;; [unrolled: 1-line block ×3, first 2 shown]
	s_waitcnt vmcnt(0)
	ds_write_b128 v6, v[1:4]
	s_waitcnt lgkmcnt(0)
	s_waitcnt_vscnt null, 0x0
	s_barrier
	buffer_gl0_inv
	s_and_saveexec_b32 s8, s4
	s_cbranch_execz .LBB28_75
; %bb.68:
	ds_read_b128 v[1:4], v6
	s_andn2_b32 vcc_lo, exec_lo, s36
	s_cbranch_vccnz .LBB28_70
; %bb.69:
	s_clause 0x3
	buffer_load_dword v7, v5, s[0:3], 0 offen offset:8
	buffer_load_dword v8, v5, s[0:3], 0 offen offset:12
	buffer_load_dword v9, v5, s[0:3], 0 offen
	buffer_load_dword v10, v5, s[0:3], 0 offen offset:4
	s_waitcnt vmcnt(2) lgkmcnt(0)
	v_mul_f64 v[11:12], v[3:4], v[7:8]
	v_mul_f64 v[7:8], v[1:2], v[7:8]
	s_waitcnt vmcnt(0)
	v_fma_f64 v[1:2], v[1:2], v[9:10], -v[11:12]
	v_fma_f64 v[3:4], v[3:4], v[9:10], v[7:8]
.LBB28_70:
	s_and_saveexec_b32 s37, s5
	s_cbranch_execz .LBB28_74
; %bb.71:
	v_subrev_nc_u32_e32 v7, 20, v0
	s_movk_i32 s38, 0x310
	s_mov_b32 s5, 0
	s_mov_b32 s39, s15
	.p2align	6
.LBB28_72:                              ; =>This Inner Loop Header: Depth=1
	v_mov_b32_e32 v8, s39
	v_add_nc_u32_e32 v7, -1, v7
	s_add_i32 s39, s39, 16
	s_clause 0x3
	buffer_load_dword v12, v8, s[0:3], 0 offen offset:8
	buffer_load_dword v13, v8, s[0:3], 0 offen offset:12
	buffer_load_dword v14, v8, s[0:3], 0 offen
	buffer_load_dword v15, v8, s[0:3], 0 offen offset:4
	v_mov_b32_e32 v8, s38
	v_cmp_eq_u32_e32 vcc_lo, 0, v7
	s_add_i32 s38, s38, 16
	ds_read_b128 v[8:11], v8
	s_or_b32 s5, vcc_lo, s5
	s_waitcnt vmcnt(2) lgkmcnt(0)
	v_mul_f64 v[16:17], v[10:11], v[12:13]
	v_mul_f64 v[12:13], v[8:9], v[12:13]
	s_waitcnt vmcnt(0)
	v_fma_f64 v[8:9], v[8:9], v[14:15], -v[16:17]
	v_fma_f64 v[10:11], v[10:11], v[14:15], v[12:13]
	v_add_f64 v[1:2], v[1:2], v[8:9]
	v_add_f64 v[3:4], v[3:4], v[10:11]
	s_andn2_b32 exec_lo, exec_lo, s5
	s_cbranch_execnz .LBB28_72
; %bb.73:
	s_or_b32 exec_lo, exec_lo, s5
.LBB28_74:
	s_or_b32 exec_lo, exec_lo, s37
	v_mov_b32_e32 v7, 0
	ds_read_b128 v[7:10], v7 offset:304
	s_waitcnt lgkmcnt(0)
	v_mul_f64 v[11:12], v[3:4], v[9:10]
	v_mul_f64 v[9:10], v[1:2], v[9:10]
	v_fma_f64 v[1:2], v[1:2], v[7:8], -v[11:12]
	v_fma_f64 v[3:4], v[3:4], v[7:8], v[9:10]
	buffer_store_dword v2, off, s[0:3], 0 offset:308
	buffer_store_dword v1, off, s[0:3], 0 offset:304
	;; [unrolled: 1-line block ×4, first 2 shown]
.LBB28_75:
	s_or_b32 exec_lo, exec_lo, s8
	v_mov_b32_e32 v4, s17
	v_cmp_lt_u32_e64 s5, 18, v0
	s_clause 0x3
	buffer_load_dword v1, v4, s[0:3], 0 offen
	buffer_load_dword v2, v4, s[0:3], 0 offen offset:4
	buffer_load_dword v3, v4, s[0:3], 0 offen offset:8
	;; [unrolled: 1-line block ×3, first 2 shown]
	s_waitcnt vmcnt(0)
	ds_write_b128 v6, v[1:4]
	s_waitcnt lgkmcnt(0)
	s_waitcnt_vscnt null, 0x0
	s_barrier
	buffer_gl0_inv
	s_and_saveexec_b32 s8, s5
	s_cbranch_execz .LBB28_83
; %bb.76:
	ds_read_b128 v[1:4], v6
	s_andn2_b32 vcc_lo, exec_lo, s36
	s_cbranch_vccnz .LBB28_78
; %bb.77:
	s_clause 0x3
	buffer_load_dword v7, v5, s[0:3], 0 offen offset:8
	buffer_load_dword v8, v5, s[0:3], 0 offen offset:12
	buffer_load_dword v9, v5, s[0:3], 0 offen
	buffer_load_dword v10, v5, s[0:3], 0 offen offset:4
	s_waitcnt vmcnt(2) lgkmcnt(0)
	v_mul_f64 v[11:12], v[3:4], v[7:8]
	v_mul_f64 v[7:8], v[1:2], v[7:8]
	s_waitcnt vmcnt(0)
	v_fma_f64 v[1:2], v[1:2], v[9:10], -v[11:12]
	v_fma_f64 v[3:4], v[3:4], v[9:10], v[7:8]
.LBB28_78:
	s_and_saveexec_b32 s37, s4
	s_cbranch_execz .LBB28_82
; %bb.79:
	v_subrev_nc_u32_e32 v7, 19, v0
	s_movk_i32 s38, 0x300
	s_mov_b32 s4, 0
	s_mov_b32 s39, s16
	.p2align	6
.LBB28_80:                              ; =>This Inner Loop Header: Depth=1
	v_mov_b32_e32 v8, s39
	v_add_nc_u32_e32 v7, -1, v7
	s_add_i32 s39, s39, 16
	s_clause 0x3
	buffer_load_dword v12, v8, s[0:3], 0 offen offset:8
	buffer_load_dword v13, v8, s[0:3], 0 offen offset:12
	buffer_load_dword v14, v8, s[0:3], 0 offen
	buffer_load_dword v15, v8, s[0:3], 0 offen offset:4
	v_mov_b32_e32 v8, s38
	v_cmp_eq_u32_e32 vcc_lo, 0, v7
	s_add_i32 s38, s38, 16
	ds_read_b128 v[8:11], v8
	s_or_b32 s4, vcc_lo, s4
	s_waitcnt vmcnt(2) lgkmcnt(0)
	v_mul_f64 v[16:17], v[10:11], v[12:13]
	v_mul_f64 v[12:13], v[8:9], v[12:13]
	s_waitcnt vmcnt(0)
	v_fma_f64 v[8:9], v[8:9], v[14:15], -v[16:17]
	v_fma_f64 v[10:11], v[10:11], v[14:15], v[12:13]
	v_add_f64 v[1:2], v[1:2], v[8:9]
	v_add_f64 v[3:4], v[3:4], v[10:11]
	s_andn2_b32 exec_lo, exec_lo, s4
	s_cbranch_execnz .LBB28_80
; %bb.81:
	s_or_b32 exec_lo, exec_lo, s4
.LBB28_82:
	s_or_b32 exec_lo, exec_lo, s37
	v_mov_b32_e32 v7, 0
	ds_read_b128 v[7:10], v7 offset:288
	s_waitcnt lgkmcnt(0)
	v_mul_f64 v[11:12], v[3:4], v[9:10]
	v_mul_f64 v[9:10], v[1:2], v[9:10]
	v_fma_f64 v[1:2], v[1:2], v[7:8], -v[11:12]
	v_fma_f64 v[3:4], v[3:4], v[7:8], v[9:10]
	buffer_store_dword v2, off, s[0:3], 0 offset:292
	buffer_store_dword v1, off, s[0:3], 0 offset:288
	;; [unrolled: 1-line block ×4, first 2 shown]
.LBB28_83:
	s_or_b32 exec_lo, exec_lo, s8
	v_mov_b32_e32 v4, s18
	v_cmp_lt_u32_e64 s4, 17, v0
	s_clause 0x3
	buffer_load_dword v1, v4, s[0:3], 0 offen
	buffer_load_dword v2, v4, s[0:3], 0 offen offset:4
	buffer_load_dword v3, v4, s[0:3], 0 offen offset:8
	;; [unrolled: 1-line block ×3, first 2 shown]
	s_waitcnt vmcnt(0)
	ds_write_b128 v6, v[1:4]
	s_waitcnt lgkmcnt(0)
	s_waitcnt_vscnt null, 0x0
	s_barrier
	buffer_gl0_inv
	s_and_saveexec_b32 s8, s4
	s_cbranch_execz .LBB28_91
; %bb.84:
	ds_read_b128 v[1:4], v6
	s_andn2_b32 vcc_lo, exec_lo, s36
	s_cbranch_vccnz .LBB28_86
; %bb.85:
	s_clause 0x3
	buffer_load_dword v7, v5, s[0:3], 0 offen offset:8
	buffer_load_dword v8, v5, s[0:3], 0 offen offset:12
	buffer_load_dword v9, v5, s[0:3], 0 offen
	buffer_load_dword v10, v5, s[0:3], 0 offen offset:4
	s_waitcnt vmcnt(2) lgkmcnt(0)
	v_mul_f64 v[11:12], v[3:4], v[7:8]
	v_mul_f64 v[7:8], v[1:2], v[7:8]
	s_waitcnt vmcnt(0)
	v_fma_f64 v[1:2], v[1:2], v[9:10], -v[11:12]
	v_fma_f64 v[3:4], v[3:4], v[9:10], v[7:8]
.LBB28_86:
	s_and_saveexec_b32 s37, s5
	s_cbranch_execz .LBB28_90
; %bb.87:
	v_subrev_nc_u32_e32 v7, 18, v0
	s_movk_i32 s38, 0x2f0
	s_mov_b32 s5, 0
	s_mov_b32 s39, s17
	.p2align	6
.LBB28_88:                              ; =>This Inner Loop Header: Depth=1
	v_mov_b32_e32 v8, s39
	v_add_nc_u32_e32 v7, -1, v7
	s_add_i32 s39, s39, 16
	s_clause 0x3
	buffer_load_dword v12, v8, s[0:3], 0 offen offset:8
	buffer_load_dword v13, v8, s[0:3], 0 offen offset:12
	buffer_load_dword v14, v8, s[0:3], 0 offen
	buffer_load_dword v15, v8, s[0:3], 0 offen offset:4
	v_mov_b32_e32 v8, s38
	v_cmp_eq_u32_e32 vcc_lo, 0, v7
	s_add_i32 s38, s38, 16
	ds_read_b128 v[8:11], v8
	s_or_b32 s5, vcc_lo, s5
	s_waitcnt vmcnt(2) lgkmcnt(0)
	v_mul_f64 v[16:17], v[10:11], v[12:13]
	v_mul_f64 v[12:13], v[8:9], v[12:13]
	s_waitcnt vmcnt(0)
	v_fma_f64 v[8:9], v[8:9], v[14:15], -v[16:17]
	v_fma_f64 v[10:11], v[10:11], v[14:15], v[12:13]
	v_add_f64 v[1:2], v[1:2], v[8:9]
	v_add_f64 v[3:4], v[3:4], v[10:11]
	s_andn2_b32 exec_lo, exec_lo, s5
	s_cbranch_execnz .LBB28_88
; %bb.89:
	s_or_b32 exec_lo, exec_lo, s5
.LBB28_90:
	s_or_b32 exec_lo, exec_lo, s37
	v_mov_b32_e32 v7, 0
	ds_read_b128 v[7:10], v7 offset:272
	s_waitcnt lgkmcnt(0)
	v_mul_f64 v[11:12], v[3:4], v[9:10]
	v_mul_f64 v[9:10], v[1:2], v[9:10]
	v_fma_f64 v[1:2], v[1:2], v[7:8], -v[11:12]
	v_fma_f64 v[3:4], v[3:4], v[7:8], v[9:10]
	buffer_store_dword v2, off, s[0:3], 0 offset:276
	buffer_store_dword v1, off, s[0:3], 0 offset:272
	;; [unrolled: 1-line block ×4, first 2 shown]
.LBB28_91:
	s_or_b32 exec_lo, exec_lo, s8
	v_mov_b32_e32 v4, s19
	v_cmp_lt_u32_e64 s5, 16, v0
	s_clause 0x3
	buffer_load_dword v1, v4, s[0:3], 0 offen
	buffer_load_dword v2, v4, s[0:3], 0 offen offset:4
	buffer_load_dword v3, v4, s[0:3], 0 offen offset:8
	;; [unrolled: 1-line block ×3, first 2 shown]
	s_waitcnt vmcnt(0)
	ds_write_b128 v6, v[1:4]
	s_waitcnt lgkmcnt(0)
	s_waitcnt_vscnt null, 0x0
	s_barrier
	buffer_gl0_inv
	s_and_saveexec_b32 s8, s5
	s_cbranch_execz .LBB28_99
; %bb.92:
	ds_read_b128 v[1:4], v6
	s_andn2_b32 vcc_lo, exec_lo, s36
	s_cbranch_vccnz .LBB28_94
; %bb.93:
	s_clause 0x3
	buffer_load_dword v7, v5, s[0:3], 0 offen offset:8
	buffer_load_dword v8, v5, s[0:3], 0 offen offset:12
	buffer_load_dword v9, v5, s[0:3], 0 offen
	buffer_load_dword v10, v5, s[0:3], 0 offen offset:4
	s_waitcnt vmcnt(2) lgkmcnt(0)
	v_mul_f64 v[11:12], v[3:4], v[7:8]
	v_mul_f64 v[7:8], v[1:2], v[7:8]
	s_waitcnt vmcnt(0)
	v_fma_f64 v[1:2], v[1:2], v[9:10], -v[11:12]
	v_fma_f64 v[3:4], v[3:4], v[9:10], v[7:8]
.LBB28_94:
	s_and_saveexec_b32 s37, s4
	s_cbranch_execz .LBB28_98
; %bb.95:
	v_subrev_nc_u32_e32 v7, 17, v0
	s_movk_i32 s38, 0x2e0
	s_mov_b32 s4, 0
	s_mov_b32 s39, s18
	.p2align	6
.LBB28_96:                              ; =>This Inner Loop Header: Depth=1
	v_mov_b32_e32 v8, s39
	v_add_nc_u32_e32 v7, -1, v7
	s_add_i32 s39, s39, 16
	s_clause 0x3
	buffer_load_dword v12, v8, s[0:3], 0 offen offset:8
	buffer_load_dword v13, v8, s[0:3], 0 offen offset:12
	buffer_load_dword v14, v8, s[0:3], 0 offen
	buffer_load_dword v15, v8, s[0:3], 0 offen offset:4
	v_mov_b32_e32 v8, s38
	v_cmp_eq_u32_e32 vcc_lo, 0, v7
	s_add_i32 s38, s38, 16
	ds_read_b128 v[8:11], v8
	s_or_b32 s4, vcc_lo, s4
	s_waitcnt vmcnt(2) lgkmcnt(0)
	v_mul_f64 v[16:17], v[10:11], v[12:13]
	v_mul_f64 v[12:13], v[8:9], v[12:13]
	s_waitcnt vmcnt(0)
	v_fma_f64 v[8:9], v[8:9], v[14:15], -v[16:17]
	v_fma_f64 v[10:11], v[10:11], v[14:15], v[12:13]
	v_add_f64 v[1:2], v[1:2], v[8:9]
	v_add_f64 v[3:4], v[3:4], v[10:11]
	s_andn2_b32 exec_lo, exec_lo, s4
	s_cbranch_execnz .LBB28_96
; %bb.97:
	s_or_b32 exec_lo, exec_lo, s4
.LBB28_98:
	s_or_b32 exec_lo, exec_lo, s37
	v_mov_b32_e32 v7, 0
	ds_read_b128 v[7:10], v7 offset:256
	s_waitcnt lgkmcnt(0)
	v_mul_f64 v[11:12], v[3:4], v[9:10]
	v_mul_f64 v[9:10], v[1:2], v[9:10]
	v_fma_f64 v[1:2], v[1:2], v[7:8], -v[11:12]
	v_fma_f64 v[3:4], v[3:4], v[7:8], v[9:10]
	buffer_store_dword v2, off, s[0:3], 0 offset:260
	buffer_store_dword v1, off, s[0:3], 0 offset:256
	;; [unrolled: 1-line block ×4, first 2 shown]
.LBB28_99:
	s_or_b32 exec_lo, exec_lo, s8
	v_mov_b32_e32 v4, s20
	v_cmp_lt_u32_e64 s4, 15, v0
	s_clause 0x3
	buffer_load_dword v1, v4, s[0:3], 0 offen
	buffer_load_dword v2, v4, s[0:3], 0 offen offset:4
	buffer_load_dword v3, v4, s[0:3], 0 offen offset:8
	;; [unrolled: 1-line block ×3, first 2 shown]
	s_waitcnt vmcnt(0)
	ds_write_b128 v6, v[1:4]
	s_waitcnt lgkmcnt(0)
	s_waitcnt_vscnt null, 0x0
	s_barrier
	buffer_gl0_inv
	s_and_saveexec_b32 s8, s4
	s_cbranch_execz .LBB28_107
; %bb.100:
	ds_read_b128 v[1:4], v6
	s_andn2_b32 vcc_lo, exec_lo, s36
	s_cbranch_vccnz .LBB28_102
; %bb.101:
	s_clause 0x3
	buffer_load_dword v7, v5, s[0:3], 0 offen offset:8
	buffer_load_dword v8, v5, s[0:3], 0 offen offset:12
	buffer_load_dword v9, v5, s[0:3], 0 offen
	buffer_load_dword v10, v5, s[0:3], 0 offen offset:4
	s_waitcnt vmcnt(2) lgkmcnt(0)
	v_mul_f64 v[11:12], v[3:4], v[7:8]
	v_mul_f64 v[7:8], v[1:2], v[7:8]
	s_waitcnt vmcnt(0)
	v_fma_f64 v[1:2], v[1:2], v[9:10], -v[11:12]
	v_fma_f64 v[3:4], v[3:4], v[9:10], v[7:8]
.LBB28_102:
	s_and_saveexec_b32 s37, s5
	s_cbranch_execz .LBB28_106
; %bb.103:
	v_add_nc_u32_e32 v7, -16, v0
	s_movk_i32 s38, 0x2d0
	s_mov_b32 s5, 0
	s_mov_b32 s39, s19
	.p2align	6
.LBB28_104:                             ; =>This Inner Loop Header: Depth=1
	v_mov_b32_e32 v8, s39
	v_add_nc_u32_e32 v7, -1, v7
	s_add_i32 s39, s39, 16
	s_clause 0x3
	buffer_load_dword v12, v8, s[0:3], 0 offen offset:8
	buffer_load_dword v13, v8, s[0:3], 0 offen offset:12
	buffer_load_dword v14, v8, s[0:3], 0 offen
	buffer_load_dword v15, v8, s[0:3], 0 offen offset:4
	v_mov_b32_e32 v8, s38
	v_cmp_eq_u32_e32 vcc_lo, 0, v7
	s_add_i32 s38, s38, 16
	ds_read_b128 v[8:11], v8
	s_or_b32 s5, vcc_lo, s5
	s_waitcnt vmcnt(2) lgkmcnt(0)
	v_mul_f64 v[16:17], v[10:11], v[12:13]
	v_mul_f64 v[12:13], v[8:9], v[12:13]
	s_waitcnt vmcnt(0)
	v_fma_f64 v[8:9], v[8:9], v[14:15], -v[16:17]
	v_fma_f64 v[10:11], v[10:11], v[14:15], v[12:13]
	v_add_f64 v[1:2], v[1:2], v[8:9]
	v_add_f64 v[3:4], v[3:4], v[10:11]
	s_andn2_b32 exec_lo, exec_lo, s5
	s_cbranch_execnz .LBB28_104
; %bb.105:
	s_or_b32 exec_lo, exec_lo, s5
.LBB28_106:
	s_or_b32 exec_lo, exec_lo, s37
	v_mov_b32_e32 v7, 0
	ds_read_b128 v[7:10], v7 offset:240
	s_waitcnt lgkmcnt(0)
	v_mul_f64 v[11:12], v[3:4], v[9:10]
	v_mul_f64 v[9:10], v[1:2], v[9:10]
	v_fma_f64 v[1:2], v[1:2], v[7:8], -v[11:12]
	v_fma_f64 v[3:4], v[3:4], v[7:8], v[9:10]
	buffer_store_dword v2, off, s[0:3], 0 offset:244
	buffer_store_dword v1, off, s[0:3], 0 offset:240
	;; [unrolled: 1-line block ×4, first 2 shown]
.LBB28_107:
	s_or_b32 exec_lo, exec_lo, s8
	v_mov_b32_e32 v4, s21
	v_cmp_lt_u32_e64 s5, 14, v0
	s_clause 0x3
	buffer_load_dword v1, v4, s[0:3], 0 offen
	buffer_load_dword v2, v4, s[0:3], 0 offen offset:4
	buffer_load_dword v3, v4, s[0:3], 0 offen offset:8
	;; [unrolled: 1-line block ×3, first 2 shown]
	s_waitcnt vmcnt(0)
	ds_write_b128 v6, v[1:4]
	s_waitcnt lgkmcnt(0)
	s_waitcnt_vscnt null, 0x0
	s_barrier
	buffer_gl0_inv
	s_and_saveexec_b32 s8, s5
	s_cbranch_execz .LBB28_115
; %bb.108:
	ds_read_b128 v[1:4], v6
	s_andn2_b32 vcc_lo, exec_lo, s36
	s_cbranch_vccnz .LBB28_110
; %bb.109:
	s_clause 0x3
	buffer_load_dword v7, v5, s[0:3], 0 offen offset:8
	buffer_load_dword v8, v5, s[0:3], 0 offen offset:12
	buffer_load_dword v9, v5, s[0:3], 0 offen
	buffer_load_dword v10, v5, s[0:3], 0 offen offset:4
	s_waitcnt vmcnt(2) lgkmcnt(0)
	v_mul_f64 v[11:12], v[3:4], v[7:8]
	v_mul_f64 v[7:8], v[1:2], v[7:8]
	s_waitcnt vmcnt(0)
	v_fma_f64 v[1:2], v[1:2], v[9:10], -v[11:12]
	v_fma_f64 v[3:4], v[3:4], v[9:10], v[7:8]
.LBB28_110:
	s_and_saveexec_b32 s37, s4
	s_cbranch_execz .LBB28_114
; %bb.111:
	v_add_nc_u32_e32 v7, -15, v0
	s_movk_i32 s38, 0x2c0
	s_mov_b32 s4, 0
	s_mov_b32 s39, s20
	.p2align	6
.LBB28_112:                             ; =>This Inner Loop Header: Depth=1
	v_mov_b32_e32 v8, s39
	v_add_nc_u32_e32 v7, -1, v7
	s_add_i32 s39, s39, 16
	s_clause 0x3
	buffer_load_dword v12, v8, s[0:3], 0 offen offset:8
	buffer_load_dword v13, v8, s[0:3], 0 offen offset:12
	buffer_load_dword v14, v8, s[0:3], 0 offen
	buffer_load_dword v15, v8, s[0:3], 0 offen offset:4
	v_mov_b32_e32 v8, s38
	v_cmp_eq_u32_e32 vcc_lo, 0, v7
	s_add_i32 s38, s38, 16
	ds_read_b128 v[8:11], v8
	s_or_b32 s4, vcc_lo, s4
	s_waitcnt vmcnt(2) lgkmcnt(0)
	v_mul_f64 v[16:17], v[10:11], v[12:13]
	v_mul_f64 v[12:13], v[8:9], v[12:13]
	s_waitcnt vmcnt(0)
	v_fma_f64 v[8:9], v[8:9], v[14:15], -v[16:17]
	v_fma_f64 v[10:11], v[10:11], v[14:15], v[12:13]
	v_add_f64 v[1:2], v[1:2], v[8:9]
	v_add_f64 v[3:4], v[3:4], v[10:11]
	s_andn2_b32 exec_lo, exec_lo, s4
	s_cbranch_execnz .LBB28_112
; %bb.113:
	s_or_b32 exec_lo, exec_lo, s4
.LBB28_114:
	s_or_b32 exec_lo, exec_lo, s37
	v_mov_b32_e32 v7, 0
	ds_read_b128 v[7:10], v7 offset:224
	s_waitcnt lgkmcnt(0)
	v_mul_f64 v[11:12], v[3:4], v[9:10]
	v_mul_f64 v[9:10], v[1:2], v[9:10]
	v_fma_f64 v[1:2], v[1:2], v[7:8], -v[11:12]
	v_fma_f64 v[3:4], v[3:4], v[7:8], v[9:10]
	buffer_store_dword v2, off, s[0:3], 0 offset:228
	buffer_store_dword v1, off, s[0:3], 0 offset:224
	;; [unrolled: 1-line block ×4, first 2 shown]
.LBB28_115:
	s_or_b32 exec_lo, exec_lo, s8
	v_mov_b32_e32 v4, s22
	v_cmp_lt_u32_e64 s4, 13, v0
	s_clause 0x3
	buffer_load_dword v1, v4, s[0:3], 0 offen
	buffer_load_dword v2, v4, s[0:3], 0 offen offset:4
	buffer_load_dword v3, v4, s[0:3], 0 offen offset:8
	;; [unrolled: 1-line block ×3, first 2 shown]
	s_waitcnt vmcnt(0)
	ds_write_b128 v6, v[1:4]
	s_waitcnt lgkmcnt(0)
	s_waitcnt_vscnt null, 0x0
	s_barrier
	buffer_gl0_inv
	s_and_saveexec_b32 s8, s4
	s_cbranch_execz .LBB28_123
; %bb.116:
	ds_read_b128 v[1:4], v6
	s_andn2_b32 vcc_lo, exec_lo, s36
	s_cbranch_vccnz .LBB28_118
; %bb.117:
	s_clause 0x3
	buffer_load_dword v7, v5, s[0:3], 0 offen offset:8
	buffer_load_dword v8, v5, s[0:3], 0 offen offset:12
	buffer_load_dword v9, v5, s[0:3], 0 offen
	buffer_load_dword v10, v5, s[0:3], 0 offen offset:4
	s_waitcnt vmcnt(2) lgkmcnt(0)
	v_mul_f64 v[11:12], v[3:4], v[7:8]
	v_mul_f64 v[7:8], v[1:2], v[7:8]
	s_waitcnt vmcnt(0)
	v_fma_f64 v[1:2], v[1:2], v[9:10], -v[11:12]
	v_fma_f64 v[3:4], v[3:4], v[9:10], v[7:8]
.LBB28_118:
	s_and_saveexec_b32 s37, s5
	s_cbranch_execz .LBB28_122
; %bb.119:
	v_add_nc_u32_e32 v7, -14, v0
	s_movk_i32 s38, 0x2b0
	s_mov_b32 s5, 0
	s_mov_b32 s39, s21
	.p2align	6
.LBB28_120:                             ; =>This Inner Loop Header: Depth=1
	v_mov_b32_e32 v8, s39
	v_add_nc_u32_e32 v7, -1, v7
	s_add_i32 s39, s39, 16
	s_clause 0x3
	buffer_load_dword v12, v8, s[0:3], 0 offen offset:8
	buffer_load_dword v13, v8, s[0:3], 0 offen offset:12
	buffer_load_dword v14, v8, s[0:3], 0 offen
	buffer_load_dword v15, v8, s[0:3], 0 offen offset:4
	v_mov_b32_e32 v8, s38
	v_cmp_eq_u32_e32 vcc_lo, 0, v7
	s_add_i32 s38, s38, 16
	ds_read_b128 v[8:11], v8
	s_or_b32 s5, vcc_lo, s5
	s_waitcnt vmcnt(2) lgkmcnt(0)
	v_mul_f64 v[16:17], v[10:11], v[12:13]
	v_mul_f64 v[12:13], v[8:9], v[12:13]
	s_waitcnt vmcnt(0)
	v_fma_f64 v[8:9], v[8:9], v[14:15], -v[16:17]
	v_fma_f64 v[10:11], v[10:11], v[14:15], v[12:13]
	v_add_f64 v[1:2], v[1:2], v[8:9]
	v_add_f64 v[3:4], v[3:4], v[10:11]
	s_andn2_b32 exec_lo, exec_lo, s5
	s_cbranch_execnz .LBB28_120
; %bb.121:
	s_or_b32 exec_lo, exec_lo, s5
.LBB28_122:
	s_or_b32 exec_lo, exec_lo, s37
	v_mov_b32_e32 v7, 0
	ds_read_b128 v[7:10], v7 offset:208
	s_waitcnt lgkmcnt(0)
	v_mul_f64 v[11:12], v[3:4], v[9:10]
	v_mul_f64 v[9:10], v[1:2], v[9:10]
	v_fma_f64 v[1:2], v[1:2], v[7:8], -v[11:12]
	v_fma_f64 v[3:4], v[3:4], v[7:8], v[9:10]
	buffer_store_dword v2, off, s[0:3], 0 offset:212
	buffer_store_dword v1, off, s[0:3], 0 offset:208
	;; [unrolled: 1-line block ×4, first 2 shown]
.LBB28_123:
	s_or_b32 exec_lo, exec_lo, s8
	v_mov_b32_e32 v4, s23
	v_cmp_lt_u32_e64 s5, 12, v0
	s_clause 0x3
	buffer_load_dword v1, v4, s[0:3], 0 offen
	buffer_load_dword v2, v4, s[0:3], 0 offen offset:4
	buffer_load_dword v3, v4, s[0:3], 0 offen offset:8
	buffer_load_dword v4, v4, s[0:3], 0 offen offset:12
	s_waitcnt vmcnt(0)
	ds_write_b128 v6, v[1:4]
	s_waitcnt lgkmcnt(0)
	s_waitcnt_vscnt null, 0x0
	s_barrier
	buffer_gl0_inv
	s_and_saveexec_b32 s8, s5
	s_cbranch_execz .LBB28_131
; %bb.124:
	ds_read_b128 v[1:4], v6
	s_andn2_b32 vcc_lo, exec_lo, s36
	s_cbranch_vccnz .LBB28_126
; %bb.125:
	s_clause 0x3
	buffer_load_dword v7, v5, s[0:3], 0 offen offset:8
	buffer_load_dword v8, v5, s[0:3], 0 offen offset:12
	buffer_load_dword v9, v5, s[0:3], 0 offen
	buffer_load_dword v10, v5, s[0:3], 0 offen offset:4
	s_waitcnt vmcnt(2) lgkmcnt(0)
	v_mul_f64 v[11:12], v[3:4], v[7:8]
	v_mul_f64 v[7:8], v[1:2], v[7:8]
	s_waitcnt vmcnt(0)
	v_fma_f64 v[1:2], v[1:2], v[9:10], -v[11:12]
	v_fma_f64 v[3:4], v[3:4], v[9:10], v[7:8]
.LBB28_126:
	s_and_saveexec_b32 s37, s4
	s_cbranch_execz .LBB28_130
; %bb.127:
	v_add_nc_u32_e32 v7, -13, v0
	s_movk_i32 s38, 0x2a0
	s_mov_b32 s4, 0
	s_mov_b32 s39, s22
	.p2align	6
.LBB28_128:                             ; =>This Inner Loop Header: Depth=1
	v_mov_b32_e32 v8, s39
	v_add_nc_u32_e32 v7, -1, v7
	s_add_i32 s39, s39, 16
	s_clause 0x3
	buffer_load_dword v12, v8, s[0:3], 0 offen offset:8
	buffer_load_dword v13, v8, s[0:3], 0 offen offset:12
	buffer_load_dword v14, v8, s[0:3], 0 offen
	buffer_load_dword v15, v8, s[0:3], 0 offen offset:4
	v_mov_b32_e32 v8, s38
	v_cmp_eq_u32_e32 vcc_lo, 0, v7
	s_add_i32 s38, s38, 16
	ds_read_b128 v[8:11], v8
	s_or_b32 s4, vcc_lo, s4
	s_waitcnt vmcnt(2) lgkmcnt(0)
	v_mul_f64 v[16:17], v[10:11], v[12:13]
	v_mul_f64 v[12:13], v[8:9], v[12:13]
	s_waitcnt vmcnt(0)
	v_fma_f64 v[8:9], v[8:9], v[14:15], -v[16:17]
	v_fma_f64 v[10:11], v[10:11], v[14:15], v[12:13]
	v_add_f64 v[1:2], v[1:2], v[8:9]
	v_add_f64 v[3:4], v[3:4], v[10:11]
	s_andn2_b32 exec_lo, exec_lo, s4
	s_cbranch_execnz .LBB28_128
; %bb.129:
	s_or_b32 exec_lo, exec_lo, s4
.LBB28_130:
	s_or_b32 exec_lo, exec_lo, s37
	v_mov_b32_e32 v7, 0
	ds_read_b128 v[7:10], v7 offset:192
	s_waitcnt lgkmcnt(0)
	v_mul_f64 v[11:12], v[3:4], v[9:10]
	v_mul_f64 v[9:10], v[1:2], v[9:10]
	v_fma_f64 v[1:2], v[1:2], v[7:8], -v[11:12]
	v_fma_f64 v[3:4], v[3:4], v[7:8], v[9:10]
	buffer_store_dword v2, off, s[0:3], 0 offset:196
	buffer_store_dword v1, off, s[0:3], 0 offset:192
	;; [unrolled: 1-line block ×4, first 2 shown]
.LBB28_131:
	s_or_b32 exec_lo, exec_lo, s8
	v_mov_b32_e32 v4, s24
	v_cmp_lt_u32_e64 s4, 11, v0
	s_clause 0x3
	buffer_load_dword v1, v4, s[0:3], 0 offen
	buffer_load_dword v2, v4, s[0:3], 0 offen offset:4
	buffer_load_dword v3, v4, s[0:3], 0 offen offset:8
	;; [unrolled: 1-line block ×3, first 2 shown]
	s_waitcnt vmcnt(0)
	ds_write_b128 v6, v[1:4]
	s_waitcnt lgkmcnt(0)
	s_waitcnt_vscnt null, 0x0
	s_barrier
	buffer_gl0_inv
	s_and_saveexec_b32 s8, s4
	s_cbranch_execz .LBB28_139
; %bb.132:
	ds_read_b128 v[1:4], v6
	s_andn2_b32 vcc_lo, exec_lo, s36
	s_cbranch_vccnz .LBB28_134
; %bb.133:
	s_clause 0x3
	buffer_load_dword v7, v5, s[0:3], 0 offen offset:8
	buffer_load_dword v8, v5, s[0:3], 0 offen offset:12
	buffer_load_dword v9, v5, s[0:3], 0 offen
	buffer_load_dword v10, v5, s[0:3], 0 offen offset:4
	s_waitcnt vmcnt(2) lgkmcnt(0)
	v_mul_f64 v[11:12], v[3:4], v[7:8]
	v_mul_f64 v[7:8], v[1:2], v[7:8]
	s_waitcnt vmcnt(0)
	v_fma_f64 v[1:2], v[1:2], v[9:10], -v[11:12]
	v_fma_f64 v[3:4], v[3:4], v[9:10], v[7:8]
.LBB28_134:
	s_and_saveexec_b32 s37, s5
	s_cbranch_execz .LBB28_138
; %bb.135:
	v_add_nc_u32_e32 v7, -12, v0
	s_movk_i32 s38, 0x290
	s_mov_b32 s5, 0
	s_mov_b32 s39, s23
	.p2align	6
.LBB28_136:                             ; =>This Inner Loop Header: Depth=1
	v_mov_b32_e32 v8, s39
	v_add_nc_u32_e32 v7, -1, v7
	s_add_i32 s39, s39, 16
	s_clause 0x3
	buffer_load_dword v12, v8, s[0:3], 0 offen offset:8
	buffer_load_dword v13, v8, s[0:3], 0 offen offset:12
	buffer_load_dword v14, v8, s[0:3], 0 offen
	buffer_load_dword v15, v8, s[0:3], 0 offen offset:4
	v_mov_b32_e32 v8, s38
	v_cmp_eq_u32_e32 vcc_lo, 0, v7
	s_add_i32 s38, s38, 16
	ds_read_b128 v[8:11], v8
	s_or_b32 s5, vcc_lo, s5
	s_waitcnt vmcnt(2) lgkmcnt(0)
	v_mul_f64 v[16:17], v[10:11], v[12:13]
	v_mul_f64 v[12:13], v[8:9], v[12:13]
	s_waitcnt vmcnt(0)
	v_fma_f64 v[8:9], v[8:9], v[14:15], -v[16:17]
	v_fma_f64 v[10:11], v[10:11], v[14:15], v[12:13]
	v_add_f64 v[1:2], v[1:2], v[8:9]
	v_add_f64 v[3:4], v[3:4], v[10:11]
	s_andn2_b32 exec_lo, exec_lo, s5
	s_cbranch_execnz .LBB28_136
; %bb.137:
	s_or_b32 exec_lo, exec_lo, s5
.LBB28_138:
	s_or_b32 exec_lo, exec_lo, s37
	v_mov_b32_e32 v7, 0
	ds_read_b128 v[7:10], v7 offset:176
	s_waitcnt lgkmcnt(0)
	v_mul_f64 v[11:12], v[3:4], v[9:10]
	v_mul_f64 v[9:10], v[1:2], v[9:10]
	v_fma_f64 v[1:2], v[1:2], v[7:8], -v[11:12]
	v_fma_f64 v[3:4], v[3:4], v[7:8], v[9:10]
	buffer_store_dword v2, off, s[0:3], 0 offset:180
	buffer_store_dword v1, off, s[0:3], 0 offset:176
	;; [unrolled: 1-line block ×4, first 2 shown]
.LBB28_139:
	s_or_b32 exec_lo, exec_lo, s8
	v_mov_b32_e32 v4, s25
	v_cmp_lt_u32_e64 s5, 10, v0
	s_clause 0x3
	buffer_load_dword v1, v4, s[0:3], 0 offen
	buffer_load_dword v2, v4, s[0:3], 0 offen offset:4
	buffer_load_dword v3, v4, s[0:3], 0 offen offset:8
	;; [unrolled: 1-line block ×3, first 2 shown]
	s_waitcnt vmcnt(0)
	ds_write_b128 v6, v[1:4]
	s_waitcnt lgkmcnt(0)
	s_waitcnt_vscnt null, 0x0
	s_barrier
	buffer_gl0_inv
	s_and_saveexec_b32 s8, s5
	s_cbranch_execz .LBB28_147
; %bb.140:
	ds_read_b128 v[1:4], v6
	s_andn2_b32 vcc_lo, exec_lo, s36
	s_cbranch_vccnz .LBB28_142
; %bb.141:
	s_clause 0x3
	buffer_load_dword v7, v5, s[0:3], 0 offen offset:8
	buffer_load_dword v8, v5, s[0:3], 0 offen offset:12
	buffer_load_dword v9, v5, s[0:3], 0 offen
	buffer_load_dword v10, v5, s[0:3], 0 offen offset:4
	s_waitcnt vmcnt(2) lgkmcnt(0)
	v_mul_f64 v[11:12], v[3:4], v[7:8]
	v_mul_f64 v[7:8], v[1:2], v[7:8]
	s_waitcnt vmcnt(0)
	v_fma_f64 v[1:2], v[1:2], v[9:10], -v[11:12]
	v_fma_f64 v[3:4], v[3:4], v[9:10], v[7:8]
.LBB28_142:
	s_and_saveexec_b32 s37, s4
	s_cbranch_execz .LBB28_146
; %bb.143:
	v_add_nc_u32_e32 v7, -11, v0
	s_movk_i32 s38, 0x280
	s_mov_b32 s4, 0
	s_mov_b32 s39, s24
	.p2align	6
.LBB28_144:                             ; =>This Inner Loop Header: Depth=1
	v_mov_b32_e32 v8, s39
	v_add_nc_u32_e32 v7, -1, v7
	s_add_i32 s39, s39, 16
	s_clause 0x3
	buffer_load_dword v12, v8, s[0:3], 0 offen offset:8
	buffer_load_dword v13, v8, s[0:3], 0 offen offset:12
	buffer_load_dword v14, v8, s[0:3], 0 offen
	buffer_load_dword v15, v8, s[0:3], 0 offen offset:4
	v_mov_b32_e32 v8, s38
	v_cmp_eq_u32_e32 vcc_lo, 0, v7
	s_add_i32 s38, s38, 16
	ds_read_b128 v[8:11], v8
	s_or_b32 s4, vcc_lo, s4
	s_waitcnt vmcnt(2) lgkmcnt(0)
	v_mul_f64 v[16:17], v[10:11], v[12:13]
	v_mul_f64 v[12:13], v[8:9], v[12:13]
	s_waitcnt vmcnt(0)
	v_fma_f64 v[8:9], v[8:9], v[14:15], -v[16:17]
	v_fma_f64 v[10:11], v[10:11], v[14:15], v[12:13]
	v_add_f64 v[1:2], v[1:2], v[8:9]
	v_add_f64 v[3:4], v[3:4], v[10:11]
	s_andn2_b32 exec_lo, exec_lo, s4
	s_cbranch_execnz .LBB28_144
; %bb.145:
	s_or_b32 exec_lo, exec_lo, s4
.LBB28_146:
	s_or_b32 exec_lo, exec_lo, s37
	v_mov_b32_e32 v7, 0
	ds_read_b128 v[7:10], v7 offset:160
	s_waitcnt lgkmcnt(0)
	v_mul_f64 v[11:12], v[3:4], v[9:10]
	v_mul_f64 v[9:10], v[1:2], v[9:10]
	v_fma_f64 v[1:2], v[1:2], v[7:8], -v[11:12]
	v_fma_f64 v[3:4], v[3:4], v[7:8], v[9:10]
	buffer_store_dword v2, off, s[0:3], 0 offset:164
	buffer_store_dword v1, off, s[0:3], 0 offset:160
	;; [unrolled: 1-line block ×4, first 2 shown]
.LBB28_147:
	s_or_b32 exec_lo, exec_lo, s8
	v_mov_b32_e32 v4, s26
	v_cmp_lt_u32_e64 s4, 9, v0
	s_clause 0x3
	buffer_load_dword v1, v4, s[0:3], 0 offen
	buffer_load_dword v2, v4, s[0:3], 0 offen offset:4
	buffer_load_dword v3, v4, s[0:3], 0 offen offset:8
	;; [unrolled: 1-line block ×3, first 2 shown]
	s_waitcnt vmcnt(0)
	ds_write_b128 v6, v[1:4]
	s_waitcnt lgkmcnt(0)
	s_waitcnt_vscnt null, 0x0
	s_barrier
	buffer_gl0_inv
	s_and_saveexec_b32 s8, s4
	s_cbranch_execz .LBB28_155
; %bb.148:
	ds_read_b128 v[1:4], v6
	s_andn2_b32 vcc_lo, exec_lo, s36
	s_cbranch_vccnz .LBB28_150
; %bb.149:
	s_clause 0x3
	buffer_load_dword v7, v5, s[0:3], 0 offen offset:8
	buffer_load_dword v8, v5, s[0:3], 0 offen offset:12
	buffer_load_dword v9, v5, s[0:3], 0 offen
	buffer_load_dword v10, v5, s[0:3], 0 offen offset:4
	s_waitcnt vmcnt(2) lgkmcnt(0)
	v_mul_f64 v[11:12], v[3:4], v[7:8]
	v_mul_f64 v[7:8], v[1:2], v[7:8]
	s_waitcnt vmcnt(0)
	v_fma_f64 v[1:2], v[1:2], v[9:10], -v[11:12]
	v_fma_f64 v[3:4], v[3:4], v[9:10], v[7:8]
.LBB28_150:
	s_and_saveexec_b32 s37, s5
	s_cbranch_execz .LBB28_154
; %bb.151:
	v_add_nc_u32_e32 v7, -10, v0
	s_movk_i32 s38, 0x270
	s_mov_b32 s5, 0
	s_mov_b32 s39, s25
	.p2align	6
.LBB28_152:                             ; =>This Inner Loop Header: Depth=1
	v_mov_b32_e32 v8, s39
	v_add_nc_u32_e32 v7, -1, v7
	s_add_i32 s39, s39, 16
	s_clause 0x3
	buffer_load_dword v12, v8, s[0:3], 0 offen offset:8
	buffer_load_dword v13, v8, s[0:3], 0 offen offset:12
	buffer_load_dword v14, v8, s[0:3], 0 offen
	buffer_load_dword v15, v8, s[0:3], 0 offen offset:4
	v_mov_b32_e32 v8, s38
	v_cmp_eq_u32_e32 vcc_lo, 0, v7
	s_add_i32 s38, s38, 16
	ds_read_b128 v[8:11], v8
	s_or_b32 s5, vcc_lo, s5
	s_waitcnt vmcnt(2) lgkmcnt(0)
	v_mul_f64 v[16:17], v[10:11], v[12:13]
	v_mul_f64 v[12:13], v[8:9], v[12:13]
	s_waitcnt vmcnt(0)
	v_fma_f64 v[8:9], v[8:9], v[14:15], -v[16:17]
	v_fma_f64 v[10:11], v[10:11], v[14:15], v[12:13]
	v_add_f64 v[1:2], v[1:2], v[8:9]
	v_add_f64 v[3:4], v[3:4], v[10:11]
	s_andn2_b32 exec_lo, exec_lo, s5
	s_cbranch_execnz .LBB28_152
; %bb.153:
	s_or_b32 exec_lo, exec_lo, s5
.LBB28_154:
	s_or_b32 exec_lo, exec_lo, s37
	v_mov_b32_e32 v7, 0
	ds_read_b128 v[7:10], v7 offset:144
	s_waitcnt lgkmcnt(0)
	v_mul_f64 v[11:12], v[3:4], v[9:10]
	v_mul_f64 v[9:10], v[1:2], v[9:10]
	v_fma_f64 v[1:2], v[1:2], v[7:8], -v[11:12]
	v_fma_f64 v[3:4], v[3:4], v[7:8], v[9:10]
	buffer_store_dword v2, off, s[0:3], 0 offset:148
	buffer_store_dword v1, off, s[0:3], 0 offset:144
	buffer_store_dword v4, off, s[0:3], 0 offset:156
	buffer_store_dword v3, off, s[0:3], 0 offset:152
.LBB28_155:
	s_or_b32 exec_lo, exec_lo, s8
	v_mov_b32_e32 v4, s27
	v_cmp_lt_u32_e64 s5, 8, v0
	s_clause 0x3
	buffer_load_dword v1, v4, s[0:3], 0 offen
	buffer_load_dword v2, v4, s[0:3], 0 offen offset:4
	buffer_load_dword v3, v4, s[0:3], 0 offen offset:8
	;; [unrolled: 1-line block ×3, first 2 shown]
	s_waitcnt vmcnt(0)
	ds_write_b128 v6, v[1:4]
	s_waitcnt lgkmcnt(0)
	s_waitcnt_vscnt null, 0x0
	s_barrier
	buffer_gl0_inv
	s_and_saveexec_b32 s8, s5
	s_cbranch_execz .LBB28_163
; %bb.156:
	ds_read_b128 v[1:4], v6
	s_andn2_b32 vcc_lo, exec_lo, s36
	s_cbranch_vccnz .LBB28_158
; %bb.157:
	s_clause 0x3
	buffer_load_dword v7, v5, s[0:3], 0 offen offset:8
	buffer_load_dword v8, v5, s[0:3], 0 offen offset:12
	buffer_load_dword v9, v5, s[0:3], 0 offen
	buffer_load_dword v10, v5, s[0:3], 0 offen offset:4
	s_waitcnt vmcnt(2) lgkmcnt(0)
	v_mul_f64 v[11:12], v[3:4], v[7:8]
	v_mul_f64 v[7:8], v[1:2], v[7:8]
	s_waitcnt vmcnt(0)
	v_fma_f64 v[1:2], v[1:2], v[9:10], -v[11:12]
	v_fma_f64 v[3:4], v[3:4], v[9:10], v[7:8]
.LBB28_158:
	s_and_saveexec_b32 s37, s4
	s_cbranch_execz .LBB28_162
; %bb.159:
	v_add_nc_u32_e32 v7, -9, v0
	s_movk_i32 s38, 0x260
	s_mov_b32 s4, 0
	s_mov_b32 s39, s26
	.p2align	6
.LBB28_160:                             ; =>This Inner Loop Header: Depth=1
	v_mov_b32_e32 v8, s39
	v_add_nc_u32_e32 v7, -1, v7
	s_add_i32 s39, s39, 16
	s_clause 0x3
	buffer_load_dword v12, v8, s[0:3], 0 offen offset:8
	buffer_load_dword v13, v8, s[0:3], 0 offen offset:12
	buffer_load_dword v14, v8, s[0:3], 0 offen
	buffer_load_dword v15, v8, s[0:3], 0 offen offset:4
	v_mov_b32_e32 v8, s38
	v_cmp_eq_u32_e32 vcc_lo, 0, v7
	s_add_i32 s38, s38, 16
	ds_read_b128 v[8:11], v8
	s_or_b32 s4, vcc_lo, s4
	s_waitcnt vmcnt(2) lgkmcnt(0)
	v_mul_f64 v[16:17], v[10:11], v[12:13]
	v_mul_f64 v[12:13], v[8:9], v[12:13]
	s_waitcnt vmcnt(0)
	v_fma_f64 v[8:9], v[8:9], v[14:15], -v[16:17]
	v_fma_f64 v[10:11], v[10:11], v[14:15], v[12:13]
	v_add_f64 v[1:2], v[1:2], v[8:9]
	v_add_f64 v[3:4], v[3:4], v[10:11]
	s_andn2_b32 exec_lo, exec_lo, s4
	s_cbranch_execnz .LBB28_160
; %bb.161:
	s_or_b32 exec_lo, exec_lo, s4
.LBB28_162:
	s_or_b32 exec_lo, exec_lo, s37
	v_mov_b32_e32 v7, 0
	ds_read_b128 v[7:10], v7 offset:128
	s_waitcnt lgkmcnt(0)
	v_mul_f64 v[11:12], v[3:4], v[9:10]
	v_mul_f64 v[9:10], v[1:2], v[9:10]
	v_fma_f64 v[1:2], v[1:2], v[7:8], -v[11:12]
	v_fma_f64 v[3:4], v[3:4], v[7:8], v[9:10]
	buffer_store_dword v2, off, s[0:3], 0 offset:132
	buffer_store_dword v1, off, s[0:3], 0 offset:128
	;; [unrolled: 1-line block ×4, first 2 shown]
.LBB28_163:
	s_or_b32 exec_lo, exec_lo, s8
	v_mov_b32_e32 v4, s28
	v_cmp_lt_u32_e64 s4, 7, v0
	s_clause 0x3
	buffer_load_dword v1, v4, s[0:3], 0 offen
	buffer_load_dword v2, v4, s[0:3], 0 offen offset:4
	buffer_load_dword v3, v4, s[0:3], 0 offen offset:8
	buffer_load_dword v4, v4, s[0:3], 0 offen offset:12
	s_waitcnt vmcnt(0)
	ds_write_b128 v6, v[1:4]
	s_waitcnt lgkmcnt(0)
	s_waitcnt_vscnt null, 0x0
	s_barrier
	buffer_gl0_inv
	s_and_saveexec_b32 s8, s4
	s_cbranch_execz .LBB28_171
; %bb.164:
	ds_read_b128 v[1:4], v6
	s_andn2_b32 vcc_lo, exec_lo, s36
	s_cbranch_vccnz .LBB28_166
; %bb.165:
	s_clause 0x3
	buffer_load_dword v7, v5, s[0:3], 0 offen offset:8
	buffer_load_dword v8, v5, s[0:3], 0 offen offset:12
	buffer_load_dword v9, v5, s[0:3], 0 offen
	buffer_load_dword v10, v5, s[0:3], 0 offen offset:4
	s_waitcnt vmcnt(2) lgkmcnt(0)
	v_mul_f64 v[11:12], v[3:4], v[7:8]
	v_mul_f64 v[7:8], v[1:2], v[7:8]
	s_waitcnt vmcnt(0)
	v_fma_f64 v[1:2], v[1:2], v[9:10], -v[11:12]
	v_fma_f64 v[3:4], v[3:4], v[9:10], v[7:8]
.LBB28_166:
	s_and_saveexec_b32 s37, s5
	s_cbranch_execz .LBB28_170
; %bb.167:
	v_add_nc_u32_e32 v7, -8, v0
	s_movk_i32 s38, 0x250
	s_mov_b32 s5, 0
	s_mov_b32 s39, s27
	.p2align	6
.LBB28_168:                             ; =>This Inner Loop Header: Depth=1
	v_mov_b32_e32 v8, s39
	v_add_nc_u32_e32 v7, -1, v7
	s_add_i32 s39, s39, 16
	s_clause 0x3
	buffer_load_dword v12, v8, s[0:3], 0 offen offset:8
	buffer_load_dword v13, v8, s[0:3], 0 offen offset:12
	buffer_load_dword v14, v8, s[0:3], 0 offen
	buffer_load_dword v15, v8, s[0:3], 0 offen offset:4
	v_mov_b32_e32 v8, s38
	v_cmp_eq_u32_e32 vcc_lo, 0, v7
	s_add_i32 s38, s38, 16
	ds_read_b128 v[8:11], v8
	s_or_b32 s5, vcc_lo, s5
	s_waitcnt vmcnt(2) lgkmcnt(0)
	v_mul_f64 v[16:17], v[10:11], v[12:13]
	v_mul_f64 v[12:13], v[8:9], v[12:13]
	s_waitcnt vmcnt(0)
	v_fma_f64 v[8:9], v[8:9], v[14:15], -v[16:17]
	v_fma_f64 v[10:11], v[10:11], v[14:15], v[12:13]
	v_add_f64 v[1:2], v[1:2], v[8:9]
	v_add_f64 v[3:4], v[3:4], v[10:11]
	s_andn2_b32 exec_lo, exec_lo, s5
	s_cbranch_execnz .LBB28_168
; %bb.169:
	s_or_b32 exec_lo, exec_lo, s5
.LBB28_170:
	s_or_b32 exec_lo, exec_lo, s37
	v_mov_b32_e32 v7, 0
	ds_read_b128 v[7:10], v7 offset:112
	s_waitcnt lgkmcnt(0)
	v_mul_f64 v[11:12], v[3:4], v[9:10]
	v_mul_f64 v[9:10], v[1:2], v[9:10]
	v_fma_f64 v[1:2], v[1:2], v[7:8], -v[11:12]
	v_fma_f64 v[3:4], v[3:4], v[7:8], v[9:10]
	buffer_store_dword v2, off, s[0:3], 0 offset:116
	buffer_store_dword v1, off, s[0:3], 0 offset:112
	;; [unrolled: 1-line block ×4, first 2 shown]
.LBB28_171:
	s_or_b32 exec_lo, exec_lo, s8
	v_mov_b32_e32 v4, s29
	v_cmp_lt_u32_e64 s5, 6, v0
	s_clause 0x3
	buffer_load_dword v1, v4, s[0:3], 0 offen
	buffer_load_dword v2, v4, s[0:3], 0 offen offset:4
	buffer_load_dword v3, v4, s[0:3], 0 offen offset:8
	;; [unrolled: 1-line block ×3, first 2 shown]
	s_waitcnt vmcnt(0)
	ds_write_b128 v6, v[1:4]
	s_waitcnt lgkmcnt(0)
	s_waitcnt_vscnt null, 0x0
	s_barrier
	buffer_gl0_inv
	s_and_saveexec_b32 s8, s5
	s_cbranch_execz .LBB28_179
; %bb.172:
	ds_read_b128 v[1:4], v6
	s_andn2_b32 vcc_lo, exec_lo, s36
	s_cbranch_vccnz .LBB28_174
; %bb.173:
	s_clause 0x3
	buffer_load_dword v7, v5, s[0:3], 0 offen offset:8
	buffer_load_dword v8, v5, s[0:3], 0 offen offset:12
	buffer_load_dword v9, v5, s[0:3], 0 offen
	buffer_load_dword v10, v5, s[0:3], 0 offen offset:4
	s_waitcnt vmcnt(2) lgkmcnt(0)
	v_mul_f64 v[11:12], v[3:4], v[7:8]
	v_mul_f64 v[7:8], v[1:2], v[7:8]
	s_waitcnt vmcnt(0)
	v_fma_f64 v[1:2], v[1:2], v[9:10], -v[11:12]
	v_fma_f64 v[3:4], v[3:4], v[9:10], v[7:8]
.LBB28_174:
	s_and_saveexec_b32 s37, s4
	s_cbranch_execz .LBB28_178
; %bb.175:
	v_add_nc_u32_e32 v7, -7, v0
	s_movk_i32 s38, 0x240
	s_mov_b32 s4, 0
	s_mov_b32 s39, s28
	.p2align	6
.LBB28_176:                             ; =>This Inner Loop Header: Depth=1
	v_mov_b32_e32 v8, s39
	v_add_nc_u32_e32 v7, -1, v7
	s_add_i32 s39, s39, 16
	s_clause 0x3
	buffer_load_dword v12, v8, s[0:3], 0 offen offset:8
	buffer_load_dword v13, v8, s[0:3], 0 offen offset:12
	buffer_load_dword v14, v8, s[0:3], 0 offen
	buffer_load_dword v15, v8, s[0:3], 0 offen offset:4
	v_mov_b32_e32 v8, s38
	v_cmp_eq_u32_e32 vcc_lo, 0, v7
	s_add_i32 s38, s38, 16
	ds_read_b128 v[8:11], v8
	s_or_b32 s4, vcc_lo, s4
	s_waitcnt vmcnt(2) lgkmcnt(0)
	v_mul_f64 v[16:17], v[10:11], v[12:13]
	v_mul_f64 v[12:13], v[8:9], v[12:13]
	s_waitcnt vmcnt(0)
	v_fma_f64 v[8:9], v[8:9], v[14:15], -v[16:17]
	v_fma_f64 v[10:11], v[10:11], v[14:15], v[12:13]
	v_add_f64 v[1:2], v[1:2], v[8:9]
	v_add_f64 v[3:4], v[3:4], v[10:11]
	s_andn2_b32 exec_lo, exec_lo, s4
	s_cbranch_execnz .LBB28_176
; %bb.177:
	s_or_b32 exec_lo, exec_lo, s4
.LBB28_178:
	s_or_b32 exec_lo, exec_lo, s37
	v_mov_b32_e32 v7, 0
	ds_read_b128 v[7:10], v7 offset:96
	s_waitcnt lgkmcnt(0)
	v_mul_f64 v[11:12], v[3:4], v[9:10]
	v_mul_f64 v[9:10], v[1:2], v[9:10]
	v_fma_f64 v[1:2], v[1:2], v[7:8], -v[11:12]
	v_fma_f64 v[3:4], v[3:4], v[7:8], v[9:10]
	buffer_store_dword v2, off, s[0:3], 0 offset:100
	buffer_store_dword v1, off, s[0:3], 0 offset:96
	;; [unrolled: 1-line block ×4, first 2 shown]
.LBB28_179:
	s_or_b32 exec_lo, exec_lo, s8
	v_mov_b32_e32 v4, s30
	v_cmp_lt_u32_e64 s4, 5, v0
	s_clause 0x3
	buffer_load_dword v1, v4, s[0:3], 0 offen
	buffer_load_dword v2, v4, s[0:3], 0 offen offset:4
	buffer_load_dword v3, v4, s[0:3], 0 offen offset:8
	;; [unrolled: 1-line block ×3, first 2 shown]
	s_waitcnt vmcnt(0)
	ds_write_b128 v6, v[1:4]
	s_waitcnt lgkmcnt(0)
	s_waitcnt_vscnt null, 0x0
	s_barrier
	buffer_gl0_inv
	s_and_saveexec_b32 s8, s4
	s_cbranch_execz .LBB28_187
; %bb.180:
	ds_read_b128 v[1:4], v6
	s_andn2_b32 vcc_lo, exec_lo, s36
	s_cbranch_vccnz .LBB28_182
; %bb.181:
	s_clause 0x3
	buffer_load_dword v7, v5, s[0:3], 0 offen offset:8
	buffer_load_dword v8, v5, s[0:3], 0 offen offset:12
	buffer_load_dword v9, v5, s[0:3], 0 offen
	buffer_load_dword v10, v5, s[0:3], 0 offen offset:4
	s_waitcnt vmcnt(2) lgkmcnt(0)
	v_mul_f64 v[11:12], v[3:4], v[7:8]
	v_mul_f64 v[7:8], v[1:2], v[7:8]
	s_waitcnt vmcnt(0)
	v_fma_f64 v[1:2], v[1:2], v[9:10], -v[11:12]
	v_fma_f64 v[3:4], v[3:4], v[9:10], v[7:8]
.LBB28_182:
	s_and_saveexec_b32 s37, s5
	s_cbranch_execz .LBB28_186
; %bb.183:
	v_add_nc_u32_e32 v7, -6, v0
	s_movk_i32 s38, 0x230
	s_mov_b32 s5, 0
	s_mov_b32 s39, s29
	.p2align	6
.LBB28_184:                             ; =>This Inner Loop Header: Depth=1
	v_mov_b32_e32 v8, s39
	v_add_nc_u32_e32 v7, -1, v7
	s_add_i32 s39, s39, 16
	s_clause 0x3
	buffer_load_dword v12, v8, s[0:3], 0 offen offset:8
	buffer_load_dword v13, v8, s[0:3], 0 offen offset:12
	buffer_load_dword v14, v8, s[0:3], 0 offen
	buffer_load_dword v15, v8, s[0:3], 0 offen offset:4
	v_mov_b32_e32 v8, s38
	v_cmp_eq_u32_e32 vcc_lo, 0, v7
	s_add_i32 s38, s38, 16
	ds_read_b128 v[8:11], v8
	s_or_b32 s5, vcc_lo, s5
	s_waitcnt vmcnt(2) lgkmcnt(0)
	v_mul_f64 v[16:17], v[10:11], v[12:13]
	v_mul_f64 v[12:13], v[8:9], v[12:13]
	s_waitcnt vmcnt(0)
	v_fma_f64 v[8:9], v[8:9], v[14:15], -v[16:17]
	v_fma_f64 v[10:11], v[10:11], v[14:15], v[12:13]
	v_add_f64 v[1:2], v[1:2], v[8:9]
	v_add_f64 v[3:4], v[3:4], v[10:11]
	s_andn2_b32 exec_lo, exec_lo, s5
	s_cbranch_execnz .LBB28_184
; %bb.185:
	s_or_b32 exec_lo, exec_lo, s5
.LBB28_186:
	s_or_b32 exec_lo, exec_lo, s37
	v_mov_b32_e32 v7, 0
	ds_read_b128 v[7:10], v7 offset:80
	s_waitcnt lgkmcnt(0)
	v_mul_f64 v[11:12], v[3:4], v[9:10]
	v_mul_f64 v[9:10], v[1:2], v[9:10]
	v_fma_f64 v[1:2], v[1:2], v[7:8], -v[11:12]
	v_fma_f64 v[3:4], v[3:4], v[7:8], v[9:10]
	buffer_store_dword v2, off, s[0:3], 0 offset:84
	buffer_store_dword v1, off, s[0:3], 0 offset:80
	;; [unrolled: 1-line block ×4, first 2 shown]
.LBB28_187:
	s_or_b32 exec_lo, exec_lo, s8
	v_mov_b32_e32 v4, s31
	v_cmp_lt_u32_e64 s5, 4, v0
	s_clause 0x3
	buffer_load_dword v1, v4, s[0:3], 0 offen
	buffer_load_dword v2, v4, s[0:3], 0 offen offset:4
	buffer_load_dword v3, v4, s[0:3], 0 offen offset:8
	;; [unrolled: 1-line block ×3, first 2 shown]
	s_waitcnt vmcnt(0)
	ds_write_b128 v6, v[1:4]
	s_waitcnt lgkmcnt(0)
	s_waitcnt_vscnt null, 0x0
	s_barrier
	buffer_gl0_inv
	s_and_saveexec_b32 s8, s5
	s_cbranch_execz .LBB28_195
; %bb.188:
	ds_read_b128 v[1:4], v6
	s_andn2_b32 vcc_lo, exec_lo, s36
	s_cbranch_vccnz .LBB28_190
; %bb.189:
	s_clause 0x3
	buffer_load_dword v7, v5, s[0:3], 0 offen offset:8
	buffer_load_dword v8, v5, s[0:3], 0 offen offset:12
	buffer_load_dword v9, v5, s[0:3], 0 offen
	buffer_load_dword v10, v5, s[0:3], 0 offen offset:4
	s_waitcnt vmcnt(2) lgkmcnt(0)
	v_mul_f64 v[11:12], v[3:4], v[7:8]
	v_mul_f64 v[7:8], v[1:2], v[7:8]
	s_waitcnt vmcnt(0)
	v_fma_f64 v[1:2], v[1:2], v[9:10], -v[11:12]
	v_fma_f64 v[3:4], v[3:4], v[9:10], v[7:8]
.LBB28_190:
	s_and_saveexec_b32 s37, s4
	s_cbranch_execz .LBB28_194
; %bb.191:
	v_add_nc_u32_e32 v7, -5, v0
	s_movk_i32 s38, 0x220
	s_mov_b32 s4, 0
	s_mov_b32 s39, s30
	.p2align	6
.LBB28_192:                             ; =>This Inner Loop Header: Depth=1
	v_mov_b32_e32 v8, s39
	v_add_nc_u32_e32 v7, -1, v7
	s_add_i32 s39, s39, 16
	s_clause 0x3
	buffer_load_dword v12, v8, s[0:3], 0 offen offset:8
	buffer_load_dword v13, v8, s[0:3], 0 offen offset:12
	buffer_load_dword v14, v8, s[0:3], 0 offen
	buffer_load_dword v15, v8, s[0:3], 0 offen offset:4
	v_mov_b32_e32 v8, s38
	v_cmp_eq_u32_e32 vcc_lo, 0, v7
	s_add_i32 s38, s38, 16
	ds_read_b128 v[8:11], v8
	s_or_b32 s4, vcc_lo, s4
	s_waitcnt vmcnt(2) lgkmcnt(0)
	v_mul_f64 v[16:17], v[10:11], v[12:13]
	v_mul_f64 v[12:13], v[8:9], v[12:13]
	s_waitcnt vmcnt(0)
	v_fma_f64 v[8:9], v[8:9], v[14:15], -v[16:17]
	v_fma_f64 v[10:11], v[10:11], v[14:15], v[12:13]
	v_add_f64 v[1:2], v[1:2], v[8:9]
	v_add_f64 v[3:4], v[3:4], v[10:11]
	s_andn2_b32 exec_lo, exec_lo, s4
	s_cbranch_execnz .LBB28_192
; %bb.193:
	s_or_b32 exec_lo, exec_lo, s4
.LBB28_194:
	s_or_b32 exec_lo, exec_lo, s37
	v_mov_b32_e32 v7, 0
	ds_read_b128 v[7:10], v7 offset:64
	s_waitcnt lgkmcnt(0)
	v_mul_f64 v[11:12], v[3:4], v[9:10]
	v_mul_f64 v[9:10], v[1:2], v[9:10]
	v_fma_f64 v[1:2], v[1:2], v[7:8], -v[11:12]
	v_fma_f64 v[3:4], v[3:4], v[7:8], v[9:10]
	buffer_store_dword v2, off, s[0:3], 0 offset:68
	buffer_store_dword v1, off, s[0:3], 0 offset:64
	;; [unrolled: 1-line block ×4, first 2 shown]
.LBB28_195:
	s_or_b32 exec_lo, exec_lo, s8
	v_mov_b32_e32 v4, s33
	v_cmp_lt_u32_e64 s4, 3, v0
	s_clause 0x3
	buffer_load_dword v1, v4, s[0:3], 0 offen
	buffer_load_dword v2, v4, s[0:3], 0 offen offset:4
	buffer_load_dword v3, v4, s[0:3], 0 offen offset:8
	;; [unrolled: 1-line block ×3, first 2 shown]
	s_waitcnt vmcnt(0)
	ds_write_b128 v6, v[1:4]
	s_waitcnt lgkmcnt(0)
	s_waitcnt_vscnt null, 0x0
	s_barrier
	buffer_gl0_inv
	s_and_saveexec_b32 s8, s4
	s_cbranch_execz .LBB28_203
; %bb.196:
	ds_read_b128 v[1:4], v6
	s_andn2_b32 vcc_lo, exec_lo, s36
	s_cbranch_vccnz .LBB28_198
; %bb.197:
	s_clause 0x3
	buffer_load_dword v7, v5, s[0:3], 0 offen offset:8
	buffer_load_dword v8, v5, s[0:3], 0 offen offset:12
	buffer_load_dword v9, v5, s[0:3], 0 offen
	buffer_load_dword v10, v5, s[0:3], 0 offen offset:4
	s_waitcnt vmcnt(2) lgkmcnt(0)
	v_mul_f64 v[11:12], v[3:4], v[7:8]
	v_mul_f64 v[7:8], v[1:2], v[7:8]
	s_waitcnt vmcnt(0)
	v_fma_f64 v[1:2], v[1:2], v[9:10], -v[11:12]
	v_fma_f64 v[3:4], v[3:4], v[9:10], v[7:8]
.LBB28_198:
	s_and_saveexec_b32 s37, s5
	s_cbranch_execz .LBB28_202
; %bb.199:
	v_add_nc_u32_e32 v7, -4, v0
	s_movk_i32 s38, 0x210
	s_mov_b32 s5, 0
	s_mov_b32 s39, s31
	.p2align	6
.LBB28_200:                             ; =>This Inner Loop Header: Depth=1
	v_mov_b32_e32 v8, s39
	v_add_nc_u32_e32 v7, -1, v7
	s_add_i32 s39, s39, 16
	s_clause 0x3
	buffer_load_dword v12, v8, s[0:3], 0 offen offset:8
	buffer_load_dword v13, v8, s[0:3], 0 offen offset:12
	buffer_load_dword v14, v8, s[0:3], 0 offen
	buffer_load_dword v15, v8, s[0:3], 0 offen offset:4
	v_mov_b32_e32 v8, s38
	v_cmp_eq_u32_e32 vcc_lo, 0, v7
	s_add_i32 s38, s38, 16
	ds_read_b128 v[8:11], v8
	s_or_b32 s5, vcc_lo, s5
	s_waitcnt vmcnt(2) lgkmcnt(0)
	v_mul_f64 v[16:17], v[10:11], v[12:13]
	v_mul_f64 v[12:13], v[8:9], v[12:13]
	s_waitcnt vmcnt(0)
	v_fma_f64 v[8:9], v[8:9], v[14:15], -v[16:17]
	v_fma_f64 v[10:11], v[10:11], v[14:15], v[12:13]
	v_add_f64 v[1:2], v[1:2], v[8:9]
	v_add_f64 v[3:4], v[3:4], v[10:11]
	s_andn2_b32 exec_lo, exec_lo, s5
	s_cbranch_execnz .LBB28_200
; %bb.201:
	s_or_b32 exec_lo, exec_lo, s5
.LBB28_202:
	s_or_b32 exec_lo, exec_lo, s37
	v_mov_b32_e32 v7, 0
	ds_read_b128 v[7:10], v7 offset:48
	s_waitcnt lgkmcnt(0)
	v_mul_f64 v[11:12], v[3:4], v[9:10]
	v_mul_f64 v[9:10], v[1:2], v[9:10]
	v_fma_f64 v[1:2], v[1:2], v[7:8], -v[11:12]
	v_fma_f64 v[3:4], v[3:4], v[7:8], v[9:10]
	buffer_store_dword v2, off, s[0:3], 0 offset:52
	buffer_store_dword v1, off, s[0:3], 0 offset:48
	;; [unrolled: 1-line block ×4, first 2 shown]
.LBB28_203:
	s_or_b32 exec_lo, exec_lo, s8
	v_mov_b32_e32 v4, s34
	v_cmp_lt_u32_e64 s5, 2, v0
	s_clause 0x3
	buffer_load_dword v1, v4, s[0:3], 0 offen
	buffer_load_dword v2, v4, s[0:3], 0 offen offset:4
	buffer_load_dword v3, v4, s[0:3], 0 offen offset:8
	buffer_load_dword v4, v4, s[0:3], 0 offen offset:12
	s_waitcnt vmcnt(0)
	ds_write_b128 v6, v[1:4]
	s_waitcnt lgkmcnt(0)
	s_waitcnt_vscnt null, 0x0
	s_barrier
	buffer_gl0_inv
	s_and_saveexec_b32 s8, s5
	s_cbranch_execz .LBB28_211
; %bb.204:
	ds_read_b128 v[1:4], v6
	s_andn2_b32 vcc_lo, exec_lo, s36
	s_cbranch_vccnz .LBB28_206
; %bb.205:
	s_clause 0x3
	buffer_load_dword v7, v5, s[0:3], 0 offen offset:8
	buffer_load_dword v8, v5, s[0:3], 0 offen offset:12
	buffer_load_dword v9, v5, s[0:3], 0 offen
	buffer_load_dword v10, v5, s[0:3], 0 offen offset:4
	s_waitcnt vmcnt(2) lgkmcnt(0)
	v_mul_f64 v[11:12], v[3:4], v[7:8]
	v_mul_f64 v[7:8], v[1:2], v[7:8]
	s_waitcnt vmcnt(0)
	v_fma_f64 v[1:2], v[1:2], v[9:10], -v[11:12]
	v_fma_f64 v[3:4], v[3:4], v[9:10], v[7:8]
.LBB28_206:
	s_and_saveexec_b32 s37, s4
	s_cbranch_execz .LBB28_210
; %bb.207:
	v_add_nc_u32_e32 v7, -3, v0
	s_movk_i32 s38, 0x200
	s_mov_b32 s4, 0
	s_mov_b32 s39, s33
	.p2align	6
.LBB28_208:                             ; =>This Inner Loop Header: Depth=1
	v_mov_b32_e32 v8, s39
	v_add_nc_u32_e32 v7, -1, v7
	s_add_i32 s39, s39, 16
	s_clause 0x3
	buffer_load_dword v12, v8, s[0:3], 0 offen offset:8
	buffer_load_dword v13, v8, s[0:3], 0 offen offset:12
	buffer_load_dword v14, v8, s[0:3], 0 offen
	buffer_load_dword v15, v8, s[0:3], 0 offen offset:4
	v_mov_b32_e32 v8, s38
	v_cmp_eq_u32_e32 vcc_lo, 0, v7
	s_add_i32 s38, s38, 16
	ds_read_b128 v[8:11], v8
	s_or_b32 s4, vcc_lo, s4
	s_waitcnt vmcnt(2) lgkmcnt(0)
	v_mul_f64 v[16:17], v[10:11], v[12:13]
	v_mul_f64 v[12:13], v[8:9], v[12:13]
	s_waitcnt vmcnt(0)
	v_fma_f64 v[8:9], v[8:9], v[14:15], -v[16:17]
	v_fma_f64 v[10:11], v[10:11], v[14:15], v[12:13]
	v_add_f64 v[1:2], v[1:2], v[8:9]
	v_add_f64 v[3:4], v[3:4], v[10:11]
	s_andn2_b32 exec_lo, exec_lo, s4
	s_cbranch_execnz .LBB28_208
; %bb.209:
	s_or_b32 exec_lo, exec_lo, s4
.LBB28_210:
	s_or_b32 exec_lo, exec_lo, s37
	v_mov_b32_e32 v7, 0
	ds_read_b128 v[7:10], v7 offset:32
	s_waitcnt lgkmcnt(0)
	v_mul_f64 v[11:12], v[3:4], v[9:10]
	v_mul_f64 v[9:10], v[1:2], v[9:10]
	v_fma_f64 v[1:2], v[1:2], v[7:8], -v[11:12]
	v_fma_f64 v[3:4], v[3:4], v[7:8], v[9:10]
	buffer_store_dword v2, off, s[0:3], 0 offset:36
	buffer_store_dword v1, off, s[0:3], 0 offset:32
	buffer_store_dword v4, off, s[0:3], 0 offset:44
	buffer_store_dword v3, off, s[0:3], 0 offset:40
.LBB28_211:
	s_or_b32 exec_lo, exec_lo, s8
	v_mov_b32_e32 v4, s35
	v_cmp_lt_u32_e64 s4, 1, v0
	s_clause 0x3
	buffer_load_dword v1, v4, s[0:3], 0 offen
	buffer_load_dword v2, v4, s[0:3], 0 offen offset:4
	buffer_load_dword v3, v4, s[0:3], 0 offen offset:8
	;; [unrolled: 1-line block ×3, first 2 shown]
	s_waitcnt vmcnt(0)
	ds_write_b128 v6, v[1:4]
	s_waitcnt lgkmcnt(0)
	s_waitcnt_vscnt null, 0x0
	s_barrier
	buffer_gl0_inv
	s_and_saveexec_b32 s8, s4
	s_cbranch_execz .LBB28_219
; %bb.212:
	ds_read_b128 v[1:4], v6
	s_andn2_b32 vcc_lo, exec_lo, s36
	s_cbranch_vccnz .LBB28_214
; %bb.213:
	s_clause 0x3
	buffer_load_dword v7, v5, s[0:3], 0 offen offset:8
	buffer_load_dword v8, v5, s[0:3], 0 offen offset:12
	buffer_load_dword v9, v5, s[0:3], 0 offen
	buffer_load_dword v10, v5, s[0:3], 0 offen offset:4
	s_waitcnt vmcnt(2) lgkmcnt(0)
	v_mul_f64 v[11:12], v[3:4], v[7:8]
	v_mul_f64 v[7:8], v[1:2], v[7:8]
	s_waitcnt vmcnt(0)
	v_fma_f64 v[1:2], v[1:2], v[9:10], -v[11:12]
	v_fma_f64 v[3:4], v[3:4], v[9:10], v[7:8]
.LBB28_214:
	s_and_saveexec_b32 s37, s5
	s_cbranch_execz .LBB28_218
; %bb.215:
	v_add_nc_u32_e32 v7, -2, v0
	s_movk_i32 s38, 0x1f0
	s_mov_b32 s5, 0
	s_mov_b32 s39, s34
	.p2align	6
.LBB28_216:                             ; =>This Inner Loop Header: Depth=1
	v_mov_b32_e32 v8, s39
	v_add_nc_u32_e32 v7, -1, v7
	s_add_i32 s39, s39, 16
	s_clause 0x3
	buffer_load_dword v12, v8, s[0:3], 0 offen offset:8
	buffer_load_dword v13, v8, s[0:3], 0 offen offset:12
	buffer_load_dword v14, v8, s[0:3], 0 offen
	buffer_load_dword v15, v8, s[0:3], 0 offen offset:4
	v_mov_b32_e32 v8, s38
	v_cmp_eq_u32_e32 vcc_lo, 0, v7
	s_add_i32 s38, s38, 16
	ds_read_b128 v[8:11], v8
	s_or_b32 s5, vcc_lo, s5
	s_waitcnt vmcnt(2) lgkmcnt(0)
	v_mul_f64 v[16:17], v[10:11], v[12:13]
	v_mul_f64 v[12:13], v[8:9], v[12:13]
	s_waitcnt vmcnt(0)
	v_fma_f64 v[8:9], v[8:9], v[14:15], -v[16:17]
	v_fma_f64 v[10:11], v[10:11], v[14:15], v[12:13]
	v_add_f64 v[1:2], v[1:2], v[8:9]
	v_add_f64 v[3:4], v[3:4], v[10:11]
	s_andn2_b32 exec_lo, exec_lo, s5
	s_cbranch_execnz .LBB28_216
; %bb.217:
	s_or_b32 exec_lo, exec_lo, s5
.LBB28_218:
	s_or_b32 exec_lo, exec_lo, s37
	v_mov_b32_e32 v7, 0
	ds_read_b128 v[7:10], v7 offset:16
	s_waitcnt lgkmcnt(0)
	v_mul_f64 v[11:12], v[3:4], v[9:10]
	v_mul_f64 v[9:10], v[1:2], v[9:10]
	v_fma_f64 v[1:2], v[1:2], v[7:8], -v[11:12]
	v_fma_f64 v[3:4], v[3:4], v[7:8], v[9:10]
	buffer_store_dword v2, off, s[0:3], 0 offset:20
	buffer_store_dword v1, off, s[0:3], 0 offset:16
	buffer_store_dword v4, off, s[0:3], 0 offset:28
	buffer_store_dword v3, off, s[0:3], 0 offset:24
.LBB28_219:
	s_or_b32 exec_lo, exec_lo, s8
	s_clause 0x3
	buffer_load_dword v1, off, s[0:3], 0
	buffer_load_dword v2, off, s[0:3], 0 offset:4
	buffer_load_dword v3, off, s[0:3], 0 offset:8
	;; [unrolled: 1-line block ×3, first 2 shown]
	s_mov_b32 s8, 0
	s_mov_b32 s5, 0
	s_mov_b32 s37, exec_lo
                                        ; implicit-def: $sgpr38
	s_waitcnt vmcnt(0)
	ds_write_b128 v6, v[1:4]
	s_waitcnt lgkmcnt(0)
	s_waitcnt_vscnt null, 0x0
	s_barrier
	buffer_gl0_inv
                                        ; implicit-def: $vgpr1_vgpr2
	v_cmpx_ne_u32_e32 0, v0
	s_cbranch_execz .LBB28_227
; %bb.220:
	ds_read_b128 v[1:4], v6
	s_andn2_b32 vcc_lo, exec_lo, s36
	s_cbranch_vccnz .LBB28_222
; %bb.221:
	s_clause 0x3
	buffer_load_dword v7, v5, s[0:3], 0 offen offset:8
	buffer_load_dword v8, v5, s[0:3], 0 offen offset:12
	buffer_load_dword v9, v5, s[0:3], 0 offen
	buffer_load_dword v10, v5, s[0:3], 0 offen offset:4
	s_waitcnt vmcnt(2) lgkmcnt(0)
	v_mul_f64 v[11:12], v[3:4], v[7:8]
	v_mul_f64 v[7:8], v[1:2], v[7:8]
	s_waitcnt vmcnt(0)
	v_fma_f64 v[1:2], v[1:2], v[9:10], -v[11:12]
	v_fma_f64 v[3:4], v[3:4], v[9:10], v[7:8]
.LBB28_222:
	s_and_saveexec_b32 s5, s4
	s_cbranch_execz .LBB28_226
; %bb.223:
	v_add_nc_u32_e32 v7, -1, v0
	s_movk_i32 s38, 0x1e0
	s_mov_b32 s4, 0
	s_mov_b32 s39, s35
	.p2align	6
.LBB28_224:                             ; =>This Inner Loop Header: Depth=1
	v_mov_b32_e32 v8, s39
	v_add_nc_u32_e32 v7, -1, v7
	s_add_i32 s39, s39, 16
	s_clause 0x3
	buffer_load_dword v12, v8, s[0:3], 0 offen offset:8
	buffer_load_dword v13, v8, s[0:3], 0 offen offset:12
	buffer_load_dword v14, v8, s[0:3], 0 offen
	buffer_load_dword v15, v8, s[0:3], 0 offen offset:4
	v_mov_b32_e32 v8, s38
	v_cmp_eq_u32_e32 vcc_lo, 0, v7
	s_add_i32 s38, s38, 16
	ds_read_b128 v[8:11], v8
	s_or_b32 s4, vcc_lo, s4
	s_waitcnt vmcnt(2) lgkmcnt(0)
	v_mul_f64 v[16:17], v[10:11], v[12:13]
	v_mul_f64 v[12:13], v[8:9], v[12:13]
	s_waitcnt vmcnt(0)
	v_fma_f64 v[8:9], v[8:9], v[14:15], -v[16:17]
	v_fma_f64 v[10:11], v[10:11], v[14:15], v[12:13]
	v_add_f64 v[1:2], v[1:2], v[8:9]
	v_add_f64 v[3:4], v[3:4], v[10:11]
	s_andn2_b32 exec_lo, exec_lo, s4
	s_cbranch_execnz .LBB28_224
; %bb.225:
	s_or_b32 exec_lo, exec_lo, s4
.LBB28_226:
	s_or_b32 exec_lo, exec_lo, s5
	v_mov_b32_e32 v7, 0
	s_mov_b32 s5, exec_lo
	s_or_b32 s38, 0, 8
	ds_read_b128 v[7:10], v7
	s_waitcnt lgkmcnt(0)
	v_mul_f64 v[11:12], v[3:4], v[9:10]
	v_mul_f64 v[9:10], v[1:2], v[9:10]
	v_fma_f64 v[11:12], v[1:2], v[7:8], -v[11:12]
	v_fma_f64 v[1:2], v[3:4], v[7:8], v[9:10]
	buffer_store_dword v12, off, s[0:3], 0 offset:4
	buffer_store_dword v11, off, s[0:3], 0
.LBB28_227:
	s_or_b32 exec_lo, exec_lo, s37
	s_and_b32 vcc_lo, exec_lo, s8
	s_cbranch_vccnz .LBB28_229
	s_branch .LBB28_448
.LBB28_228:
	s_mov_b32 s5, 0
                                        ; implicit-def: $vgpr1_vgpr2
                                        ; implicit-def: $sgpr38
	s_cbranch_execz .LBB28_448
.LBB28_229:
	v_mov_b32_e32 v4, s35
	v_cmp_eq_u32_e64 s4, 0, v0
	v_cndmask_b32_e64 v7, 0, 1, s36
	s_clause 0x3
	buffer_load_dword v1, v4, s[0:3], 0 offen
	buffer_load_dword v2, v4, s[0:3], 0 offen offset:4
	buffer_load_dword v3, v4, s[0:3], 0 offen offset:8
	;; [unrolled: 1-line block ×3, first 2 shown]
	s_waitcnt vmcnt(0)
	ds_write_b128 v6, v[1:4]
	s_waitcnt lgkmcnt(0)
	s_waitcnt_vscnt null, 0x0
	s_barrier
	buffer_gl0_inv
	s_and_saveexec_b32 s8, s4
	s_cbranch_execz .LBB28_233
; %bb.230:
	ds_read_b128 v[1:4], v6
	s_andn2_b32 vcc_lo, exec_lo, s36
	s_cbranch_vccnz .LBB28_232
; %bb.231:
	s_clause 0x3
	buffer_load_dword v8, v5, s[0:3], 0 offen offset:8
	buffer_load_dword v9, v5, s[0:3], 0 offen offset:12
	buffer_load_dword v10, v5, s[0:3], 0 offen
	buffer_load_dword v11, v5, s[0:3], 0 offen offset:4
	s_waitcnt vmcnt(2) lgkmcnt(0)
	v_mul_f64 v[12:13], v[3:4], v[8:9]
	v_mul_f64 v[8:9], v[1:2], v[8:9]
	s_waitcnt vmcnt(0)
	v_fma_f64 v[1:2], v[1:2], v[10:11], -v[12:13]
	v_fma_f64 v[3:4], v[3:4], v[10:11], v[8:9]
.LBB28_232:
	v_mov_b32_e32 v8, 0
	ds_read_b128 v[8:11], v8 offset:16
	s_waitcnt lgkmcnt(0)
	v_mul_f64 v[12:13], v[3:4], v[10:11]
	v_mul_f64 v[10:11], v[1:2], v[10:11]
	v_fma_f64 v[1:2], v[1:2], v[8:9], -v[12:13]
	v_fma_f64 v[3:4], v[3:4], v[8:9], v[10:11]
	buffer_store_dword v2, off, s[0:3], 0 offset:20
	buffer_store_dword v1, off, s[0:3], 0 offset:16
	buffer_store_dword v4, off, s[0:3], 0 offset:28
	buffer_store_dword v3, off, s[0:3], 0 offset:24
.LBB28_233:
	s_or_b32 exec_lo, exec_lo, s8
	v_mov_b32_e32 v4, s34
	s_mov_b32 s8, exec_lo
	s_clause 0x3
	buffer_load_dword v1, v4, s[0:3], 0 offen
	buffer_load_dword v2, v4, s[0:3], 0 offen offset:4
	buffer_load_dword v3, v4, s[0:3], 0 offen offset:8
	;; [unrolled: 1-line block ×3, first 2 shown]
	s_waitcnt vmcnt(0)
	ds_write_b128 v6, v[1:4]
	s_waitcnt lgkmcnt(0)
	s_waitcnt_vscnt null, 0x0
	s_barrier
	buffer_gl0_inv
	v_cmpx_gt_u32_e32 2, v0
	s_cbranch_execz .LBB28_239
; %bb.234:
	ds_read_b128 v[1:4], v6
	v_cmp_ne_u32_e32 vcc_lo, 1, v7
	s_cbranch_vccnz .LBB28_236
; %bb.235:
	s_clause 0x3
	buffer_load_dword v8, v5, s[0:3], 0 offen offset:8
	buffer_load_dword v9, v5, s[0:3], 0 offen offset:12
	buffer_load_dword v10, v5, s[0:3], 0 offen
	buffer_load_dword v11, v5, s[0:3], 0 offen offset:4
	s_waitcnt vmcnt(2) lgkmcnt(0)
	v_mul_f64 v[12:13], v[3:4], v[8:9]
	v_mul_f64 v[8:9], v[1:2], v[8:9]
	s_waitcnt vmcnt(0)
	v_fma_f64 v[1:2], v[1:2], v[10:11], -v[12:13]
	v_fma_f64 v[3:4], v[3:4], v[10:11], v[8:9]
.LBB28_236:
	s_and_saveexec_b32 s36, s4
	s_cbranch_execz .LBB28_238
; %bb.237:
	s_clause 0x3
	buffer_load_dword v12, off, s[0:3], 0 offset:24
	buffer_load_dword v13, off, s[0:3], 0 offset:28
	;; [unrolled: 1-line block ×4, first 2 shown]
	v_mov_b32_e32 v8, 0
	ds_read_b128 v[8:11], v8 offset:480
	s_waitcnt vmcnt(2) lgkmcnt(0)
	v_mul_f64 v[16:17], v[10:11], v[12:13]
	v_mul_f64 v[12:13], v[8:9], v[12:13]
	s_waitcnt vmcnt(0)
	v_fma_f64 v[8:9], v[8:9], v[14:15], -v[16:17]
	v_fma_f64 v[10:11], v[10:11], v[14:15], v[12:13]
	v_add_f64 v[1:2], v[1:2], v[8:9]
	v_add_f64 v[3:4], v[3:4], v[10:11]
.LBB28_238:
	s_or_b32 exec_lo, exec_lo, s36
	v_mov_b32_e32 v8, 0
	ds_read_b128 v[8:11], v8 offset:32
	s_waitcnt lgkmcnt(0)
	v_mul_f64 v[12:13], v[3:4], v[10:11]
	v_mul_f64 v[10:11], v[1:2], v[10:11]
	v_fma_f64 v[1:2], v[1:2], v[8:9], -v[12:13]
	v_fma_f64 v[3:4], v[3:4], v[8:9], v[10:11]
	buffer_store_dword v2, off, s[0:3], 0 offset:36
	buffer_store_dword v1, off, s[0:3], 0 offset:32
	;; [unrolled: 1-line block ×4, first 2 shown]
.LBB28_239:
	s_or_b32 exec_lo, exec_lo, s8
	v_mov_b32_e32 v4, s33
	s_mov_b32 s8, exec_lo
	s_clause 0x3
	buffer_load_dword v1, v4, s[0:3], 0 offen
	buffer_load_dword v2, v4, s[0:3], 0 offen offset:4
	buffer_load_dword v3, v4, s[0:3], 0 offen offset:8
	;; [unrolled: 1-line block ×3, first 2 shown]
	s_waitcnt vmcnt(0)
	ds_write_b128 v6, v[1:4]
	s_waitcnt lgkmcnt(0)
	s_waitcnt_vscnt null, 0x0
	s_barrier
	buffer_gl0_inv
	v_cmpx_gt_u32_e32 3, v0
	s_cbranch_execz .LBB28_247
; %bb.240:
	ds_read_b128 v[1:4], v6
	v_cmp_ne_u32_e32 vcc_lo, 1, v7
	s_cbranch_vccnz .LBB28_242
; %bb.241:
	s_clause 0x3
	buffer_load_dword v8, v5, s[0:3], 0 offen offset:8
	buffer_load_dword v9, v5, s[0:3], 0 offen offset:12
	buffer_load_dword v10, v5, s[0:3], 0 offen
	buffer_load_dword v11, v5, s[0:3], 0 offen offset:4
	s_waitcnt vmcnt(2) lgkmcnt(0)
	v_mul_f64 v[12:13], v[3:4], v[8:9]
	v_mul_f64 v[8:9], v[1:2], v[8:9]
	s_waitcnt vmcnt(0)
	v_fma_f64 v[1:2], v[1:2], v[10:11], -v[12:13]
	v_fma_f64 v[3:4], v[3:4], v[10:11], v[8:9]
.LBB28_242:
	s_mov_b32 s36, exec_lo
	v_cmpx_ne_u32_e32 2, v0
	s_cbranch_execz .LBB28_246
; %bb.243:
	s_clause 0x3
	buffer_load_dword v12, v5, s[0:3], 0 offen offset:24
	buffer_load_dword v13, v5, s[0:3], 0 offen offset:28
	;; [unrolled: 1-line block ×4, first 2 shown]
	ds_read_b128 v[8:11], v6 offset:16
	s_waitcnt vmcnt(2) lgkmcnt(0)
	v_mul_f64 v[16:17], v[10:11], v[12:13]
	v_mul_f64 v[12:13], v[8:9], v[12:13]
	s_waitcnt vmcnt(0)
	v_fma_f64 v[8:9], v[8:9], v[14:15], -v[16:17]
	v_fma_f64 v[10:11], v[10:11], v[14:15], v[12:13]
	v_add_f64 v[1:2], v[1:2], v[8:9]
	v_add_f64 v[3:4], v[3:4], v[10:11]
	s_and_saveexec_b32 s37, s4
	s_cbranch_execz .LBB28_245
; %bb.244:
	s_clause 0x3
	buffer_load_dword v12, off, s[0:3], 0 offset:40
	buffer_load_dword v13, off, s[0:3], 0 offset:44
	;; [unrolled: 1-line block ×4, first 2 shown]
	v_mov_b32_e32 v8, 0
	ds_read_b128 v[8:11], v8 offset:496
	s_waitcnt vmcnt(2) lgkmcnt(0)
	v_mul_f64 v[16:17], v[8:9], v[12:13]
	v_mul_f64 v[12:13], v[10:11], v[12:13]
	s_waitcnt vmcnt(0)
	v_fma_f64 v[10:11], v[10:11], v[14:15], v[16:17]
	v_fma_f64 v[8:9], v[8:9], v[14:15], -v[12:13]
	v_add_f64 v[3:4], v[3:4], v[10:11]
	v_add_f64 v[1:2], v[1:2], v[8:9]
.LBB28_245:
	s_or_b32 exec_lo, exec_lo, s37
.LBB28_246:
	s_or_b32 exec_lo, exec_lo, s36
	v_mov_b32_e32 v8, 0
	ds_read_b128 v[8:11], v8 offset:48
	s_waitcnt lgkmcnt(0)
	v_mul_f64 v[12:13], v[3:4], v[10:11]
	v_mul_f64 v[10:11], v[1:2], v[10:11]
	v_fma_f64 v[1:2], v[1:2], v[8:9], -v[12:13]
	v_fma_f64 v[3:4], v[3:4], v[8:9], v[10:11]
	buffer_store_dword v2, off, s[0:3], 0 offset:52
	buffer_store_dword v1, off, s[0:3], 0 offset:48
	;; [unrolled: 1-line block ×4, first 2 shown]
.LBB28_247:
	s_or_b32 exec_lo, exec_lo, s8
	v_mov_b32_e32 v4, s31
	s_mov_b32 s4, exec_lo
	s_clause 0x3
	buffer_load_dword v1, v4, s[0:3], 0 offen
	buffer_load_dword v2, v4, s[0:3], 0 offen offset:4
	buffer_load_dword v3, v4, s[0:3], 0 offen offset:8
	;; [unrolled: 1-line block ×3, first 2 shown]
	s_waitcnt vmcnt(0)
	ds_write_b128 v6, v[1:4]
	s_waitcnt lgkmcnt(0)
	s_waitcnt_vscnt null, 0x0
	s_barrier
	buffer_gl0_inv
	v_cmpx_gt_u32_e32 4, v0
	s_cbranch_execz .LBB28_255
; %bb.248:
	ds_read_b128 v[1:4], v6
	v_cmp_ne_u32_e32 vcc_lo, 1, v7
	s_cbranch_vccnz .LBB28_250
; %bb.249:
	s_clause 0x3
	buffer_load_dword v8, v5, s[0:3], 0 offen offset:8
	buffer_load_dword v9, v5, s[0:3], 0 offen offset:12
	buffer_load_dword v10, v5, s[0:3], 0 offen
	buffer_load_dword v11, v5, s[0:3], 0 offen offset:4
	s_waitcnt vmcnt(2) lgkmcnt(0)
	v_mul_f64 v[12:13], v[3:4], v[8:9]
	v_mul_f64 v[8:9], v[1:2], v[8:9]
	s_waitcnt vmcnt(0)
	v_fma_f64 v[1:2], v[1:2], v[10:11], -v[12:13]
	v_fma_f64 v[3:4], v[3:4], v[10:11], v[8:9]
.LBB28_250:
	s_mov_b32 s8, exec_lo
	v_cmpx_ne_u32_e32 3, v0
	s_cbranch_execz .LBB28_254
; %bb.251:
	v_add_nc_u32_e32 v8, 0x1e0, v87
	v_add3_u32 v9, 0, v87, 16
	v_mov_b32_e32 v10, v0
	s_mov_b32 s36, 0
	.p2align	6
.LBB28_252:                             ; =>This Inner Loop Header: Depth=1
	s_clause 0x3
	buffer_load_dword v15, v9, s[0:3], 0 offen offset:8
	buffer_load_dword v16, v9, s[0:3], 0 offen offset:12
	buffer_load_dword v17, v9, s[0:3], 0 offen
	buffer_load_dword v18, v9, s[0:3], 0 offen offset:4
	ds_read_b128 v[11:14], v8
	v_add_nc_u32_e32 v10, 1, v10
	v_add_nc_u32_e32 v8, 16, v8
	;; [unrolled: 1-line block ×3, first 2 shown]
	v_cmp_lt_u32_e32 vcc_lo, 2, v10
	s_or_b32 s36, vcc_lo, s36
	s_waitcnt vmcnt(2) lgkmcnt(0)
	v_mul_f64 v[19:20], v[13:14], v[15:16]
	v_mul_f64 v[15:16], v[11:12], v[15:16]
	s_waitcnt vmcnt(0)
	v_fma_f64 v[11:12], v[11:12], v[17:18], -v[19:20]
	v_fma_f64 v[13:14], v[13:14], v[17:18], v[15:16]
	v_add_f64 v[1:2], v[1:2], v[11:12]
	v_add_f64 v[3:4], v[3:4], v[13:14]
	s_andn2_b32 exec_lo, exec_lo, s36
	s_cbranch_execnz .LBB28_252
; %bb.253:
	s_or_b32 exec_lo, exec_lo, s36
.LBB28_254:
	s_or_b32 exec_lo, exec_lo, s8
	v_mov_b32_e32 v8, 0
	ds_read_b128 v[8:11], v8 offset:64
	s_waitcnt lgkmcnt(0)
	v_mul_f64 v[12:13], v[3:4], v[10:11]
	v_mul_f64 v[10:11], v[1:2], v[10:11]
	v_fma_f64 v[1:2], v[1:2], v[8:9], -v[12:13]
	v_fma_f64 v[3:4], v[3:4], v[8:9], v[10:11]
	buffer_store_dword v2, off, s[0:3], 0 offset:68
	buffer_store_dword v1, off, s[0:3], 0 offset:64
	;; [unrolled: 1-line block ×4, first 2 shown]
.LBB28_255:
	s_or_b32 exec_lo, exec_lo, s4
	v_mov_b32_e32 v4, s30
	s_mov_b32 s4, exec_lo
	s_clause 0x3
	buffer_load_dword v1, v4, s[0:3], 0 offen
	buffer_load_dword v2, v4, s[0:3], 0 offen offset:4
	buffer_load_dword v3, v4, s[0:3], 0 offen offset:8
	;; [unrolled: 1-line block ×3, first 2 shown]
	s_waitcnt vmcnt(0)
	ds_write_b128 v6, v[1:4]
	s_waitcnt lgkmcnt(0)
	s_waitcnt_vscnt null, 0x0
	s_barrier
	buffer_gl0_inv
	v_cmpx_gt_u32_e32 5, v0
	s_cbranch_execz .LBB28_263
; %bb.256:
	ds_read_b128 v[1:4], v6
	v_cmp_ne_u32_e32 vcc_lo, 1, v7
	s_cbranch_vccnz .LBB28_258
; %bb.257:
	s_clause 0x3
	buffer_load_dword v8, v5, s[0:3], 0 offen offset:8
	buffer_load_dword v9, v5, s[0:3], 0 offen offset:12
	buffer_load_dword v10, v5, s[0:3], 0 offen
	buffer_load_dword v11, v5, s[0:3], 0 offen offset:4
	s_waitcnt vmcnt(2) lgkmcnt(0)
	v_mul_f64 v[12:13], v[3:4], v[8:9]
	v_mul_f64 v[8:9], v[1:2], v[8:9]
	s_waitcnt vmcnt(0)
	v_fma_f64 v[1:2], v[1:2], v[10:11], -v[12:13]
	v_fma_f64 v[3:4], v[3:4], v[10:11], v[8:9]
.LBB28_258:
	s_mov_b32 s8, exec_lo
	v_cmpx_ne_u32_e32 4, v0
	s_cbranch_execz .LBB28_262
; %bb.259:
	v_add_nc_u32_e32 v8, 0x1e0, v87
	v_add3_u32 v9, 0, v87, 16
	v_mov_b32_e32 v10, v0
	s_mov_b32 s36, 0
	.p2align	6
.LBB28_260:                             ; =>This Inner Loop Header: Depth=1
	s_clause 0x3
	buffer_load_dword v15, v9, s[0:3], 0 offen offset:8
	buffer_load_dword v16, v9, s[0:3], 0 offen offset:12
	buffer_load_dword v17, v9, s[0:3], 0 offen
	buffer_load_dword v18, v9, s[0:3], 0 offen offset:4
	ds_read_b128 v[11:14], v8
	v_add_nc_u32_e32 v10, 1, v10
	v_add_nc_u32_e32 v8, 16, v8
	;; [unrolled: 1-line block ×3, first 2 shown]
	v_cmp_lt_u32_e32 vcc_lo, 3, v10
	s_or_b32 s36, vcc_lo, s36
	s_waitcnt vmcnt(2) lgkmcnt(0)
	v_mul_f64 v[19:20], v[13:14], v[15:16]
	v_mul_f64 v[15:16], v[11:12], v[15:16]
	s_waitcnt vmcnt(0)
	v_fma_f64 v[11:12], v[11:12], v[17:18], -v[19:20]
	v_fma_f64 v[13:14], v[13:14], v[17:18], v[15:16]
	v_add_f64 v[1:2], v[1:2], v[11:12]
	v_add_f64 v[3:4], v[3:4], v[13:14]
	s_andn2_b32 exec_lo, exec_lo, s36
	s_cbranch_execnz .LBB28_260
; %bb.261:
	s_or_b32 exec_lo, exec_lo, s36
.LBB28_262:
	s_or_b32 exec_lo, exec_lo, s8
	v_mov_b32_e32 v8, 0
	ds_read_b128 v[8:11], v8 offset:80
	s_waitcnt lgkmcnt(0)
	v_mul_f64 v[12:13], v[3:4], v[10:11]
	v_mul_f64 v[10:11], v[1:2], v[10:11]
	v_fma_f64 v[1:2], v[1:2], v[8:9], -v[12:13]
	v_fma_f64 v[3:4], v[3:4], v[8:9], v[10:11]
	buffer_store_dword v2, off, s[0:3], 0 offset:84
	buffer_store_dword v1, off, s[0:3], 0 offset:80
	;; [unrolled: 1-line block ×4, first 2 shown]
.LBB28_263:
	s_or_b32 exec_lo, exec_lo, s4
	v_mov_b32_e32 v4, s29
	s_mov_b32 s4, exec_lo
	s_clause 0x3
	buffer_load_dword v1, v4, s[0:3], 0 offen
	buffer_load_dword v2, v4, s[0:3], 0 offen offset:4
	buffer_load_dword v3, v4, s[0:3], 0 offen offset:8
	;; [unrolled: 1-line block ×3, first 2 shown]
	s_waitcnt vmcnt(0)
	ds_write_b128 v6, v[1:4]
	s_waitcnt lgkmcnt(0)
	s_waitcnt_vscnt null, 0x0
	s_barrier
	buffer_gl0_inv
	v_cmpx_gt_u32_e32 6, v0
	s_cbranch_execz .LBB28_271
; %bb.264:
	ds_read_b128 v[1:4], v6
	v_cmp_ne_u32_e32 vcc_lo, 1, v7
	s_cbranch_vccnz .LBB28_266
; %bb.265:
	s_clause 0x3
	buffer_load_dword v8, v5, s[0:3], 0 offen offset:8
	buffer_load_dword v9, v5, s[0:3], 0 offen offset:12
	buffer_load_dword v10, v5, s[0:3], 0 offen
	buffer_load_dword v11, v5, s[0:3], 0 offen offset:4
	s_waitcnt vmcnt(2) lgkmcnt(0)
	v_mul_f64 v[12:13], v[3:4], v[8:9]
	v_mul_f64 v[8:9], v[1:2], v[8:9]
	s_waitcnt vmcnt(0)
	v_fma_f64 v[1:2], v[1:2], v[10:11], -v[12:13]
	v_fma_f64 v[3:4], v[3:4], v[10:11], v[8:9]
.LBB28_266:
	s_mov_b32 s8, exec_lo
	v_cmpx_ne_u32_e32 5, v0
	s_cbranch_execz .LBB28_270
; %bb.267:
	v_add_nc_u32_e32 v8, 0x1e0, v87
	v_add3_u32 v9, 0, v87, 16
	v_mov_b32_e32 v10, v0
	s_mov_b32 s36, 0
	.p2align	6
.LBB28_268:                             ; =>This Inner Loop Header: Depth=1
	s_clause 0x3
	buffer_load_dword v15, v9, s[0:3], 0 offen offset:8
	buffer_load_dword v16, v9, s[0:3], 0 offen offset:12
	buffer_load_dword v17, v9, s[0:3], 0 offen
	buffer_load_dword v18, v9, s[0:3], 0 offen offset:4
	ds_read_b128 v[11:14], v8
	v_add_nc_u32_e32 v10, 1, v10
	v_add_nc_u32_e32 v8, 16, v8
	;; [unrolled: 1-line block ×3, first 2 shown]
	v_cmp_lt_u32_e32 vcc_lo, 4, v10
	s_or_b32 s36, vcc_lo, s36
	s_waitcnt vmcnt(2) lgkmcnt(0)
	v_mul_f64 v[19:20], v[13:14], v[15:16]
	v_mul_f64 v[15:16], v[11:12], v[15:16]
	s_waitcnt vmcnt(0)
	v_fma_f64 v[11:12], v[11:12], v[17:18], -v[19:20]
	v_fma_f64 v[13:14], v[13:14], v[17:18], v[15:16]
	v_add_f64 v[1:2], v[1:2], v[11:12]
	v_add_f64 v[3:4], v[3:4], v[13:14]
	s_andn2_b32 exec_lo, exec_lo, s36
	s_cbranch_execnz .LBB28_268
; %bb.269:
	s_or_b32 exec_lo, exec_lo, s36
.LBB28_270:
	s_or_b32 exec_lo, exec_lo, s8
	v_mov_b32_e32 v8, 0
	ds_read_b128 v[8:11], v8 offset:96
	s_waitcnt lgkmcnt(0)
	v_mul_f64 v[12:13], v[3:4], v[10:11]
	v_mul_f64 v[10:11], v[1:2], v[10:11]
	v_fma_f64 v[1:2], v[1:2], v[8:9], -v[12:13]
	v_fma_f64 v[3:4], v[3:4], v[8:9], v[10:11]
	buffer_store_dword v2, off, s[0:3], 0 offset:100
	buffer_store_dword v1, off, s[0:3], 0 offset:96
	;; [unrolled: 1-line block ×4, first 2 shown]
.LBB28_271:
	s_or_b32 exec_lo, exec_lo, s4
	v_mov_b32_e32 v4, s28
	s_mov_b32 s4, exec_lo
	s_clause 0x3
	buffer_load_dword v1, v4, s[0:3], 0 offen
	buffer_load_dword v2, v4, s[0:3], 0 offen offset:4
	buffer_load_dword v3, v4, s[0:3], 0 offen offset:8
	;; [unrolled: 1-line block ×3, first 2 shown]
	s_waitcnt vmcnt(0)
	ds_write_b128 v6, v[1:4]
	s_waitcnt lgkmcnt(0)
	s_waitcnt_vscnt null, 0x0
	s_barrier
	buffer_gl0_inv
	v_cmpx_gt_u32_e32 7, v0
	s_cbranch_execz .LBB28_279
; %bb.272:
	ds_read_b128 v[1:4], v6
	v_cmp_ne_u32_e32 vcc_lo, 1, v7
	s_cbranch_vccnz .LBB28_274
; %bb.273:
	s_clause 0x3
	buffer_load_dword v8, v5, s[0:3], 0 offen offset:8
	buffer_load_dword v9, v5, s[0:3], 0 offen offset:12
	buffer_load_dword v10, v5, s[0:3], 0 offen
	buffer_load_dword v11, v5, s[0:3], 0 offen offset:4
	s_waitcnt vmcnt(2) lgkmcnt(0)
	v_mul_f64 v[12:13], v[3:4], v[8:9]
	v_mul_f64 v[8:9], v[1:2], v[8:9]
	s_waitcnt vmcnt(0)
	v_fma_f64 v[1:2], v[1:2], v[10:11], -v[12:13]
	v_fma_f64 v[3:4], v[3:4], v[10:11], v[8:9]
.LBB28_274:
	s_mov_b32 s8, exec_lo
	v_cmpx_ne_u32_e32 6, v0
	s_cbranch_execz .LBB28_278
; %bb.275:
	v_add_nc_u32_e32 v8, 0x1e0, v87
	v_add3_u32 v9, 0, v87, 16
	v_mov_b32_e32 v10, v0
	s_mov_b32 s36, 0
	.p2align	6
.LBB28_276:                             ; =>This Inner Loop Header: Depth=1
	s_clause 0x3
	buffer_load_dword v15, v9, s[0:3], 0 offen offset:8
	buffer_load_dword v16, v9, s[0:3], 0 offen offset:12
	buffer_load_dword v17, v9, s[0:3], 0 offen
	buffer_load_dword v18, v9, s[0:3], 0 offen offset:4
	ds_read_b128 v[11:14], v8
	v_add_nc_u32_e32 v10, 1, v10
	v_add_nc_u32_e32 v8, 16, v8
	;; [unrolled: 1-line block ×3, first 2 shown]
	v_cmp_lt_u32_e32 vcc_lo, 5, v10
	s_or_b32 s36, vcc_lo, s36
	s_waitcnt vmcnt(2) lgkmcnt(0)
	v_mul_f64 v[19:20], v[13:14], v[15:16]
	v_mul_f64 v[15:16], v[11:12], v[15:16]
	s_waitcnt vmcnt(0)
	v_fma_f64 v[11:12], v[11:12], v[17:18], -v[19:20]
	v_fma_f64 v[13:14], v[13:14], v[17:18], v[15:16]
	v_add_f64 v[1:2], v[1:2], v[11:12]
	v_add_f64 v[3:4], v[3:4], v[13:14]
	s_andn2_b32 exec_lo, exec_lo, s36
	s_cbranch_execnz .LBB28_276
; %bb.277:
	s_or_b32 exec_lo, exec_lo, s36
.LBB28_278:
	s_or_b32 exec_lo, exec_lo, s8
	v_mov_b32_e32 v8, 0
	ds_read_b128 v[8:11], v8 offset:112
	s_waitcnt lgkmcnt(0)
	v_mul_f64 v[12:13], v[3:4], v[10:11]
	v_mul_f64 v[10:11], v[1:2], v[10:11]
	v_fma_f64 v[1:2], v[1:2], v[8:9], -v[12:13]
	v_fma_f64 v[3:4], v[3:4], v[8:9], v[10:11]
	buffer_store_dword v2, off, s[0:3], 0 offset:116
	buffer_store_dword v1, off, s[0:3], 0 offset:112
	;; [unrolled: 1-line block ×4, first 2 shown]
.LBB28_279:
	s_or_b32 exec_lo, exec_lo, s4
	v_mov_b32_e32 v4, s27
	s_mov_b32 s4, exec_lo
	s_clause 0x3
	buffer_load_dword v1, v4, s[0:3], 0 offen
	buffer_load_dword v2, v4, s[0:3], 0 offen offset:4
	buffer_load_dword v3, v4, s[0:3], 0 offen offset:8
	;; [unrolled: 1-line block ×3, first 2 shown]
	s_waitcnt vmcnt(0)
	ds_write_b128 v6, v[1:4]
	s_waitcnt lgkmcnt(0)
	s_waitcnt_vscnt null, 0x0
	s_barrier
	buffer_gl0_inv
	v_cmpx_gt_u32_e32 8, v0
	s_cbranch_execz .LBB28_287
; %bb.280:
	ds_read_b128 v[1:4], v6
	v_cmp_ne_u32_e32 vcc_lo, 1, v7
	s_cbranch_vccnz .LBB28_282
; %bb.281:
	s_clause 0x3
	buffer_load_dword v8, v5, s[0:3], 0 offen offset:8
	buffer_load_dword v9, v5, s[0:3], 0 offen offset:12
	buffer_load_dword v10, v5, s[0:3], 0 offen
	buffer_load_dword v11, v5, s[0:3], 0 offen offset:4
	s_waitcnt vmcnt(2) lgkmcnt(0)
	v_mul_f64 v[12:13], v[3:4], v[8:9]
	v_mul_f64 v[8:9], v[1:2], v[8:9]
	s_waitcnt vmcnt(0)
	v_fma_f64 v[1:2], v[1:2], v[10:11], -v[12:13]
	v_fma_f64 v[3:4], v[3:4], v[10:11], v[8:9]
.LBB28_282:
	s_mov_b32 s8, exec_lo
	v_cmpx_ne_u32_e32 7, v0
	s_cbranch_execz .LBB28_286
; %bb.283:
	v_add_nc_u32_e32 v8, 0x1e0, v87
	v_add3_u32 v9, 0, v87, 16
	v_mov_b32_e32 v10, v0
	s_mov_b32 s36, 0
	.p2align	6
.LBB28_284:                             ; =>This Inner Loop Header: Depth=1
	s_clause 0x3
	buffer_load_dword v15, v9, s[0:3], 0 offen offset:8
	buffer_load_dword v16, v9, s[0:3], 0 offen offset:12
	buffer_load_dword v17, v9, s[0:3], 0 offen
	buffer_load_dword v18, v9, s[0:3], 0 offen offset:4
	ds_read_b128 v[11:14], v8
	v_add_nc_u32_e32 v10, 1, v10
	v_add_nc_u32_e32 v8, 16, v8
	;; [unrolled: 1-line block ×3, first 2 shown]
	v_cmp_lt_u32_e32 vcc_lo, 6, v10
	s_or_b32 s36, vcc_lo, s36
	s_waitcnt vmcnt(2) lgkmcnt(0)
	v_mul_f64 v[19:20], v[13:14], v[15:16]
	v_mul_f64 v[15:16], v[11:12], v[15:16]
	s_waitcnt vmcnt(0)
	v_fma_f64 v[11:12], v[11:12], v[17:18], -v[19:20]
	v_fma_f64 v[13:14], v[13:14], v[17:18], v[15:16]
	v_add_f64 v[1:2], v[1:2], v[11:12]
	v_add_f64 v[3:4], v[3:4], v[13:14]
	s_andn2_b32 exec_lo, exec_lo, s36
	s_cbranch_execnz .LBB28_284
; %bb.285:
	s_or_b32 exec_lo, exec_lo, s36
.LBB28_286:
	s_or_b32 exec_lo, exec_lo, s8
	v_mov_b32_e32 v8, 0
	ds_read_b128 v[8:11], v8 offset:128
	s_waitcnt lgkmcnt(0)
	v_mul_f64 v[12:13], v[3:4], v[10:11]
	v_mul_f64 v[10:11], v[1:2], v[10:11]
	v_fma_f64 v[1:2], v[1:2], v[8:9], -v[12:13]
	v_fma_f64 v[3:4], v[3:4], v[8:9], v[10:11]
	buffer_store_dword v2, off, s[0:3], 0 offset:132
	buffer_store_dword v1, off, s[0:3], 0 offset:128
	buffer_store_dword v4, off, s[0:3], 0 offset:140
	buffer_store_dword v3, off, s[0:3], 0 offset:136
.LBB28_287:
	s_or_b32 exec_lo, exec_lo, s4
	v_mov_b32_e32 v4, s26
	s_mov_b32 s4, exec_lo
	s_clause 0x3
	buffer_load_dword v1, v4, s[0:3], 0 offen
	buffer_load_dword v2, v4, s[0:3], 0 offen offset:4
	buffer_load_dword v3, v4, s[0:3], 0 offen offset:8
	;; [unrolled: 1-line block ×3, first 2 shown]
	s_waitcnt vmcnt(0)
	ds_write_b128 v6, v[1:4]
	s_waitcnt lgkmcnt(0)
	s_waitcnt_vscnt null, 0x0
	s_barrier
	buffer_gl0_inv
	v_cmpx_gt_u32_e32 9, v0
	s_cbranch_execz .LBB28_295
; %bb.288:
	ds_read_b128 v[1:4], v6
	v_cmp_ne_u32_e32 vcc_lo, 1, v7
	s_cbranch_vccnz .LBB28_290
; %bb.289:
	s_clause 0x3
	buffer_load_dword v8, v5, s[0:3], 0 offen offset:8
	buffer_load_dword v9, v5, s[0:3], 0 offen offset:12
	buffer_load_dword v10, v5, s[0:3], 0 offen
	buffer_load_dword v11, v5, s[0:3], 0 offen offset:4
	s_waitcnt vmcnt(2) lgkmcnt(0)
	v_mul_f64 v[12:13], v[3:4], v[8:9]
	v_mul_f64 v[8:9], v[1:2], v[8:9]
	s_waitcnt vmcnt(0)
	v_fma_f64 v[1:2], v[1:2], v[10:11], -v[12:13]
	v_fma_f64 v[3:4], v[3:4], v[10:11], v[8:9]
.LBB28_290:
	s_mov_b32 s8, exec_lo
	v_cmpx_ne_u32_e32 8, v0
	s_cbranch_execz .LBB28_294
; %bb.291:
	v_add_nc_u32_e32 v8, 0x1e0, v87
	v_add3_u32 v9, 0, v87, 16
	v_mov_b32_e32 v10, v0
	s_mov_b32 s36, 0
	.p2align	6
.LBB28_292:                             ; =>This Inner Loop Header: Depth=1
	s_clause 0x3
	buffer_load_dword v15, v9, s[0:3], 0 offen offset:8
	buffer_load_dword v16, v9, s[0:3], 0 offen offset:12
	buffer_load_dword v17, v9, s[0:3], 0 offen
	buffer_load_dword v18, v9, s[0:3], 0 offen offset:4
	ds_read_b128 v[11:14], v8
	v_add_nc_u32_e32 v10, 1, v10
	v_add_nc_u32_e32 v8, 16, v8
	v_add_nc_u32_e32 v9, 16, v9
	v_cmp_lt_u32_e32 vcc_lo, 7, v10
	s_or_b32 s36, vcc_lo, s36
	s_waitcnt vmcnt(2) lgkmcnt(0)
	v_mul_f64 v[19:20], v[13:14], v[15:16]
	v_mul_f64 v[15:16], v[11:12], v[15:16]
	s_waitcnt vmcnt(0)
	v_fma_f64 v[11:12], v[11:12], v[17:18], -v[19:20]
	v_fma_f64 v[13:14], v[13:14], v[17:18], v[15:16]
	v_add_f64 v[1:2], v[1:2], v[11:12]
	v_add_f64 v[3:4], v[3:4], v[13:14]
	s_andn2_b32 exec_lo, exec_lo, s36
	s_cbranch_execnz .LBB28_292
; %bb.293:
	s_or_b32 exec_lo, exec_lo, s36
.LBB28_294:
	s_or_b32 exec_lo, exec_lo, s8
	v_mov_b32_e32 v8, 0
	ds_read_b128 v[8:11], v8 offset:144
	s_waitcnt lgkmcnt(0)
	v_mul_f64 v[12:13], v[3:4], v[10:11]
	v_mul_f64 v[10:11], v[1:2], v[10:11]
	v_fma_f64 v[1:2], v[1:2], v[8:9], -v[12:13]
	v_fma_f64 v[3:4], v[3:4], v[8:9], v[10:11]
	buffer_store_dword v2, off, s[0:3], 0 offset:148
	buffer_store_dword v1, off, s[0:3], 0 offset:144
	;; [unrolled: 1-line block ×4, first 2 shown]
.LBB28_295:
	s_or_b32 exec_lo, exec_lo, s4
	v_mov_b32_e32 v4, s25
	s_mov_b32 s4, exec_lo
	s_clause 0x3
	buffer_load_dword v1, v4, s[0:3], 0 offen
	buffer_load_dword v2, v4, s[0:3], 0 offen offset:4
	buffer_load_dword v3, v4, s[0:3], 0 offen offset:8
	;; [unrolled: 1-line block ×3, first 2 shown]
	s_waitcnt vmcnt(0)
	ds_write_b128 v6, v[1:4]
	s_waitcnt lgkmcnt(0)
	s_waitcnt_vscnt null, 0x0
	s_barrier
	buffer_gl0_inv
	v_cmpx_gt_u32_e32 10, v0
	s_cbranch_execz .LBB28_303
; %bb.296:
	ds_read_b128 v[1:4], v6
	v_cmp_ne_u32_e32 vcc_lo, 1, v7
	s_cbranch_vccnz .LBB28_298
; %bb.297:
	s_clause 0x3
	buffer_load_dword v8, v5, s[0:3], 0 offen offset:8
	buffer_load_dword v9, v5, s[0:3], 0 offen offset:12
	buffer_load_dword v10, v5, s[0:3], 0 offen
	buffer_load_dword v11, v5, s[0:3], 0 offen offset:4
	s_waitcnt vmcnt(2) lgkmcnt(0)
	v_mul_f64 v[12:13], v[3:4], v[8:9]
	v_mul_f64 v[8:9], v[1:2], v[8:9]
	s_waitcnt vmcnt(0)
	v_fma_f64 v[1:2], v[1:2], v[10:11], -v[12:13]
	v_fma_f64 v[3:4], v[3:4], v[10:11], v[8:9]
.LBB28_298:
	s_mov_b32 s8, exec_lo
	v_cmpx_ne_u32_e32 9, v0
	s_cbranch_execz .LBB28_302
; %bb.299:
	v_add_nc_u32_e32 v8, 0x1e0, v87
	v_add3_u32 v9, 0, v87, 16
	v_mov_b32_e32 v10, v0
	s_mov_b32 s36, 0
	.p2align	6
.LBB28_300:                             ; =>This Inner Loop Header: Depth=1
	s_clause 0x3
	buffer_load_dword v15, v9, s[0:3], 0 offen offset:8
	buffer_load_dword v16, v9, s[0:3], 0 offen offset:12
	buffer_load_dword v17, v9, s[0:3], 0 offen
	buffer_load_dword v18, v9, s[0:3], 0 offen offset:4
	ds_read_b128 v[11:14], v8
	v_add_nc_u32_e32 v10, 1, v10
	v_add_nc_u32_e32 v8, 16, v8
	v_add_nc_u32_e32 v9, 16, v9
	v_cmp_lt_u32_e32 vcc_lo, 8, v10
	s_or_b32 s36, vcc_lo, s36
	s_waitcnt vmcnt(2) lgkmcnt(0)
	v_mul_f64 v[19:20], v[13:14], v[15:16]
	v_mul_f64 v[15:16], v[11:12], v[15:16]
	s_waitcnt vmcnt(0)
	v_fma_f64 v[11:12], v[11:12], v[17:18], -v[19:20]
	v_fma_f64 v[13:14], v[13:14], v[17:18], v[15:16]
	v_add_f64 v[1:2], v[1:2], v[11:12]
	v_add_f64 v[3:4], v[3:4], v[13:14]
	s_andn2_b32 exec_lo, exec_lo, s36
	s_cbranch_execnz .LBB28_300
; %bb.301:
	s_or_b32 exec_lo, exec_lo, s36
.LBB28_302:
	s_or_b32 exec_lo, exec_lo, s8
	v_mov_b32_e32 v8, 0
	ds_read_b128 v[8:11], v8 offset:160
	s_waitcnt lgkmcnt(0)
	v_mul_f64 v[12:13], v[3:4], v[10:11]
	v_mul_f64 v[10:11], v[1:2], v[10:11]
	v_fma_f64 v[1:2], v[1:2], v[8:9], -v[12:13]
	v_fma_f64 v[3:4], v[3:4], v[8:9], v[10:11]
	buffer_store_dword v2, off, s[0:3], 0 offset:164
	buffer_store_dword v1, off, s[0:3], 0 offset:160
	;; [unrolled: 1-line block ×4, first 2 shown]
.LBB28_303:
	s_or_b32 exec_lo, exec_lo, s4
	v_mov_b32_e32 v4, s24
	s_mov_b32 s4, exec_lo
	s_clause 0x3
	buffer_load_dword v1, v4, s[0:3], 0 offen
	buffer_load_dword v2, v4, s[0:3], 0 offen offset:4
	buffer_load_dword v3, v4, s[0:3], 0 offen offset:8
	;; [unrolled: 1-line block ×3, first 2 shown]
	s_waitcnt vmcnt(0)
	ds_write_b128 v6, v[1:4]
	s_waitcnt lgkmcnt(0)
	s_waitcnt_vscnt null, 0x0
	s_barrier
	buffer_gl0_inv
	v_cmpx_gt_u32_e32 11, v0
	s_cbranch_execz .LBB28_311
; %bb.304:
	ds_read_b128 v[1:4], v6
	v_cmp_ne_u32_e32 vcc_lo, 1, v7
	s_cbranch_vccnz .LBB28_306
; %bb.305:
	s_clause 0x3
	buffer_load_dword v8, v5, s[0:3], 0 offen offset:8
	buffer_load_dword v9, v5, s[0:3], 0 offen offset:12
	buffer_load_dword v10, v5, s[0:3], 0 offen
	buffer_load_dword v11, v5, s[0:3], 0 offen offset:4
	s_waitcnt vmcnt(2) lgkmcnt(0)
	v_mul_f64 v[12:13], v[3:4], v[8:9]
	v_mul_f64 v[8:9], v[1:2], v[8:9]
	s_waitcnt vmcnt(0)
	v_fma_f64 v[1:2], v[1:2], v[10:11], -v[12:13]
	v_fma_f64 v[3:4], v[3:4], v[10:11], v[8:9]
.LBB28_306:
	s_mov_b32 s8, exec_lo
	v_cmpx_ne_u32_e32 10, v0
	s_cbranch_execz .LBB28_310
; %bb.307:
	v_add_nc_u32_e32 v8, 0x1e0, v87
	v_add3_u32 v9, 0, v87, 16
	v_mov_b32_e32 v10, v0
	s_mov_b32 s36, 0
	.p2align	6
.LBB28_308:                             ; =>This Inner Loop Header: Depth=1
	s_clause 0x3
	buffer_load_dword v15, v9, s[0:3], 0 offen offset:8
	buffer_load_dword v16, v9, s[0:3], 0 offen offset:12
	buffer_load_dword v17, v9, s[0:3], 0 offen
	buffer_load_dword v18, v9, s[0:3], 0 offen offset:4
	ds_read_b128 v[11:14], v8
	v_add_nc_u32_e32 v10, 1, v10
	v_add_nc_u32_e32 v8, 16, v8
	v_add_nc_u32_e32 v9, 16, v9
	v_cmp_lt_u32_e32 vcc_lo, 9, v10
	s_or_b32 s36, vcc_lo, s36
	s_waitcnt vmcnt(2) lgkmcnt(0)
	v_mul_f64 v[19:20], v[13:14], v[15:16]
	v_mul_f64 v[15:16], v[11:12], v[15:16]
	s_waitcnt vmcnt(0)
	v_fma_f64 v[11:12], v[11:12], v[17:18], -v[19:20]
	v_fma_f64 v[13:14], v[13:14], v[17:18], v[15:16]
	v_add_f64 v[1:2], v[1:2], v[11:12]
	v_add_f64 v[3:4], v[3:4], v[13:14]
	s_andn2_b32 exec_lo, exec_lo, s36
	s_cbranch_execnz .LBB28_308
; %bb.309:
	s_or_b32 exec_lo, exec_lo, s36
.LBB28_310:
	s_or_b32 exec_lo, exec_lo, s8
	v_mov_b32_e32 v8, 0
	ds_read_b128 v[8:11], v8 offset:176
	s_waitcnt lgkmcnt(0)
	v_mul_f64 v[12:13], v[3:4], v[10:11]
	v_mul_f64 v[10:11], v[1:2], v[10:11]
	v_fma_f64 v[1:2], v[1:2], v[8:9], -v[12:13]
	v_fma_f64 v[3:4], v[3:4], v[8:9], v[10:11]
	buffer_store_dword v2, off, s[0:3], 0 offset:180
	buffer_store_dword v1, off, s[0:3], 0 offset:176
	;; [unrolled: 1-line block ×4, first 2 shown]
.LBB28_311:
	s_or_b32 exec_lo, exec_lo, s4
	v_mov_b32_e32 v4, s23
	s_mov_b32 s4, exec_lo
	s_clause 0x3
	buffer_load_dword v1, v4, s[0:3], 0 offen
	buffer_load_dword v2, v4, s[0:3], 0 offen offset:4
	buffer_load_dword v3, v4, s[0:3], 0 offen offset:8
	buffer_load_dword v4, v4, s[0:3], 0 offen offset:12
	s_waitcnt vmcnt(0)
	ds_write_b128 v6, v[1:4]
	s_waitcnt lgkmcnt(0)
	s_waitcnt_vscnt null, 0x0
	s_barrier
	buffer_gl0_inv
	v_cmpx_gt_u32_e32 12, v0
	s_cbranch_execz .LBB28_319
; %bb.312:
	ds_read_b128 v[1:4], v6
	v_cmp_ne_u32_e32 vcc_lo, 1, v7
	s_cbranch_vccnz .LBB28_314
; %bb.313:
	s_clause 0x3
	buffer_load_dword v8, v5, s[0:3], 0 offen offset:8
	buffer_load_dword v9, v5, s[0:3], 0 offen offset:12
	buffer_load_dword v10, v5, s[0:3], 0 offen
	buffer_load_dword v11, v5, s[0:3], 0 offen offset:4
	s_waitcnt vmcnt(2) lgkmcnt(0)
	v_mul_f64 v[12:13], v[3:4], v[8:9]
	v_mul_f64 v[8:9], v[1:2], v[8:9]
	s_waitcnt vmcnt(0)
	v_fma_f64 v[1:2], v[1:2], v[10:11], -v[12:13]
	v_fma_f64 v[3:4], v[3:4], v[10:11], v[8:9]
.LBB28_314:
	s_mov_b32 s8, exec_lo
	v_cmpx_ne_u32_e32 11, v0
	s_cbranch_execz .LBB28_318
; %bb.315:
	v_add_nc_u32_e32 v8, 0x1e0, v87
	v_add3_u32 v9, 0, v87, 16
	v_mov_b32_e32 v10, v0
	s_mov_b32 s36, 0
	.p2align	6
.LBB28_316:                             ; =>This Inner Loop Header: Depth=1
	s_clause 0x3
	buffer_load_dword v15, v9, s[0:3], 0 offen offset:8
	buffer_load_dword v16, v9, s[0:3], 0 offen offset:12
	buffer_load_dword v17, v9, s[0:3], 0 offen
	buffer_load_dword v18, v9, s[0:3], 0 offen offset:4
	ds_read_b128 v[11:14], v8
	v_add_nc_u32_e32 v10, 1, v10
	v_add_nc_u32_e32 v8, 16, v8
	;; [unrolled: 1-line block ×3, first 2 shown]
	v_cmp_lt_u32_e32 vcc_lo, 10, v10
	s_or_b32 s36, vcc_lo, s36
	s_waitcnt vmcnt(2) lgkmcnt(0)
	v_mul_f64 v[19:20], v[13:14], v[15:16]
	v_mul_f64 v[15:16], v[11:12], v[15:16]
	s_waitcnt vmcnt(0)
	v_fma_f64 v[11:12], v[11:12], v[17:18], -v[19:20]
	v_fma_f64 v[13:14], v[13:14], v[17:18], v[15:16]
	v_add_f64 v[1:2], v[1:2], v[11:12]
	v_add_f64 v[3:4], v[3:4], v[13:14]
	s_andn2_b32 exec_lo, exec_lo, s36
	s_cbranch_execnz .LBB28_316
; %bb.317:
	s_or_b32 exec_lo, exec_lo, s36
.LBB28_318:
	s_or_b32 exec_lo, exec_lo, s8
	v_mov_b32_e32 v8, 0
	ds_read_b128 v[8:11], v8 offset:192
	s_waitcnt lgkmcnt(0)
	v_mul_f64 v[12:13], v[3:4], v[10:11]
	v_mul_f64 v[10:11], v[1:2], v[10:11]
	v_fma_f64 v[1:2], v[1:2], v[8:9], -v[12:13]
	v_fma_f64 v[3:4], v[3:4], v[8:9], v[10:11]
	buffer_store_dword v2, off, s[0:3], 0 offset:196
	buffer_store_dword v1, off, s[0:3], 0 offset:192
	;; [unrolled: 1-line block ×4, first 2 shown]
.LBB28_319:
	s_or_b32 exec_lo, exec_lo, s4
	v_mov_b32_e32 v4, s22
	s_mov_b32 s4, exec_lo
	s_clause 0x3
	buffer_load_dword v1, v4, s[0:3], 0 offen
	buffer_load_dword v2, v4, s[0:3], 0 offen offset:4
	buffer_load_dword v3, v4, s[0:3], 0 offen offset:8
	;; [unrolled: 1-line block ×3, first 2 shown]
	s_waitcnt vmcnt(0)
	ds_write_b128 v6, v[1:4]
	s_waitcnt lgkmcnt(0)
	s_waitcnt_vscnt null, 0x0
	s_barrier
	buffer_gl0_inv
	v_cmpx_gt_u32_e32 13, v0
	s_cbranch_execz .LBB28_327
; %bb.320:
	ds_read_b128 v[1:4], v6
	v_cmp_ne_u32_e32 vcc_lo, 1, v7
	s_cbranch_vccnz .LBB28_322
; %bb.321:
	s_clause 0x3
	buffer_load_dword v8, v5, s[0:3], 0 offen offset:8
	buffer_load_dword v9, v5, s[0:3], 0 offen offset:12
	buffer_load_dword v10, v5, s[0:3], 0 offen
	buffer_load_dword v11, v5, s[0:3], 0 offen offset:4
	s_waitcnt vmcnt(2) lgkmcnt(0)
	v_mul_f64 v[12:13], v[3:4], v[8:9]
	v_mul_f64 v[8:9], v[1:2], v[8:9]
	s_waitcnt vmcnt(0)
	v_fma_f64 v[1:2], v[1:2], v[10:11], -v[12:13]
	v_fma_f64 v[3:4], v[3:4], v[10:11], v[8:9]
.LBB28_322:
	s_mov_b32 s8, exec_lo
	v_cmpx_ne_u32_e32 12, v0
	s_cbranch_execz .LBB28_326
; %bb.323:
	v_add_nc_u32_e32 v8, 0x1e0, v87
	v_add3_u32 v9, 0, v87, 16
	v_mov_b32_e32 v10, v0
	s_mov_b32 s36, 0
	.p2align	6
.LBB28_324:                             ; =>This Inner Loop Header: Depth=1
	s_clause 0x3
	buffer_load_dword v15, v9, s[0:3], 0 offen offset:8
	buffer_load_dword v16, v9, s[0:3], 0 offen offset:12
	buffer_load_dword v17, v9, s[0:3], 0 offen
	buffer_load_dword v18, v9, s[0:3], 0 offen offset:4
	ds_read_b128 v[11:14], v8
	v_add_nc_u32_e32 v10, 1, v10
	v_add_nc_u32_e32 v8, 16, v8
	;; [unrolled: 1-line block ×3, first 2 shown]
	v_cmp_lt_u32_e32 vcc_lo, 11, v10
	s_or_b32 s36, vcc_lo, s36
	s_waitcnt vmcnt(2) lgkmcnt(0)
	v_mul_f64 v[19:20], v[13:14], v[15:16]
	v_mul_f64 v[15:16], v[11:12], v[15:16]
	s_waitcnt vmcnt(0)
	v_fma_f64 v[11:12], v[11:12], v[17:18], -v[19:20]
	v_fma_f64 v[13:14], v[13:14], v[17:18], v[15:16]
	v_add_f64 v[1:2], v[1:2], v[11:12]
	v_add_f64 v[3:4], v[3:4], v[13:14]
	s_andn2_b32 exec_lo, exec_lo, s36
	s_cbranch_execnz .LBB28_324
; %bb.325:
	s_or_b32 exec_lo, exec_lo, s36
.LBB28_326:
	s_or_b32 exec_lo, exec_lo, s8
	v_mov_b32_e32 v8, 0
	ds_read_b128 v[8:11], v8 offset:208
	s_waitcnt lgkmcnt(0)
	v_mul_f64 v[12:13], v[3:4], v[10:11]
	v_mul_f64 v[10:11], v[1:2], v[10:11]
	v_fma_f64 v[1:2], v[1:2], v[8:9], -v[12:13]
	v_fma_f64 v[3:4], v[3:4], v[8:9], v[10:11]
	buffer_store_dword v2, off, s[0:3], 0 offset:212
	buffer_store_dword v1, off, s[0:3], 0 offset:208
	;; [unrolled: 1-line block ×4, first 2 shown]
.LBB28_327:
	s_or_b32 exec_lo, exec_lo, s4
	v_mov_b32_e32 v4, s21
	s_mov_b32 s4, exec_lo
	s_clause 0x3
	buffer_load_dword v1, v4, s[0:3], 0 offen
	buffer_load_dword v2, v4, s[0:3], 0 offen offset:4
	buffer_load_dword v3, v4, s[0:3], 0 offen offset:8
	;; [unrolled: 1-line block ×3, first 2 shown]
	s_waitcnt vmcnt(0)
	ds_write_b128 v6, v[1:4]
	s_waitcnt lgkmcnt(0)
	s_waitcnt_vscnt null, 0x0
	s_barrier
	buffer_gl0_inv
	v_cmpx_gt_u32_e32 14, v0
	s_cbranch_execz .LBB28_335
; %bb.328:
	ds_read_b128 v[1:4], v6
	v_cmp_ne_u32_e32 vcc_lo, 1, v7
	s_cbranch_vccnz .LBB28_330
; %bb.329:
	s_clause 0x3
	buffer_load_dword v8, v5, s[0:3], 0 offen offset:8
	buffer_load_dword v9, v5, s[0:3], 0 offen offset:12
	buffer_load_dword v10, v5, s[0:3], 0 offen
	buffer_load_dword v11, v5, s[0:3], 0 offen offset:4
	s_waitcnt vmcnt(2) lgkmcnt(0)
	v_mul_f64 v[12:13], v[3:4], v[8:9]
	v_mul_f64 v[8:9], v[1:2], v[8:9]
	s_waitcnt vmcnt(0)
	v_fma_f64 v[1:2], v[1:2], v[10:11], -v[12:13]
	v_fma_f64 v[3:4], v[3:4], v[10:11], v[8:9]
.LBB28_330:
	s_mov_b32 s8, exec_lo
	v_cmpx_ne_u32_e32 13, v0
	s_cbranch_execz .LBB28_334
; %bb.331:
	v_add_nc_u32_e32 v8, 0x1e0, v87
	v_add3_u32 v9, 0, v87, 16
	v_mov_b32_e32 v10, v0
	s_mov_b32 s36, 0
	.p2align	6
.LBB28_332:                             ; =>This Inner Loop Header: Depth=1
	s_clause 0x3
	buffer_load_dword v15, v9, s[0:3], 0 offen offset:8
	buffer_load_dword v16, v9, s[0:3], 0 offen offset:12
	buffer_load_dword v17, v9, s[0:3], 0 offen
	buffer_load_dword v18, v9, s[0:3], 0 offen offset:4
	ds_read_b128 v[11:14], v8
	v_add_nc_u32_e32 v10, 1, v10
	v_add_nc_u32_e32 v8, 16, v8
	v_add_nc_u32_e32 v9, 16, v9
	v_cmp_lt_u32_e32 vcc_lo, 12, v10
	s_or_b32 s36, vcc_lo, s36
	s_waitcnt vmcnt(2) lgkmcnt(0)
	v_mul_f64 v[19:20], v[13:14], v[15:16]
	v_mul_f64 v[15:16], v[11:12], v[15:16]
	s_waitcnt vmcnt(0)
	v_fma_f64 v[11:12], v[11:12], v[17:18], -v[19:20]
	v_fma_f64 v[13:14], v[13:14], v[17:18], v[15:16]
	v_add_f64 v[1:2], v[1:2], v[11:12]
	v_add_f64 v[3:4], v[3:4], v[13:14]
	s_andn2_b32 exec_lo, exec_lo, s36
	s_cbranch_execnz .LBB28_332
; %bb.333:
	s_or_b32 exec_lo, exec_lo, s36
.LBB28_334:
	s_or_b32 exec_lo, exec_lo, s8
	v_mov_b32_e32 v8, 0
	ds_read_b128 v[8:11], v8 offset:224
	s_waitcnt lgkmcnt(0)
	v_mul_f64 v[12:13], v[3:4], v[10:11]
	v_mul_f64 v[10:11], v[1:2], v[10:11]
	v_fma_f64 v[1:2], v[1:2], v[8:9], -v[12:13]
	v_fma_f64 v[3:4], v[3:4], v[8:9], v[10:11]
	buffer_store_dword v2, off, s[0:3], 0 offset:228
	buffer_store_dword v1, off, s[0:3], 0 offset:224
	;; [unrolled: 1-line block ×4, first 2 shown]
.LBB28_335:
	s_or_b32 exec_lo, exec_lo, s4
	v_mov_b32_e32 v4, s20
	s_mov_b32 s4, exec_lo
	s_clause 0x3
	buffer_load_dword v1, v4, s[0:3], 0 offen
	buffer_load_dword v2, v4, s[0:3], 0 offen offset:4
	buffer_load_dword v3, v4, s[0:3], 0 offen offset:8
	;; [unrolled: 1-line block ×3, first 2 shown]
	s_waitcnt vmcnt(0)
	ds_write_b128 v6, v[1:4]
	s_waitcnt lgkmcnt(0)
	s_waitcnt_vscnt null, 0x0
	s_barrier
	buffer_gl0_inv
	v_cmpx_gt_u32_e32 15, v0
	s_cbranch_execz .LBB28_343
; %bb.336:
	ds_read_b128 v[1:4], v6
	v_cmp_ne_u32_e32 vcc_lo, 1, v7
	s_cbranch_vccnz .LBB28_338
; %bb.337:
	s_clause 0x3
	buffer_load_dword v8, v5, s[0:3], 0 offen offset:8
	buffer_load_dword v9, v5, s[0:3], 0 offen offset:12
	buffer_load_dword v10, v5, s[0:3], 0 offen
	buffer_load_dword v11, v5, s[0:3], 0 offen offset:4
	s_waitcnt vmcnt(2) lgkmcnt(0)
	v_mul_f64 v[12:13], v[3:4], v[8:9]
	v_mul_f64 v[8:9], v[1:2], v[8:9]
	s_waitcnt vmcnt(0)
	v_fma_f64 v[1:2], v[1:2], v[10:11], -v[12:13]
	v_fma_f64 v[3:4], v[3:4], v[10:11], v[8:9]
.LBB28_338:
	s_mov_b32 s8, exec_lo
	v_cmpx_ne_u32_e32 14, v0
	s_cbranch_execz .LBB28_342
; %bb.339:
	v_add_nc_u32_e32 v8, 0x1e0, v87
	v_add3_u32 v9, 0, v87, 16
	v_mov_b32_e32 v10, v0
	s_mov_b32 s36, 0
	.p2align	6
.LBB28_340:                             ; =>This Inner Loop Header: Depth=1
	s_clause 0x3
	buffer_load_dword v15, v9, s[0:3], 0 offen offset:8
	buffer_load_dword v16, v9, s[0:3], 0 offen offset:12
	buffer_load_dword v17, v9, s[0:3], 0 offen
	buffer_load_dword v18, v9, s[0:3], 0 offen offset:4
	ds_read_b128 v[11:14], v8
	v_add_nc_u32_e32 v10, 1, v10
	v_add_nc_u32_e32 v8, 16, v8
	v_add_nc_u32_e32 v9, 16, v9
	v_cmp_lt_u32_e32 vcc_lo, 13, v10
	s_or_b32 s36, vcc_lo, s36
	s_waitcnt vmcnt(2) lgkmcnt(0)
	v_mul_f64 v[19:20], v[13:14], v[15:16]
	v_mul_f64 v[15:16], v[11:12], v[15:16]
	s_waitcnt vmcnt(0)
	v_fma_f64 v[11:12], v[11:12], v[17:18], -v[19:20]
	v_fma_f64 v[13:14], v[13:14], v[17:18], v[15:16]
	v_add_f64 v[1:2], v[1:2], v[11:12]
	v_add_f64 v[3:4], v[3:4], v[13:14]
	s_andn2_b32 exec_lo, exec_lo, s36
	s_cbranch_execnz .LBB28_340
; %bb.341:
	s_or_b32 exec_lo, exec_lo, s36
.LBB28_342:
	s_or_b32 exec_lo, exec_lo, s8
	v_mov_b32_e32 v8, 0
	ds_read_b128 v[8:11], v8 offset:240
	s_waitcnt lgkmcnt(0)
	v_mul_f64 v[12:13], v[3:4], v[10:11]
	v_mul_f64 v[10:11], v[1:2], v[10:11]
	v_fma_f64 v[1:2], v[1:2], v[8:9], -v[12:13]
	v_fma_f64 v[3:4], v[3:4], v[8:9], v[10:11]
	buffer_store_dword v2, off, s[0:3], 0 offset:244
	buffer_store_dword v1, off, s[0:3], 0 offset:240
	;; [unrolled: 1-line block ×4, first 2 shown]
.LBB28_343:
	s_or_b32 exec_lo, exec_lo, s4
	v_mov_b32_e32 v4, s19
	s_mov_b32 s4, exec_lo
	s_clause 0x3
	buffer_load_dword v1, v4, s[0:3], 0 offen
	buffer_load_dword v2, v4, s[0:3], 0 offen offset:4
	buffer_load_dword v3, v4, s[0:3], 0 offen offset:8
	buffer_load_dword v4, v4, s[0:3], 0 offen offset:12
	s_waitcnt vmcnt(0)
	ds_write_b128 v6, v[1:4]
	s_waitcnt lgkmcnt(0)
	s_waitcnt_vscnt null, 0x0
	s_barrier
	buffer_gl0_inv
	v_cmpx_gt_u32_e32 16, v0
	s_cbranch_execz .LBB28_351
; %bb.344:
	ds_read_b128 v[1:4], v6
	v_cmp_ne_u32_e32 vcc_lo, 1, v7
	s_cbranch_vccnz .LBB28_346
; %bb.345:
	s_clause 0x3
	buffer_load_dword v8, v5, s[0:3], 0 offen offset:8
	buffer_load_dword v9, v5, s[0:3], 0 offen offset:12
	buffer_load_dword v10, v5, s[0:3], 0 offen
	buffer_load_dword v11, v5, s[0:3], 0 offen offset:4
	s_waitcnt vmcnt(2) lgkmcnt(0)
	v_mul_f64 v[12:13], v[3:4], v[8:9]
	v_mul_f64 v[8:9], v[1:2], v[8:9]
	s_waitcnt vmcnt(0)
	v_fma_f64 v[1:2], v[1:2], v[10:11], -v[12:13]
	v_fma_f64 v[3:4], v[3:4], v[10:11], v[8:9]
.LBB28_346:
	s_mov_b32 s8, exec_lo
	v_cmpx_ne_u32_e32 15, v0
	s_cbranch_execz .LBB28_350
; %bb.347:
	v_add_nc_u32_e32 v8, 0x1e0, v87
	v_add3_u32 v9, 0, v87, 16
	v_mov_b32_e32 v10, v0
	s_mov_b32 s36, 0
	.p2align	6
.LBB28_348:                             ; =>This Inner Loop Header: Depth=1
	s_clause 0x3
	buffer_load_dword v15, v9, s[0:3], 0 offen offset:8
	buffer_load_dword v16, v9, s[0:3], 0 offen offset:12
	buffer_load_dword v17, v9, s[0:3], 0 offen
	buffer_load_dword v18, v9, s[0:3], 0 offen offset:4
	ds_read_b128 v[11:14], v8
	v_add_nc_u32_e32 v10, 1, v10
	v_add_nc_u32_e32 v8, 16, v8
	;; [unrolled: 1-line block ×3, first 2 shown]
	v_cmp_lt_u32_e32 vcc_lo, 14, v10
	s_or_b32 s36, vcc_lo, s36
	s_waitcnt vmcnt(2) lgkmcnt(0)
	v_mul_f64 v[19:20], v[13:14], v[15:16]
	v_mul_f64 v[15:16], v[11:12], v[15:16]
	s_waitcnt vmcnt(0)
	v_fma_f64 v[11:12], v[11:12], v[17:18], -v[19:20]
	v_fma_f64 v[13:14], v[13:14], v[17:18], v[15:16]
	v_add_f64 v[1:2], v[1:2], v[11:12]
	v_add_f64 v[3:4], v[3:4], v[13:14]
	s_andn2_b32 exec_lo, exec_lo, s36
	s_cbranch_execnz .LBB28_348
; %bb.349:
	s_or_b32 exec_lo, exec_lo, s36
.LBB28_350:
	s_or_b32 exec_lo, exec_lo, s8
	v_mov_b32_e32 v8, 0
	ds_read_b128 v[8:11], v8 offset:256
	s_waitcnt lgkmcnt(0)
	v_mul_f64 v[12:13], v[3:4], v[10:11]
	v_mul_f64 v[10:11], v[1:2], v[10:11]
	v_fma_f64 v[1:2], v[1:2], v[8:9], -v[12:13]
	v_fma_f64 v[3:4], v[3:4], v[8:9], v[10:11]
	buffer_store_dword v2, off, s[0:3], 0 offset:260
	buffer_store_dword v1, off, s[0:3], 0 offset:256
	;; [unrolled: 1-line block ×4, first 2 shown]
.LBB28_351:
	s_or_b32 exec_lo, exec_lo, s4
	v_mov_b32_e32 v4, s18
	s_mov_b32 s4, exec_lo
	s_clause 0x3
	buffer_load_dword v1, v4, s[0:3], 0 offen
	buffer_load_dword v2, v4, s[0:3], 0 offen offset:4
	buffer_load_dword v3, v4, s[0:3], 0 offen offset:8
	;; [unrolled: 1-line block ×3, first 2 shown]
	s_waitcnt vmcnt(0)
	ds_write_b128 v6, v[1:4]
	s_waitcnt lgkmcnt(0)
	s_waitcnt_vscnt null, 0x0
	s_barrier
	buffer_gl0_inv
	v_cmpx_gt_u32_e32 17, v0
	s_cbranch_execz .LBB28_359
; %bb.352:
	ds_read_b128 v[1:4], v6
	v_cmp_ne_u32_e32 vcc_lo, 1, v7
	s_cbranch_vccnz .LBB28_354
; %bb.353:
	s_clause 0x3
	buffer_load_dword v8, v5, s[0:3], 0 offen offset:8
	buffer_load_dword v9, v5, s[0:3], 0 offen offset:12
	buffer_load_dword v10, v5, s[0:3], 0 offen
	buffer_load_dword v11, v5, s[0:3], 0 offen offset:4
	s_waitcnt vmcnt(2) lgkmcnt(0)
	v_mul_f64 v[12:13], v[3:4], v[8:9]
	v_mul_f64 v[8:9], v[1:2], v[8:9]
	s_waitcnt vmcnt(0)
	v_fma_f64 v[1:2], v[1:2], v[10:11], -v[12:13]
	v_fma_f64 v[3:4], v[3:4], v[10:11], v[8:9]
.LBB28_354:
	s_mov_b32 s8, exec_lo
	v_cmpx_ne_u32_e32 16, v0
	s_cbranch_execz .LBB28_358
; %bb.355:
	v_add_nc_u32_e32 v8, 0x1e0, v87
	v_add3_u32 v9, 0, v87, 16
	v_mov_b32_e32 v10, v0
	s_mov_b32 s36, 0
	.p2align	6
.LBB28_356:                             ; =>This Inner Loop Header: Depth=1
	s_clause 0x3
	buffer_load_dword v15, v9, s[0:3], 0 offen offset:8
	buffer_load_dword v16, v9, s[0:3], 0 offen offset:12
	buffer_load_dword v17, v9, s[0:3], 0 offen
	buffer_load_dword v18, v9, s[0:3], 0 offen offset:4
	ds_read_b128 v[11:14], v8
	v_add_nc_u32_e32 v10, 1, v10
	v_add_nc_u32_e32 v8, 16, v8
	v_add_nc_u32_e32 v9, 16, v9
	v_cmp_lt_u32_e32 vcc_lo, 15, v10
	s_or_b32 s36, vcc_lo, s36
	s_waitcnt vmcnt(2) lgkmcnt(0)
	v_mul_f64 v[19:20], v[13:14], v[15:16]
	v_mul_f64 v[15:16], v[11:12], v[15:16]
	s_waitcnt vmcnt(0)
	v_fma_f64 v[11:12], v[11:12], v[17:18], -v[19:20]
	v_fma_f64 v[13:14], v[13:14], v[17:18], v[15:16]
	v_add_f64 v[1:2], v[1:2], v[11:12]
	v_add_f64 v[3:4], v[3:4], v[13:14]
	s_andn2_b32 exec_lo, exec_lo, s36
	s_cbranch_execnz .LBB28_356
; %bb.357:
	s_or_b32 exec_lo, exec_lo, s36
.LBB28_358:
	s_or_b32 exec_lo, exec_lo, s8
	v_mov_b32_e32 v8, 0
	ds_read_b128 v[8:11], v8 offset:272
	s_waitcnt lgkmcnt(0)
	v_mul_f64 v[12:13], v[3:4], v[10:11]
	v_mul_f64 v[10:11], v[1:2], v[10:11]
	v_fma_f64 v[1:2], v[1:2], v[8:9], -v[12:13]
	v_fma_f64 v[3:4], v[3:4], v[8:9], v[10:11]
	buffer_store_dword v2, off, s[0:3], 0 offset:276
	buffer_store_dword v1, off, s[0:3], 0 offset:272
	;; [unrolled: 1-line block ×4, first 2 shown]
.LBB28_359:
	s_or_b32 exec_lo, exec_lo, s4
	v_mov_b32_e32 v4, s17
	s_mov_b32 s4, exec_lo
	s_clause 0x3
	buffer_load_dword v1, v4, s[0:3], 0 offen
	buffer_load_dword v2, v4, s[0:3], 0 offen offset:4
	buffer_load_dword v3, v4, s[0:3], 0 offen offset:8
	;; [unrolled: 1-line block ×3, first 2 shown]
	s_waitcnt vmcnt(0)
	ds_write_b128 v6, v[1:4]
	s_waitcnt lgkmcnt(0)
	s_waitcnt_vscnt null, 0x0
	s_barrier
	buffer_gl0_inv
	v_cmpx_gt_u32_e32 18, v0
	s_cbranch_execz .LBB28_367
; %bb.360:
	ds_read_b128 v[1:4], v6
	v_cmp_ne_u32_e32 vcc_lo, 1, v7
	s_cbranch_vccnz .LBB28_362
; %bb.361:
	s_clause 0x3
	buffer_load_dword v8, v5, s[0:3], 0 offen offset:8
	buffer_load_dword v9, v5, s[0:3], 0 offen offset:12
	buffer_load_dword v10, v5, s[0:3], 0 offen
	buffer_load_dword v11, v5, s[0:3], 0 offen offset:4
	s_waitcnt vmcnt(2) lgkmcnt(0)
	v_mul_f64 v[12:13], v[3:4], v[8:9]
	v_mul_f64 v[8:9], v[1:2], v[8:9]
	s_waitcnt vmcnt(0)
	v_fma_f64 v[1:2], v[1:2], v[10:11], -v[12:13]
	v_fma_f64 v[3:4], v[3:4], v[10:11], v[8:9]
.LBB28_362:
	s_mov_b32 s8, exec_lo
	v_cmpx_ne_u32_e32 17, v0
	s_cbranch_execz .LBB28_366
; %bb.363:
	v_add_nc_u32_e32 v8, 0x1e0, v87
	v_add3_u32 v9, 0, v87, 16
	v_mov_b32_e32 v10, v0
	s_mov_b32 s36, 0
	.p2align	6
.LBB28_364:                             ; =>This Inner Loop Header: Depth=1
	s_clause 0x3
	buffer_load_dword v15, v9, s[0:3], 0 offen offset:8
	buffer_load_dword v16, v9, s[0:3], 0 offen offset:12
	buffer_load_dword v17, v9, s[0:3], 0 offen
	buffer_load_dword v18, v9, s[0:3], 0 offen offset:4
	ds_read_b128 v[11:14], v8
	v_add_nc_u32_e32 v10, 1, v10
	v_add_nc_u32_e32 v8, 16, v8
	;; [unrolled: 1-line block ×3, first 2 shown]
	v_cmp_lt_u32_e32 vcc_lo, 16, v10
	s_or_b32 s36, vcc_lo, s36
	s_waitcnt vmcnt(2) lgkmcnt(0)
	v_mul_f64 v[19:20], v[13:14], v[15:16]
	v_mul_f64 v[15:16], v[11:12], v[15:16]
	s_waitcnt vmcnt(0)
	v_fma_f64 v[11:12], v[11:12], v[17:18], -v[19:20]
	v_fma_f64 v[13:14], v[13:14], v[17:18], v[15:16]
	v_add_f64 v[1:2], v[1:2], v[11:12]
	v_add_f64 v[3:4], v[3:4], v[13:14]
	s_andn2_b32 exec_lo, exec_lo, s36
	s_cbranch_execnz .LBB28_364
; %bb.365:
	s_or_b32 exec_lo, exec_lo, s36
.LBB28_366:
	s_or_b32 exec_lo, exec_lo, s8
	v_mov_b32_e32 v8, 0
	ds_read_b128 v[8:11], v8 offset:288
	s_waitcnt lgkmcnt(0)
	v_mul_f64 v[12:13], v[3:4], v[10:11]
	v_mul_f64 v[10:11], v[1:2], v[10:11]
	v_fma_f64 v[1:2], v[1:2], v[8:9], -v[12:13]
	v_fma_f64 v[3:4], v[3:4], v[8:9], v[10:11]
	buffer_store_dword v2, off, s[0:3], 0 offset:292
	buffer_store_dword v1, off, s[0:3], 0 offset:288
	;; [unrolled: 1-line block ×4, first 2 shown]
.LBB28_367:
	s_or_b32 exec_lo, exec_lo, s4
	v_mov_b32_e32 v4, s16
	s_mov_b32 s4, exec_lo
	s_clause 0x3
	buffer_load_dword v1, v4, s[0:3], 0 offen
	buffer_load_dword v2, v4, s[0:3], 0 offen offset:4
	buffer_load_dword v3, v4, s[0:3], 0 offen offset:8
	;; [unrolled: 1-line block ×3, first 2 shown]
	s_waitcnt vmcnt(0)
	ds_write_b128 v6, v[1:4]
	s_waitcnt lgkmcnt(0)
	s_waitcnt_vscnt null, 0x0
	s_barrier
	buffer_gl0_inv
	v_cmpx_gt_u32_e32 19, v0
	s_cbranch_execz .LBB28_375
; %bb.368:
	ds_read_b128 v[1:4], v6
	v_cmp_ne_u32_e32 vcc_lo, 1, v7
	s_cbranch_vccnz .LBB28_370
; %bb.369:
	s_clause 0x3
	buffer_load_dword v8, v5, s[0:3], 0 offen offset:8
	buffer_load_dword v9, v5, s[0:3], 0 offen offset:12
	buffer_load_dword v10, v5, s[0:3], 0 offen
	buffer_load_dword v11, v5, s[0:3], 0 offen offset:4
	s_waitcnt vmcnt(2) lgkmcnt(0)
	v_mul_f64 v[12:13], v[3:4], v[8:9]
	v_mul_f64 v[8:9], v[1:2], v[8:9]
	s_waitcnt vmcnt(0)
	v_fma_f64 v[1:2], v[1:2], v[10:11], -v[12:13]
	v_fma_f64 v[3:4], v[3:4], v[10:11], v[8:9]
.LBB28_370:
	s_mov_b32 s8, exec_lo
	v_cmpx_ne_u32_e32 18, v0
	s_cbranch_execz .LBB28_374
; %bb.371:
	v_add_nc_u32_e32 v8, 0x1e0, v87
	v_add3_u32 v9, 0, v87, 16
	v_mov_b32_e32 v10, v0
	s_mov_b32 s36, 0
	.p2align	6
.LBB28_372:                             ; =>This Inner Loop Header: Depth=1
	s_clause 0x3
	buffer_load_dword v15, v9, s[0:3], 0 offen offset:8
	buffer_load_dword v16, v9, s[0:3], 0 offen offset:12
	buffer_load_dword v17, v9, s[0:3], 0 offen
	buffer_load_dword v18, v9, s[0:3], 0 offen offset:4
	ds_read_b128 v[11:14], v8
	v_add_nc_u32_e32 v10, 1, v10
	v_add_nc_u32_e32 v8, 16, v8
	;; [unrolled: 1-line block ×3, first 2 shown]
	v_cmp_lt_u32_e32 vcc_lo, 17, v10
	s_or_b32 s36, vcc_lo, s36
	s_waitcnt vmcnt(2) lgkmcnt(0)
	v_mul_f64 v[19:20], v[13:14], v[15:16]
	v_mul_f64 v[15:16], v[11:12], v[15:16]
	s_waitcnt vmcnt(0)
	v_fma_f64 v[11:12], v[11:12], v[17:18], -v[19:20]
	v_fma_f64 v[13:14], v[13:14], v[17:18], v[15:16]
	v_add_f64 v[1:2], v[1:2], v[11:12]
	v_add_f64 v[3:4], v[3:4], v[13:14]
	s_andn2_b32 exec_lo, exec_lo, s36
	s_cbranch_execnz .LBB28_372
; %bb.373:
	s_or_b32 exec_lo, exec_lo, s36
.LBB28_374:
	s_or_b32 exec_lo, exec_lo, s8
	v_mov_b32_e32 v8, 0
	ds_read_b128 v[8:11], v8 offset:304
	s_waitcnt lgkmcnt(0)
	v_mul_f64 v[12:13], v[3:4], v[10:11]
	v_mul_f64 v[10:11], v[1:2], v[10:11]
	v_fma_f64 v[1:2], v[1:2], v[8:9], -v[12:13]
	v_fma_f64 v[3:4], v[3:4], v[8:9], v[10:11]
	buffer_store_dword v2, off, s[0:3], 0 offset:308
	buffer_store_dword v1, off, s[0:3], 0 offset:304
	;; [unrolled: 1-line block ×4, first 2 shown]
.LBB28_375:
	s_or_b32 exec_lo, exec_lo, s4
	v_mov_b32_e32 v4, s15
	s_mov_b32 s4, exec_lo
	s_clause 0x3
	buffer_load_dword v1, v4, s[0:3], 0 offen
	buffer_load_dword v2, v4, s[0:3], 0 offen offset:4
	buffer_load_dword v3, v4, s[0:3], 0 offen offset:8
	;; [unrolled: 1-line block ×3, first 2 shown]
	s_waitcnt vmcnt(0)
	ds_write_b128 v6, v[1:4]
	s_waitcnt lgkmcnt(0)
	s_waitcnt_vscnt null, 0x0
	s_barrier
	buffer_gl0_inv
	v_cmpx_gt_u32_e32 20, v0
	s_cbranch_execz .LBB28_383
; %bb.376:
	ds_read_b128 v[1:4], v6
	v_cmp_ne_u32_e32 vcc_lo, 1, v7
	s_cbranch_vccnz .LBB28_378
; %bb.377:
	s_clause 0x3
	buffer_load_dword v8, v5, s[0:3], 0 offen offset:8
	buffer_load_dword v9, v5, s[0:3], 0 offen offset:12
	buffer_load_dword v10, v5, s[0:3], 0 offen
	buffer_load_dword v11, v5, s[0:3], 0 offen offset:4
	s_waitcnt vmcnt(2) lgkmcnt(0)
	v_mul_f64 v[12:13], v[3:4], v[8:9]
	v_mul_f64 v[8:9], v[1:2], v[8:9]
	s_waitcnt vmcnt(0)
	v_fma_f64 v[1:2], v[1:2], v[10:11], -v[12:13]
	v_fma_f64 v[3:4], v[3:4], v[10:11], v[8:9]
.LBB28_378:
	s_mov_b32 s8, exec_lo
	v_cmpx_ne_u32_e32 19, v0
	s_cbranch_execz .LBB28_382
; %bb.379:
	v_add_nc_u32_e32 v8, 0x1e0, v87
	v_add3_u32 v9, 0, v87, 16
	v_mov_b32_e32 v10, v0
	s_mov_b32 s36, 0
	.p2align	6
.LBB28_380:                             ; =>This Inner Loop Header: Depth=1
	s_clause 0x3
	buffer_load_dword v15, v9, s[0:3], 0 offen offset:8
	buffer_load_dword v16, v9, s[0:3], 0 offen offset:12
	buffer_load_dword v17, v9, s[0:3], 0 offen
	buffer_load_dword v18, v9, s[0:3], 0 offen offset:4
	ds_read_b128 v[11:14], v8
	v_add_nc_u32_e32 v10, 1, v10
	v_add_nc_u32_e32 v8, 16, v8
	v_add_nc_u32_e32 v9, 16, v9
	v_cmp_lt_u32_e32 vcc_lo, 18, v10
	s_or_b32 s36, vcc_lo, s36
	s_waitcnt vmcnt(2) lgkmcnt(0)
	v_mul_f64 v[19:20], v[13:14], v[15:16]
	v_mul_f64 v[15:16], v[11:12], v[15:16]
	s_waitcnt vmcnt(0)
	v_fma_f64 v[11:12], v[11:12], v[17:18], -v[19:20]
	v_fma_f64 v[13:14], v[13:14], v[17:18], v[15:16]
	v_add_f64 v[1:2], v[1:2], v[11:12]
	v_add_f64 v[3:4], v[3:4], v[13:14]
	s_andn2_b32 exec_lo, exec_lo, s36
	s_cbranch_execnz .LBB28_380
; %bb.381:
	s_or_b32 exec_lo, exec_lo, s36
.LBB28_382:
	s_or_b32 exec_lo, exec_lo, s8
	v_mov_b32_e32 v8, 0
	ds_read_b128 v[8:11], v8 offset:320
	s_waitcnt lgkmcnt(0)
	v_mul_f64 v[12:13], v[3:4], v[10:11]
	v_mul_f64 v[10:11], v[1:2], v[10:11]
	v_fma_f64 v[1:2], v[1:2], v[8:9], -v[12:13]
	v_fma_f64 v[3:4], v[3:4], v[8:9], v[10:11]
	buffer_store_dword v2, off, s[0:3], 0 offset:324
	buffer_store_dword v1, off, s[0:3], 0 offset:320
	;; [unrolled: 1-line block ×4, first 2 shown]
.LBB28_383:
	s_or_b32 exec_lo, exec_lo, s4
	v_mov_b32_e32 v4, s14
	s_mov_b32 s4, exec_lo
	s_clause 0x3
	buffer_load_dword v1, v4, s[0:3], 0 offen
	buffer_load_dword v2, v4, s[0:3], 0 offen offset:4
	buffer_load_dword v3, v4, s[0:3], 0 offen offset:8
	;; [unrolled: 1-line block ×3, first 2 shown]
	s_waitcnt vmcnt(0)
	ds_write_b128 v6, v[1:4]
	s_waitcnt lgkmcnt(0)
	s_waitcnt_vscnt null, 0x0
	s_barrier
	buffer_gl0_inv
	v_cmpx_gt_u32_e32 21, v0
	s_cbranch_execz .LBB28_391
; %bb.384:
	ds_read_b128 v[1:4], v6
	v_cmp_ne_u32_e32 vcc_lo, 1, v7
	s_cbranch_vccnz .LBB28_386
; %bb.385:
	s_clause 0x3
	buffer_load_dword v8, v5, s[0:3], 0 offen offset:8
	buffer_load_dword v9, v5, s[0:3], 0 offen offset:12
	buffer_load_dword v10, v5, s[0:3], 0 offen
	buffer_load_dword v11, v5, s[0:3], 0 offen offset:4
	s_waitcnt vmcnt(2) lgkmcnt(0)
	v_mul_f64 v[12:13], v[3:4], v[8:9]
	v_mul_f64 v[8:9], v[1:2], v[8:9]
	s_waitcnt vmcnt(0)
	v_fma_f64 v[1:2], v[1:2], v[10:11], -v[12:13]
	v_fma_f64 v[3:4], v[3:4], v[10:11], v[8:9]
.LBB28_386:
	s_mov_b32 s8, exec_lo
	v_cmpx_ne_u32_e32 20, v0
	s_cbranch_execz .LBB28_390
; %bb.387:
	v_add_nc_u32_e32 v8, 0x1e0, v87
	v_add3_u32 v9, 0, v87, 16
	v_mov_b32_e32 v10, v0
	s_mov_b32 s36, 0
	.p2align	6
.LBB28_388:                             ; =>This Inner Loop Header: Depth=1
	s_clause 0x3
	buffer_load_dword v15, v9, s[0:3], 0 offen offset:8
	buffer_load_dword v16, v9, s[0:3], 0 offen offset:12
	buffer_load_dword v17, v9, s[0:3], 0 offen
	buffer_load_dword v18, v9, s[0:3], 0 offen offset:4
	ds_read_b128 v[11:14], v8
	v_add_nc_u32_e32 v10, 1, v10
	v_add_nc_u32_e32 v8, 16, v8
	;; [unrolled: 1-line block ×3, first 2 shown]
	v_cmp_lt_u32_e32 vcc_lo, 19, v10
	s_or_b32 s36, vcc_lo, s36
	s_waitcnt vmcnt(2) lgkmcnt(0)
	v_mul_f64 v[19:20], v[13:14], v[15:16]
	v_mul_f64 v[15:16], v[11:12], v[15:16]
	s_waitcnt vmcnt(0)
	v_fma_f64 v[11:12], v[11:12], v[17:18], -v[19:20]
	v_fma_f64 v[13:14], v[13:14], v[17:18], v[15:16]
	v_add_f64 v[1:2], v[1:2], v[11:12]
	v_add_f64 v[3:4], v[3:4], v[13:14]
	s_andn2_b32 exec_lo, exec_lo, s36
	s_cbranch_execnz .LBB28_388
; %bb.389:
	s_or_b32 exec_lo, exec_lo, s36
.LBB28_390:
	s_or_b32 exec_lo, exec_lo, s8
	v_mov_b32_e32 v8, 0
	ds_read_b128 v[8:11], v8 offset:336
	s_waitcnt lgkmcnt(0)
	v_mul_f64 v[12:13], v[3:4], v[10:11]
	v_mul_f64 v[10:11], v[1:2], v[10:11]
	v_fma_f64 v[1:2], v[1:2], v[8:9], -v[12:13]
	v_fma_f64 v[3:4], v[3:4], v[8:9], v[10:11]
	buffer_store_dword v2, off, s[0:3], 0 offset:340
	buffer_store_dword v1, off, s[0:3], 0 offset:336
	;; [unrolled: 1-line block ×4, first 2 shown]
.LBB28_391:
	s_or_b32 exec_lo, exec_lo, s4
	v_mov_b32_e32 v4, s13
	s_mov_b32 s4, exec_lo
	s_clause 0x3
	buffer_load_dword v1, v4, s[0:3], 0 offen
	buffer_load_dword v2, v4, s[0:3], 0 offen offset:4
	buffer_load_dword v3, v4, s[0:3], 0 offen offset:8
	;; [unrolled: 1-line block ×3, first 2 shown]
	s_waitcnt vmcnt(0)
	ds_write_b128 v6, v[1:4]
	s_waitcnt lgkmcnt(0)
	s_waitcnt_vscnt null, 0x0
	s_barrier
	buffer_gl0_inv
	v_cmpx_gt_u32_e32 22, v0
	s_cbranch_execz .LBB28_399
; %bb.392:
	ds_read_b128 v[1:4], v6
	v_cmp_ne_u32_e32 vcc_lo, 1, v7
	s_cbranch_vccnz .LBB28_394
; %bb.393:
	s_clause 0x3
	buffer_load_dword v8, v5, s[0:3], 0 offen offset:8
	buffer_load_dword v9, v5, s[0:3], 0 offen offset:12
	buffer_load_dword v10, v5, s[0:3], 0 offen
	buffer_load_dword v11, v5, s[0:3], 0 offen offset:4
	s_waitcnt vmcnt(2) lgkmcnt(0)
	v_mul_f64 v[12:13], v[3:4], v[8:9]
	v_mul_f64 v[8:9], v[1:2], v[8:9]
	s_waitcnt vmcnt(0)
	v_fma_f64 v[1:2], v[1:2], v[10:11], -v[12:13]
	v_fma_f64 v[3:4], v[3:4], v[10:11], v[8:9]
.LBB28_394:
	s_mov_b32 s8, exec_lo
	v_cmpx_ne_u32_e32 21, v0
	s_cbranch_execz .LBB28_398
; %bb.395:
	v_add_nc_u32_e32 v8, 0x1e0, v87
	v_add3_u32 v9, 0, v87, 16
	v_mov_b32_e32 v10, v0
	s_mov_b32 s36, 0
	.p2align	6
.LBB28_396:                             ; =>This Inner Loop Header: Depth=1
	s_clause 0x3
	buffer_load_dword v15, v9, s[0:3], 0 offen offset:8
	buffer_load_dword v16, v9, s[0:3], 0 offen offset:12
	buffer_load_dword v17, v9, s[0:3], 0 offen
	buffer_load_dword v18, v9, s[0:3], 0 offen offset:4
	ds_read_b128 v[11:14], v8
	v_add_nc_u32_e32 v10, 1, v10
	v_add_nc_u32_e32 v8, 16, v8
	v_add_nc_u32_e32 v9, 16, v9
	v_cmp_lt_u32_e32 vcc_lo, 20, v10
	s_or_b32 s36, vcc_lo, s36
	s_waitcnt vmcnt(2) lgkmcnt(0)
	v_mul_f64 v[19:20], v[13:14], v[15:16]
	v_mul_f64 v[15:16], v[11:12], v[15:16]
	s_waitcnt vmcnt(0)
	v_fma_f64 v[11:12], v[11:12], v[17:18], -v[19:20]
	v_fma_f64 v[13:14], v[13:14], v[17:18], v[15:16]
	v_add_f64 v[1:2], v[1:2], v[11:12]
	v_add_f64 v[3:4], v[3:4], v[13:14]
	s_andn2_b32 exec_lo, exec_lo, s36
	s_cbranch_execnz .LBB28_396
; %bb.397:
	s_or_b32 exec_lo, exec_lo, s36
.LBB28_398:
	s_or_b32 exec_lo, exec_lo, s8
	v_mov_b32_e32 v8, 0
	ds_read_b128 v[8:11], v8 offset:352
	s_waitcnt lgkmcnt(0)
	v_mul_f64 v[12:13], v[3:4], v[10:11]
	v_mul_f64 v[10:11], v[1:2], v[10:11]
	v_fma_f64 v[1:2], v[1:2], v[8:9], -v[12:13]
	v_fma_f64 v[3:4], v[3:4], v[8:9], v[10:11]
	buffer_store_dword v2, off, s[0:3], 0 offset:356
	buffer_store_dword v1, off, s[0:3], 0 offset:352
	;; [unrolled: 1-line block ×4, first 2 shown]
.LBB28_399:
	s_or_b32 exec_lo, exec_lo, s4
	v_mov_b32_e32 v4, s12
	s_mov_b32 s4, exec_lo
	s_clause 0x3
	buffer_load_dword v1, v4, s[0:3], 0 offen
	buffer_load_dword v2, v4, s[0:3], 0 offen offset:4
	buffer_load_dword v3, v4, s[0:3], 0 offen offset:8
	;; [unrolled: 1-line block ×3, first 2 shown]
	s_waitcnt vmcnt(0)
	ds_write_b128 v6, v[1:4]
	s_waitcnt lgkmcnt(0)
	s_waitcnt_vscnt null, 0x0
	s_barrier
	buffer_gl0_inv
	v_cmpx_gt_u32_e32 23, v0
	s_cbranch_execz .LBB28_407
; %bb.400:
	ds_read_b128 v[1:4], v6
	v_cmp_ne_u32_e32 vcc_lo, 1, v7
	s_cbranch_vccnz .LBB28_402
; %bb.401:
	s_clause 0x3
	buffer_load_dword v8, v5, s[0:3], 0 offen offset:8
	buffer_load_dword v9, v5, s[0:3], 0 offen offset:12
	buffer_load_dword v10, v5, s[0:3], 0 offen
	buffer_load_dword v11, v5, s[0:3], 0 offen offset:4
	s_waitcnt vmcnt(2) lgkmcnt(0)
	v_mul_f64 v[12:13], v[3:4], v[8:9]
	v_mul_f64 v[8:9], v[1:2], v[8:9]
	s_waitcnt vmcnt(0)
	v_fma_f64 v[1:2], v[1:2], v[10:11], -v[12:13]
	v_fma_f64 v[3:4], v[3:4], v[10:11], v[8:9]
.LBB28_402:
	s_mov_b32 s8, exec_lo
	v_cmpx_ne_u32_e32 22, v0
	s_cbranch_execz .LBB28_406
; %bb.403:
	v_add_nc_u32_e32 v8, 0x1e0, v87
	v_add3_u32 v9, 0, v87, 16
	v_mov_b32_e32 v10, v0
	s_mov_b32 s36, 0
	.p2align	6
.LBB28_404:                             ; =>This Inner Loop Header: Depth=1
	s_clause 0x3
	buffer_load_dword v15, v9, s[0:3], 0 offen offset:8
	buffer_load_dword v16, v9, s[0:3], 0 offen offset:12
	buffer_load_dword v17, v9, s[0:3], 0 offen
	buffer_load_dword v18, v9, s[0:3], 0 offen offset:4
	ds_read_b128 v[11:14], v8
	v_add_nc_u32_e32 v10, 1, v10
	v_add_nc_u32_e32 v8, 16, v8
	;; [unrolled: 1-line block ×3, first 2 shown]
	v_cmp_lt_u32_e32 vcc_lo, 21, v10
	s_or_b32 s36, vcc_lo, s36
	s_waitcnt vmcnt(2) lgkmcnt(0)
	v_mul_f64 v[19:20], v[13:14], v[15:16]
	v_mul_f64 v[15:16], v[11:12], v[15:16]
	s_waitcnt vmcnt(0)
	v_fma_f64 v[11:12], v[11:12], v[17:18], -v[19:20]
	v_fma_f64 v[13:14], v[13:14], v[17:18], v[15:16]
	v_add_f64 v[1:2], v[1:2], v[11:12]
	v_add_f64 v[3:4], v[3:4], v[13:14]
	s_andn2_b32 exec_lo, exec_lo, s36
	s_cbranch_execnz .LBB28_404
; %bb.405:
	s_or_b32 exec_lo, exec_lo, s36
.LBB28_406:
	s_or_b32 exec_lo, exec_lo, s8
	v_mov_b32_e32 v8, 0
	ds_read_b128 v[8:11], v8 offset:368
	s_waitcnt lgkmcnt(0)
	v_mul_f64 v[12:13], v[3:4], v[10:11]
	v_mul_f64 v[10:11], v[1:2], v[10:11]
	v_fma_f64 v[1:2], v[1:2], v[8:9], -v[12:13]
	v_fma_f64 v[3:4], v[3:4], v[8:9], v[10:11]
	buffer_store_dword v2, off, s[0:3], 0 offset:372
	buffer_store_dword v1, off, s[0:3], 0 offset:368
	;; [unrolled: 1-line block ×4, first 2 shown]
.LBB28_407:
	s_or_b32 exec_lo, exec_lo, s4
	v_mov_b32_e32 v4, s11
	s_mov_b32 s4, exec_lo
	s_clause 0x3
	buffer_load_dword v1, v4, s[0:3], 0 offen
	buffer_load_dword v2, v4, s[0:3], 0 offen offset:4
	buffer_load_dword v3, v4, s[0:3], 0 offen offset:8
	;; [unrolled: 1-line block ×3, first 2 shown]
	s_waitcnt vmcnt(0)
	ds_write_b128 v6, v[1:4]
	s_waitcnt lgkmcnt(0)
	s_waitcnt_vscnt null, 0x0
	s_barrier
	buffer_gl0_inv
	v_cmpx_gt_u32_e32 24, v0
	s_cbranch_execz .LBB28_415
; %bb.408:
	ds_read_b128 v[1:4], v6
	v_cmp_ne_u32_e32 vcc_lo, 1, v7
	s_cbranch_vccnz .LBB28_410
; %bb.409:
	s_clause 0x3
	buffer_load_dword v8, v5, s[0:3], 0 offen offset:8
	buffer_load_dword v9, v5, s[0:3], 0 offen offset:12
	buffer_load_dword v10, v5, s[0:3], 0 offen
	buffer_load_dword v11, v5, s[0:3], 0 offen offset:4
	s_waitcnt vmcnt(2) lgkmcnt(0)
	v_mul_f64 v[12:13], v[3:4], v[8:9]
	v_mul_f64 v[8:9], v[1:2], v[8:9]
	s_waitcnt vmcnt(0)
	v_fma_f64 v[1:2], v[1:2], v[10:11], -v[12:13]
	v_fma_f64 v[3:4], v[3:4], v[10:11], v[8:9]
.LBB28_410:
	s_mov_b32 s8, exec_lo
	v_cmpx_ne_u32_e32 23, v0
	s_cbranch_execz .LBB28_414
; %bb.411:
	v_add_nc_u32_e32 v8, 0x1e0, v87
	v_add3_u32 v9, 0, v87, 16
	v_mov_b32_e32 v10, v0
	s_mov_b32 s36, 0
	.p2align	6
.LBB28_412:                             ; =>This Inner Loop Header: Depth=1
	s_clause 0x3
	buffer_load_dword v15, v9, s[0:3], 0 offen offset:8
	buffer_load_dword v16, v9, s[0:3], 0 offen offset:12
	buffer_load_dword v17, v9, s[0:3], 0 offen
	buffer_load_dword v18, v9, s[0:3], 0 offen offset:4
	ds_read_b128 v[11:14], v8
	v_add_nc_u32_e32 v10, 1, v10
	v_add_nc_u32_e32 v8, 16, v8
	;; [unrolled: 1-line block ×3, first 2 shown]
	v_cmp_lt_u32_e32 vcc_lo, 22, v10
	s_or_b32 s36, vcc_lo, s36
	s_waitcnt vmcnt(2) lgkmcnt(0)
	v_mul_f64 v[19:20], v[13:14], v[15:16]
	v_mul_f64 v[15:16], v[11:12], v[15:16]
	s_waitcnt vmcnt(0)
	v_fma_f64 v[11:12], v[11:12], v[17:18], -v[19:20]
	v_fma_f64 v[13:14], v[13:14], v[17:18], v[15:16]
	v_add_f64 v[1:2], v[1:2], v[11:12]
	v_add_f64 v[3:4], v[3:4], v[13:14]
	s_andn2_b32 exec_lo, exec_lo, s36
	s_cbranch_execnz .LBB28_412
; %bb.413:
	s_or_b32 exec_lo, exec_lo, s36
.LBB28_414:
	s_or_b32 exec_lo, exec_lo, s8
	v_mov_b32_e32 v8, 0
	ds_read_b128 v[8:11], v8 offset:384
	s_waitcnt lgkmcnt(0)
	v_mul_f64 v[12:13], v[3:4], v[10:11]
	v_mul_f64 v[10:11], v[1:2], v[10:11]
	v_fma_f64 v[1:2], v[1:2], v[8:9], -v[12:13]
	v_fma_f64 v[3:4], v[3:4], v[8:9], v[10:11]
	buffer_store_dword v2, off, s[0:3], 0 offset:388
	buffer_store_dword v1, off, s[0:3], 0 offset:384
	;; [unrolled: 1-line block ×4, first 2 shown]
.LBB28_415:
	s_or_b32 exec_lo, exec_lo, s4
	v_mov_b32_e32 v4, s10
	s_mov_b32 s4, exec_lo
	s_clause 0x3
	buffer_load_dword v1, v4, s[0:3], 0 offen
	buffer_load_dword v2, v4, s[0:3], 0 offen offset:4
	buffer_load_dword v3, v4, s[0:3], 0 offen offset:8
	;; [unrolled: 1-line block ×3, first 2 shown]
	s_waitcnt vmcnt(0)
	ds_write_b128 v6, v[1:4]
	s_waitcnt lgkmcnt(0)
	s_waitcnt_vscnt null, 0x0
	s_barrier
	buffer_gl0_inv
	v_cmpx_gt_u32_e32 25, v0
	s_cbranch_execz .LBB28_423
; %bb.416:
	ds_read_b128 v[1:4], v6
	v_cmp_ne_u32_e32 vcc_lo, 1, v7
	s_cbranch_vccnz .LBB28_418
; %bb.417:
	s_clause 0x3
	buffer_load_dword v8, v5, s[0:3], 0 offen offset:8
	buffer_load_dword v9, v5, s[0:3], 0 offen offset:12
	buffer_load_dword v10, v5, s[0:3], 0 offen
	buffer_load_dword v11, v5, s[0:3], 0 offen offset:4
	s_waitcnt vmcnt(2) lgkmcnt(0)
	v_mul_f64 v[12:13], v[3:4], v[8:9]
	v_mul_f64 v[8:9], v[1:2], v[8:9]
	s_waitcnt vmcnt(0)
	v_fma_f64 v[1:2], v[1:2], v[10:11], -v[12:13]
	v_fma_f64 v[3:4], v[3:4], v[10:11], v[8:9]
.LBB28_418:
	s_mov_b32 s8, exec_lo
	v_cmpx_ne_u32_e32 24, v0
	s_cbranch_execz .LBB28_422
; %bb.419:
	v_add_nc_u32_e32 v8, 0x1e0, v87
	v_add3_u32 v9, 0, v87, 16
	v_mov_b32_e32 v10, v0
	s_mov_b32 s36, 0
	.p2align	6
.LBB28_420:                             ; =>This Inner Loop Header: Depth=1
	s_clause 0x3
	buffer_load_dword v15, v9, s[0:3], 0 offen offset:8
	buffer_load_dword v16, v9, s[0:3], 0 offen offset:12
	buffer_load_dword v17, v9, s[0:3], 0 offen
	buffer_load_dword v18, v9, s[0:3], 0 offen offset:4
	ds_read_b128 v[11:14], v8
	v_add_nc_u32_e32 v10, 1, v10
	v_add_nc_u32_e32 v8, 16, v8
	;; [unrolled: 1-line block ×3, first 2 shown]
	v_cmp_lt_u32_e32 vcc_lo, 23, v10
	s_or_b32 s36, vcc_lo, s36
	s_waitcnt vmcnt(2) lgkmcnt(0)
	v_mul_f64 v[19:20], v[13:14], v[15:16]
	v_mul_f64 v[15:16], v[11:12], v[15:16]
	s_waitcnt vmcnt(0)
	v_fma_f64 v[11:12], v[11:12], v[17:18], -v[19:20]
	v_fma_f64 v[13:14], v[13:14], v[17:18], v[15:16]
	v_add_f64 v[1:2], v[1:2], v[11:12]
	v_add_f64 v[3:4], v[3:4], v[13:14]
	s_andn2_b32 exec_lo, exec_lo, s36
	s_cbranch_execnz .LBB28_420
; %bb.421:
	s_or_b32 exec_lo, exec_lo, s36
.LBB28_422:
	s_or_b32 exec_lo, exec_lo, s8
	v_mov_b32_e32 v8, 0
	ds_read_b128 v[8:11], v8 offset:400
	s_waitcnt lgkmcnt(0)
	v_mul_f64 v[12:13], v[3:4], v[10:11]
	v_mul_f64 v[10:11], v[1:2], v[10:11]
	v_fma_f64 v[1:2], v[1:2], v[8:9], -v[12:13]
	v_fma_f64 v[3:4], v[3:4], v[8:9], v[10:11]
	buffer_store_dword v2, off, s[0:3], 0 offset:404
	buffer_store_dword v1, off, s[0:3], 0 offset:400
	;; [unrolled: 1-line block ×4, first 2 shown]
.LBB28_423:
	s_or_b32 exec_lo, exec_lo, s4
	v_mov_b32_e32 v4, s9
	s_mov_b32 s4, exec_lo
	s_clause 0x3
	buffer_load_dword v1, v4, s[0:3], 0 offen
	buffer_load_dword v2, v4, s[0:3], 0 offen offset:4
	buffer_load_dword v3, v4, s[0:3], 0 offen offset:8
	;; [unrolled: 1-line block ×3, first 2 shown]
	s_waitcnt vmcnt(0)
	ds_write_b128 v6, v[1:4]
	s_waitcnt lgkmcnt(0)
	s_waitcnt_vscnt null, 0x0
	s_barrier
	buffer_gl0_inv
	v_cmpx_gt_u32_e32 26, v0
	s_cbranch_execz .LBB28_431
; %bb.424:
	ds_read_b128 v[1:4], v6
	v_cmp_ne_u32_e32 vcc_lo, 1, v7
	s_cbranch_vccnz .LBB28_426
; %bb.425:
	s_clause 0x3
	buffer_load_dword v8, v5, s[0:3], 0 offen offset:8
	buffer_load_dword v9, v5, s[0:3], 0 offen offset:12
	buffer_load_dword v10, v5, s[0:3], 0 offen
	buffer_load_dword v11, v5, s[0:3], 0 offen offset:4
	s_waitcnt vmcnt(2) lgkmcnt(0)
	v_mul_f64 v[12:13], v[3:4], v[8:9]
	v_mul_f64 v[8:9], v[1:2], v[8:9]
	s_waitcnt vmcnt(0)
	v_fma_f64 v[1:2], v[1:2], v[10:11], -v[12:13]
	v_fma_f64 v[3:4], v[3:4], v[10:11], v[8:9]
.LBB28_426:
	s_mov_b32 s8, exec_lo
	v_cmpx_ne_u32_e32 25, v0
	s_cbranch_execz .LBB28_430
; %bb.427:
	v_add_nc_u32_e32 v8, 0x1e0, v87
	v_add3_u32 v9, 0, v87, 16
	v_mov_b32_e32 v10, v0
	s_mov_b32 s36, 0
	.p2align	6
.LBB28_428:                             ; =>This Inner Loop Header: Depth=1
	s_clause 0x3
	buffer_load_dword v15, v9, s[0:3], 0 offen offset:8
	buffer_load_dword v16, v9, s[0:3], 0 offen offset:12
	buffer_load_dword v17, v9, s[0:3], 0 offen
	buffer_load_dword v18, v9, s[0:3], 0 offen offset:4
	ds_read_b128 v[11:14], v8
	v_add_nc_u32_e32 v10, 1, v10
	v_add_nc_u32_e32 v8, 16, v8
	v_add_nc_u32_e32 v9, 16, v9
	v_cmp_lt_u32_e32 vcc_lo, 24, v10
	s_or_b32 s36, vcc_lo, s36
	s_waitcnt vmcnt(2) lgkmcnt(0)
	v_mul_f64 v[19:20], v[13:14], v[15:16]
	v_mul_f64 v[15:16], v[11:12], v[15:16]
	s_waitcnt vmcnt(0)
	v_fma_f64 v[11:12], v[11:12], v[17:18], -v[19:20]
	v_fma_f64 v[13:14], v[13:14], v[17:18], v[15:16]
	v_add_f64 v[1:2], v[1:2], v[11:12]
	v_add_f64 v[3:4], v[3:4], v[13:14]
	s_andn2_b32 exec_lo, exec_lo, s36
	s_cbranch_execnz .LBB28_428
; %bb.429:
	s_or_b32 exec_lo, exec_lo, s36
.LBB28_430:
	s_or_b32 exec_lo, exec_lo, s8
	v_mov_b32_e32 v8, 0
	ds_read_b128 v[8:11], v8 offset:416
	s_waitcnt lgkmcnt(0)
	v_mul_f64 v[12:13], v[3:4], v[10:11]
	v_mul_f64 v[10:11], v[1:2], v[10:11]
	v_fma_f64 v[1:2], v[1:2], v[8:9], -v[12:13]
	v_fma_f64 v[3:4], v[3:4], v[8:9], v[10:11]
	buffer_store_dword v2, off, s[0:3], 0 offset:420
	buffer_store_dword v1, off, s[0:3], 0 offset:416
	;; [unrolled: 1-line block ×4, first 2 shown]
.LBB28_431:
	s_or_b32 exec_lo, exec_lo, s4
	v_mov_b32_e32 v4, s7
	v_cmp_gt_u32_e64 s4, 27, v0
	s_clause 0x3
	buffer_load_dword v1, v4, s[0:3], 0 offen
	buffer_load_dword v2, v4, s[0:3], 0 offen offset:4
	buffer_load_dword v3, v4, s[0:3], 0 offen offset:8
	;; [unrolled: 1-line block ×3, first 2 shown]
	s_waitcnt vmcnt(0)
	ds_write_b128 v6, v[1:4]
	s_waitcnt lgkmcnt(0)
	s_waitcnt_vscnt null, 0x0
	s_barrier
	buffer_gl0_inv
	s_and_saveexec_b32 s8, s4
	s_cbranch_execz .LBB28_439
; %bb.432:
	ds_read_b128 v[1:4], v6
	v_cmp_ne_u32_e32 vcc_lo, 1, v7
	s_cbranch_vccnz .LBB28_434
; %bb.433:
	s_clause 0x3
	buffer_load_dword v8, v5, s[0:3], 0 offen offset:8
	buffer_load_dword v9, v5, s[0:3], 0 offen offset:12
	buffer_load_dword v10, v5, s[0:3], 0 offen
	buffer_load_dword v11, v5, s[0:3], 0 offen offset:4
	s_waitcnt vmcnt(2) lgkmcnt(0)
	v_mul_f64 v[12:13], v[3:4], v[8:9]
	v_mul_f64 v[8:9], v[1:2], v[8:9]
	s_waitcnt vmcnt(0)
	v_fma_f64 v[1:2], v[1:2], v[10:11], -v[12:13]
	v_fma_f64 v[3:4], v[3:4], v[10:11], v[8:9]
.LBB28_434:
	s_mov_b32 s36, exec_lo
	v_cmpx_ne_u32_e32 26, v0
	s_cbranch_execz .LBB28_438
; %bb.435:
	v_add_nc_u32_e32 v8, 0x1e0, v87
	v_add3_u32 v9, 0, v87, 16
	v_mov_b32_e32 v10, v0
	s_mov_b32 s37, 0
	.p2align	6
.LBB28_436:                             ; =>This Inner Loop Header: Depth=1
	s_clause 0x3
	buffer_load_dword v15, v9, s[0:3], 0 offen offset:8
	buffer_load_dword v16, v9, s[0:3], 0 offen offset:12
	buffer_load_dword v17, v9, s[0:3], 0 offen
	buffer_load_dword v18, v9, s[0:3], 0 offen offset:4
	ds_read_b128 v[11:14], v8
	v_add_nc_u32_e32 v10, 1, v10
	v_add_nc_u32_e32 v8, 16, v8
	;; [unrolled: 1-line block ×3, first 2 shown]
	v_cmp_lt_u32_e32 vcc_lo, 25, v10
	s_or_b32 s37, vcc_lo, s37
	s_waitcnt vmcnt(2) lgkmcnt(0)
	v_mul_f64 v[19:20], v[13:14], v[15:16]
	v_mul_f64 v[15:16], v[11:12], v[15:16]
	s_waitcnt vmcnt(0)
	v_fma_f64 v[11:12], v[11:12], v[17:18], -v[19:20]
	v_fma_f64 v[13:14], v[13:14], v[17:18], v[15:16]
	v_add_f64 v[1:2], v[1:2], v[11:12]
	v_add_f64 v[3:4], v[3:4], v[13:14]
	s_andn2_b32 exec_lo, exec_lo, s37
	s_cbranch_execnz .LBB28_436
; %bb.437:
	s_or_b32 exec_lo, exec_lo, s37
.LBB28_438:
	s_or_b32 exec_lo, exec_lo, s36
	v_mov_b32_e32 v8, 0
	ds_read_b128 v[8:11], v8 offset:432
	s_waitcnt lgkmcnt(0)
	v_mul_f64 v[12:13], v[3:4], v[10:11]
	v_mul_f64 v[10:11], v[1:2], v[10:11]
	v_fma_f64 v[1:2], v[1:2], v[8:9], -v[12:13]
	v_fma_f64 v[3:4], v[3:4], v[8:9], v[10:11]
	buffer_store_dword v2, off, s[0:3], 0 offset:436
	buffer_store_dword v1, off, s[0:3], 0 offset:432
	;; [unrolled: 1-line block ×4, first 2 shown]
.LBB28_439:
	s_or_b32 exec_lo, exec_lo, s8
	v_mov_b32_e32 v4, s6
	s_mov_b32 s8, exec_lo
                                        ; implicit-def: $sgpr38
	s_clause 0x3
	buffer_load_dword v1, v4, s[0:3], 0 offen
	buffer_load_dword v2, v4, s[0:3], 0 offen offset:4
	buffer_load_dword v3, v4, s[0:3], 0 offen offset:8
	;; [unrolled: 1-line block ×3, first 2 shown]
	s_waitcnt vmcnt(0)
	ds_write_b128 v6, v[1:4]
	s_waitcnt lgkmcnt(0)
	s_waitcnt_vscnt null, 0x0
	s_barrier
	buffer_gl0_inv
                                        ; implicit-def: $vgpr1_vgpr2
	v_cmpx_ne_u32_e32 28, v0
	s_cbranch_execz .LBB28_447
; %bb.440:
	ds_read_b128 v[1:4], v6
	v_cmp_ne_u32_e32 vcc_lo, 1, v7
	s_cbranch_vccnz .LBB28_442
; %bb.441:
	s_clause 0x3
	buffer_load_dword v6, v5, s[0:3], 0 offen offset:8
	buffer_load_dword v7, v5, s[0:3], 0 offen offset:12
	buffer_load_dword v8, v5, s[0:3], 0 offen
	buffer_load_dword v9, v5, s[0:3], 0 offen offset:4
	s_waitcnt vmcnt(2) lgkmcnt(0)
	v_mul_f64 v[10:11], v[3:4], v[6:7]
	v_mul_f64 v[5:6], v[1:2], v[6:7]
	s_waitcnt vmcnt(0)
	v_fma_f64 v[1:2], v[1:2], v[8:9], -v[10:11]
	v_fma_f64 v[3:4], v[3:4], v[8:9], v[5:6]
.LBB28_442:
	s_and_saveexec_b32 s36, s4
	s_cbranch_execz .LBB28_446
; %bb.443:
	v_add_nc_u32_e32 v5, 0x1e0, v87
	v_add3_u32 v6, 0, v87, 16
	s_mov_b32 s4, 0
	.p2align	6
.LBB28_444:                             ; =>This Inner Loop Header: Depth=1
	s_clause 0x3
	buffer_load_dword v11, v6, s[0:3], 0 offen offset:8
	buffer_load_dword v12, v6, s[0:3], 0 offen offset:12
	buffer_load_dword v13, v6, s[0:3], 0 offen
	buffer_load_dword v14, v6, s[0:3], 0 offen offset:4
	ds_read_b128 v[7:10], v5
	v_add_nc_u32_e32 v0, 1, v0
	v_add_nc_u32_e32 v5, 16, v5
	;; [unrolled: 1-line block ×3, first 2 shown]
	v_cmp_lt_u32_e32 vcc_lo, 26, v0
	s_or_b32 s4, vcc_lo, s4
	s_waitcnt vmcnt(2) lgkmcnt(0)
	v_mul_f64 v[15:16], v[9:10], v[11:12]
	v_mul_f64 v[11:12], v[7:8], v[11:12]
	s_waitcnt vmcnt(0)
	v_fma_f64 v[7:8], v[7:8], v[13:14], -v[15:16]
	v_fma_f64 v[9:10], v[9:10], v[13:14], v[11:12]
	v_add_f64 v[1:2], v[1:2], v[7:8]
	v_add_f64 v[3:4], v[3:4], v[9:10]
	s_andn2_b32 exec_lo, exec_lo, s4
	s_cbranch_execnz .LBB28_444
; %bb.445:
	s_or_b32 exec_lo, exec_lo, s4
.LBB28_446:
	s_or_b32 exec_lo, exec_lo, s36
	v_mov_b32_e32 v0, 0
	s_movk_i32 s38, 0x1c8
	s_or_b32 s5, s5, exec_lo
	ds_read_b128 v[5:8], v0 offset:448
	s_waitcnt lgkmcnt(0)
	v_mul_f64 v[9:10], v[3:4], v[7:8]
	v_mul_f64 v[7:8], v[1:2], v[7:8]
	v_fma_f64 v[9:10], v[1:2], v[5:6], -v[9:10]
	v_fma_f64 v[1:2], v[3:4], v[5:6], v[7:8]
	buffer_store_dword v10, off, s[0:3], 0 offset:452
	buffer_store_dword v9, off, s[0:3], 0 offset:448
.LBB28_447:
	s_or_b32 exec_lo, exec_lo, s8
.LBB28_448:
	s_and_saveexec_b32 s4, s5
	s_cbranch_execz .LBB28_450
; %bb.449:
	v_mov_b32_e32 v0, s38
	buffer_store_dword v2, v0, s[0:3], 0 offen offset:4
	buffer_store_dword v1, v0, s[0:3], 0 offen
.LBB28_450:
	s_or_b32 exec_lo, exec_lo, s4
	v_mov_b32_e32 v7, s35
	s_clause 0x3
	buffer_load_dword v0, off, s[0:3], 0
	buffer_load_dword v1, off, s[0:3], 0 offset:4
	buffer_load_dword v2, off, s[0:3], 0 offset:8
	;; [unrolled: 1-line block ×3, first 2 shown]
	v_mov_b32_e32 v11, s34
	v_mov_b32_e32 v15, s33
	;; [unrolled: 1-line block ×3, first 2 shown]
	s_clause 0xb
	buffer_load_dword v4, v7, s[0:3], 0 offen
	buffer_load_dword v5, v7, s[0:3], 0 offen offset:4
	buffer_load_dword v6, v7, s[0:3], 0 offen offset:8
	buffer_load_dword v7, v7, s[0:3], 0 offen offset:12
	buffer_load_dword v8, v11, s[0:3], 0 offen
	buffer_load_dword v9, v11, s[0:3], 0 offen offset:4
	buffer_load_dword v10, v11, s[0:3], 0 offen offset:8
	buffer_load_dword v11, v11, s[0:3], 0 offen offset:12
	;; [unrolled: 4-line block ×3, first 2 shown]
	v_mov_b32_e32 v23, s30
	v_mov_b32_e32 v27, s29
	;; [unrolled: 1-line block ×3, first 2 shown]
	s_clause 0xf
	buffer_load_dword v16, v19, s[0:3], 0 offen
	buffer_load_dword v17, v19, s[0:3], 0 offen offset:4
	buffer_load_dword v18, v19, s[0:3], 0 offen offset:8
	buffer_load_dword v19, v19, s[0:3], 0 offen offset:12
	buffer_load_dword v20, v23, s[0:3], 0 offen
	buffer_load_dword v21, v23, s[0:3], 0 offen offset:4
	buffer_load_dword v22, v23, s[0:3], 0 offen offset:8
	buffer_load_dword v23, v23, s[0:3], 0 offen offset:12
	;; [unrolled: 4-line block ×4, first 2 shown]
	v_mov_b32_e32 v28, s27
	v_mov_b32_e32 v94, s26
	;; [unrolled: 1-line block ×9, first 2 shown]
	s_waitcnt vmcnt(28)
	global_store_dwordx4 v[41:42], v[0:3], off
	s_clause 0x7
	buffer_load_dword v0, v28, s[0:3], 0 offen
	buffer_load_dword v1, v28, s[0:3], 0 offen offset:4
	buffer_load_dword v2, v28, s[0:3], 0 offen offset:8
	;; [unrolled: 1-line block ×3, first 2 shown]
	buffer_load_dword v91, v94, s[0:3], 0 offen
	buffer_load_dword v92, v94, s[0:3], 0 offen offset:4
	buffer_load_dword v93, v94, s[0:3], 0 offen offset:8
	;; [unrolled: 1-line block ×3, first 2 shown]
	v_mov_b32_e32 v28, s24
	s_waitcnt vmcnt(32)
	global_store_dwordx4 v[43:44], v[4:7], off
	v_mov_b32_e32 v7, s25
	v_mov_b32_e32 v44, s23
	s_clause 0x3
	buffer_load_dword v4, v7, s[0:3], 0 offen
	buffer_load_dword v5, v7, s[0:3], 0 offen offset:4
	buffer_load_dword v6, v7, s[0:3], 0 offen offset:8
	;; [unrolled: 1-line block ×3, first 2 shown]
	s_waitcnt vmcnt(32)
	global_store_dwordx4 v[35:36], v[8:11], off
	s_clause 0x7
	buffer_load_dword v8, v28, s[0:3], 0 offen
	buffer_load_dword v9, v28, s[0:3], 0 offen offset:4
	buffer_load_dword v10, v28, s[0:3], 0 offen offset:8
	;; [unrolled: 1-line block ×3, first 2 shown]
	buffer_load_dword v41, v44, s[0:3], 0 offen
	buffer_load_dword v42, v44, s[0:3], 0 offen offset:4
	buffer_load_dword v43, v44, s[0:3], 0 offen offset:8
	;; [unrolled: 1-line block ×3, first 2 shown]
	s_waitcnt vmcnt(36)
	global_store_dwordx4 v[33:34], v[12:15], off
	v_mov_b32_e32 v15, s22
	s_clause 0x3
	buffer_load_dword v12, v15, s[0:3], 0 offen
	buffer_load_dword v13, v15, s[0:3], 0 offen offset:4
	buffer_load_dword v14, v15, s[0:3], 0 offen offset:8
	;; [unrolled: 1-line block ×3, first 2 shown]
	v_mov_b32_e32 v28, s21
	s_waitcnt vmcnt(36)
	global_store_dwordx4 v[29:30], v[16:19], off
	v_mov_b32_e32 v29, s19
	v_mov_b32_e32 v34, s17
	;; [unrolled: 1-line block ×4, first 2 shown]
	s_waitcnt vmcnt(32)
	global_store_dwordx4 v[39:40], v[20:23], off
	v_mov_b32_e32 v40, s13
	s_waitcnt vmcnt(28)
	global_store_dwordx4 v[31:32], v[24:27], off
	s_waitcnt vmcnt(24)
	global_store_dwordx4 v[37:38], v[87:90], off
	v_mov_b32_e32 v30, s18
	s_clause 0x7
	buffer_load_dword v16, v28, s[0:3], 0 offen
	buffer_load_dword v17, v28, s[0:3], 0 offen offset:4
	buffer_load_dword v18, v28, s[0:3], 0 offen offset:8
	;; [unrolled: 1-line block ×3, first 2 shown]
	buffer_load_dword v20, v33, s[0:3], 0 offen
	buffer_load_dword v21, v33, s[0:3], 0 offen offset:4
	buffer_load_dword v22, v33, s[0:3], 0 offen offset:8
	;; [unrolled: 1-line block ×3, first 2 shown]
	v_mov_b32_e32 v35, s16
	s_waitcnt vmcnt(28)
	global_store_dwordx4 v[45:46], v[0:3], off
	s_clause 0x7
	buffer_load_dword v0, v29, s[0:3], 0 offen
	buffer_load_dword v1, v29, s[0:3], 0 offen offset:4
	buffer_load_dword v2, v29, s[0:3], 0 offen offset:8
	buffer_load_dword v3, v29, s[0:3], 0 offen offset:12
	buffer_load_dword v24, v30, s[0:3], 0 offen
	buffer_load_dword v25, v30, s[0:3], 0 offen offset:4
	buffer_load_dword v26, v30, s[0:3], 0 offen offset:8
	buffer_load_dword v27, v30, s[0:3], 0 offen offset:12
	s_waitcnt vmcnt(32)
	global_store_dwordx4 v[47:48], v[91:94], off
	s_clause 0x7
	buffer_load_dword v28, v34, s[0:3], 0 offen
	buffer_load_dword v29, v34, s[0:3], 0 offen offset:4
	buffer_load_dword v30, v34, s[0:3], 0 offen offset:8
	buffer_load_dword v31, v34, s[0:3], 0 offen offset:12
	buffer_load_dword v32, v35, s[0:3], 0 offen
	buffer_load_dword v33, v35, s[0:3], 0 offen offset:4
	buffer_load_dword v34, v35, s[0:3], 0 offen offset:8
	buffer_load_dword v35, v35, s[0:3], 0 offen offset:12
	;; [unrolled: 11-line block ×6, first 2 shown]
	buffer_load_dword v87, v101, s[0:3], 0 offen
	buffer_load_dword v88, v101, s[0:3], 0 offen offset:4
	buffer_load_dword v89, v101, s[0:3], 0 offen offset:8
	;; [unrolled: 1-line block ×3, first 2 shown]
	s_waitcnt vmcnt(56)
	global_store_dwordx4 v[57:58], v[16:19], off
	s_waitcnt vmcnt(52)
	global_store_dwordx4 v[59:60], v[20:23], off
	;; [unrolled: 2-line block ×15, first 2 shown]
.LBB28_451:
	s_endpgm
	.section	.rodata,"a",@progbits
	.p2align	6, 0x0
	.amdhsa_kernel _ZN9rocsolver6v33100L18trti2_kernel_smallILi29E19rocblas_complex_numIdEPS3_EEv13rocblas_fill_17rocblas_diagonal_T1_iil
		.amdhsa_group_segment_fixed_size 928
		.amdhsa_private_segment_fixed_size 480
		.amdhsa_kernarg_size 32
		.amdhsa_user_sgpr_count 6
		.amdhsa_user_sgpr_private_segment_buffer 1
		.amdhsa_user_sgpr_dispatch_ptr 0
		.amdhsa_user_sgpr_queue_ptr 0
		.amdhsa_user_sgpr_kernarg_segment_ptr 1
		.amdhsa_user_sgpr_dispatch_id 0
		.amdhsa_user_sgpr_flat_scratch_init 0
		.amdhsa_user_sgpr_private_segment_size 0
		.amdhsa_wavefront_size32 1
		.amdhsa_uses_dynamic_stack 0
		.amdhsa_system_sgpr_private_segment_wavefront_offset 1
		.amdhsa_system_sgpr_workgroup_id_x 1
		.amdhsa_system_sgpr_workgroup_id_y 0
		.amdhsa_system_sgpr_workgroup_id_z 0
		.amdhsa_system_sgpr_workgroup_info 0
		.amdhsa_system_vgpr_workitem_id 0
		.amdhsa_next_free_vgpr 102
		.amdhsa_next_free_sgpr 48
		.amdhsa_reserve_vcc 1
		.amdhsa_reserve_flat_scratch 0
		.amdhsa_float_round_mode_32 0
		.amdhsa_float_round_mode_16_64 0
		.amdhsa_float_denorm_mode_32 3
		.amdhsa_float_denorm_mode_16_64 3
		.amdhsa_dx10_clamp 1
		.amdhsa_ieee_mode 1
		.amdhsa_fp16_overflow 0
		.amdhsa_workgroup_processor_mode 1
		.amdhsa_memory_ordered 1
		.amdhsa_forward_progress 1
		.amdhsa_shared_vgpr_count 0
		.amdhsa_exception_fp_ieee_invalid_op 0
		.amdhsa_exception_fp_denorm_src 0
		.amdhsa_exception_fp_ieee_div_zero 0
		.amdhsa_exception_fp_ieee_overflow 0
		.amdhsa_exception_fp_ieee_underflow 0
		.amdhsa_exception_fp_ieee_inexact 0
		.amdhsa_exception_int_div_zero 0
	.end_amdhsa_kernel
	.section	.text._ZN9rocsolver6v33100L18trti2_kernel_smallILi29E19rocblas_complex_numIdEPS3_EEv13rocblas_fill_17rocblas_diagonal_T1_iil,"axG",@progbits,_ZN9rocsolver6v33100L18trti2_kernel_smallILi29E19rocblas_complex_numIdEPS3_EEv13rocblas_fill_17rocblas_diagonal_T1_iil,comdat
.Lfunc_end28:
	.size	_ZN9rocsolver6v33100L18trti2_kernel_smallILi29E19rocblas_complex_numIdEPS3_EEv13rocblas_fill_17rocblas_diagonal_T1_iil, .Lfunc_end28-_ZN9rocsolver6v33100L18trti2_kernel_smallILi29E19rocblas_complex_numIdEPS3_EEv13rocblas_fill_17rocblas_diagonal_T1_iil
                                        ; -- End function
	.set _ZN9rocsolver6v33100L18trti2_kernel_smallILi29E19rocblas_complex_numIdEPS3_EEv13rocblas_fill_17rocblas_diagonal_T1_iil.num_vgpr, 102
	.set _ZN9rocsolver6v33100L18trti2_kernel_smallILi29E19rocblas_complex_numIdEPS3_EEv13rocblas_fill_17rocblas_diagonal_T1_iil.num_agpr, 0
	.set _ZN9rocsolver6v33100L18trti2_kernel_smallILi29E19rocblas_complex_numIdEPS3_EEv13rocblas_fill_17rocblas_diagonal_T1_iil.numbered_sgpr, 48
	.set _ZN9rocsolver6v33100L18trti2_kernel_smallILi29E19rocblas_complex_numIdEPS3_EEv13rocblas_fill_17rocblas_diagonal_T1_iil.num_named_barrier, 0
	.set _ZN9rocsolver6v33100L18trti2_kernel_smallILi29E19rocblas_complex_numIdEPS3_EEv13rocblas_fill_17rocblas_diagonal_T1_iil.private_seg_size, 480
	.set _ZN9rocsolver6v33100L18trti2_kernel_smallILi29E19rocblas_complex_numIdEPS3_EEv13rocblas_fill_17rocblas_diagonal_T1_iil.uses_vcc, 1
	.set _ZN9rocsolver6v33100L18trti2_kernel_smallILi29E19rocblas_complex_numIdEPS3_EEv13rocblas_fill_17rocblas_diagonal_T1_iil.uses_flat_scratch, 0
	.set _ZN9rocsolver6v33100L18trti2_kernel_smallILi29E19rocblas_complex_numIdEPS3_EEv13rocblas_fill_17rocblas_diagonal_T1_iil.has_dyn_sized_stack, 0
	.set _ZN9rocsolver6v33100L18trti2_kernel_smallILi29E19rocblas_complex_numIdEPS3_EEv13rocblas_fill_17rocblas_diagonal_T1_iil.has_recursion, 0
	.set _ZN9rocsolver6v33100L18trti2_kernel_smallILi29E19rocblas_complex_numIdEPS3_EEv13rocblas_fill_17rocblas_diagonal_T1_iil.has_indirect_call, 0
	.section	.AMDGPU.csdata,"",@progbits
; Kernel info:
; codeLenInByte = 29212
; TotalNumSgprs: 50
; NumVgprs: 102
; ScratchSize: 480
; MemoryBound: 0
; FloatMode: 240
; IeeeMode: 1
; LDSByteSize: 928 bytes/workgroup (compile time only)
; SGPRBlocks: 0
; VGPRBlocks: 12
; NumSGPRsForWavesPerEU: 50
; NumVGPRsForWavesPerEU: 102
; Occupancy: 9
; WaveLimiterHint : 0
; COMPUTE_PGM_RSRC2:SCRATCH_EN: 1
; COMPUTE_PGM_RSRC2:USER_SGPR: 6
; COMPUTE_PGM_RSRC2:TRAP_HANDLER: 0
; COMPUTE_PGM_RSRC2:TGID_X_EN: 1
; COMPUTE_PGM_RSRC2:TGID_Y_EN: 0
; COMPUTE_PGM_RSRC2:TGID_Z_EN: 0
; COMPUTE_PGM_RSRC2:TIDIG_COMP_CNT: 0
	.section	.text._ZN9rocsolver6v33100L18trti2_kernel_smallILi30E19rocblas_complex_numIdEPS3_EEv13rocblas_fill_17rocblas_diagonal_T1_iil,"axG",@progbits,_ZN9rocsolver6v33100L18trti2_kernel_smallILi30E19rocblas_complex_numIdEPS3_EEv13rocblas_fill_17rocblas_diagonal_T1_iil,comdat
	.globl	_ZN9rocsolver6v33100L18trti2_kernel_smallILi30E19rocblas_complex_numIdEPS3_EEv13rocblas_fill_17rocblas_diagonal_T1_iil ; -- Begin function _ZN9rocsolver6v33100L18trti2_kernel_smallILi30E19rocblas_complex_numIdEPS3_EEv13rocblas_fill_17rocblas_diagonal_T1_iil
	.p2align	8
	.type	_ZN9rocsolver6v33100L18trti2_kernel_smallILi30E19rocblas_complex_numIdEPS3_EEv13rocblas_fill_17rocblas_diagonal_T1_iil,@function
_ZN9rocsolver6v33100L18trti2_kernel_smallILi30E19rocblas_complex_numIdEPS3_EEv13rocblas_fill_17rocblas_diagonal_T1_iil: ; @_ZN9rocsolver6v33100L18trti2_kernel_smallILi30E19rocblas_complex_numIdEPS3_EEv13rocblas_fill_17rocblas_diagonal_T1_iil
; %bb.0:
	s_add_u32 s0, s0, s7
	s_addc_u32 s1, s1, 0
	s_mov_b32 s7, exec_lo
	v_cmpx_gt_u32_e32 30, v0
	s_cbranch_execz .LBB29_467
; %bb.1:
	s_load_dwordx8 s[8:15], s[4:5], 0x0
	s_ashr_i32 s4, s6, 31
	v_lshlrev_b32_e32 v71, 4, v0
	s_movk_i32 s16, 0xf0
	s_movk_i32 s17, 0x100
	;; [unrolled: 1-line block ×15, first 2 shown]
	s_waitcnt lgkmcnt(0)
	s_mul_hi_u32 s7, s14, s6
	s_mul_i32 s4, s14, s4
	s_mul_i32 s15, s15, s6
	s_add_i32 s7, s7, s4
	s_mul_i32 s6, s14, s6
	s_add_i32 s7, s7, s15
	v_add3_u32 v5, s13, s13, v0
	s_lshl_b64 s[6:7], s[6:7], 4
	s_ashr_i32 s5, s12, 31
	s_mov_b32 s4, s12
	s_add_u32 s6, s10, s6
	s_addc_u32 s7, s11, s7
	s_lshl_b64 s[4:5], s[4:5], 4
	v_ashrrev_i32_e32 v6, 31, v5
	s_add_u32 s4, s6, s4
	s_addc_u32 s5, s7, s5
	v_add_co_u32 v43, s6, s4, v71
	s_mov_b32 s14, s13
	s_ashr_i32 s15, s13, 31
	v_add_nc_u32_e32 v7, s13, v5
	v_add_co_ci_u32_e64 v44, null, s5, 0, s6
	v_lshlrev_b64 v[5:6], 4, v[5:6]
	s_lshl_b64 s[6:7], s[14:15], 4
	v_add_nc_u32_e32 v9, s13, v7
	v_add_co_u32 v39, vcc_lo, v43, s6
	v_add_co_ci_u32_e64 v40, null, s7, v44, vcc_lo
	v_add_co_u32 v33, vcc_lo, s4, v5
	v_ashrrev_i32_e32 v8, 31, v7
	global_load_dwordx4 v[1:4], v71, s[4:5]
	v_add_co_ci_u32_e64 v34, null, s5, v6, vcc_lo
	global_load_dwordx4 v[15:18], v[39:40], off
	v_ashrrev_i32_e32 v10, 31, v9
	v_lshlrev_b64 v[5:6], 4, v[7:8]
	global_load_dwordx4 v[19:22], v[33:34], off
	s_cmpk_lg_i32 s9, 0x84
	s_movk_i32 s6, 0x70
	v_lshlrev_b64 v[7:8], 4, v[9:10]
	s_movk_i32 s7, 0x80
	v_add_co_u32 v31, vcc_lo, s4, v5
	v_add_co_ci_u32_e64 v32, null, s5, v6, vcc_lo
	v_add_co_u32 v29, vcc_lo, s4, v7
	v_add_co_ci_u32_e64 v30, null, s5, v8, vcc_lo
	s_clause 0x1
	global_load_dwordx4 v[23:26], v[31:32], off
	global_load_dwordx4 v[35:38], v[29:30], off
	v_add_nc_u32_e32 v5, s13, v9
	s_movk_i32 s10, 0x90
	s_movk_i32 s11, 0xa0
	;; [unrolled: 1-line block ×4, first 2 shown]
	v_add_nc_u32_e32 v7, s13, v5
	v_ashrrev_i32_e32 v6, 31, v5
	s_movk_i32 s15, 0xe0
	s_cselect_b32 s38, -1, 0
	s_cmpk_eq_i32 s9, 0x84
	v_add_nc_u32_e32 v9, s13, v7
	v_ashrrev_i32_e32 v8, 31, v7
	v_lshlrev_b64 v[5:6], 4, v[5:6]
	v_add_nc_u32_e32 v11, s13, v9
	v_ashrrev_i32_e32 v10, 31, v9
	v_lshlrev_b64 v[7:8], 4, v[7:8]
	v_add_co_u32 v41, vcc_lo, s4, v5
	v_add_nc_u32_e32 v49, s13, v11
	v_add_co_ci_u32_e64 v42, null, s5, v6, vcc_lo
	v_lshlrev_b64 v[9:10], 4, v[9:10]
	v_add_nc_u32_e32 v57, s13, v49
	global_load_dwordx4 v[45:48], v[41:42], off
	v_ashrrev_i32_e32 v50, 31, v49
	v_add_nc_u32_e32 v61, s13, v57
	v_ashrrev_i32_e32 v58, 31, v57
	v_add_nc_u32_e32 v63, s13, v61
	;; [unrolled: 2-line block ×19, first 2 shown]
	v_ashrrev_i32_e32 v103, 31, v102
	s_movk_i32 s13, 0xc0
	v_ashrrev_i32_e32 v13, 31, v12
	v_lshlrev_b64 v[13:14], 4, v[12:13]
	v_ashrrev_i32_e32 v12, 31, v11
	v_add_co_u32 v5, vcc_lo, s4, v13
	v_add_co_ci_u32_e64 v6, null, s5, v14, vcc_lo
	v_add_co_u32 v27, vcc_lo, s4, v7
	v_add_co_ci_u32_e64 v28, null, s5, v8, vcc_lo
	v_lshlrev_b64 v[7:8], 4, v[11:12]
	v_add_co_u32 v13, vcc_lo, s4, v9
	v_add_co_ci_u32_e64 v14, null, s5, v10, vcc_lo
	global_load_dwordx4 v[65:68], v[5:6], off
	v_add_co_u32 v9, vcc_lo, s4, v7
	v_add_co_ci_u32_e64 v10, null, s5, v8, vcc_lo
	v_lshlrev_b64 v[11:12], 4, v[49:50]
	v_lshlrev_b64 v[7:8], 4, v[57:58]
	s_waitcnt vmcnt(6)
	buffer_store_dword v4, off, s[0:3], 0 offset:12
	buffer_store_dword v3, off, s[0:3], 0 offset:8
	;; [unrolled: 1-line block ×3, first 2 shown]
	buffer_store_dword v1, off, s[0:3], 0
	global_load_dwordx4 v[1:4], v[27:28], off
	s_waitcnt vmcnt(6)
	buffer_store_dword v18, off, s[0:3], 0 offset:28
	buffer_store_dword v17, off, s[0:3], 0 offset:24
	;; [unrolled: 1-line block ×4, first 2 shown]
	global_load_dwordx4 v[49:52], v[13:14], off
	s_waitcnt vmcnt(6)
	buffer_store_dword v22, off, s[0:3], 0 offset:44
	buffer_store_dword v21, off, s[0:3], 0 offset:40
	buffer_store_dword v20, off, s[0:3], 0 offset:36
	buffer_store_dword v19, off, s[0:3], 0 offset:32
	global_load_dwordx4 v[53:56], v[9:10], off
	v_add_co_u32 v11, vcc_lo, s4, v11
	v_add_co_ci_u32_e64 v12, null, s5, v12, vcc_lo
	v_add_co_u32 v7, vcc_lo, s4, v7
	v_add_co_ci_u32_e64 v8, null, s5, v8, vcc_lo
	s_waitcnt vmcnt(6)
	buffer_store_dword v26, off, s[0:3], 0 offset:60
	buffer_store_dword v25, off, s[0:3], 0 offset:56
	;; [unrolled: 1-line block ×4, first 2 shown]
	global_load_dwordx4 v[57:60], v[11:12], off
	s_waitcnt vmcnt(6)
	buffer_store_dword v38, off, s[0:3], 0 offset:76
	buffer_store_dword v37, off, s[0:3], 0 offset:72
	;; [unrolled: 1-line block ×4, first 2 shown]
	global_load_dwordx4 v[35:38], v[7:8], off
	v_lshlrev_b64 v[15:16], 4, v[61:62]
	v_lshlrev_b64 v[19:20], 4, v[63:64]
	;; [unrolled: 1-line block ×3, first 2 shown]
	s_waitcnt vmcnt(6)
	buffer_store_dword v48, off, s[0:3], 0 offset:92
	buffer_store_dword v47, off, s[0:3], 0 offset:88
	;; [unrolled: 1-line block ×4, first 2 shown]
	v_add_co_u32 v17, vcc_lo, s4, v15
	v_add_co_ci_u32_e64 v18, null, s5, v16, vcc_lo
	v_add_co_u32 v15, vcc_lo, s4, v19
	v_add_co_ci_u32_e64 v16, null, s5, v20, vcc_lo
	v_lshlrev_b64 v[19:20], 4, v[72:73]
	global_load_dwordx4 v[45:48], v[17:18], off
	v_add_co_u32 v21, vcc_lo, s4, v21
	v_add_co_ci_u32_e64 v22, null, s5, v22, vcc_lo
	v_add_co_u32 v19, vcc_lo, s4, v19
	v_add_co_ci_u32_e64 v20, null, s5, v20, vcc_lo
	v_lshlrev_b64 v[23:24], 4, v[74:75]
	v_lshlrev_b64 v[25:26], 4, v[76:77]
	;; [unrolled: 1-line block ×3, first 2 shown]
	s_waitcnt vmcnt(5)
	buffer_store_dword v4, off, s[0:3], 0 offset:108
	buffer_store_dword v3, off, s[0:3], 0 offset:104
	buffer_store_dword v2, off, s[0:3], 0 offset:100
	buffer_store_dword v1, off, s[0:3], 0 offset:96
	global_load_dwordx4 v[1:4], v[15:16], off
	s_waitcnt vmcnt(5)
	buffer_store_dword v52, off, s[0:3], 0 offset:124
	buffer_store_dword v51, off, s[0:3], 0 offset:120
	buffer_store_dword v50, off, s[0:3], 0 offset:116
	buffer_store_dword v49, off, s[0:3], 0 offset:112
	global_load_dwordx4 v[49:52], v[21:22], off
	;; [unrolled: 6-line block ×3, first 2 shown]
	v_add_co_u32 v23, vcc_lo, s4, v23
	v_add_co_ci_u32_e64 v24, null, s5, v24, vcc_lo
	v_add_co_u32 v25, vcc_lo, s4, v25
	v_add_co_ci_u32_e64 v26, null, s5, v26, vcc_lo
	s_waitcnt vmcnt(5)
	buffer_store_dword v57, off, s[0:3], 0 offset:144
	buffer_store_dword v58, off, s[0:3], 0 offset:148
	buffer_store_dword v59, off, s[0:3], 0 offset:152
	buffer_store_dword v60, off, s[0:3], 0 offset:156
	global_load_dwordx4 v[57:60], v[23:24], off
	s_waitcnt vmcnt(5)
	buffer_store_dword v35, off, s[0:3], 0 offset:160
	buffer_store_dword v36, off, s[0:3], 0 offset:164
	;; [unrolled: 1-line block ×4, first 2 shown]
	global_load_dwordx4 v[61:64], v[25:26], off
	v_lshlrev_b64 v[35:36], 4, v[78:79]
	v_lshlrev_b64 v[37:38], 4, v[80:81]
	s_waitcnt vmcnt(5)
	buffer_store_dword v45, off, s[0:3], 0 offset:176
	buffer_store_dword v46, off, s[0:3], 0 offset:180
	;; [unrolled: 1-line block ×4, first 2 shown]
	v_add_co_u32 v35, vcc_lo, s4, v35
	v_add_co_ci_u32_e64 v36, null, s5, v36, vcc_lo
	v_add_co_u32 v37, vcc_lo, s4, v37
	v_lshlrev_b64 v[47:48], 4, v[84:85]
	v_add_co_ci_u32_e64 v38, null, s5, v38, vcc_lo
	v_add_co_u32 v45, vcc_lo, s4, v69
	v_add_co_ci_u32_e64 v46, null, s5, v70, vcc_lo
	v_add_co_u32 v47, vcc_lo, s4, v47
	global_load_dwordx4 v[72:75], v[35:36], off
	v_add_co_ci_u32_e64 v48, null, s5, v48, vcc_lo
	v_lshlrev_b64 v[69:70], 4, v[86:87]
	s_waitcnt vmcnt(5)
	buffer_store_dword v4, off, s[0:3], 0 offset:204
	buffer_store_dword v3, off, s[0:3], 0 offset:200
	buffer_store_dword v2, off, s[0:3], 0 offset:196
	buffer_store_dword v1, off, s[0:3], 0 offset:192
	global_load_dwordx4 v[1:4], v[37:38], off
	s_waitcnt vmcnt(5)
	buffer_store_dword v52, off, s[0:3], 0 offset:220
	buffer_store_dword v51, off, s[0:3], 0 offset:216
	buffer_store_dword v50, off, s[0:3], 0 offset:212
	buffer_store_dword v49, off, s[0:3], 0 offset:208
	global_load_dwordx4 v[76:79], v[45:46], off
	;; [unrolled: 6-line block ×3, first 2 shown]
	v_lshlrev_b64 v[51:52], 4, v[88:89]
	v_add_co_u32 v49, vcc_lo, s4, v69
	v_add_co_ci_u32_e64 v50, null, s5, v70, vcc_lo
	s_waitcnt vmcnt(5)
	buffer_store_dword v60, off, s[0:3], 0 offset:252
	buffer_store_dword v59, off, s[0:3], 0 offset:248
	;; [unrolled: 1-line block ×4, first 2 shown]
	v_add_co_u32 v51, vcc_lo, s4, v51
	v_add_co_ci_u32_e64 v52, null, s5, v52, vcc_lo
	global_load_dwordx4 v[84:87], v[49:50], off
	s_waitcnt vmcnt(5)
	buffer_store_dword v64, off, s[0:3], 0 offset:268
	buffer_store_dword v63, off, s[0:3], 0 offset:264
	;; [unrolled: 1-line block ×4, first 2 shown]
	v_lshlrev_b64 v[53:54], 4, v[92:93]
	global_load_dwordx4 v[88:91], v[51:52], off
	v_lshlrev_b64 v[55:56], 4, v[94:95]
	v_lshlrev_b64 v[57:58], 4, v[96:97]
	;; [unrolled: 1-line block ×4, first 2 shown]
	v_add_co_u32 v53, vcc_lo, s4, v53
	v_add_co_ci_u32_e64 v54, null, s5, v54, vcc_lo
	v_add_co_u32 v55, vcc_lo, s4, v55
	v_add_co_ci_u32_e64 v56, null, s5, v56, vcc_lo
	;; [unrolled: 2-line block ×4, first 2 shown]
	v_lshlrev_b64 v[63:64], 4, v[102:103]
	v_add_co_u32 v61, vcc_lo, s4, v61
	v_add_co_ci_u32_e64 v62, null, s5, v62, vcc_lo
	s_waitcnt vmcnt(5)
	buffer_store_dword v75, off, s[0:3], 0 offset:284
	buffer_store_dword v74, off, s[0:3], 0 offset:280
	;; [unrolled: 1-line block ×4, first 2 shown]
	s_waitcnt vmcnt(4)
	buffer_store_dword v4, off, s[0:3], 0 offset:300
	buffer_store_dword v3, off, s[0:3], 0 offset:296
	;; [unrolled: 1-line block ×4, first 2 shown]
	s_clause 0x1
	global_load_dwordx4 v[1:4], v[53:54], off
	global_load_dwordx4 v[72:75], v[55:56], off
	s_waitcnt vmcnt(5)
	buffer_store_dword v79, off, s[0:3], 0 offset:316
	buffer_store_dword v78, off, s[0:3], 0 offset:312
	;; [unrolled: 1-line block ×4, first 2 shown]
	s_waitcnt vmcnt(4)
	buffer_store_dword v83, off, s[0:3], 0 offset:332
	buffer_store_dword v82, off, s[0:3], 0 offset:328
	;; [unrolled: 1-line block ×4, first 2 shown]
	s_clause 0x1
	global_load_dwordx4 v[76:79], v[57:58], off
	global_load_dwordx4 v[80:83], v[59:60], off
	v_add_co_u32 v63, vcc_lo, s4, v63
	v_add_co_ci_u32_e64 v64, null, s5, v64, vcc_lo
	s_waitcnt vmcnt(5)
	buffer_store_dword v87, off, s[0:3], 0 offset:348
	buffer_store_dword v86, off, s[0:3], 0 offset:344
	;; [unrolled: 1-line block ×4, first 2 shown]
	global_load_dwordx4 v[84:87], v[61:62], off
	s_waitcnt vmcnt(5)
	buffer_store_dword v91, off, s[0:3], 0 offset:364
	buffer_store_dword v90, off, s[0:3], 0 offset:360
	;; [unrolled: 1-line block ×4, first 2 shown]
	global_load_dwordx4 v[88:91], v[63:64], off
	s_movk_i32 s4, 0x50
	s_movk_i32 s5, 0x60
	s_waitcnt vmcnt(5)
	buffer_store_dword v4, off, s[0:3], 0 offset:380
	buffer_store_dword v3, off, s[0:3], 0 offset:376
	buffer_store_dword v2, off, s[0:3], 0 offset:372
	buffer_store_dword v1, off, s[0:3], 0 offset:368
	s_waitcnt vmcnt(4)
	buffer_store_dword v75, off, s[0:3], 0 offset:396
	buffer_store_dword v74, off, s[0:3], 0 offset:392
	buffer_store_dword v73, off, s[0:3], 0 offset:388
	buffer_store_dword v72, off, s[0:3], 0 offset:384
	;; [unrolled: 5-line block ×6, first 2 shown]
	buffer_store_dword v68, off, s[0:3], 0 offset:476
	buffer_store_dword v67, off, s[0:3], 0 offset:472
	;; [unrolled: 1-line block ×4, first 2 shown]
	s_cbranch_scc1 .LBB29_7
; %bb.2:
	v_lshl_add_u32 v72, v0, 4, 0
                                        ; implicit-def: $vgpr67_vgpr68
                                        ; implicit-def: $vgpr3_vgpr4
	s_clause 0x3
	buffer_load_dword v65, v72, s[0:3], 0 offen
	buffer_load_dword v66, v72, s[0:3], 0 offen offset:4
	buffer_load_dword v69, v72, s[0:3], 0 offen offset:8
	;; [unrolled: 1-line block ×3, first 2 shown]
	s_waitcnt vmcnt(0)
	v_cmp_ngt_f64_e64 s9, |v[65:66]|, |v[69:70]|
	s_and_saveexec_b32 s20, s9
	s_xor_b32 s9, exec_lo, s20
	s_cbranch_execz .LBB29_4
; %bb.3:
	v_div_scale_f64 v[1:2], null, v[69:70], v[69:70], v[65:66]
	v_div_scale_f64 v[73:74], vcc_lo, v[65:66], v[69:70], v[65:66]
	v_rcp_f64_e32 v[3:4], v[1:2]
	v_fma_f64 v[67:68], -v[1:2], v[3:4], 1.0
	v_fma_f64 v[3:4], v[3:4], v[67:68], v[3:4]
	v_fma_f64 v[67:68], -v[1:2], v[3:4], 1.0
	v_fma_f64 v[3:4], v[3:4], v[67:68], v[3:4]
	v_mul_f64 v[67:68], v[73:74], v[3:4]
	v_fma_f64 v[1:2], -v[1:2], v[67:68], v[73:74]
	v_div_fmas_f64 v[1:2], v[1:2], v[3:4], v[67:68]
	v_div_fixup_f64 v[1:2], v[1:2], v[69:70], v[65:66]
	v_fma_f64 v[3:4], v[65:66], v[1:2], v[69:70]
	v_div_scale_f64 v[65:66], null, v[3:4], v[3:4], 1.0
	v_div_scale_f64 v[73:74], vcc_lo, 1.0, v[3:4], 1.0
	v_rcp_f64_e32 v[67:68], v[65:66]
	v_fma_f64 v[69:70], -v[65:66], v[67:68], 1.0
	v_fma_f64 v[67:68], v[67:68], v[69:70], v[67:68]
	v_fma_f64 v[69:70], -v[65:66], v[67:68], 1.0
	v_fma_f64 v[67:68], v[67:68], v[69:70], v[67:68]
	v_mul_f64 v[69:70], v[73:74], v[67:68]
	v_fma_f64 v[65:66], -v[65:66], v[69:70], v[73:74]
	v_div_fmas_f64 v[65:66], v[65:66], v[67:68], v[69:70]
                                        ; implicit-def: $vgpr69_vgpr70
	v_div_fixup_f64 v[3:4], v[65:66], v[3:4], 1.0
                                        ; implicit-def: $vgpr65_vgpr66
	v_mul_f64 v[67:68], v[1:2], v[3:4]
	v_xor_b32_e32 v4, 0x80000000, v4
	v_xor_b32_e32 v2, 0x80000000, v68
	v_mov_b32_e32 v1, v67
.LBB29_4:
	s_andn2_saveexec_b32 s9, s9
	s_cbranch_execz .LBB29_6
; %bb.5:
	v_div_scale_f64 v[1:2], null, v[65:66], v[65:66], v[69:70]
	v_div_scale_f64 v[73:74], vcc_lo, v[69:70], v[65:66], v[69:70]
	v_rcp_f64_e32 v[3:4], v[1:2]
	v_fma_f64 v[67:68], -v[1:2], v[3:4], 1.0
	v_fma_f64 v[3:4], v[3:4], v[67:68], v[3:4]
	v_fma_f64 v[67:68], -v[1:2], v[3:4], 1.0
	v_fma_f64 v[3:4], v[3:4], v[67:68], v[3:4]
	v_mul_f64 v[67:68], v[73:74], v[3:4]
	v_fma_f64 v[1:2], -v[1:2], v[67:68], v[73:74]
	v_div_fmas_f64 v[1:2], v[1:2], v[3:4], v[67:68]
	v_div_fixup_f64 v[1:2], v[1:2], v[65:66], v[69:70]
	v_fma_f64 v[3:4], v[69:70], v[1:2], v[65:66]
	v_div_scale_f64 v[65:66], null, v[3:4], v[3:4], 1.0
	v_rcp_f64_e32 v[67:68], v[65:66]
	v_fma_f64 v[69:70], -v[65:66], v[67:68], 1.0
	v_fma_f64 v[67:68], v[67:68], v[69:70], v[67:68]
	v_fma_f64 v[69:70], -v[65:66], v[67:68], 1.0
	v_fma_f64 v[67:68], v[67:68], v[69:70], v[67:68]
	v_div_scale_f64 v[69:70], vcc_lo, 1.0, v[3:4], 1.0
	v_mul_f64 v[73:74], v[69:70], v[67:68]
	v_fma_f64 v[65:66], -v[65:66], v[73:74], v[69:70]
	v_div_fmas_f64 v[65:66], v[65:66], v[67:68], v[73:74]
	v_div_fixup_f64 v[67:68], v[65:66], v[3:4], 1.0
	v_mul_f64 v[3:4], v[1:2], -v[67:68]
	v_xor_b32_e32 v2, 0x80000000, v68
	v_mov_b32_e32 v1, v67
.LBB29_6:
	s_or_b32 exec_lo, exec_lo, s9
	buffer_store_dword v4, v72, s[0:3], 0 offen offset:12
	v_xor_b32_e32 v4, 0x80000000, v4
	buffer_store_dword v68, v72, s[0:3], 0 offen offset:4
	buffer_store_dword v67, v72, s[0:3], 0 offen
	buffer_store_dword v3, v72, s[0:3], 0 offen offset:8
	s_branch .LBB29_8
.LBB29_7:
	v_mov_b32_e32 v1, 0
	v_mov_b32_e32 v3, 0
	;; [unrolled: 1-line block ×4, first 2 shown]
.LBB29_8:
	v_add_nc_u32_e32 v66, 0x1e0, v71
	v_mov_b32_e32 v65, v71
	s_mov_b32 s37, 16
	s_mov_b32 s36, 32
	;; [unrolled: 1-line block ×28, first 2 shown]
	s_cmpk_eq_i32 s8, 0x79
	ds_write_b128 v71, v[1:4]
	s_cbranch_scc1 .LBB29_236
; %bb.9:
	v_mov_b32_e32 v4, s9
	v_cmp_eq_u32_e64 s4, 29, v0
	s_clause 0x3
	buffer_load_dword v1, v4, s[0:3], 0 offen
	buffer_load_dword v2, v4, s[0:3], 0 offen offset:4
	buffer_load_dword v3, v4, s[0:3], 0 offen offset:8
	buffer_load_dword v4, v4, s[0:3], 0 offen offset:12
	s_waitcnt vmcnt(0)
	ds_write_b128 v66, v[1:4]
	s_waitcnt lgkmcnt(0)
	s_waitcnt_vscnt null, 0x0
	s_barrier
	buffer_gl0_inv
	s_and_saveexec_b32 s5, s4
	s_cbranch_execz .LBB29_13
; %bb.10:
	ds_read_b128 v[1:4], v66
	s_andn2_b32 vcc_lo, exec_lo, s38
	s_cbranch_vccnz .LBB29_12
; %bb.11:
	s_clause 0x3
	buffer_load_dword v67, v65, s[0:3], 0 offen offset:8
	buffer_load_dword v68, v65, s[0:3], 0 offen offset:12
	buffer_load_dword v69, v65, s[0:3], 0 offen
	buffer_load_dword v70, v65, s[0:3], 0 offen offset:4
	s_waitcnt vmcnt(2) lgkmcnt(0)
	v_mul_f64 v[72:73], v[3:4], v[67:68]
	v_mul_f64 v[67:68], v[1:2], v[67:68]
	s_waitcnt vmcnt(0)
	v_fma_f64 v[1:2], v[1:2], v[69:70], -v[72:73]
	v_fma_f64 v[3:4], v[3:4], v[69:70], v[67:68]
.LBB29_12:
	v_mov_b32_e32 v67, 0
	ds_read_b128 v[67:70], v67 offset:448
	s_waitcnt lgkmcnt(0)
	v_mul_f64 v[72:73], v[3:4], v[69:70]
	v_mul_f64 v[69:70], v[1:2], v[69:70]
	v_fma_f64 v[1:2], v[1:2], v[67:68], -v[72:73]
	v_fma_f64 v[3:4], v[3:4], v[67:68], v[69:70]
	buffer_store_dword v2, off, s[0:3], 0 offset:452
	buffer_store_dword v1, off, s[0:3], 0 offset:448
	;; [unrolled: 1-line block ×4, first 2 shown]
.LBB29_13:
	s_or_b32 exec_lo, exec_lo, s5
	v_mov_b32_e32 v4, s10
	v_cmp_lt_u32_e64 s5, 27, v0
	s_clause 0x3
	buffer_load_dword v1, v4, s[0:3], 0 offen
	buffer_load_dword v2, v4, s[0:3], 0 offen offset:4
	buffer_load_dword v3, v4, s[0:3], 0 offen offset:8
	;; [unrolled: 1-line block ×3, first 2 shown]
	s_waitcnt vmcnt(0)
	ds_write_b128 v66, v[1:4]
	s_waitcnt lgkmcnt(0)
	s_waitcnt_vscnt null, 0x0
	s_barrier
	buffer_gl0_inv
	s_and_saveexec_b32 s6, s5
	s_cbranch_execz .LBB29_19
; %bb.14:
	ds_read_b128 v[1:4], v66
	s_andn2_b32 vcc_lo, exec_lo, s38
	s_cbranch_vccnz .LBB29_16
; %bb.15:
	s_clause 0x3
	buffer_load_dword v67, v65, s[0:3], 0 offen offset:8
	buffer_load_dword v68, v65, s[0:3], 0 offen offset:12
	buffer_load_dword v69, v65, s[0:3], 0 offen
	buffer_load_dword v70, v65, s[0:3], 0 offen offset:4
	s_waitcnt vmcnt(2) lgkmcnt(0)
	v_mul_f64 v[72:73], v[3:4], v[67:68]
	v_mul_f64 v[67:68], v[1:2], v[67:68]
	s_waitcnt vmcnt(0)
	v_fma_f64 v[1:2], v[1:2], v[69:70], -v[72:73]
	v_fma_f64 v[3:4], v[3:4], v[69:70], v[67:68]
.LBB29_16:
	s_and_saveexec_b32 s8, s4
	s_cbranch_execz .LBB29_18
; %bb.17:
	s_clause 0x3
	buffer_load_dword v72, off, s[0:3], 0 offset:456
	buffer_load_dword v73, off, s[0:3], 0 offset:460
	;; [unrolled: 1-line block ×4, first 2 shown]
	v_mov_b32_e32 v67, 0
	ds_read_b128 v[67:70], v67 offset:928
	s_waitcnt vmcnt(2) lgkmcnt(0)
	v_mul_f64 v[76:77], v[67:68], v[72:73]
	v_mul_f64 v[72:73], v[69:70], v[72:73]
	s_waitcnt vmcnt(0)
	v_fma_f64 v[69:70], v[69:70], v[74:75], v[76:77]
	v_fma_f64 v[67:68], v[67:68], v[74:75], -v[72:73]
	v_add_f64 v[3:4], v[3:4], v[69:70]
	v_add_f64 v[1:2], v[1:2], v[67:68]
.LBB29_18:
	s_or_b32 exec_lo, exec_lo, s8
	v_mov_b32_e32 v67, 0
	ds_read_b128 v[67:70], v67 offset:432
	s_waitcnt lgkmcnt(0)
	v_mul_f64 v[72:73], v[3:4], v[69:70]
	v_mul_f64 v[69:70], v[1:2], v[69:70]
	v_fma_f64 v[1:2], v[1:2], v[67:68], -v[72:73]
	v_fma_f64 v[3:4], v[3:4], v[67:68], v[69:70]
	buffer_store_dword v2, off, s[0:3], 0 offset:436
	buffer_store_dword v1, off, s[0:3], 0 offset:432
	buffer_store_dword v4, off, s[0:3], 0 offset:444
	buffer_store_dword v3, off, s[0:3], 0 offset:440
.LBB29_19:
	s_or_b32 exec_lo, exec_lo, s6
	v_mov_b32_e32 v4, s11
	v_cmp_lt_u32_e64 s4, 26, v0
	s_clause 0x3
	buffer_load_dword v1, v4, s[0:3], 0 offen
	buffer_load_dword v2, v4, s[0:3], 0 offen offset:4
	buffer_load_dword v3, v4, s[0:3], 0 offen offset:8
	;; [unrolled: 1-line block ×3, first 2 shown]
	s_waitcnt vmcnt(0)
	ds_write_b128 v66, v[1:4]
	s_waitcnt lgkmcnt(0)
	s_waitcnt_vscnt null, 0x0
	s_barrier
	buffer_gl0_inv
	s_and_saveexec_b32 s6, s4
	s_cbranch_execz .LBB29_27
; %bb.20:
	ds_read_b128 v[1:4], v66
	s_andn2_b32 vcc_lo, exec_lo, s38
	s_cbranch_vccnz .LBB29_22
; %bb.21:
	s_clause 0x3
	buffer_load_dword v67, v65, s[0:3], 0 offen offset:8
	buffer_load_dword v68, v65, s[0:3], 0 offen offset:12
	buffer_load_dword v69, v65, s[0:3], 0 offen
	buffer_load_dword v70, v65, s[0:3], 0 offen offset:4
	s_waitcnt vmcnt(2) lgkmcnt(0)
	v_mul_f64 v[72:73], v[3:4], v[67:68]
	v_mul_f64 v[67:68], v[1:2], v[67:68]
	s_waitcnt vmcnt(0)
	v_fma_f64 v[1:2], v[1:2], v[69:70], -v[72:73]
	v_fma_f64 v[3:4], v[3:4], v[69:70], v[67:68]
.LBB29_22:
	s_and_saveexec_b32 s8, s5
	s_cbranch_execz .LBB29_26
; %bb.23:
	v_subrev_nc_u32_e32 v67, 27, v0
	s_movk_i32 s39, 0x390
	s_mov_b32 s5, 0
	s_mov_b32 s40, s10
	.p2align	6
.LBB29_24:                              ; =>This Inner Loop Header: Depth=1
	v_mov_b32_e32 v70, s40
	v_add_nc_u32_e32 v67, -1, v67
	s_add_i32 s40, s40, 16
	s_clause 0x3
	buffer_load_dword v68, v70, s[0:3], 0 offen offset:8
	buffer_load_dword v69, v70, s[0:3], 0 offen offset:12
	buffer_load_dword v76, v70, s[0:3], 0 offen
	buffer_load_dword v77, v70, s[0:3], 0 offen offset:4
	v_mov_b32_e32 v70, s39
	v_cmp_eq_u32_e32 vcc_lo, 0, v67
	s_add_i32 s39, s39, 16
	ds_read_b128 v[72:75], v70
	s_or_b32 s5, vcc_lo, s5
	s_waitcnt vmcnt(2) lgkmcnt(0)
	v_mul_f64 v[78:79], v[74:75], v[68:69]
	v_mul_f64 v[68:69], v[72:73], v[68:69]
	s_waitcnt vmcnt(0)
	v_fma_f64 v[72:73], v[72:73], v[76:77], -v[78:79]
	v_fma_f64 v[68:69], v[74:75], v[76:77], v[68:69]
	v_add_f64 v[1:2], v[1:2], v[72:73]
	v_add_f64 v[3:4], v[3:4], v[68:69]
	s_andn2_b32 exec_lo, exec_lo, s5
	s_cbranch_execnz .LBB29_24
; %bb.25:
	s_or_b32 exec_lo, exec_lo, s5
.LBB29_26:
	s_or_b32 exec_lo, exec_lo, s8
	v_mov_b32_e32 v67, 0
	ds_read_b128 v[67:70], v67 offset:416
	s_waitcnt lgkmcnt(0)
	v_mul_f64 v[72:73], v[3:4], v[69:70]
	v_mul_f64 v[69:70], v[1:2], v[69:70]
	v_fma_f64 v[1:2], v[1:2], v[67:68], -v[72:73]
	v_fma_f64 v[3:4], v[3:4], v[67:68], v[69:70]
	buffer_store_dword v2, off, s[0:3], 0 offset:420
	buffer_store_dword v1, off, s[0:3], 0 offset:416
	;; [unrolled: 1-line block ×4, first 2 shown]
.LBB29_27:
	s_or_b32 exec_lo, exec_lo, s6
	v_mov_b32_e32 v4, s12
	v_cmp_lt_u32_e64 s5, 25, v0
	s_clause 0x3
	buffer_load_dword v1, v4, s[0:3], 0 offen
	buffer_load_dword v2, v4, s[0:3], 0 offen offset:4
	buffer_load_dword v3, v4, s[0:3], 0 offen offset:8
	;; [unrolled: 1-line block ×3, first 2 shown]
	s_waitcnt vmcnt(0)
	ds_write_b128 v66, v[1:4]
	s_waitcnt lgkmcnt(0)
	s_waitcnt_vscnt null, 0x0
	s_barrier
	buffer_gl0_inv
	s_and_saveexec_b32 s6, s5
	s_cbranch_execz .LBB29_35
; %bb.28:
	ds_read_b128 v[1:4], v66
	s_andn2_b32 vcc_lo, exec_lo, s38
	s_cbranch_vccnz .LBB29_30
; %bb.29:
	s_clause 0x3
	buffer_load_dword v67, v65, s[0:3], 0 offen offset:8
	buffer_load_dword v68, v65, s[0:3], 0 offen offset:12
	buffer_load_dword v69, v65, s[0:3], 0 offen
	buffer_load_dword v70, v65, s[0:3], 0 offen offset:4
	s_waitcnt vmcnt(2) lgkmcnt(0)
	v_mul_f64 v[72:73], v[3:4], v[67:68]
	v_mul_f64 v[67:68], v[1:2], v[67:68]
	s_waitcnt vmcnt(0)
	v_fma_f64 v[1:2], v[1:2], v[69:70], -v[72:73]
	v_fma_f64 v[3:4], v[3:4], v[69:70], v[67:68]
.LBB29_30:
	s_and_saveexec_b32 s8, s4
	s_cbranch_execz .LBB29_34
; %bb.31:
	v_subrev_nc_u32_e32 v67, 26, v0
	s_movk_i32 s39, 0x380
	s_mov_b32 s4, 0
	s_mov_b32 s40, s11
	.p2align	6
.LBB29_32:                              ; =>This Inner Loop Header: Depth=1
	v_mov_b32_e32 v70, s40
	v_add_nc_u32_e32 v67, -1, v67
	s_add_i32 s40, s40, 16
	s_clause 0x3
	buffer_load_dword v68, v70, s[0:3], 0 offen offset:8
	buffer_load_dword v69, v70, s[0:3], 0 offen offset:12
	buffer_load_dword v76, v70, s[0:3], 0 offen
	buffer_load_dword v77, v70, s[0:3], 0 offen offset:4
	v_mov_b32_e32 v70, s39
	v_cmp_eq_u32_e32 vcc_lo, 0, v67
	s_add_i32 s39, s39, 16
	ds_read_b128 v[72:75], v70
	s_or_b32 s4, vcc_lo, s4
	s_waitcnt vmcnt(2) lgkmcnt(0)
	v_mul_f64 v[78:79], v[74:75], v[68:69]
	v_mul_f64 v[68:69], v[72:73], v[68:69]
	s_waitcnt vmcnt(0)
	v_fma_f64 v[72:73], v[72:73], v[76:77], -v[78:79]
	v_fma_f64 v[68:69], v[74:75], v[76:77], v[68:69]
	v_add_f64 v[1:2], v[1:2], v[72:73]
	v_add_f64 v[3:4], v[3:4], v[68:69]
	s_andn2_b32 exec_lo, exec_lo, s4
	s_cbranch_execnz .LBB29_32
; %bb.33:
	s_or_b32 exec_lo, exec_lo, s4
.LBB29_34:
	s_or_b32 exec_lo, exec_lo, s8
	v_mov_b32_e32 v67, 0
	ds_read_b128 v[67:70], v67 offset:400
	s_waitcnt lgkmcnt(0)
	v_mul_f64 v[72:73], v[3:4], v[69:70]
	v_mul_f64 v[69:70], v[1:2], v[69:70]
	v_fma_f64 v[1:2], v[1:2], v[67:68], -v[72:73]
	v_fma_f64 v[3:4], v[3:4], v[67:68], v[69:70]
	buffer_store_dword v2, off, s[0:3], 0 offset:404
	buffer_store_dword v1, off, s[0:3], 0 offset:400
	;; [unrolled: 1-line block ×4, first 2 shown]
.LBB29_35:
	s_or_b32 exec_lo, exec_lo, s6
	v_mov_b32_e32 v4, s13
	v_cmp_lt_u32_e64 s4, 24, v0
	s_clause 0x3
	buffer_load_dword v1, v4, s[0:3], 0 offen
	buffer_load_dword v2, v4, s[0:3], 0 offen offset:4
	buffer_load_dword v3, v4, s[0:3], 0 offen offset:8
	;; [unrolled: 1-line block ×3, first 2 shown]
	s_waitcnt vmcnt(0)
	ds_write_b128 v66, v[1:4]
	s_waitcnt lgkmcnt(0)
	s_waitcnt_vscnt null, 0x0
	s_barrier
	buffer_gl0_inv
	s_and_saveexec_b32 s6, s4
	s_cbranch_execz .LBB29_43
; %bb.36:
	ds_read_b128 v[1:4], v66
	s_andn2_b32 vcc_lo, exec_lo, s38
	s_cbranch_vccnz .LBB29_38
; %bb.37:
	s_clause 0x3
	buffer_load_dword v67, v65, s[0:3], 0 offen offset:8
	buffer_load_dword v68, v65, s[0:3], 0 offen offset:12
	buffer_load_dword v69, v65, s[0:3], 0 offen
	buffer_load_dword v70, v65, s[0:3], 0 offen offset:4
	s_waitcnt vmcnt(2) lgkmcnt(0)
	v_mul_f64 v[72:73], v[3:4], v[67:68]
	v_mul_f64 v[67:68], v[1:2], v[67:68]
	s_waitcnt vmcnt(0)
	v_fma_f64 v[1:2], v[1:2], v[69:70], -v[72:73]
	v_fma_f64 v[3:4], v[3:4], v[69:70], v[67:68]
.LBB29_38:
	s_and_saveexec_b32 s8, s5
	s_cbranch_execz .LBB29_42
; %bb.39:
	v_subrev_nc_u32_e32 v67, 25, v0
	s_movk_i32 s39, 0x370
	s_mov_b32 s5, 0
	s_mov_b32 s40, s12
	.p2align	6
.LBB29_40:                              ; =>This Inner Loop Header: Depth=1
	v_mov_b32_e32 v70, s40
	v_add_nc_u32_e32 v67, -1, v67
	s_add_i32 s40, s40, 16
	s_clause 0x3
	buffer_load_dword v68, v70, s[0:3], 0 offen offset:8
	buffer_load_dword v69, v70, s[0:3], 0 offen offset:12
	buffer_load_dword v76, v70, s[0:3], 0 offen
	buffer_load_dword v77, v70, s[0:3], 0 offen offset:4
	v_mov_b32_e32 v70, s39
	v_cmp_eq_u32_e32 vcc_lo, 0, v67
	s_add_i32 s39, s39, 16
	ds_read_b128 v[72:75], v70
	s_or_b32 s5, vcc_lo, s5
	s_waitcnt vmcnt(2) lgkmcnt(0)
	v_mul_f64 v[78:79], v[74:75], v[68:69]
	v_mul_f64 v[68:69], v[72:73], v[68:69]
	s_waitcnt vmcnt(0)
	v_fma_f64 v[72:73], v[72:73], v[76:77], -v[78:79]
	v_fma_f64 v[68:69], v[74:75], v[76:77], v[68:69]
	v_add_f64 v[1:2], v[1:2], v[72:73]
	v_add_f64 v[3:4], v[3:4], v[68:69]
	s_andn2_b32 exec_lo, exec_lo, s5
	s_cbranch_execnz .LBB29_40
; %bb.41:
	s_or_b32 exec_lo, exec_lo, s5
.LBB29_42:
	s_or_b32 exec_lo, exec_lo, s8
	v_mov_b32_e32 v67, 0
	ds_read_b128 v[67:70], v67 offset:384
	s_waitcnt lgkmcnt(0)
	v_mul_f64 v[72:73], v[3:4], v[69:70]
	v_mul_f64 v[69:70], v[1:2], v[69:70]
	v_fma_f64 v[1:2], v[1:2], v[67:68], -v[72:73]
	v_fma_f64 v[3:4], v[3:4], v[67:68], v[69:70]
	buffer_store_dword v2, off, s[0:3], 0 offset:388
	buffer_store_dword v1, off, s[0:3], 0 offset:384
	;; [unrolled: 1-line block ×4, first 2 shown]
.LBB29_43:
	s_or_b32 exec_lo, exec_lo, s6
	v_mov_b32_e32 v4, s14
	v_cmp_lt_u32_e64 s5, 23, v0
	s_clause 0x3
	buffer_load_dword v1, v4, s[0:3], 0 offen
	buffer_load_dword v2, v4, s[0:3], 0 offen offset:4
	buffer_load_dword v3, v4, s[0:3], 0 offen offset:8
	;; [unrolled: 1-line block ×3, first 2 shown]
	s_waitcnt vmcnt(0)
	ds_write_b128 v66, v[1:4]
	s_waitcnt lgkmcnt(0)
	s_waitcnt_vscnt null, 0x0
	s_barrier
	buffer_gl0_inv
	s_and_saveexec_b32 s6, s5
	s_cbranch_execz .LBB29_51
; %bb.44:
	ds_read_b128 v[1:4], v66
	s_andn2_b32 vcc_lo, exec_lo, s38
	s_cbranch_vccnz .LBB29_46
; %bb.45:
	s_clause 0x3
	buffer_load_dword v67, v65, s[0:3], 0 offen offset:8
	buffer_load_dword v68, v65, s[0:3], 0 offen offset:12
	buffer_load_dword v69, v65, s[0:3], 0 offen
	buffer_load_dword v70, v65, s[0:3], 0 offen offset:4
	s_waitcnt vmcnt(2) lgkmcnt(0)
	v_mul_f64 v[72:73], v[3:4], v[67:68]
	v_mul_f64 v[67:68], v[1:2], v[67:68]
	s_waitcnt vmcnt(0)
	v_fma_f64 v[1:2], v[1:2], v[69:70], -v[72:73]
	v_fma_f64 v[3:4], v[3:4], v[69:70], v[67:68]
.LBB29_46:
	s_and_saveexec_b32 s8, s4
	s_cbranch_execz .LBB29_50
; %bb.47:
	v_subrev_nc_u32_e32 v67, 24, v0
	s_movk_i32 s39, 0x360
	s_mov_b32 s4, 0
	s_mov_b32 s40, s13
	.p2align	6
.LBB29_48:                              ; =>This Inner Loop Header: Depth=1
	v_mov_b32_e32 v70, s40
	v_add_nc_u32_e32 v67, -1, v67
	s_add_i32 s40, s40, 16
	s_clause 0x3
	buffer_load_dword v68, v70, s[0:3], 0 offen offset:8
	buffer_load_dword v69, v70, s[0:3], 0 offen offset:12
	buffer_load_dword v76, v70, s[0:3], 0 offen
	buffer_load_dword v77, v70, s[0:3], 0 offen offset:4
	v_mov_b32_e32 v70, s39
	v_cmp_eq_u32_e32 vcc_lo, 0, v67
	s_add_i32 s39, s39, 16
	ds_read_b128 v[72:75], v70
	s_or_b32 s4, vcc_lo, s4
	s_waitcnt vmcnt(2) lgkmcnt(0)
	v_mul_f64 v[78:79], v[74:75], v[68:69]
	v_mul_f64 v[68:69], v[72:73], v[68:69]
	s_waitcnt vmcnt(0)
	v_fma_f64 v[72:73], v[72:73], v[76:77], -v[78:79]
	v_fma_f64 v[68:69], v[74:75], v[76:77], v[68:69]
	v_add_f64 v[1:2], v[1:2], v[72:73]
	v_add_f64 v[3:4], v[3:4], v[68:69]
	s_andn2_b32 exec_lo, exec_lo, s4
	s_cbranch_execnz .LBB29_48
; %bb.49:
	s_or_b32 exec_lo, exec_lo, s4
.LBB29_50:
	s_or_b32 exec_lo, exec_lo, s8
	v_mov_b32_e32 v67, 0
	ds_read_b128 v[67:70], v67 offset:368
	s_waitcnt lgkmcnt(0)
	v_mul_f64 v[72:73], v[3:4], v[69:70]
	v_mul_f64 v[69:70], v[1:2], v[69:70]
	v_fma_f64 v[1:2], v[1:2], v[67:68], -v[72:73]
	v_fma_f64 v[3:4], v[3:4], v[67:68], v[69:70]
	buffer_store_dword v2, off, s[0:3], 0 offset:372
	buffer_store_dword v1, off, s[0:3], 0 offset:368
	;; [unrolled: 1-line block ×4, first 2 shown]
.LBB29_51:
	s_or_b32 exec_lo, exec_lo, s6
	v_mov_b32_e32 v4, s15
	v_cmp_lt_u32_e64 s4, 22, v0
	s_clause 0x3
	buffer_load_dword v1, v4, s[0:3], 0 offen
	buffer_load_dword v2, v4, s[0:3], 0 offen offset:4
	buffer_load_dword v3, v4, s[0:3], 0 offen offset:8
	buffer_load_dword v4, v4, s[0:3], 0 offen offset:12
	s_waitcnt vmcnt(0)
	ds_write_b128 v66, v[1:4]
	s_waitcnt lgkmcnt(0)
	s_waitcnt_vscnt null, 0x0
	s_barrier
	buffer_gl0_inv
	s_and_saveexec_b32 s6, s4
	s_cbranch_execz .LBB29_59
; %bb.52:
	ds_read_b128 v[1:4], v66
	s_andn2_b32 vcc_lo, exec_lo, s38
	s_cbranch_vccnz .LBB29_54
; %bb.53:
	s_clause 0x3
	buffer_load_dword v67, v65, s[0:3], 0 offen offset:8
	buffer_load_dword v68, v65, s[0:3], 0 offen offset:12
	buffer_load_dword v69, v65, s[0:3], 0 offen
	buffer_load_dword v70, v65, s[0:3], 0 offen offset:4
	s_waitcnt vmcnt(2) lgkmcnt(0)
	v_mul_f64 v[72:73], v[3:4], v[67:68]
	v_mul_f64 v[67:68], v[1:2], v[67:68]
	s_waitcnt vmcnt(0)
	v_fma_f64 v[1:2], v[1:2], v[69:70], -v[72:73]
	v_fma_f64 v[3:4], v[3:4], v[69:70], v[67:68]
.LBB29_54:
	s_and_saveexec_b32 s8, s5
	s_cbranch_execz .LBB29_58
; %bb.55:
	v_subrev_nc_u32_e32 v67, 23, v0
	s_movk_i32 s39, 0x350
	s_mov_b32 s5, 0
	s_mov_b32 s40, s14
	.p2align	6
.LBB29_56:                              ; =>This Inner Loop Header: Depth=1
	v_mov_b32_e32 v70, s40
	v_add_nc_u32_e32 v67, -1, v67
	s_add_i32 s40, s40, 16
	s_clause 0x3
	buffer_load_dword v68, v70, s[0:3], 0 offen offset:8
	buffer_load_dword v69, v70, s[0:3], 0 offen offset:12
	buffer_load_dword v76, v70, s[0:3], 0 offen
	buffer_load_dword v77, v70, s[0:3], 0 offen offset:4
	v_mov_b32_e32 v70, s39
	v_cmp_eq_u32_e32 vcc_lo, 0, v67
	s_add_i32 s39, s39, 16
	ds_read_b128 v[72:75], v70
	s_or_b32 s5, vcc_lo, s5
	s_waitcnt vmcnt(2) lgkmcnt(0)
	v_mul_f64 v[78:79], v[74:75], v[68:69]
	v_mul_f64 v[68:69], v[72:73], v[68:69]
	s_waitcnt vmcnt(0)
	v_fma_f64 v[72:73], v[72:73], v[76:77], -v[78:79]
	v_fma_f64 v[68:69], v[74:75], v[76:77], v[68:69]
	v_add_f64 v[1:2], v[1:2], v[72:73]
	v_add_f64 v[3:4], v[3:4], v[68:69]
	s_andn2_b32 exec_lo, exec_lo, s5
	s_cbranch_execnz .LBB29_56
; %bb.57:
	s_or_b32 exec_lo, exec_lo, s5
.LBB29_58:
	s_or_b32 exec_lo, exec_lo, s8
	v_mov_b32_e32 v67, 0
	ds_read_b128 v[67:70], v67 offset:352
	s_waitcnt lgkmcnt(0)
	v_mul_f64 v[72:73], v[3:4], v[69:70]
	v_mul_f64 v[69:70], v[1:2], v[69:70]
	v_fma_f64 v[1:2], v[1:2], v[67:68], -v[72:73]
	v_fma_f64 v[3:4], v[3:4], v[67:68], v[69:70]
	buffer_store_dword v2, off, s[0:3], 0 offset:356
	buffer_store_dword v1, off, s[0:3], 0 offset:352
	;; [unrolled: 1-line block ×4, first 2 shown]
.LBB29_59:
	s_or_b32 exec_lo, exec_lo, s6
	v_mov_b32_e32 v4, s16
	v_cmp_lt_u32_e64 s5, 21, v0
	s_clause 0x3
	buffer_load_dword v1, v4, s[0:3], 0 offen
	buffer_load_dword v2, v4, s[0:3], 0 offen offset:4
	buffer_load_dword v3, v4, s[0:3], 0 offen offset:8
	;; [unrolled: 1-line block ×3, first 2 shown]
	s_waitcnt vmcnt(0)
	ds_write_b128 v66, v[1:4]
	s_waitcnt lgkmcnt(0)
	s_waitcnt_vscnt null, 0x0
	s_barrier
	buffer_gl0_inv
	s_and_saveexec_b32 s6, s5
	s_cbranch_execz .LBB29_67
; %bb.60:
	ds_read_b128 v[1:4], v66
	s_andn2_b32 vcc_lo, exec_lo, s38
	s_cbranch_vccnz .LBB29_62
; %bb.61:
	s_clause 0x3
	buffer_load_dword v67, v65, s[0:3], 0 offen offset:8
	buffer_load_dword v68, v65, s[0:3], 0 offen offset:12
	buffer_load_dword v69, v65, s[0:3], 0 offen
	buffer_load_dword v70, v65, s[0:3], 0 offen offset:4
	s_waitcnt vmcnt(2) lgkmcnt(0)
	v_mul_f64 v[72:73], v[3:4], v[67:68]
	v_mul_f64 v[67:68], v[1:2], v[67:68]
	s_waitcnt vmcnt(0)
	v_fma_f64 v[1:2], v[1:2], v[69:70], -v[72:73]
	v_fma_f64 v[3:4], v[3:4], v[69:70], v[67:68]
.LBB29_62:
	s_and_saveexec_b32 s8, s4
	s_cbranch_execz .LBB29_66
; %bb.63:
	v_subrev_nc_u32_e32 v67, 22, v0
	s_movk_i32 s39, 0x340
	s_mov_b32 s4, 0
	s_mov_b32 s40, s15
	.p2align	6
.LBB29_64:                              ; =>This Inner Loop Header: Depth=1
	v_mov_b32_e32 v70, s40
	v_add_nc_u32_e32 v67, -1, v67
	s_add_i32 s40, s40, 16
	s_clause 0x3
	buffer_load_dword v68, v70, s[0:3], 0 offen offset:8
	buffer_load_dword v69, v70, s[0:3], 0 offen offset:12
	buffer_load_dword v76, v70, s[0:3], 0 offen
	buffer_load_dword v77, v70, s[0:3], 0 offen offset:4
	v_mov_b32_e32 v70, s39
	v_cmp_eq_u32_e32 vcc_lo, 0, v67
	s_add_i32 s39, s39, 16
	ds_read_b128 v[72:75], v70
	s_or_b32 s4, vcc_lo, s4
	s_waitcnt vmcnt(2) lgkmcnt(0)
	v_mul_f64 v[78:79], v[74:75], v[68:69]
	v_mul_f64 v[68:69], v[72:73], v[68:69]
	s_waitcnt vmcnt(0)
	v_fma_f64 v[72:73], v[72:73], v[76:77], -v[78:79]
	v_fma_f64 v[68:69], v[74:75], v[76:77], v[68:69]
	v_add_f64 v[1:2], v[1:2], v[72:73]
	v_add_f64 v[3:4], v[3:4], v[68:69]
	s_andn2_b32 exec_lo, exec_lo, s4
	s_cbranch_execnz .LBB29_64
; %bb.65:
	s_or_b32 exec_lo, exec_lo, s4
.LBB29_66:
	s_or_b32 exec_lo, exec_lo, s8
	v_mov_b32_e32 v67, 0
	ds_read_b128 v[67:70], v67 offset:336
	s_waitcnt lgkmcnt(0)
	v_mul_f64 v[72:73], v[3:4], v[69:70]
	v_mul_f64 v[69:70], v[1:2], v[69:70]
	v_fma_f64 v[1:2], v[1:2], v[67:68], -v[72:73]
	v_fma_f64 v[3:4], v[3:4], v[67:68], v[69:70]
	buffer_store_dword v2, off, s[0:3], 0 offset:340
	buffer_store_dword v1, off, s[0:3], 0 offset:336
	;; [unrolled: 1-line block ×4, first 2 shown]
.LBB29_67:
	s_or_b32 exec_lo, exec_lo, s6
	v_mov_b32_e32 v4, s17
	v_cmp_lt_u32_e64 s4, 20, v0
	s_clause 0x3
	buffer_load_dword v1, v4, s[0:3], 0 offen
	buffer_load_dword v2, v4, s[0:3], 0 offen offset:4
	buffer_load_dword v3, v4, s[0:3], 0 offen offset:8
	buffer_load_dword v4, v4, s[0:3], 0 offen offset:12
	s_waitcnt vmcnt(0)
	ds_write_b128 v66, v[1:4]
	s_waitcnt lgkmcnt(0)
	s_waitcnt_vscnt null, 0x0
	s_barrier
	buffer_gl0_inv
	s_and_saveexec_b32 s6, s4
	s_cbranch_execz .LBB29_75
; %bb.68:
	ds_read_b128 v[1:4], v66
	s_andn2_b32 vcc_lo, exec_lo, s38
	s_cbranch_vccnz .LBB29_70
; %bb.69:
	s_clause 0x3
	buffer_load_dword v67, v65, s[0:3], 0 offen offset:8
	buffer_load_dword v68, v65, s[0:3], 0 offen offset:12
	buffer_load_dword v69, v65, s[0:3], 0 offen
	buffer_load_dword v70, v65, s[0:3], 0 offen offset:4
	s_waitcnt vmcnt(2) lgkmcnt(0)
	v_mul_f64 v[72:73], v[3:4], v[67:68]
	v_mul_f64 v[67:68], v[1:2], v[67:68]
	s_waitcnt vmcnt(0)
	v_fma_f64 v[1:2], v[1:2], v[69:70], -v[72:73]
	v_fma_f64 v[3:4], v[3:4], v[69:70], v[67:68]
.LBB29_70:
	s_and_saveexec_b32 s8, s5
	s_cbranch_execz .LBB29_74
; %bb.71:
	v_subrev_nc_u32_e32 v67, 21, v0
	s_movk_i32 s39, 0x330
	s_mov_b32 s5, 0
	s_mov_b32 s40, s16
	.p2align	6
.LBB29_72:                              ; =>This Inner Loop Header: Depth=1
	v_mov_b32_e32 v70, s40
	v_add_nc_u32_e32 v67, -1, v67
	s_add_i32 s40, s40, 16
	s_clause 0x3
	buffer_load_dword v68, v70, s[0:3], 0 offen offset:8
	buffer_load_dword v69, v70, s[0:3], 0 offen offset:12
	buffer_load_dword v76, v70, s[0:3], 0 offen
	buffer_load_dword v77, v70, s[0:3], 0 offen offset:4
	v_mov_b32_e32 v70, s39
	v_cmp_eq_u32_e32 vcc_lo, 0, v67
	s_add_i32 s39, s39, 16
	ds_read_b128 v[72:75], v70
	s_or_b32 s5, vcc_lo, s5
	s_waitcnt vmcnt(2) lgkmcnt(0)
	v_mul_f64 v[78:79], v[74:75], v[68:69]
	v_mul_f64 v[68:69], v[72:73], v[68:69]
	s_waitcnt vmcnt(0)
	v_fma_f64 v[72:73], v[72:73], v[76:77], -v[78:79]
	v_fma_f64 v[68:69], v[74:75], v[76:77], v[68:69]
	v_add_f64 v[1:2], v[1:2], v[72:73]
	v_add_f64 v[3:4], v[3:4], v[68:69]
	s_andn2_b32 exec_lo, exec_lo, s5
	s_cbranch_execnz .LBB29_72
; %bb.73:
	s_or_b32 exec_lo, exec_lo, s5
.LBB29_74:
	s_or_b32 exec_lo, exec_lo, s8
	v_mov_b32_e32 v67, 0
	ds_read_b128 v[67:70], v67 offset:320
	s_waitcnt lgkmcnt(0)
	v_mul_f64 v[72:73], v[3:4], v[69:70]
	v_mul_f64 v[69:70], v[1:2], v[69:70]
	v_fma_f64 v[1:2], v[1:2], v[67:68], -v[72:73]
	v_fma_f64 v[3:4], v[3:4], v[67:68], v[69:70]
	buffer_store_dword v2, off, s[0:3], 0 offset:324
	buffer_store_dword v1, off, s[0:3], 0 offset:320
	;; [unrolled: 1-line block ×4, first 2 shown]
.LBB29_75:
	s_or_b32 exec_lo, exec_lo, s6
	v_mov_b32_e32 v4, s18
	v_cmp_lt_u32_e64 s5, 19, v0
	s_clause 0x3
	buffer_load_dword v1, v4, s[0:3], 0 offen
	buffer_load_dword v2, v4, s[0:3], 0 offen offset:4
	buffer_load_dword v3, v4, s[0:3], 0 offen offset:8
	;; [unrolled: 1-line block ×3, first 2 shown]
	s_waitcnt vmcnt(0)
	ds_write_b128 v66, v[1:4]
	s_waitcnt lgkmcnt(0)
	s_waitcnt_vscnt null, 0x0
	s_barrier
	buffer_gl0_inv
	s_and_saveexec_b32 s6, s5
	s_cbranch_execz .LBB29_83
; %bb.76:
	ds_read_b128 v[1:4], v66
	s_andn2_b32 vcc_lo, exec_lo, s38
	s_cbranch_vccnz .LBB29_78
; %bb.77:
	s_clause 0x3
	buffer_load_dword v67, v65, s[0:3], 0 offen offset:8
	buffer_load_dword v68, v65, s[0:3], 0 offen offset:12
	buffer_load_dword v69, v65, s[0:3], 0 offen
	buffer_load_dword v70, v65, s[0:3], 0 offen offset:4
	s_waitcnt vmcnt(2) lgkmcnt(0)
	v_mul_f64 v[72:73], v[3:4], v[67:68]
	v_mul_f64 v[67:68], v[1:2], v[67:68]
	s_waitcnt vmcnt(0)
	v_fma_f64 v[1:2], v[1:2], v[69:70], -v[72:73]
	v_fma_f64 v[3:4], v[3:4], v[69:70], v[67:68]
.LBB29_78:
	s_and_saveexec_b32 s8, s4
	s_cbranch_execz .LBB29_82
; %bb.79:
	v_subrev_nc_u32_e32 v67, 20, v0
	s_movk_i32 s39, 0x320
	s_mov_b32 s4, 0
	s_mov_b32 s40, s17
	.p2align	6
.LBB29_80:                              ; =>This Inner Loop Header: Depth=1
	v_mov_b32_e32 v70, s40
	v_add_nc_u32_e32 v67, -1, v67
	s_add_i32 s40, s40, 16
	s_clause 0x3
	buffer_load_dword v68, v70, s[0:3], 0 offen offset:8
	buffer_load_dword v69, v70, s[0:3], 0 offen offset:12
	buffer_load_dword v76, v70, s[0:3], 0 offen
	buffer_load_dword v77, v70, s[0:3], 0 offen offset:4
	v_mov_b32_e32 v70, s39
	v_cmp_eq_u32_e32 vcc_lo, 0, v67
	s_add_i32 s39, s39, 16
	ds_read_b128 v[72:75], v70
	s_or_b32 s4, vcc_lo, s4
	s_waitcnt vmcnt(2) lgkmcnt(0)
	v_mul_f64 v[78:79], v[74:75], v[68:69]
	v_mul_f64 v[68:69], v[72:73], v[68:69]
	s_waitcnt vmcnt(0)
	v_fma_f64 v[72:73], v[72:73], v[76:77], -v[78:79]
	v_fma_f64 v[68:69], v[74:75], v[76:77], v[68:69]
	v_add_f64 v[1:2], v[1:2], v[72:73]
	v_add_f64 v[3:4], v[3:4], v[68:69]
	s_andn2_b32 exec_lo, exec_lo, s4
	s_cbranch_execnz .LBB29_80
; %bb.81:
	s_or_b32 exec_lo, exec_lo, s4
.LBB29_82:
	s_or_b32 exec_lo, exec_lo, s8
	v_mov_b32_e32 v67, 0
	ds_read_b128 v[67:70], v67 offset:304
	s_waitcnt lgkmcnt(0)
	v_mul_f64 v[72:73], v[3:4], v[69:70]
	v_mul_f64 v[69:70], v[1:2], v[69:70]
	v_fma_f64 v[1:2], v[1:2], v[67:68], -v[72:73]
	v_fma_f64 v[3:4], v[3:4], v[67:68], v[69:70]
	buffer_store_dword v2, off, s[0:3], 0 offset:308
	buffer_store_dword v1, off, s[0:3], 0 offset:304
	;; [unrolled: 1-line block ×4, first 2 shown]
.LBB29_83:
	s_or_b32 exec_lo, exec_lo, s6
	v_mov_b32_e32 v4, s19
	v_cmp_lt_u32_e64 s4, 18, v0
	s_clause 0x3
	buffer_load_dword v1, v4, s[0:3], 0 offen
	buffer_load_dword v2, v4, s[0:3], 0 offen offset:4
	buffer_load_dword v3, v4, s[0:3], 0 offen offset:8
	;; [unrolled: 1-line block ×3, first 2 shown]
	s_waitcnt vmcnt(0)
	ds_write_b128 v66, v[1:4]
	s_waitcnt lgkmcnt(0)
	s_waitcnt_vscnt null, 0x0
	s_barrier
	buffer_gl0_inv
	s_and_saveexec_b32 s6, s4
	s_cbranch_execz .LBB29_91
; %bb.84:
	ds_read_b128 v[1:4], v66
	s_andn2_b32 vcc_lo, exec_lo, s38
	s_cbranch_vccnz .LBB29_86
; %bb.85:
	s_clause 0x3
	buffer_load_dword v67, v65, s[0:3], 0 offen offset:8
	buffer_load_dword v68, v65, s[0:3], 0 offen offset:12
	buffer_load_dword v69, v65, s[0:3], 0 offen
	buffer_load_dword v70, v65, s[0:3], 0 offen offset:4
	s_waitcnt vmcnt(2) lgkmcnt(0)
	v_mul_f64 v[72:73], v[3:4], v[67:68]
	v_mul_f64 v[67:68], v[1:2], v[67:68]
	s_waitcnt vmcnt(0)
	v_fma_f64 v[1:2], v[1:2], v[69:70], -v[72:73]
	v_fma_f64 v[3:4], v[3:4], v[69:70], v[67:68]
.LBB29_86:
	s_and_saveexec_b32 s8, s5
	s_cbranch_execz .LBB29_90
; %bb.87:
	v_subrev_nc_u32_e32 v67, 19, v0
	s_movk_i32 s39, 0x310
	s_mov_b32 s5, 0
	s_mov_b32 s40, s18
	.p2align	6
.LBB29_88:                              ; =>This Inner Loop Header: Depth=1
	v_mov_b32_e32 v70, s40
	v_add_nc_u32_e32 v67, -1, v67
	s_add_i32 s40, s40, 16
	s_clause 0x3
	buffer_load_dword v68, v70, s[0:3], 0 offen offset:8
	buffer_load_dword v69, v70, s[0:3], 0 offen offset:12
	buffer_load_dword v76, v70, s[0:3], 0 offen
	buffer_load_dword v77, v70, s[0:3], 0 offen offset:4
	v_mov_b32_e32 v70, s39
	v_cmp_eq_u32_e32 vcc_lo, 0, v67
	s_add_i32 s39, s39, 16
	ds_read_b128 v[72:75], v70
	s_or_b32 s5, vcc_lo, s5
	s_waitcnt vmcnt(2) lgkmcnt(0)
	v_mul_f64 v[78:79], v[74:75], v[68:69]
	v_mul_f64 v[68:69], v[72:73], v[68:69]
	s_waitcnt vmcnt(0)
	v_fma_f64 v[72:73], v[72:73], v[76:77], -v[78:79]
	v_fma_f64 v[68:69], v[74:75], v[76:77], v[68:69]
	v_add_f64 v[1:2], v[1:2], v[72:73]
	v_add_f64 v[3:4], v[3:4], v[68:69]
	s_andn2_b32 exec_lo, exec_lo, s5
	s_cbranch_execnz .LBB29_88
; %bb.89:
	s_or_b32 exec_lo, exec_lo, s5
.LBB29_90:
	s_or_b32 exec_lo, exec_lo, s8
	v_mov_b32_e32 v67, 0
	ds_read_b128 v[67:70], v67 offset:288
	s_waitcnt lgkmcnt(0)
	v_mul_f64 v[72:73], v[3:4], v[69:70]
	v_mul_f64 v[69:70], v[1:2], v[69:70]
	v_fma_f64 v[1:2], v[1:2], v[67:68], -v[72:73]
	v_fma_f64 v[3:4], v[3:4], v[67:68], v[69:70]
	buffer_store_dword v2, off, s[0:3], 0 offset:292
	buffer_store_dword v1, off, s[0:3], 0 offset:288
	buffer_store_dword v4, off, s[0:3], 0 offset:300
	buffer_store_dword v3, off, s[0:3], 0 offset:296
.LBB29_91:
	s_or_b32 exec_lo, exec_lo, s6
	v_mov_b32_e32 v4, s20
	v_cmp_lt_u32_e64 s5, 17, v0
	s_clause 0x3
	buffer_load_dword v1, v4, s[0:3], 0 offen
	buffer_load_dword v2, v4, s[0:3], 0 offen offset:4
	buffer_load_dword v3, v4, s[0:3], 0 offen offset:8
	buffer_load_dword v4, v4, s[0:3], 0 offen offset:12
	s_waitcnt vmcnt(0)
	ds_write_b128 v66, v[1:4]
	s_waitcnt lgkmcnt(0)
	s_waitcnt_vscnt null, 0x0
	s_barrier
	buffer_gl0_inv
	s_and_saveexec_b32 s6, s5
	s_cbranch_execz .LBB29_99
; %bb.92:
	ds_read_b128 v[1:4], v66
	s_andn2_b32 vcc_lo, exec_lo, s38
	s_cbranch_vccnz .LBB29_94
; %bb.93:
	s_clause 0x3
	buffer_load_dword v67, v65, s[0:3], 0 offen offset:8
	buffer_load_dword v68, v65, s[0:3], 0 offen offset:12
	buffer_load_dword v69, v65, s[0:3], 0 offen
	buffer_load_dword v70, v65, s[0:3], 0 offen offset:4
	s_waitcnt vmcnt(2) lgkmcnt(0)
	v_mul_f64 v[72:73], v[3:4], v[67:68]
	v_mul_f64 v[67:68], v[1:2], v[67:68]
	s_waitcnt vmcnt(0)
	v_fma_f64 v[1:2], v[1:2], v[69:70], -v[72:73]
	v_fma_f64 v[3:4], v[3:4], v[69:70], v[67:68]
.LBB29_94:
	s_and_saveexec_b32 s8, s4
	s_cbranch_execz .LBB29_98
; %bb.95:
	v_subrev_nc_u32_e32 v67, 18, v0
	s_movk_i32 s39, 0x300
	s_mov_b32 s4, 0
	s_mov_b32 s40, s19
	.p2align	6
.LBB29_96:                              ; =>This Inner Loop Header: Depth=1
	v_mov_b32_e32 v70, s40
	v_add_nc_u32_e32 v67, -1, v67
	s_add_i32 s40, s40, 16
	s_clause 0x3
	buffer_load_dword v68, v70, s[0:3], 0 offen offset:8
	buffer_load_dword v69, v70, s[0:3], 0 offen offset:12
	buffer_load_dword v76, v70, s[0:3], 0 offen
	buffer_load_dword v77, v70, s[0:3], 0 offen offset:4
	v_mov_b32_e32 v70, s39
	v_cmp_eq_u32_e32 vcc_lo, 0, v67
	s_add_i32 s39, s39, 16
	ds_read_b128 v[72:75], v70
	s_or_b32 s4, vcc_lo, s4
	s_waitcnt vmcnt(2) lgkmcnt(0)
	v_mul_f64 v[78:79], v[74:75], v[68:69]
	v_mul_f64 v[68:69], v[72:73], v[68:69]
	s_waitcnt vmcnt(0)
	v_fma_f64 v[72:73], v[72:73], v[76:77], -v[78:79]
	v_fma_f64 v[68:69], v[74:75], v[76:77], v[68:69]
	v_add_f64 v[1:2], v[1:2], v[72:73]
	v_add_f64 v[3:4], v[3:4], v[68:69]
	s_andn2_b32 exec_lo, exec_lo, s4
	s_cbranch_execnz .LBB29_96
; %bb.97:
	s_or_b32 exec_lo, exec_lo, s4
.LBB29_98:
	s_or_b32 exec_lo, exec_lo, s8
	v_mov_b32_e32 v67, 0
	ds_read_b128 v[67:70], v67 offset:272
	s_waitcnt lgkmcnt(0)
	v_mul_f64 v[72:73], v[3:4], v[69:70]
	v_mul_f64 v[69:70], v[1:2], v[69:70]
	v_fma_f64 v[1:2], v[1:2], v[67:68], -v[72:73]
	v_fma_f64 v[3:4], v[3:4], v[67:68], v[69:70]
	buffer_store_dword v2, off, s[0:3], 0 offset:276
	buffer_store_dword v1, off, s[0:3], 0 offset:272
	;; [unrolled: 1-line block ×4, first 2 shown]
.LBB29_99:
	s_or_b32 exec_lo, exec_lo, s6
	v_mov_b32_e32 v4, s21
	v_cmp_lt_u32_e64 s4, 16, v0
	s_clause 0x3
	buffer_load_dword v1, v4, s[0:3], 0 offen
	buffer_load_dword v2, v4, s[0:3], 0 offen offset:4
	buffer_load_dword v3, v4, s[0:3], 0 offen offset:8
	;; [unrolled: 1-line block ×3, first 2 shown]
	s_waitcnt vmcnt(0)
	ds_write_b128 v66, v[1:4]
	s_waitcnt lgkmcnt(0)
	s_waitcnt_vscnt null, 0x0
	s_barrier
	buffer_gl0_inv
	s_and_saveexec_b32 s6, s4
	s_cbranch_execz .LBB29_107
; %bb.100:
	ds_read_b128 v[1:4], v66
	s_andn2_b32 vcc_lo, exec_lo, s38
	s_cbranch_vccnz .LBB29_102
; %bb.101:
	s_clause 0x3
	buffer_load_dword v67, v65, s[0:3], 0 offen offset:8
	buffer_load_dword v68, v65, s[0:3], 0 offen offset:12
	buffer_load_dword v69, v65, s[0:3], 0 offen
	buffer_load_dword v70, v65, s[0:3], 0 offen offset:4
	s_waitcnt vmcnt(2) lgkmcnt(0)
	v_mul_f64 v[72:73], v[3:4], v[67:68]
	v_mul_f64 v[67:68], v[1:2], v[67:68]
	s_waitcnt vmcnt(0)
	v_fma_f64 v[1:2], v[1:2], v[69:70], -v[72:73]
	v_fma_f64 v[3:4], v[3:4], v[69:70], v[67:68]
.LBB29_102:
	s_and_saveexec_b32 s8, s5
	s_cbranch_execz .LBB29_106
; %bb.103:
	v_subrev_nc_u32_e32 v67, 17, v0
	s_movk_i32 s39, 0x2f0
	s_mov_b32 s5, 0
	s_mov_b32 s40, s20
	.p2align	6
.LBB29_104:                             ; =>This Inner Loop Header: Depth=1
	v_mov_b32_e32 v70, s40
	v_add_nc_u32_e32 v67, -1, v67
	s_add_i32 s40, s40, 16
	s_clause 0x3
	buffer_load_dword v68, v70, s[0:3], 0 offen offset:8
	buffer_load_dword v69, v70, s[0:3], 0 offen offset:12
	buffer_load_dword v76, v70, s[0:3], 0 offen
	buffer_load_dword v77, v70, s[0:3], 0 offen offset:4
	v_mov_b32_e32 v70, s39
	v_cmp_eq_u32_e32 vcc_lo, 0, v67
	s_add_i32 s39, s39, 16
	ds_read_b128 v[72:75], v70
	s_or_b32 s5, vcc_lo, s5
	s_waitcnt vmcnt(2) lgkmcnt(0)
	v_mul_f64 v[78:79], v[74:75], v[68:69]
	v_mul_f64 v[68:69], v[72:73], v[68:69]
	s_waitcnt vmcnt(0)
	v_fma_f64 v[72:73], v[72:73], v[76:77], -v[78:79]
	v_fma_f64 v[68:69], v[74:75], v[76:77], v[68:69]
	v_add_f64 v[1:2], v[1:2], v[72:73]
	v_add_f64 v[3:4], v[3:4], v[68:69]
	s_andn2_b32 exec_lo, exec_lo, s5
	s_cbranch_execnz .LBB29_104
; %bb.105:
	s_or_b32 exec_lo, exec_lo, s5
.LBB29_106:
	s_or_b32 exec_lo, exec_lo, s8
	v_mov_b32_e32 v67, 0
	ds_read_b128 v[67:70], v67 offset:256
	s_waitcnt lgkmcnt(0)
	v_mul_f64 v[72:73], v[3:4], v[69:70]
	v_mul_f64 v[69:70], v[1:2], v[69:70]
	v_fma_f64 v[1:2], v[1:2], v[67:68], -v[72:73]
	v_fma_f64 v[3:4], v[3:4], v[67:68], v[69:70]
	buffer_store_dword v2, off, s[0:3], 0 offset:260
	buffer_store_dword v1, off, s[0:3], 0 offset:256
	;; [unrolled: 1-line block ×4, first 2 shown]
.LBB29_107:
	s_or_b32 exec_lo, exec_lo, s6
	v_mov_b32_e32 v4, s22
	v_cmp_lt_u32_e64 s5, 15, v0
	s_clause 0x3
	buffer_load_dword v1, v4, s[0:3], 0 offen
	buffer_load_dword v2, v4, s[0:3], 0 offen offset:4
	buffer_load_dword v3, v4, s[0:3], 0 offen offset:8
	;; [unrolled: 1-line block ×3, first 2 shown]
	s_waitcnt vmcnt(0)
	ds_write_b128 v66, v[1:4]
	s_waitcnt lgkmcnt(0)
	s_waitcnt_vscnt null, 0x0
	s_barrier
	buffer_gl0_inv
	s_and_saveexec_b32 s6, s5
	s_cbranch_execz .LBB29_115
; %bb.108:
	ds_read_b128 v[1:4], v66
	s_andn2_b32 vcc_lo, exec_lo, s38
	s_cbranch_vccnz .LBB29_110
; %bb.109:
	s_clause 0x3
	buffer_load_dword v67, v65, s[0:3], 0 offen offset:8
	buffer_load_dword v68, v65, s[0:3], 0 offen offset:12
	buffer_load_dword v69, v65, s[0:3], 0 offen
	buffer_load_dword v70, v65, s[0:3], 0 offen offset:4
	s_waitcnt vmcnt(2) lgkmcnt(0)
	v_mul_f64 v[72:73], v[3:4], v[67:68]
	v_mul_f64 v[67:68], v[1:2], v[67:68]
	s_waitcnt vmcnt(0)
	v_fma_f64 v[1:2], v[1:2], v[69:70], -v[72:73]
	v_fma_f64 v[3:4], v[3:4], v[69:70], v[67:68]
.LBB29_110:
	s_and_saveexec_b32 s8, s4
	s_cbranch_execz .LBB29_114
; %bb.111:
	v_add_nc_u32_e32 v67, -16, v0
	s_movk_i32 s39, 0x2e0
	s_mov_b32 s4, 0
	s_mov_b32 s40, s21
	.p2align	6
.LBB29_112:                             ; =>This Inner Loop Header: Depth=1
	v_mov_b32_e32 v70, s40
	v_add_nc_u32_e32 v67, -1, v67
	s_add_i32 s40, s40, 16
	s_clause 0x3
	buffer_load_dword v68, v70, s[0:3], 0 offen offset:8
	buffer_load_dword v69, v70, s[0:3], 0 offen offset:12
	buffer_load_dword v76, v70, s[0:3], 0 offen
	buffer_load_dword v77, v70, s[0:3], 0 offen offset:4
	v_mov_b32_e32 v70, s39
	v_cmp_eq_u32_e32 vcc_lo, 0, v67
	s_add_i32 s39, s39, 16
	ds_read_b128 v[72:75], v70
	s_or_b32 s4, vcc_lo, s4
	s_waitcnt vmcnt(2) lgkmcnt(0)
	v_mul_f64 v[78:79], v[74:75], v[68:69]
	v_mul_f64 v[68:69], v[72:73], v[68:69]
	s_waitcnt vmcnt(0)
	v_fma_f64 v[72:73], v[72:73], v[76:77], -v[78:79]
	v_fma_f64 v[68:69], v[74:75], v[76:77], v[68:69]
	v_add_f64 v[1:2], v[1:2], v[72:73]
	v_add_f64 v[3:4], v[3:4], v[68:69]
	s_andn2_b32 exec_lo, exec_lo, s4
	s_cbranch_execnz .LBB29_112
; %bb.113:
	s_or_b32 exec_lo, exec_lo, s4
.LBB29_114:
	s_or_b32 exec_lo, exec_lo, s8
	v_mov_b32_e32 v67, 0
	ds_read_b128 v[67:70], v67 offset:240
	s_waitcnt lgkmcnt(0)
	v_mul_f64 v[72:73], v[3:4], v[69:70]
	v_mul_f64 v[69:70], v[1:2], v[69:70]
	v_fma_f64 v[1:2], v[1:2], v[67:68], -v[72:73]
	v_fma_f64 v[3:4], v[3:4], v[67:68], v[69:70]
	buffer_store_dword v2, off, s[0:3], 0 offset:244
	buffer_store_dword v1, off, s[0:3], 0 offset:240
	;; [unrolled: 1-line block ×4, first 2 shown]
.LBB29_115:
	s_or_b32 exec_lo, exec_lo, s6
	v_mov_b32_e32 v4, s23
	v_cmp_lt_u32_e64 s4, 14, v0
	s_clause 0x3
	buffer_load_dword v1, v4, s[0:3], 0 offen
	buffer_load_dword v2, v4, s[0:3], 0 offen offset:4
	buffer_load_dword v3, v4, s[0:3], 0 offen offset:8
	;; [unrolled: 1-line block ×3, first 2 shown]
	s_waitcnt vmcnt(0)
	ds_write_b128 v66, v[1:4]
	s_waitcnt lgkmcnt(0)
	s_waitcnt_vscnt null, 0x0
	s_barrier
	buffer_gl0_inv
	s_and_saveexec_b32 s6, s4
	s_cbranch_execz .LBB29_123
; %bb.116:
	ds_read_b128 v[1:4], v66
	s_andn2_b32 vcc_lo, exec_lo, s38
	s_cbranch_vccnz .LBB29_118
; %bb.117:
	s_clause 0x3
	buffer_load_dword v67, v65, s[0:3], 0 offen offset:8
	buffer_load_dword v68, v65, s[0:3], 0 offen offset:12
	buffer_load_dword v69, v65, s[0:3], 0 offen
	buffer_load_dword v70, v65, s[0:3], 0 offen offset:4
	s_waitcnt vmcnt(2) lgkmcnt(0)
	v_mul_f64 v[72:73], v[3:4], v[67:68]
	v_mul_f64 v[67:68], v[1:2], v[67:68]
	s_waitcnt vmcnt(0)
	v_fma_f64 v[1:2], v[1:2], v[69:70], -v[72:73]
	v_fma_f64 v[3:4], v[3:4], v[69:70], v[67:68]
.LBB29_118:
	s_and_saveexec_b32 s8, s5
	s_cbranch_execz .LBB29_122
; %bb.119:
	v_add_nc_u32_e32 v67, -15, v0
	s_movk_i32 s39, 0x2d0
	s_mov_b32 s5, 0
	s_mov_b32 s40, s22
	.p2align	6
.LBB29_120:                             ; =>This Inner Loop Header: Depth=1
	v_mov_b32_e32 v70, s40
	v_add_nc_u32_e32 v67, -1, v67
	s_add_i32 s40, s40, 16
	s_clause 0x3
	buffer_load_dword v68, v70, s[0:3], 0 offen offset:8
	buffer_load_dword v69, v70, s[0:3], 0 offen offset:12
	buffer_load_dword v76, v70, s[0:3], 0 offen
	buffer_load_dword v77, v70, s[0:3], 0 offen offset:4
	v_mov_b32_e32 v70, s39
	v_cmp_eq_u32_e32 vcc_lo, 0, v67
	s_add_i32 s39, s39, 16
	ds_read_b128 v[72:75], v70
	s_or_b32 s5, vcc_lo, s5
	s_waitcnt vmcnt(2) lgkmcnt(0)
	v_mul_f64 v[78:79], v[74:75], v[68:69]
	v_mul_f64 v[68:69], v[72:73], v[68:69]
	s_waitcnt vmcnt(0)
	v_fma_f64 v[72:73], v[72:73], v[76:77], -v[78:79]
	v_fma_f64 v[68:69], v[74:75], v[76:77], v[68:69]
	v_add_f64 v[1:2], v[1:2], v[72:73]
	v_add_f64 v[3:4], v[3:4], v[68:69]
	s_andn2_b32 exec_lo, exec_lo, s5
	s_cbranch_execnz .LBB29_120
; %bb.121:
	s_or_b32 exec_lo, exec_lo, s5
.LBB29_122:
	s_or_b32 exec_lo, exec_lo, s8
	v_mov_b32_e32 v67, 0
	ds_read_b128 v[67:70], v67 offset:224
	s_waitcnt lgkmcnt(0)
	v_mul_f64 v[72:73], v[3:4], v[69:70]
	v_mul_f64 v[69:70], v[1:2], v[69:70]
	v_fma_f64 v[1:2], v[1:2], v[67:68], -v[72:73]
	v_fma_f64 v[3:4], v[3:4], v[67:68], v[69:70]
	buffer_store_dword v2, off, s[0:3], 0 offset:228
	buffer_store_dword v1, off, s[0:3], 0 offset:224
	;; [unrolled: 1-line block ×4, first 2 shown]
.LBB29_123:
	s_or_b32 exec_lo, exec_lo, s6
	v_mov_b32_e32 v4, s24
	v_cmp_lt_u32_e64 s5, 13, v0
	s_clause 0x3
	buffer_load_dword v1, v4, s[0:3], 0 offen
	buffer_load_dword v2, v4, s[0:3], 0 offen offset:4
	buffer_load_dword v3, v4, s[0:3], 0 offen offset:8
	;; [unrolled: 1-line block ×3, first 2 shown]
	s_waitcnt vmcnt(0)
	ds_write_b128 v66, v[1:4]
	s_waitcnt lgkmcnt(0)
	s_waitcnt_vscnt null, 0x0
	s_barrier
	buffer_gl0_inv
	s_and_saveexec_b32 s6, s5
	s_cbranch_execz .LBB29_131
; %bb.124:
	ds_read_b128 v[1:4], v66
	s_andn2_b32 vcc_lo, exec_lo, s38
	s_cbranch_vccnz .LBB29_126
; %bb.125:
	s_clause 0x3
	buffer_load_dword v67, v65, s[0:3], 0 offen offset:8
	buffer_load_dword v68, v65, s[0:3], 0 offen offset:12
	buffer_load_dword v69, v65, s[0:3], 0 offen
	buffer_load_dword v70, v65, s[0:3], 0 offen offset:4
	s_waitcnt vmcnt(2) lgkmcnt(0)
	v_mul_f64 v[72:73], v[3:4], v[67:68]
	v_mul_f64 v[67:68], v[1:2], v[67:68]
	s_waitcnt vmcnt(0)
	v_fma_f64 v[1:2], v[1:2], v[69:70], -v[72:73]
	v_fma_f64 v[3:4], v[3:4], v[69:70], v[67:68]
.LBB29_126:
	s_and_saveexec_b32 s8, s4
	s_cbranch_execz .LBB29_130
; %bb.127:
	v_add_nc_u32_e32 v67, -14, v0
	s_movk_i32 s39, 0x2c0
	s_mov_b32 s4, 0
	s_mov_b32 s40, s23
	.p2align	6
.LBB29_128:                             ; =>This Inner Loop Header: Depth=1
	v_mov_b32_e32 v70, s40
	v_add_nc_u32_e32 v67, -1, v67
	s_add_i32 s40, s40, 16
	s_clause 0x3
	buffer_load_dword v68, v70, s[0:3], 0 offen offset:8
	buffer_load_dword v69, v70, s[0:3], 0 offen offset:12
	buffer_load_dword v76, v70, s[0:3], 0 offen
	buffer_load_dword v77, v70, s[0:3], 0 offen offset:4
	v_mov_b32_e32 v70, s39
	v_cmp_eq_u32_e32 vcc_lo, 0, v67
	s_add_i32 s39, s39, 16
	ds_read_b128 v[72:75], v70
	s_or_b32 s4, vcc_lo, s4
	s_waitcnt vmcnt(2) lgkmcnt(0)
	v_mul_f64 v[78:79], v[74:75], v[68:69]
	v_mul_f64 v[68:69], v[72:73], v[68:69]
	s_waitcnt vmcnt(0)
	v_fma_f64 v[72:73], v[72:73], v[76:77], -v[78:79]
	v_fma_f64 v[68:69], v[74:75], v[76:77], v[68:69]
	v_add_f64 v[1:2], v[1:2], v[72:73]
	v_add_f64 v[3:4], v[3:4], v[68:69]
	s_andn2_b32 exec_lo, exec_lo, s4
	s_cbranch_execnz .LBB29_128
; %bb.129:
	s_or_b32 exec_lo, exec_lo, s4
.LBB29_130:
	s_or_b32 exec_lo, exec_lo, s8
	v_mov_b32_e32 v67, 0
	ds_read_b128 v[67:70], v67 offset:208
	s_waitcnt lgkmcnt(0)
	v_mul_f64 v[72:73], v[3:4], v[69:70]
	v_mul_f64 v[69:70], v[1:2], v[69:70]
	v_fma_f64 v[1:2], v[1:2], v[67:68], -v[72:73]
	v_fma_f64 v[3:4], v[3:4], v[67:68], v[69:70]
	buffer_store_dword v2, off, s[0:3], 0 offset:212
	buffer_store_dword v1, off, s[0:3], 0 offset:208
	;; [unrolled: 1-line block ×4, first 2 shown]
.LBB29_131:
	s_or_b32 exec_lo, exec_lo, s6
	v_mov_b32_e32 v4, s25
	v_cmp_lt_u32_e64 s4, 12, v0
	s_clause 0x3
	buffer_load_dword v1, v4, s[0:3], 0 offen
	buffer_load_dword v2, v4, s[0:3], 0 offen offset:4
	buffer_load_dword v3, v4, s[0:3], 0 offen offset:8
	;; [unrolled: 1-line block ×3, first 2 shown]
	s_waitcnt vmcnt(0)
	ds_write_b128 v66, v[1:4]
	s_waitcnt lgkmcnt(0)
	s_waitcnt_vscnt null, 0x0
	s_barrier
	buffer_gl0_inv
	s_and_saveexec_b32 s6, s4
	s_cbranch_execz .LBB29_139
; %bb.132:
	ds_read_b128 v[1:4], v66
	s_andn2_b32 vcc_lo, exec_lo, s38
	s_cbranch_vccnz .LBB29_134
; %bb.133:
	s_clause 0x3
	buffer_load_dword v67, v65, s[0:3], 0 offen offset:8
	buffer_load_dword v68, v65, s[0:3], 0 offen offset:12
	buffer_load_dword v69, v65, s[0:3], 0 offen
	buffer_load_dword v70, v65, s[0:3], 0 offen offset:4
	s_waitcnt vmcnt(2) lgkmcnt(0)
	v_mul_f64 v[72:73], v[3:4], v[67:68]
	v_mul_f64 v[67:68], v[1:2], v[67:68]
	s_waitcnt vmcnt(0)
	v_fma_f64 v[1:2], v[1:2], v[69:70], -v[72:73]
	v_fma_f64 v[3:4], v[3:4], v[69:70], v[67:68]
.LBB29_134:
	s_and_saveexec_b32 s8, s5
	s_cbranch_execz .LBB29_138
; %bb.135:
	v_add_nc_u32_e32 v67, -13, v0
	s_movk_i32 s39, 0x2b0
	s_mov_b32 s5, 0
	s_mov_b32 s40, s24
	.p2align	6
.LBB29_136:                             ; =>This Inner Loop Header: Depth=1
	v_mov_b32_e32 v70, s40
	v_add_nc_u32_e32 v67, -1, v67
	s_add_i32 s40, s40, 16
	s_clause 0x3
	buffer_load_dword v68, v70, s[0:3], 0 offen offset:8
	buffer_load_dword v69, v70, s[0:3], 0 offen offset:12
	buffer_load_dword v76, v70, s[0:3], 0 offen
	buffer_load_dword v77, v70, s[0:3], 0 offen offset:4
	v_mov_b32_e32 v70, s39
	v_cmp_eq_u32_e32 vcc_lo, 0, v67
	s_add_i32 s39, s39, 16
	ds_read_b128 v[72:75], v70
	s_or_b32 s5, vcc_lo, s5
	s_waitcnt vmcnt(2) lgkmcnt(0)
	v_mul_f64 v[78:79], v[74:75], v[68:69]
	v_mul_f64 v[68:69], v[72:73], v[68:69]
	s_waitcnt vmcnt(0)
	v_fma_f64 v[72:73], v[72:73], v[76:77], -v[78:79]
	v_fma_f64 v[68:69], v[74:75], v[76:77], v[68:69]
	v_add_f64 v[1:2], v[1:2], v[72:73]
	v_add_f64 v[3:4], v[3:4], v[68:69]
	s_andn2_b32 exec_lo, exec_lo, s5
	s_cbranch_execnz .LBB29_136
; %bb.137:
	s_or_b32 exec_lo, exec_lo, s5
.LBB29_138:
	s_or_b32 exec_lo, exec_lo, s8
	v_mov_b32_e32 v67, 0
	ds_read_b128 v[67:70], v67 offset:192
	s_waitcnt lgkmcnt(0)
	v_mul_f64 v[72:73], v[3:4], v[69:70]
	v_mul_f64 v[69:70], v[1:2], v[69:70]
	v_fma_f64 v[1:2], v[1:2], v[67:68], -v[72:73]
	v_fma_f64 v[3:4], v[3:4], v[67:68], v[69:70]
	buffer_store_dword v2, off, s[0:3], 0 offset:196
	buffer_store_dword v1, off, s[0:3], 0 offset:192
	;; [unrolled: 1-line block ×4, first 2 shown]
.LBB29_139:
	s_or_b32 exec_lo, exec_lo, s6
	v_mov_b32_e32 v4, s26
	v_cmp_lt_u32_e64 s5, 11, v0
	s_clause 0x3
	buffer_load_dword v1, v4, s[0:3], 0 offen
	buffer_load_dword v2, v4, s[0:3], 0 offen offset:4
	buffer_load_dword v3, v4, s[0:3], 0 offen offset:8
	;; [unrolled: 1-line block ×3, first 2 shown]
	s_waitcnt vmcnt(0)
	ds_write_b128 v66, v[1:4]
	s_waitcnt lgkmcnt(0)
	s_waitcnt_vscnt null, 0x0
	s_barrier
	buffer_gl0_inv
	s_and_saveexec_b32 s6, s5
	s_cbranch_execz .LBB29_147
; %bb.140:
	ds_read_b128 v[1:4], v66
	s_andn2_b32 vcc_lo, exec_lo, s38
	s_cbranch_vccnz .LBB29_142
; %bb.141:
	s_clause 0x3
	buffer_load_dword v67, v65, s[0:3], 0 offen offset:8
	buffer_load_dword v68, v65, s[0:3], 0 offen offset:12
	buffer_load_dword v69, v65, s[0:3], 0 offen
	buffer_load_dword v70, v65, s[0:3], 0 offen offset:4
	s_waitcnt vmcnt(2) lgkmcnt(0)
	v_mul_f64 v[72:73], v[3:4], v[67:68]
	v_mul_f64 v[67:68], v[1:2], v[67:68]
	s_waitcnt vmcnt(0)
	v_fma_f64 v[1:2], v[1:2], v[69:70], -v[72:73]
	v_fma_f64 v[3:4], v[3:4], v[69:70], v[67:68]
.LBB29_142:
	s_and_saveexec_b32 s8, s4
	s_cbranch_execz .LBB29_146
; %bb.143:
	v_add_nc_u32_e32 v67, -12, v0
	s_movk_i32 s39, 0x2a0
	s_mov_b32 s4, 0
	s_mov_b32 s40, s25
	.p2align	6
.LBB29_144:                             ; =>This Inner Loop Header: Depth=1
	v_mov_b32_e32 v70, s40
	v_add_nc_u32_e32 v67, -1, v67
	s_add_i32 s40, s40, 16
	s_clause 0x3
	buffer_load_dword v68, v70, s[0:3], 0 offen offset:8
	buffer_load_dword v69, v70, s[0:3], 0 offen offset:12
	buffer_load_dword v76, v70, s[0:3], 0 offen
	buffer_load_dword v77, v70, s[0:3], 0 offen offset:4
	v_mov_b32_e32 v70, s39
	v_cmp_eq_u32_e32 vcc_lo, 0, v67
	s_add_i32 s39, s39, 16
	ds_read_b128 v[72:75], v70
	s_or_b32 s4, vcc_lo, s4
	s_waitcnt vmcnt(2) lgkmcnt(0)
	v_mul_f64 v[78:79], v[74:75], v[68:69]
	v_mul_f64 v[68:69], v[72:73], v[68:69]
	s_waitcnt vmcnt(0)
	v_fma_f64 v[72:73], v[72:73], v[76:77], -v[78:79]
	v_fma_f64 v[68:69], v[74:75], v[76:77], v[68:69]
	v_add_f64 v[1:2], v[1:2], v[72:73]
	v_add_f64 v[3:4], v[3:4], v[68:69]
	s_andn2_b32 exec_lo, exec_lo, s4
	s_cbranch_execnz .LBB29_144
; %bb.145:
	s_or_b32 exec_lo, exec_lo, s4
.LBB29_146:
	s_or_b32 exec_lo, exec_lo, s8
	v_mov_b32_e32 v67, 0
	ds_read_b128 v[67:70], v67 offset:176
	s_waitcnt lgkmcnt(0)
	v_mul_f64 v[72:73], v[3:4], v[69:70]
	v_mul_f64 v[69:70], v[1:2], v[69:70]
	v_fma_f64 v[1:2], v[1:2], v[67:68], -v[72:73]
	v_fma_f64 v[3:4], v[3:4], v[67:68], v[69:70]
	buffer_store_dword v2, off, s[0:3], 0 offset:180
	buffer_store_dword v1, off, s[0:3], 0 offset:176
	;; [unrolled: 1-line block ×4, first 2 shown]
.LBB29_147:
	s_or_b32 exec_lo, exec_lo, s6
	v_mov_b32_e32 v4, s27
	v_cmp_lt_u32_e64 s4, 10, v0
	s_clause 0x3
	buffer_load_dword v1, v4, s[0:3], 0 offen
	buffer_load_dword v2, v4, s[0:3], 0 offen offset:4
	buffer_load_dword v3, v4, s[0:3], 0 offen offset:8
	;; [unrolled: 1-line block ×3, first 2 shown]
	s_waitcnt vmcnt(0)
	ds_write_b128 v66, v[1:4]
	s_waitcnt lgkmcnt(0)
	s_waitcnt_vscnt null, 0x0
	s_barrier
	buffer_gl0_inv
	s_and_saveexec_b32 s6, s4
	s_cbranch_execz .LBB29_155
; %bb.148:
	ds_read_b128 v[1:4], v66
	s_andn2_b32 vcc_lo, exec_lo, s38
	s_cbranch_vccnz .LBB29_150
; %bb.149:
	s_clause 0x3
	buffer_load_dword v67, v65, s[0:3], 0 offen offset:8
	buffer_load_dword v68, v65, s[0:3], 0 offen offset:12
	buffer_load_dword v69, v65, s[0:3], 0 offen
	buffer_load_dword v70, v65, s[0:3], 0 offen offset:4
	s_waitcnt vmcnt(2) lgkmcnt(0)
	v_mul_f64 v[72:73], v[3:4], v[67:68]
	v_mul_f64 v[67:68], v[1:2], v[67:68]
	s_waitcnt vmcnt(0)
	v_fma_f64 v[1:2], v[1:2], v[69:70], -v[72:73]
	v_fma_f64 v[3:4], v[3:4], v[69:70], v[67:68]
.LBB29_150:
	s_and_saveexec_b32 s8, s5
	s_cbranch_execz .LBB29_154
; %bb.151:
	v_add_nc_u32_e32 v67, -11, v0
	s_movk_i32 s39, 0x290
	s_mov_b32 s5, 0
	s_mov_b32 s40, s26
	.p2align	6
.LBB29_152:                             ; =>This Inner Loop Header: Depth=1
	v_mov_b32_e32 v70, s40
	v_add_nc_u32_e32 v67, -1, v67
	s_add_i32 s40, s40, 16
	s_clause 0x3
	buffer_load_dword v68, v70, s[0:3], 0 offen offset:8
	buffer_load_dword v69, v70, s[0:3], 0 offen offset:12
	buffer_load_dword v76, v70, s[0:3], 0 offen
	buffer_load_dword v77, v70, s[0:3], 0 offen offset:4
	v_mov_b32_e32 v70, s39
	v_cmp_eq_u32_e32 vcc_lo, 0, v67
	s_add_i32 s39, s39, 16
	ds_read_b128 v[72:75], v70
	s_or_b32 s5, vcc_lo, s5
	s_waitcnt vmcnt(2) lgkmcnt(0)
	v_mul_f64 v[78:79], v[74:75], v[68:69]
	v_mul_f64 v[68:69], v[72:73], v[68:69]
	s_waitcnt vmcnt(0)
	v_fma_f64 v[72:73], v[72:73], v[76:77], -v[78:79]
	v_fma_f64 v[68:69], v[74:75], v[76:77], v[68:69]
	v_add_f64 v[1:2], v[1:2], v[72:73]
	v_add_f64 v[3:4], v[3:4], v[68:69]
	s_andn2_b32 exec_lo, exec_lo, s5
	s_cbranch_execnz .LBB29_152
; %bb.153:
	s_or_b32 exec_lo, exec_lo, s5
.LBB29_154:
	s_or_b32 exec_lo, exec_lo, s8
	v_mov_b32_e32 v67, 0
	ds_read_b128 v[67:70], v67 offset:160
	s_waitcnt lgkmcnt(0)
	v_mul_f64 v[72:73], v[3:4], v[69:70]
	v_mul_f64 v[69:70], v[1:2], v[69:70]
	v_fma_f64 v[1:2], v[1:2], v[67:68], -v[72:73]
	v_fma_f64 v[3:4], v[3:4], v[67:68], v[69:70]
	buffer_store_dword v2, off, s[0:3], 0 offset:164
	buffer_store_dword v1, off, s[0:3], 0 offset:160
	;; [unrolled: 1-line block ×4, first 2 shown]
.LBB29_155:
	s_or_b32 exec_lo, exec_lo, s6
	v_mov_b32_e32 v4, s28
	v_cmp_lt_u32_e64 s5, 9, v0
	s_clause 0x3
	buffer_load_dword v1, v4, s[0:3], 0 offen
	buffer_load_dword v2, v4, s[0:3], 0 offen offset:4
	buffer_load_dword v3, v4, s[0:3], 0 offen offset:8
	;; [unrolled: 1-line block ×3, first 2 shown]
	s_waitcnt vmcnt(0)
	ds_write_b128 v66, v[1:4]
	s_waitcnt lgkmcnt(0)
	s_waitcnt_vscnt null, 0x0
	s_barrier
	buffer_gl0_inv
	s_and_saveexec_b32 s6, s5
	s_cbranch_execz .LBB29_163
; %bb.156:
	ds_read_b128 v[1:4], v66
	s_andn2_b32 vcc_lo, exec_lo, s38
	s_cbranch_vccnz .LBB29_158
; %bb.157:
	s_clause 0x3
	buffer_load_dword v67, v65, s[0:3], 0 offen offset:8
	buffer_load_dword v68, v65, s[0:3], 0 offen offset:12
	buffer_load_dword v69, v65, s[0:3], 0 offen
	buffer_load_dword v70, v65, s[0:3], 0 offen offset:4
	s_waitcnt vmcnt(2) lgkmcnt(0)
	v_mul_f64 v[72:73], v[3:4], v[67:68]
	v_mul_f64 v[67:68], v[1:2], v[67:68]
	s_waitcnt vmcnt(0)
	v_fma_f64 v[1:2], v[1:2], v[69:70], -v[72:73]
	v_fma_f64 v[3:4], v[3:4], v[69:70], v[67:68]
.LBB29_158:
	s_and_saveexec_b32 s8, s4
	s_cbranch_execz .LBB29_162
; %bb.159:
	v_add_nc_u32_e32 v67, -10, v0
	s_movk_i32 s39, 0x280
	s_mov_b32 s4, 0
	s_mov_b32 s40, s27
	.p2align	6
.LBB29_160:                             ; =>This Inner Loop Header: Depth=1
	v_mov_b32_e32 v70, s40
	v_add_nc_u32_e32 v67, -1, v67
	s_add_i32 s40, s40, 16
	s_clause 0x3
	buffer_load_dword v68, v70, s[0:3], 0 offen offset:8
	buffer_load_dword v69, v70, s[0:3], 0 offen offset:12
	buffer_load_dword v76, v70, s[0:3], 0 offen
	buffer_load_dword v77, v70, s[0:3], 0 offen offset:4
	v_mov_b32_e32 v70, s39
	v_cmp_eq_u32_e32 vcc_lo, 0, v67
	s_add_i32 s39, s39, 16
	ds_read_b128 v[72:75], v70
	s_or_b32 s4, vcc_lo, s4
	s_waitcnt vmcnt(2) lgkmcnt(0)
	v_mul_f64 v[78:79], v[74:75], v[68:69]
	v_mul_f64 v[68:69], v[72:73], v[68:69]
	s_waitcnt vmcnt(0)
	v_fma_f64 v[72:73], v[72:73], v[76:77], -v[78:79]
	v_fma_f64 v[68:69], v[74:75], v[76:77], v[68:69]
	v_add_f64 v[1:2], v[1:2], v[72:73]
	v_add_f64 v[3:4], v[3:4], v[68:69]
	s_andn2_b32 exec_lo, exec_lo, s4
	s_cbranch_execnz .LBB29_160
; %bb.161:
	s_or_b32 exec_lo, exec_lo, s4
.LBB29_162:
	s_or_b32 exec_lo, exec_lo, s8
	v_mov_b32_e32 v67, 0
	ds_read_b128 v[67:70], v67 offset:144
	s_waitcnt lgkmcnt(0)
	v_mul_f64 v[72:73], v[3:4], v[69:70]
	v_mul_f64 v[69:70], v[1:2], v[69:70]
	v_fma_f64 v[1:2], v[1:2], v[67:68], -v[72:73]
	v_fma_f64 v[3:4], v[3:4], v[67:68], v[69:70]
	buffer_store_dword v2, off, s[0:3], 0 offset:148
	buffer_store_dword v1, off, s[0:3], 0 offset:144
	;; [unrolled: 1-line block ×4, first 2 shown]
.LBB29_163:
	s_or_b32 exec_lo, exec_lo, s6
	v_mov_b32_e32 v4, s29
	v_cmp_lt_u32_e64 s4, 8, v0
	s_clause 0x3
	buffer_load_dword v1, v4, s[0:3], 0 offen
	buffer_load_dword v2, v4, s[0:3], 0 offen offset:4
	buffer_load_dword v3, v4, s[0:3], 0 offen offset:8
	;; [unrolled: 1-line block ×3, first 2 shown]
	s_waitcnt vmcnt(0)
	ds_write_b128 v66, v[1:4]
	s_waitcnt lgkmcnt(0)
	s_waitcnt_vscnt null, 0x0
	s_barrier
	buffer_gl0_inv
	s_and_saveexec_b32 s6, s4
	s_cbranch_execz .LBB29_171
; %bb.164:
	ds_read_b128 v[1:4], v66
	s_andn2_b32 vcc_lo, exec_lo, s38
	s_cbranch_vccnz .LBB29_166
; %bb.165:
	s_clause 0x3
	buffer_load_dword v67, v65, s[0:3], 0 offen offset:8
	buffer_load_dword v68, v65, s[0:3], 0 offen offset:12
	buffer_load_dword v69, v65, s[0:3], 0 offen
	buffer_load_dword v70, v65, s[0:3], 0 offen offset:4
	s_waitcnt vmcnt(2) lgkmcnt(0)
	v_mul_f64 v[72:73], v[3:4], v[67:68]
	v_mul_f64 v[67:68], v[1:2], v[67:68]
	s_waitcnt vmcnt(0)
	v_fma_f64 v[1:2], v[1:2], v[69:70], -v[72:73]
	v_fma_f64 v[3:4], v[3:4], v[69:70], v[67:68]
.LBB29_166:
	s_and_saveexec_b32 s8, s5
	s_cbranch_execz .LBB29_170
; %bb.167:
	v_add_nc_u32_e32 v67, -9, v0
	s_movk_i32 s39, 0x270
	s_mov_b32 s5, 0
	s_mov_b32 s40, s28
	.p2align	6
.LBB29_168:                             ; =>This Inner Loop Header: Depth=1
	v_mov_b32_e32 v70, s40
	v_add_nc_u32_e32 v67, -1, v67
	s_add_i32 s40, s40, 16
	s_clause 0x3
	buffer_load_dword v68, v70, s[0:3], 0 offen offset:8
	buffer_load_dword v69, v70, s[0:3], 0 offen offset:12
	buffer_load_dword v76, v70, s[0:3], 0 offen
	buffer_load_dword v77, v70, s[0:3], 0 offen offset:4
	v_mov_b32_e32 v70, s39
	v_cmp_eq_u32_e32 vcc_lo, 0, v67
	s_add_i32 s39, s39, 16
	ds_read_b128 v[72:75], v70
	s_or_b32 s5, vcc_lo, s5
	s_waitcnt vmcnt(2) lgkmcnt(0)
	v_mul_f64 v[78:79], v[74:75], v[68:69]
	v_mul_f64 v[68:69], v[72:73], v[68:69]
	s_waitcnt vmcnt(0)
	v_fma_f64 v[72:73], v[72:73], v[76:77], -v[78:79]
	v_fma_f64 v[68:69], v[74:75], v[76:77], v[68:69]
	v_add_f64 v[1:2], v[1:2], v[72:73]
	v_add_f64 v[3:4], v[3:4], v[68:69]
	s_andn2_b32 exec_lo, exec_lo, s5
	s_cbranch_execnz .LBB29_168
; %bb.169:
	s_or_b32 exec_lo, exec_lo, s5
.LBB29_170:
	s_or_b32 exec_lo, exec_lo, s8
	v_mov_b32_e32 v67, 0
	ds_read_b128 v[67:70], v67 offset:128
	s_waitcnt lgkmcnt(0)
	v_mul_f64 v[72:73], v[3:4], v[69:70]
	v_mul_f64 v[69:70], v[1:2], v[69:70]
	v_fma_f64 v[1:2], v[1:2], v[67:68], -v[72:73]
	v_fma_f64 v[3:4], v[3:4], v[67:68], v[69:70]
	buffer_store_dword v2, off, s[0:3], 0 offset:132
	buffer_store_dword v1, off, s[0:3], 0 offset:128
	;; [unrolled: 1-line block ×4, first 2 shown]
.LBB29_171:
	s_or_b32 exec_lo, exec_lo, s6
	v_mov_b32_e32 v4, s30
	v_cmp_lt_u32_e64 s5, 7, v0
	s_clause 0x3
	buffer_load_dword v1, v4, s[0:3], 0 offen
	buffer_load_dword v2, v4, s[0:3], 0 offen offset:4
	buffer_load_dword v3, v4, s[0:3], 0 offen offset:8
	;; [unrolled: 1-line block ×3, first 2 shown]
	s_waitcnt vmcnt(0)
	ds_write_b128 v66, v[1:4]
	s_waitcnt lgkmcnt(0)
	s_waitcnt_vscnt null, 0x0
	s_barrier
	buffer_gl0_inv
	s_and_saveexec_b32 s6, s5
	s_cbranch_execz .LBB29_179
; %bb.172:
	ds_read_b128 v[1:4], v66
	s_andn2_b32 vcc_lo, exec_lo, s38
	s_cbranch_vccnz .LBB29_174
; %bb.173:
	s_clause 0x3
	buffer_load_dword v67, v65, s[0:3], 0 offen offset:8
	buffer_load_dword v68, v65, s[0:3], 0 offen offset:12
	buffer_load_dword v69, v65, s[0:3], 0 offen
	buffer_load_dword v70, v65, s[0:3], 0 offen offset:4
	s_waitcnt vmcnt(2) lgkmcnt(0)
	v_mul_f64 v[72:73], v[3:4], v[67:68]
	v_mul_f64 v[67:68], v[1:2], v[67:68]
	s_waitcnt vmcnt(0)
	v_fma_f64 v[1:2], v[1:2], v[69:70], -v[72:73]
	v_fma_f64 v[3:4], v[3:4], v[69:70], v[67:68]
.LBB29_174:
	s_and_saveexec_b32 s8, s4
	s_cbranch_execz .LBB29_178
; %bb.175:
	v_add_nc_u32_e32 v67, -8, v0
	s_movk_i32 s39, 0x260
	s_mov_b32 s4, 0
	s_mov_b32 s40, s29
	.p2align	6
.LBB29_176:                             ; =>This Inner Loop Header: Depth=1
	v_mov_b32_e32 v70, s40
	v_add_nc_u32_e32 v67, -1, v67
	s_add_i32 s40, s40, 16
	s_clause 0x3
	buffer_load_dword v68, v70, s[0:3], 0 offen offset:8
	buffer_load_dword v69, v70, s[0:3], 0 offen offset:12
	buffer_load_dword v76, v70, s[0:3], 0 offen
	buffer_load_dword v77, v70, s[0:3], 0 offen offset:4
	v_mov_b32_e32 v70, s39
	v_cmp_eq_u32_e32 vcc_lo, 0, v67
	s_add_i32 s39, s39, 16
	ds_read_b128 v[72:75], v70
	s_or_b32 s4, vcc_lo, s4
	s_waitcnt vmcnt(2) lgkmcnt(0)
	v_mul_f64 v[78:79], v[74:75], v[68:69]
	v_mul_f64 v[68:69], v[72:73], v[68:69]
	s_waitcnt vmcnt(0)
	v_fma_f64 v[72:73], v[72:73], v[76:77], -v[78:79]
	v_fma_f64 v[68:69], v[74:75], v[76:77], v[68:69]
	v_add_f64 v[1:2], v[1:2], v[72:73]
	v_add_f64 v[3:4], v[3:4], v[68:69]
	s_andn2_b32 exec_lo, exec_lo, s4
	s_cbranch_execnz .LBB29_176
; %bb.177:
	s_or_b32 exec_lo, exec_lo, s4
.LBB29_178:
	s_or_b32 exec_lo, exec_lo, s8
	v_mov_b32_e32 v67, 0
	ds_read_b128 v[67:70], v67 offset:112
	s_waitcnt lgkmcnt(0)
	v_mul_f64 v[72:73], v[3:4], v[69:70]
	v_mul_f64 v[69:70], v[1:2], v[69:70]
	v_fma_f64 v[1:2], v[1:2], v[67:68], -v[72:73]
	v_fma_f64 v[3:4], v[3:4], v[67:68], v[69:70]
	buffer_store_dword v2, off, s[0:3], 0 offset:116
	buffer_store_dword v1, off, s[0:3], 0 offset:112
	;; [unrolled: 1-line block ×4, first 2 shown]
.LBB29_179:
	s_or_b32 exec_lo, exec_lo, s6
	v_mov_b32_e32 v4, s31
	v_cmp_lt_u32_e64 s4, 6, v0
	s_clause 0x3
	buffer_load_dword v1, v4, s[0:3], 0 offen
	buffer_load_dword v2, v4, s[0:3], 0 offen offset:4
	buffer_load_dword v3, v4, s[0:3], 0 offen offset:8
	;; [unrolled: 1-line block ×3, first 2 shown]
	s_waitcnt vmcnt(0)
	ds_write_b128 v66, v[1:4]
	s_waitcnt lgkmcnt(0)
	s_waitcnt_vscnt null, 0x0
	s_barrier
	buffer_gl0_inv
	s_and_saveexec_b32 s6, s4
	s_cbranch_execz .LBB29_187
; %bb.180:
	ds_read_b128 v[1:4], v66
	s_andn2_b32 vcc_lo, exec_lo, s38
	s_cbranch_vccnz .LBB29_182
; %bb.181:
	s_clause 0x3
	buffer_load_dword v67, v65, s[0:3], 0 offen offset:8
	buffer_load_dword v68, v65, s[0:3], 0 offen offset:12
	buffer_load_dword v69, v65, s[0:3], 0 offen
	buffer_load_dword v70, v65, s[0:3], 0 offen offset:4
	s_waitcnt vmcnt(2) lgkmcnt(0)
	v_mul_f64 v[72:73], v[3:4], v[67:68]
	v_mul_f64 v[67:68], v[1:2], v[67:68]
	s_waitcnt vmcnt(0)
	v_fma_f64 v[1:2], v[1:2], v[69:70], -v[72:73]
	v_fma_f64 v[3:4], v[3:4], v[69:70], v[67:68]
.LBB29_182:
	s_and_saveexec_b32 s8, s5
	s_cbranch_execz .LBB29_186
; %bb.183:
	v_add_nc_u32_e32 v67, -7, v0
	s_movk_i32 s39, 0x250
	s_mov_b32 s5, 0
	s_mov_b32 s40, s30
	.p2align	6
.LBB29_184:                             ; =>This Inner Loop Header: Depth=1
	v_mov_b32_e32 v70, s40
	v_add_nc_u32_e32 v67, -1, v67
	s_add_i32 s40, s40, 16
	s_clause 0x3
	buffer_load_dword v68, v70, s[0:3], 0 offen offset:8
	buffer_load_dword v69, v70, s[0:3], 0 offen offset:12
	buffer_load_dword v76, v70, s[0:3], 0 offen
	buffer_load_dword v77, v70, s[0:3], 0 offen offset:4
	v_mov_b32_e32 v70, s39
	v_cmp_eq_u32_e32 vcc_lo, 0, v67
	s_add_i32 s39, s39, 16
	ds_read_b128 v[72:75], v70
	s_or_b32 s5, vcc_lo, s5
	s_waitcnt vmcnt(2) lgkmcnt(0)
	v_mul_f64 v[78:79], v[74:75], v[68:69]
	v_mul_f64 v[68:69], v[72:73], v[68:69]
	s_waitcnt vmcnt(0)
	v_fma_f64 v[72:73], v[72:73], v[76:77], -v[78:79]
	v_fma_f64 v[68:69], v[74:75], v[76:77], v[68:69]
	v_add_f64 v[1:2], v[1:2], v[72:73]
	v_add_f64 v[3:4], v[3:4], v[68:69]
	s_andn2_b32 exec_lo, exec_lo, s5
	s_cbranch_execnz .LBB29_184
; %bb.185:
	s_or_b32 exec_lo, exec_lo, s5
.LBB29_186:
	s_or_b32 exec_lo, exec_lo, s8
	v_mov_b32_e32 v67, 0
	ds_read_b128 v[67:70], v67 offset:96
	s_waitcnt lgkmcnt(0)
	v_mul_f64 v[72:73], v[3:4], v[69:70]
	v_mul_f64 v[69:70], v[1:2], v[69:70]
	v_fma_f64 v[1:2], v[1:2], v[67:68], -v[72:73]
	v_fma_f64 v[3:4], v[3:4], v[67:68], v[69:70]
	buffer_store_dword v2, off, s[0:3], 0 offset:100
	buffer_store_dword v1, off, s[0:3], 0 offset:96
	;; [unrolled: 1-line block ×4, first 2 shown]
.LBB29_187:
	s_or_b32 exec_lo, exec_lo, s6
	v_mov_b32_e32 v4, s33
	v_cmp_lt_u32_e64 s5, 5, v0
	s_clause 0x3
	buffer_load_dword v1, v4, s[0:3], 0 offen
	buffer_load_dword v2, v4, s[0:3], 0 offen offset:4
	buffer_load_dword v3, v4, s[0:3], 0 offen offset:8
	buffer_load_dword v4, v4, s[0:3], 0 offen offset:12
	s_waitcnt vmcnt(0)
	ds_write_b128 v66, v[1:4]
	s_waitcnt lgkmcnt(0)
	s_waitcnt_vscnt null, 0x0
	s_barrier
	buffer_gl0_inv
	s_and_saveexec_b32 s6, s5
	s_cbranch_execz .LBB29_195
; %bb.188:
	ds_read_b128 v[1:4], v66
	s_andn2_b32 vcc_lo, exec_lo, s38
	s_cbranch_vccnz .LBB29_190
; %bb.189:
	s_clause 0x3
	buffer_load_dword v67, v65, s[0:3], 0 offen offset:8
	buffer_load_dword v68, v65, s[0:3], 0 offen offset:12
	buffer_load_dword v69, v65, s[0:3], 0 offen
	buffer_load_dword v70, v65, s[0:3], 0 offen offset:4
	s_waitcnt vmcnt(2) lgkmcnt(0)
	v_mul_f64 v[72:73], v[3:4], v[67:68]
	v_mul_f64 v[67:68], v[1:2], v[67:68]
	s_waitcnt vmcnt(0)
	v_fma_f64 v[1:2], v[1:2], v[69:70], -v[72:73]
	v_fma_f64 v[3:4], v[3:4], v[69:70], v[67:68]
.LBB29_190:
	s_and_saveexec_b32 s8, s4
	s_cbranch_execz .LBB29_194
; %bb.191:
	v_add_nc_u32_e32 v67, -6, v0
	s_movk_i32 s39, 0x240
	s_mov_b32 s4, 0
	s_mov_b32 s40, s31
	.p2align	6
.LBB29_192:                             ; =>This Inner Loop Header: Depth=1
	v_mov_b32_e32 v70, s40
	v_add_nc_u32_e32 v67, -1, v67
	s_add_i32 s40, s40, 16
	s_clause 0x3
	buffer_load_dword v68, v70, s[0:3], 0 offen offset:8
	buffer_load_dword v69, v70, s[0:3], 0 offen offset:12
	buffer_load_dword v76, v70, s[0:3], 0 offen
	buffer_load_dword v77, v70, s[0:3], 0 offen offset:4
	v_mov_b32_e32 v70, s39
	v_cmp_eq_u32_e32 vcc_lo, 0, v67
	s_add_i32 s39, s39, 16
	ds_read_b128 v[72:75], v70
	s_or_b32 s4, vcc_lo, s4
	s_waitcnt vmcnt(2) lgkmcnt(0)
	v_mul_f64 v[78:79], v[74:75], v[68:69]
	v_mul_f64 v[68:69], v[72:73], v[68:69]
	s_waitcnt vmcnt(0)
	v_fma_f64 v[72:73], v[72:73], v[76:77], -v[78:79]
	v_fma_f64 v[68:69], v[74:75], v[76:77], v[68:69]
	v_add_f64 v[1:2], v[1:2], v[72:73]
	v_add_f64 v[3:4], v[3:4], v[68:69]
	s_andn2_b32 exec_lo, exec_lo, s4
	s_cbranch_execnz .LBB29_192
; %bb.193:
	s_or_b32 exec_lo, exec_lo, s4
.LBB29_194:
	s_or_b32 exec_lo, exec_lo, s8
	v_mov_b32_e32 v67, 0
	ds_read_b128 v[67:70], v67 offset:80
	s_waitcnt lgkmcnt(0)
	v_mul_f64 v[72:73], v[3:4], v[69:70]
	v_mul_f64 v[69:70], v[1:2], v[69:70]
	v_fma_f64 v[1:2], v[1:2], v[67:68], -v[72:73]
	v_fma_f64 v[3:4], v[3:4], v[67:68], v[69:70]
	buffer_store_dword v2, off, s[0:3], 0 offset:84
	buffer_store_dword v1, off, s[0:3], 0 offset:80
	;; [unrolled: 1-line block ×4, first 2 shown]
.LBB29_195:
	s_or_b32 exec_lo, exec_lo, s6
	v_mov_b32_e32 v4, s34
	v_cmp_lt_u32_e64 s4, 4, v0
	s_clause 0x3
	buffer_load_dword v1, v4, s[0:3], 0 offen
	buffer_load_dword v2, v4, s[0:3], 0 offen offset:4
	buffer_load_dword v3, v4, s[0:3], 0 offen offset:8
	;; [unrolled: 1-line block ×3, first 2 shown]
	s_waitcnt vmcnt(0)
	ds_write_b128 v66, v[1:4]
	s_waitcnt lgkmcnt(0)
	s_waitcnt_vscnt null, 0x0
	s_barrier
	buffer_gl0_inv
	s_and_saveexec_b32 s6, s4
	s_cbranch_execz .LBB29_203
; %bb.196:
	ds_read_b128 v[1:4], v66
	s_andn2_b32 vcc_lo, exec_lo, s38
	s_cbranch_vccnz .LBB29_198
; %bb.197:
	s_clause 0x3
	buffer_load_dword v67, v65, s[0:3], 0 offen offset:8
	buffer_load_dword v68, v65, s[0:3], 0 offen offset:12
	buffer_load_dword v69, v65, s[0:3], 0 offen
	buffer_load_dword v70, v65, s[0:3], 0 offen offset:4
	s_waitcnt vmcnt(2) lgkmcnt(0)
	v_mul_f64 v[72:73], v[3:4], v[67:68]
	v_mul_f64 v[67:68], v[1:2], v[67:68]
	s_waitcnt vmcnt(0)
	v_fma_f64 v[1:2], v[1:2], v[69:70], -v[72:73]
	v_fma_f64 v[3:4], v[3:4], v[69:70], v[67:68]
.LBB29_198:
	s_and_saveexec_b32 s8, s5
	s_cbranch_execz .LBB29_202
; %bb.199:
	v_add_nc_u32_e32 v67, -5, v0
	s_movk_i32 s39, 0x230
	s_mov_b32 s5, 0
	s_mov_b32 s40, s33
	.p2align	6
.LBB29_200:                             ; =>This Inner Loop Header: Depth=1
	v_mov_b32_e32 v70, s40
	v_add_nc_u32_e32 v67, -1, v67
	s_add_i32 s40, s40, 16
	s_clause 0x3
	buffer_load_dword v68, v70, s[0:3], 0 offen offset:8
	buffer_load_dword v69, v70, s[0:3], 0 offen offset:12
	buffer_load_dword v76, v70, s[0:3], 0 offen
	buffer_load_dword v77, v70, s[0:3], 0 offen offset:4
	v_mov_b32_e32 v70, s39
	v_cmp_eq_u32_e32 vcc_lo, 0, v67
	s_add_i32 s39, s39, 16
	ds_read_b128 v[72:75], v70
	s_or_b32 s5, vcc_lo, s5
	s_waitcnt vmcnt(2) lgkmcnt(0)
	v_mul_f64 v[78:79], v[74:75], v[68:69]
	v_mul_f64 v[68:69], v[72:73], v[68:69]
	s_waitcnt vmcnt(0)
	v_fma_f64 v[72:73], v[72:73], v[76:77], -v[78:79]
	v_fma_f64 v[68:69], v[74:75], v[76:77], v[68:69]
	v_add_f64 v[1:2], v[1:2], v[72:73]
	v_add_f64 v[3:4], v[3:4], v[68:69]
	s_andn2_b32 exec_lo, exec_lo, s5
	s_cbranch_execnz .LBB29_200
; %bb.201:
	s_or_b32 exec_lo, exec_lo, s5
.LBB29_202:
	s_or_b32 exec_lo, exec_lo, s8
	v_mov_b32_e32 v67, 0
	ds_read_b128 v[67:70], v67 offset:64
	s_waitcnt lgkmcnt(0)
	v_mul_f64 v[72:73], v[3:4], v[69:70]
	v_mul_f64 v[69:70], v[1:2], v[69:70]
	v_fma_f64 v[1:2], v[1:2], v[67:68], -v[72:73]
	v_fma_f64 v[3:4], v[3:4], v[67:68], v[69:70]
	buffer_store_dword v2, off, s[0:3], 0 offset:68
	buffer_store_dword v1, off, s[0:3], 0 offset:64
	;; [unrolled: 1-line block ×4, first 2 shown]
.LBB29_203:
	s_or_b32 exec_lo, exec_lo, s6
	v_mov_b32_e32 v4, s35
	v_cmp_lt_u32_e64 s5, 3, v0
	s_clause 0x3
	buffer_load_dword v1, v4, s[0:3], 0 offen
	buffer_load_dword v2, v4, s[0:3], 0 offen offset:4
	buffer_load_dword v3, v4, s[0:3], 0 offen offset:8
	;; [unrolled: 1-line block ×3, first 2 shown]
	s_waitcnt vmcnt(0)
	ds_write_b128 v66, v[1:4]
	s_waitcnt lgkmcnt(0)
	s_waitcnt_vscnt null, 0x0
	s_barrier
	buffer_gl0_inv
	s_and_saveexec_b32 s6, s5
	s_cbranch_execz .LBB29_211
; %bb.204:
	ds_read_b128 v[1:4], v66
	s_andn2_b32 vcc_lo, exec_lo, s38
	s_cbranch_vccnz .LBB29_206
; %bb.205:
	s_clause 0x3
	buffer_load_dword v67, v65, s[0:3], 0 offen offset:8
	buffer_load_dword v68, v65, s[0:3], 0 offen offset:12
	buffer_load_dword v69, v65, s[0:3], 0 offen
	buffer_load_dword v70, v65, s[0:3], 0 offen offset:4
	s_waitcnt vmcnt(2) lgkmcnt(0)
	v_mul_f64 v[72:73], v[3:4], v[67:68]
	v_mul_f64 v[67:68], v[1:2], v[67:68]
	s_waitcnt vmcnt(0)
	v_fma_f64 v[1:2], v[1:2], v[69:70], -v[72:73]
	v_fma_f64 v[3:4], v[3:4], v[69:70], v[67:68]
.LBB29_206:
	s_and_saveexec_b32 s8, s4
	s_cbranch_execz .LBB29_210
; %bb.207:
	v_add_nc_u32_e32 v67, -4, v0
	s_movk_i32 s39, 0x220
	s_mov_b32 s4, 0
	s_mov_b32 s40, s34
	.p2align	6
.LBB29_208:                             ; =>This Inner Loop Header: Depth=1
	v_mov_b32_e32 v70, s40
	v_add_nc_u32_e32 v67, -1, v67
	s_add_i32 s40, s40, 16
	s_clause 0x3
	buffer_load_dword v68, v70, s[0:3], 0 offen offset:8
	buffer_load_dword v69, v70, s[0:3], 0 offen offset:12
	buffer_load_dword v76, v70, s[0:3], 0 offen
	buffer_load_dword v77, v70, s[0:3], 0 offen offset:4
	v_mov_b32_e32 v70, s39
	v_cmp_eq_u32_e32 vcc_lo, 0, v67
	s_add_i32 s39, s39, 16
	ds_read_b128 v[72:75], v70
	s_or_b32 s4, vcc_lo, s4
	s_waitcnt vmcnt(2) lgkmcnt(0)
	v_mul_f64 v[78:79], v[74:75], v[68:69]
	v_mul_f64 v[68:69], v[72:73], v[68:69]
	s_waitcnt vmcnt(0)
	v_fma_f64 v[72:73], v[72:73], v[76:77], -v[78:79]
	v_fma_f64 v[68:69], v[74:75], v[76:77], v[68:69]
	v_add_f64 v[1:2], v[1:2], v[72:73]
	v_add_f64 v[3:4], v[3:4], v[68:69]
	s_andn2_b32 exec_lo, exec_lo, s4
	s_cbranch_execnz .LBB29_208
; %bb.209:
	s_or_b32 exec_lo, exec_lo, s4
.LBB29_210:
	s_or_b32 exec_lo, exec_lo, s8
	v_mov_b32_e32 v67, 0
	ds_read_b128 v[67:70], v67 offset:48
	s_waitcnt lgkmcnt(0)
	v_mul_f64 v[72:73], v[3:4], v[69:70]
	v_mul_f64 v[69:70], v[1:2], v[69:70]
	v_fma_f64 v[1:2], v[1:2], v[67:68], -v[72:73]
	v_fma_f64 v[3:4], v[3:4], v[67:68], v[69:70]
	buffer_store_dword v2, off, s[0:3], 0 offset:52
	buffer_store_dword v1, off, s[0:3], 0 offset:48
	;; [unrolled: 1-line block ×4, first 2 shown]
.LBB29_211:
	s_or_b32 exec_lo, exec_lo, s6
	v_mov_b32_e32 v4, s36
	v_cmp_lt_u32_e64 s6, 2, v0
	s_clause 0x3
	buffer_load_dword v1, v4, s[0:3], 0 offen
	buffer_load_dword v2, v4, s[0:3], 0 offen offset:4
	buffer_load_dword v3, v4, s[0:3], 0 offen offset:8
	;; [unrolled: 1-line block ×3, first 2 shown]
	s_waitcnt vmcnt(0)
	ds_write_b128 v66, v[1:4]
	s_waitcnt lgkmcnt(0)
	s_waitcnt_vscnt null, 0x0
	s_barrier
	buffer_gl0_inv
	s_and_saveexec_b32 s4, s6
	s_cbranch_execz .LBB29_219
; %bb.212:
	ds_read_b128 v[1:4], v66
	s_andn2_b32 vcc_lo, exec_lo, s38
	s_cbranch_vccnz .LBB29_214
; %bb.213:
	s_clause 0x3
	buffer_load_dword v67, v65, s[0:3], 0 offen offset:8
	buffer_load_dword v68, v65, s[0:3], 0 offen offset:12
	buffer_load_dword v69, v65, s[0:3], 0 offen
	buffer_load_dword v70, v65, s[0:3], 0 offen offset:4
	s_waitcnt vmcnt(2) lgkmcnt(0)
	v_mul_f64 v[72:73], v[3:4], v[67:68]
	v_mul_f64 v[67:68], v[1:2], v[67:68]
	s_waitcnt vmcnt(0)
	v_fma_f64 v[1:2], v[1:2], v[69:70], -v[72:73]
	v_fma_f64 v[3:4], v[3:4], v[69:70], v[67:68]
.LBB29_214:
	s_and_saveexec_b32 s8, s5
	s_cbranch_execz .LBB29_218
; %bb.215:
	v_add_nc_u32_e32 v67, -3, v0
	s_movk_i32 s39, 0x210
	s_mov_b32 s5, 0
	s_mov_b32 s40, s35
	.p2align	6
.LBB29_216:                             ; =>This Inner Loop Header: Depth=1
	v_mov_b32_e32 v70, s40
	v_add_nc_u32_e32 v67, -1, v67
	s_add_i32 s40, s40, 16
	s_clause 0x3
	buffer_load_dword v68, v70, s[0:3], 0 offen offset:8
	buffer_load_dword v69, v70, s[0:3], 0 offen offset:12
	buffer_load_dword v76, v70, s[0:3], 0 offen
	buffer_load_dword v77, v70, s[0:3], 0 offen offset:4
	v_mov_b32_e32 v70, s39
	v_cmp_eq_u32_e32 vcc_lo, 0, v67
	s_add_i32 s39, s39, 16
	ds_read_b128 v[72:75], v70
	s_or_b32 s5, vcc_lo, s5
	s_waitcnt vmcnt(2) lgkmcnt(0)
	v_mul_f64 v[78:79], v[74:75], v[68:69]
	v_mul_f64 v[68:69], v[72:73], v[68:69]
	s_waitcnt vmcnt(0)
	v_fma_f64 v[72:73], v[72:73], v[76:77], -v[78:79]
	v_fma_f64 v[68:69], v[74:75], v[76:77], v[68:69]
	v_add_f64 v[1:2], v[1:2], v[72:73]
	v_add_f64 v[3:4], v[3:4], v[68:69]
	s_andn2_b32 exec_lo, exec_lo, s5
	s_cbranch_execnz .LBB29_216
; %bb.217:
	s_or_b32 exec_lo, exec_lo, s5
.LBB29_218:
	s_or_b32 exec_lo, exec_lo, s8
	v_mov_b32_e32 v67, 0
	ds_read_b128 v[67:70], v67 offset:32
	s_waitcnt lgkmcnt(0)
	v_mul_f64 v[72:73], v[3:4], v[69:70]
	v_mul_f64 v[69:70], v[1:2], v[69:70]
	v_fma_f64 v[1:2], v[1:2], v[67:68], -v[72:73]
	v_fma_f64 v[3:4], v[3:4], v[67:68], v[69:70]
	buffer_store_dword v2, off, s[0:3], 0 offset:36
	buffer_store_dword v1, off, s[0:3], 0 offset:32
	;; [unrolled: 1-line block ×4, first 2 shown]
.LBB29_219:
	s_or_b32 exec_lo, exec_lo, s4
	v_mov_b32_e32 v4, s37
	v_cmp_lt_u32_e64 s4, 1, v0
	s_clause 0x3
	buffer_load_dword v1, v4, s[0:3], 0 offen
	buffer_load_dword v2, v4, s[0:3], 0 offen offset:4
	buffer_load_dword v3, v4, s[0:3], 0 offen offset:8
	;; [unrolled: 1-line block ×3, first 2 shown]
	s_waitcnt vmcnt(0)
	ds_write_b128 v66, v[1:4]
	s_waitcnt lgkmcnt(0)
	s_waitcnt_vscnt null, 0x0
	s_barrier
	buffer_gl0_inv
	s_and_saveexec_b32 s5, s4
	s_cbranch_execz .LBB29_227
; %bb.220:
	ds_read_b128 v[1:4], v66
	s_andn2_b32 vcc_lo, exec_lo, s38
	s_cbranch_vccnz .LBB29_222
; %bb.221:
	s_clause 0x3
	buffer_load_dword v67, v65, s[0:3], 0 offen offset:8
	buffer_load_dword v68, v65, s[0:3], 0 offen offset:12
	buffer_load_dword v69, v65, s[0:3], 0 offen
	buffer_load_dword v70, v65, s[0:3], 0 offen offset:4
	s_waitcnt vmcnt(2) lgkmcnt(0)
	v_mul_f64 v[72:73], v[3:4], v[67:68]
	v_mul_f64 v[67:68], v[1:2], v[67:68]
	s_waitcnt vmcnt(0)
	v_fma_f64 v[1:2], v[1:2], v[69:70], -v[72:73]
	v_fma_f64 v[3:4], v[3:4], v[69:70], v[67:68]
.LBB29_222:
	s_and_saveexec_b32 s8, s6
	s_cbranch_execz .LBB29_226
; %bb.223:
	v_add_nc_u32_e32 v67, -2, v0
	s_movk_i32 s39, 0x200
	s_mov_b32 s6, 0
	s_mov_b32 s40, s36
	.p2align	6
.LBB29_224:                             ; =>This Inner Loop Header: Depth=1
	v_mov_b32_e32 v70, s40
	v_add_nc_u32_e32 v67, -1, v67
	s_add_i32 s40, s40, 16
	s_clause 0x3
	buffer_load_dword v68, v70, s[0:3], 0 offen offset:8
	buffer_load_dword v69, v70, s[0:3], 0 offen offset:12
	buffer_load_dword v76, v70, s[0:3], 0 offen
	buffer_load_dword v77, v70, s[0:3], 0 offen offset:4
	v_mov_b32_e32 v70, s39
	v_cmp_eq_u32_e32 vcc_lo, 0, v67
	s_add_i32 s39, s39, 16
	ds_read_b128 v[72:75], v70
	s_or_b32 s6, vcc_lo, s6
	s_waitcnt vmcnt(2) lgkmcnt(0)
	v_mul_f64 v[78:79], v[74:75], v[68:69]
	v_mul_f64 v[68:69], v[72:73], v[68:69]
	s_waitcnt vmcnt(0)
	v_fma_f64 v[72:73], v[72:73], v[76:77], -v[78:79]
	v_fma_f64 v[68:69], v[74:75], v[76:77], v[68:69]
	v_add_f64 v[1:2], v[1:2], v[72:73]
	v_add_f64 v[3:4], v[3:4], v[68:69]
	s_andn2_b32 exec_lo, exec_lo, s6
	s_cbranch_execnz .LBB29_224
; %bb.225:
	s_or_b32 exec_lo, exec_lo, s6
.LBB29_226:
	s_or_b32 exec_lo, exec_lo, s8
	v_mov_b32_e32 v67, 0
	ds_read_b128 v[67:70], v67 offset:16
	s_waitcnt lgkmcnt(0)
	v_mul_f64 v[72:73], v[3:4], v[69:70]
	v_mul_f64 v[69:70], v[1:2], v[69:70]
	v_fma_f64 v[1:2], v[1:2], v[67:68], -v[72:73]
	v_fma_f64 v[3:4], v[3:4], v[67:68], v[69:70]
	buffer_store_dword v2, off, s[0:3], 0 offset:20
	buffer_store_dword v1, off, s[0:3], 0 offset:16
	;; [unrolled: 1-line block ×4, first 2 shown]
.LBB29_227:
	s_or_b32 exec_lo, exec_lo, s5
	s_clause 0x3
	buffer_load_dword v1, off, s[0:3], 0
	buffer_load_dword v2, off, s[0:3], 0 offset:4
	buffer_load_dword v3, off, s[0:3], 0 offset:8
	;; [unrolled: 1-line block ×3, first 2 shown]
	s_mov_b32 s6, 0
	s_mov_b32 s5, 0
	s_mov_b32 s8, exec_lo
                                        ; implicit-def: $sgpr39
	s_waitcnt vmcnt(0)
	ds_write_b128 v66, v[1:4]
	s_waitcnt lgkmcnt(0)
	s_waitcnt_vscnt null, 0x0
	s_barrier
	buffer_gl0_inv
                                        ; implicit-def: $vgpr1_vgpr2
	v_cmpx_ne_u32_e32 0, v0
	s_cbranch_execz .LBB29_235
; %bb.228:
	ds_read_b128 v[1:4], v66
	s_andn2_b32 vcc_lo, exec_lo, s38
	s_cbranch_vccnz .LBB29_230
; %bb.229:
	s_clause 0x3
	buffer_load_dword v67, v65, s[0:3], 0 offen offset:8
	buffer_load_dword v68, v65, s[0:3], 0 offen offset:12
	buffer_load_dword v69, v65, s[0:3], 0 offen
	buffer_load_dword v70, v65, s[0:3], 0 offen offset:4
	s_waitcnt vmcnt(2) lgkmcnt(0)
	v_mul_f64 v[72:73], v[3:4], v[67:68]
	v_mul_f64 v[67:68], v[1:2], v[67:68]
	s_waitcnt vmcnt(0)
	v_fma_f64 v[1:2], v[1:2], v[69:70], -v[72:73]
	v_fma_f64 v[3:4], v[3:4], v[69:70], v[67:68]
.LBB29_230:
	s_and_saveexec_b32 s5, s4
	s_cbranch_execz .LBB29_234
; %bb.231:
	v_add_nc_u32_e32 v67, -1, v0
	s_movk_i32 s39, 0x1f0
	s_mov_b32 s4, 0
	s_mov_b32 s40, s37
	.p2align	6
.LBB29_232:                             ; =>This Inner Loop Header: Depth=1
	v_mov_b32_e32 v70, s40
	v_add_nc_u32_e32 v67, -1, v67
	s_add_i32 s40, s40, 16
	s_clause 0x3
	buffer_load_dword v68, v70, s[0:3], 0 offen offset:8
	buffer_load_dword v69, v70, s[0:3], 0 offen offset:12
	buffer_load_dword v76, v70, s[0:3], 0 offen
	buffer_load_dword v77, v70, s[0:3], 0 offen offset:4
	v_mov_b32_e32 v70, s39
	v_cmp_eq_u32_e32 vcc_lo, 0, v67
	s_add_i32 s39, s39, 16
	ds_read_b128 v[72:75], v70
	s_or_b32 s4, vcc_lo, s4
	s_waitcnt vmcnt(2) lgkmcnt(0)
	v_mul_f64 v[78:79], v[74:75], v[68:69]
	v_mul_f64 v[68:69], v[72:73], v[68:69]
	s_waitcnt vmcnt(0)
	v_fma_f64 v[72:73], v[72:73], v[76:77], -v[78:79]
	v_fma_f64 v[68:69], v[74:75], v[76:77], v[68:69]
	v_add_f64 v[1:2], v[1:2], v[72:73]
	v_add_f64 v[3:4], v[3:4], v[68:69]
	s_andn2_b32 exec_lo, exec_lo, s4
	s_cbranch_execnz .LBB29_232
; %bb.233:
	s_or_b32 exec_lo, exec_lo, s4
.LBB29_234:
	s_or_b32 exec_lo, exec_lo, s5
	v_mov_b32_e32 v67, 0
	s_mov_b32 s5, exec_lo
	s_or_b32 s39, 0, 8
	ds_read_b128 v[67:70], v67
	s_waitcnt lgkmcnt(0)
	v_mul_f64 v[72:73], v[3:4], v[69:70]
	v_mul_f64 v[69:70], v[1:2], v[69:70]
	v_fma_f64 v[72:73], v[1:2], v[67:68], -v[72:73]
	v_fma_f64 v[1:2], v[3:4], v[67:68], v[69:70]
	buffer_store_dword v73, off, s[0:3], 0 offset:4
	buffer_store_dword v72, off, s[0:3], 0
.LBB29_235:
	s_or_b32 exec_lo, exec_lo, s8
	s_and_b32 vcc_lo, exec_lo, s6
	s_cbranch_vccnz .LBB29_237
	s_branch .LBB29_464
.LBB29_236:
	s_mov_b32 s5, 0
                                        ; implicit-def: $vgpr1_vgpr2
                                        ; implicit-def: $sgpr39
	s_cbranch_execz .LBB29_464
.LBB29_237:
	v_mov_b32_e32 v4, s37
	v_cmp_eq_u32_e64 s4, 0, v0
	v_cndmask_b32_e64 v67, 0, 1, s38
	s_clause 0x3
	buffer_load_dword v1, v4, s[0:3], 0 offen
	buffer_load_dword v2, v4, s[0:3], 0 offen offset:4
	buffer_load_dword v3, v4, s[0:3], 0 offen offset:8
	;; [unrolled: 1-line block ×3, first 2 shown]
	s_waitcnt vmcnt(0)
	ds_write_b128 v66, v[1:4]
	s_waitcnt lgkmcnt(0)
	s_waitcnt_vscnt null, 0x0
	s_barrier
	buffer_gl0_inv
	s_and_saveexec_b32 s6, s4
	s_cbranch_execz .LBB29_241
; %bb.238:
	ds_read_b128 v[1:4], v66
	s_andn2_b32 vcc_lo, exec_lo, s38
	s_cbranch_vccnz .LBB29_240
; %bb.239:
	s_clause 0x3
	buffer_load_dword v68, v65, s[0:3], 0 offen offset:8
	buffer_load_dword v69, v65, s[0:3], 0 offen offset:12
	buffer_load_dword v72, v65, s[0:3], 0 offen
	buffer_load_dword v73, v65, s[0:3], 0 offen offset:4
	s_waitcnt vmcnt(2) lgkmcnt(0)
	v_mul_f64 v[74:75], v[3:4], v[68:69]
	v_mul_f64 v[68:69], v[1:2], v[68:69]
	s_waitcnt vmcnt(0)
	v_fma_f64 v[1:2], v[1:2], v[72:73], -v[74:75]
	v_fma_f64 v[3:4], v[3:4], v[72:73], v[68:69]
.LBB29_240:
	v_mov_b32_e32 v68, 0
	ds_read_b128 v[72:75], v68 offset:16
	s_waitcnt lgkmcnt(0)
	v_mul_f64 v[68:69], v[3:4], v[74:75]
	v_mul_f64 v[74:75], v[1:2], v[74:75]
	v_fma_f64 v[1:2], v[1:2], v[72:73], -v[68:69]
	v_fma_f64 v[3:4], v[3:4], v[72:73], v[74:75]
	buffer_store_dword v2, off, s[0:3], 0 offset:20
	buffer_store_dword v1, off, s[0:3], 0 offset:16
	;; [unrolled: 1-line block ×4, first 2 shown]
.LBB29_241:
	s_or_b32 exec_lo, exec_lo, s6
	v_mov_b32_e32 v4, s36
	s_mov_b32 s6, exec_lo
	s_clause 0x3
	buffer_load_dword v1, v4, s[0:3], 0 offen
	buffer_load_dword v2, v4, s[0:3], 0 offen offset:4
	buffer_load_dword v3, v4, s[0:3], 0 offen offset:8
	;; [unrolled: 1-line block ×3, first 2 shown]
	s_waitcnt vmcnt(0)
	ds_write_b128 v66, v[1:4]
	s_waitcnt lgkmcnt(0)
	s_waitcnt_vscnt null, 0x0
	s_barrier
	buffer_gl0_inv
	v_cmpx_gt_u32_e32 2, v0
	s_cbranch_execz .LBB29_247
; %bb.242:
	ds_read_b128 v[1:4], v66
	v_cmp_ne_u32_e32 vcc_lo, 1, v67
	s_cbranch_vccnz .LBB29_244
; %bb.243:
	s_clause 0x3
	buffer_load_dword v68, v65, s[0:3], 0 offen offset:8
	buffer_load_dword v69, v65, s[0:3], 0 offen offset:12
	buffer_load_dword v72, v65, s[0:3], 0 offen
	buffer_load_dword v73, v65, s[0:3], 0 offen offset:4
	s_waitcnt vmcnt(2) lgkmcnt(0)
	v_mul_f64 v[74:75], v[3:4], v[68:69]
	v_mul_f64 v[68:69], v[1:2], v[68:69]
	s_waitcnt vmcnt(0)
	v_fma_f64 v[1:2], v[1:2], v[72:73], -v[74:75]
	v_fma_f64 v[3:4], v[3:4], v[72:73], v[68:69]
.LBB29_244:
	s_and_saveexec_b32 s8, s4
	s_cbranch_execz .LBB29_246
; %bb.245:
	s_clause 0x3
	buffer_load_dword v68, off, s[0:3], 0 offset:24
	buffer_load_dword v69, off, s[0:3], 0 offset:28
	;; [unrolled: 1-line block ×4, first 2 shown]
	v_mov_b32_e32 v70, 0
	ds_read_b128 v[72:75], v70 offset:496
	s_waitcnt vmcnt(2) lgkmcnt(0)
	v_mul_f64 v[78:79], v[74:75], v[68:69]
	v_mul_f64 v[68:69], v[72:73], v[68:69]
	s_waitcnt vmcnt(0)
	v_fma_f64 v[72:73], v[72:73], v[76:77], -v[78:79]
	v_fma_f64 v[68:69], v[74:75], v[76:77], v[68:69]
	v_add_f64 v[1:2], v[1:2], v[72:73]
	v_add_f64 v[3:4], v[3:4], v[68:69]
.LBB29_246:
	s_or_b32 exec_lo, exec_lo, s8
	v_mov_b32_e32 v68, 0
	ds_read_b128 v[72:75], v68 offset:32
	s_waitcnt lgkmcnt(0)
	v_mul_f64 v[68:69], v[3:4], v[74:75]
	v_mul_f64 v[74:75], v[1:2], v[74:75]
	v_fma_f64 v[1:2], v[1:2], v[72:73], -v[68:69]
	v_fma_f64 v[3:4], v[3:4], v[72:73], v[74:75]
	buffer_store_dword v2, off, s[0:3], 0 offset:36
	buffer_store_dword v1, off, s[0:3], 0 offset:32
	;; [unrolled: 1-line block ×4, first 2 shown]
.LBB29_247:
	s_or_b32 exec_lo, exec_lo, s6
	v_mov_b32_e32 v4, s35
	s_mov_b32 s6, exec_lo
	s_clause 0x3
	buffer_load_dword v1, v4, s[0:3], 0 offen
	buffer_load_dword v2, v4, s[0:3], 0 offen offset:4
	buffer_load_dword v3, v4, s[0:3], 0 offen offset:8
	;; [unrolled: 1-line block ×3, first 2 shown]
	s_waitcnt vmcnt(0)
	ds_write_b128 v66, v[1:4]
	s_waitcnt lgkmcnt(0)
	s_waitcnt_vscnt null, 0x0
	s_barrier
	buffer_gl0_inv
	v_cmpx_gt_u32_e32 3, v0
	s_cbranch_execz .LBB29_255
; %bb.248:
	ds_read_b128 v[1:4], v66
	v_cmp_ne_u32_e32 vcc_lo, 1, v67
	s_cbranch_vccnz .LBB29_250
; %bb.249:
	s_clause 0x3
	buffer_load_dword v68, v65, s[0:3], 0 offen offset:8
	buffer_load_dword v69, v65, s[0:3], 0 offen offset:12
	buffer_load_dword v72, v65, s[0:3], 0 offen
	buffer_load_dword v73, v65, s[0:3], 0 offen offset:4
	s_waitcnt vmcnt(2) lgkmcnt(0)
	v_mul_f64 v[74:75], v[3:4], v[68:69]
	v_mul_f64 v[68:69], v[1:2], v[68:69]
	s_waitcnt vmcnt(0)
	v_fma_f64 v[1:2], v[1:2], v[72:73], -v[74:75]
	v_fma_f64 v[3:4], v[3:4], v[72:73], v[68:69]
.LBB29_250:
	s_mov_b32 s8, exec_lo
	v_cmpx_ne_u32_e32 2, v0
	s_cbranch_execz .LBB29_254
; %bb.251:
	s_clause 0x3
	buffer_load_dword v68, v65, s[0:3], 0 offen offset:24
	buffer_load_dword v69, v65, s[0:3], 0 offen offset:28
	;; [unrolled: 1-line block ×4, first 2 shown]
	ds_read_b128 v[72:75], v66 offset:16
	s_waitcnt vmcnt(2) lgkmcnt(0)
	v_mul_f64 v[78:79], v[74:75], v[68:69]
	v_mul_f64 v[68:69], v[72:73], v[68:69]
	s_waitcnt vmcnt(0)
	v_fma_f64 v[72:73], v[72:73], v[76:77], -v[78:79]
	v_fma_f64 v[68:69], v[74:75], v[76:77], v[68:69]
	v_add_f64 v[1:2], v[1:2], v[72:73]
	v_add_f64 v[3:4], v[3:4], v[68:69]
	s_and_saveexec_b32 s38, s4
	s_cbranch_execz .LBB29_253
; %bb.252:
	s_clause 0x3
	buffer_load_dword v68, off, s[0:3], 0 offset:40
	buffer_load_dword v69, off, s[0:3], 0 offset:44
	buffer_load_dword v76, off, s[0:3], 0 offset:32
	buffer_load_dword v77, off, s[0:3], 0 offset:36
	v_mov_b32_e32 v70, 0
	ds_read_b128 v[72:75], v70 offset:512
	s_waitcnt vmcnt(2) lgkmcnt(0)
	v_mul_f64 v[78:79], v[72:73], v[68:69]
	v_mul_f64 v[68:69], v[74:75], v[68:69]
	s_waitcnt vmcnt(0)
	v_fma_f64 v[74:75], v[74:75], v[76:77], v[78:79]
	v_fma_f64 v[68:69], v[72:73], v[76:77], -v[68:69]
	v_add_f64 v[3:4], v[3:4], v[74:75]
	v_add_f64 v[1:2], v[1:2], v[68:69]
.LBB29_253:
	s_or_b32 exec_lo, exec_lo, s38
.LBB29_254:
	s_or_b32 exec_lo, exec_lo, s8
	v_mov_b32_e32 v68, 0
	ds_read_b128 v[72:75], v68 offset:48
	s_waitcnt lgkmcnt(0)
	v_mul_f64 v[68:69], v[3:4], v[74:75]
	v_mul_f64 v[74:75], v[1:2], v[74:75]
	v_fma_f64 v[1:2], v[1:2], v[72:73], -v[68:69]
	v_fma_f64 v[3:4], v[3:4], v[72:73], v[74:75]
	buffer_store_dword v2, off, s[0:3], 0 offset:52
	buffer_store_dword v1, off, s[0:3], 0 offset:48
	;; [unrolled: 1-line block ×4, first 2 shown]
.LBB29_255:
	s_or_b32 exec_lo, exec_lo, s6
	v_mov_b32_e32 v4, s34
	s_mov_b32 s4, exec_lo
	s_clause 0x3
	buffer_load_dword v1, v4, s[0:3], 0 offen
	buffer_load_dword v2, v4, s[0:3], 0 offen offset:4
	buffer_load_dword v3, v4, s[0:3], 0 offen offset:8
	;; [unrolled: 1-line block ×3, first 2 shown]
	s_waitcnt vmcnt(0)
	ds_write_b128 v66, v[1:4]
	s_waitcnt lgkmcnt(0)
	s_waitcnt_vscnt null, 0x0
	s_barrier
	buffer_gl0_inv
	v_cmpx_gt_u32_e32 4, v0
	s_cbranch_execz .LBB29_263
; %bb.256:
	ds_read_b128 v[1:4], v66
	v_cmp_ne_u32_e32 vcc_lo, 1, v67
	s_cbranch_vccnz .LBB29_258
; %bb.257:
	s_clause 0x3
	buffer_load_dword v68, v65, s[0:3], 0 offen offset:8
	buffer_load_dword v69, v65, s[0:3], 0 offen offset:12
	buffer_load_dword v72, v65, s[0:3], 0 offen
	buffer_load_dword v73, v65, s[0:3], 0 offen offset:4
	s_waitcnt vmcnt(2) lgkmcnt(0)
	v_mul_f64 v[74:75], v[3:4], v[68:69]
	v_mul_f64 v[68:69], v[1:2], v[68:69]
	s_waitcnt vmcnt(0)
	v_fma_f64 v[1:2], v[1:2], v[72:73], -v[74:75]
	v_fma_f64 v[3:4], v[3:4], v[72:73], v[68:69]
.LBB29_258:
	s_mov_b32 s6, exec_lo
	v_cmpx_ne_u32_e32 3, v0
	s_cbranch_execz .LBB29_262
; %bb.259:
	v_add_nc_u32_e32 v68, 0x1f0, v71
	v_add3_u32 v69, 0, v71, 16
	v_mov_b32_e32 v70, v0
	s_mov_b32 s8, 0
	.p2align	6
.LBB29_260:                             ; =>This Inner Loop Header: Depth=1
	s_clause 0x3
	buffer_load_dword v76, v69, s[0:3], 0 offen offset:8
	buffer_load_dword v77, v69, s[0:3], 0 offen offset:12
	buffer_load_dword v78, v69, s[0:3], 0 offen
	buffer_load_dword v79, v69, s[0:3], 0 offen offset:4
	ds_read_b128 v[72:75], v68
	v_add_nc_u32_e32 v70, 1, v70
	v_add_nc_u32_e32 v68, 16, v68
	;; [unrolled: 1-line block ×3, first 2 shown]
	v_cmp_lt_u32_e32 vcc_lo, 2, v70
	s_or_b32 s8, vcc_lo, s8
	s_waitcnt vmcnt(2) lgkmcnt(0)
	v_mul_f64 v[80:81], v[74:75], v[76:77]
	v_mul_f64 v[76:77], v[72:73], v[76:77]
	s_waitcnt vmcnt(0)
	v_fma_f64 v[72:73], v[72:73], v[78:79], -v[80:81]
	v_fma_f64 v[74:75], v[74:75], v[78:79], v[76:77]
	v_add_f64 v[1:2], v[1:2], v[72:73]
	v_add_f64 v[3:4], v[3:4], v[74:75]
	s_andn2_b32 exec_lo, exec_lo, s8
	s_cbranch_execnz .LBB29_260
; %bb.261:
	s_or_b32 exec_lo, exec_lo, s8
.LBB29_262:
	s_or_b32 exec_lo, exec_lo, s6
	v_mov_b32_e32 v68, 0
	ds_read_b128 v[72:75], v68 offset:64
	s_waitcnt lgkmcnt(0)
	v_mul_f64 v[68:69], v[3:4], v[74:75]
	v_mul_f64 v[74:75], v[1:2], v[74:75]
	v_fma_f64 v[1:2], v[1:2], v[72:73], -v[68:69]
	v_fma_f64 v[3:4], v[3:4], v[72:73], v[74:75]
	buffer_store_dword v2, off, s[0:3], 0 offset:68
	buffer_store_dword v1, off, s[0:3], 0 offset:64
	;; [unrolled: 1-line block ×4, first 2 shown]
.LBB29_263:
	s_or_b32 exec_lo, exec_lo, s4
	v_mov_b32_e32 v4, s33
	s_mov_b32 s4, exec_lo
	s_clause 0x3
	buffer_load_dword v1, v4, s[0:3], 0 offen
	buffer_load_dword v2, v4, s[0:3], 0 offen offset:4
	buffer_load_dword v3, v4, s[0:3], 0 offen offset:8
	;; [unrolled: 1-line block ×3, first 2 shown]
	s_waitcnt vmcnt(0)
	ds_write_b128 v66, v[1:4]
	s_waitcnt lgkmcnt(0)
	s_waitcnt_vscnt null, 0x0
	s_barrier
	buffer_gl0_inv
	v_cmpx_gt_u32_e32 5, v0
	s_cbranch_execz .LBB29_271
; %bb.264:
	ds_read_b128 v[1:4], v66
	v_cmp_ne_u32_e32 vcc_lo, 1, v67
	s_cbranch_vccnz .LBB29_266
; %bb.265:
	s_clause 0x3
	buffer_load_dword v68, v65, s[0:3], 0 offen offset:8
	buffer_load_dword v69, v65, s[0:3], 0 offen offset:12
	buffer_load_dword v72, v65, s[0:3], 0 offen
	buffer_load_dword v73, v65, s[0:3], 0 offen offset:4
	s_waitcnt vmcnt(2) lgkmcnt(0)
	v_mul_f64 v[74:75], v[3:4], v[68:69]
	v_mul_f64 v[68:69], v[1:2], v[68:69]
	s_waitcnt vmcnt(0)
	v_fma_f64 v[1:2], v[1:2], v[72:73], -v[74:75]
	v_fma_f64 v[3:4], v[3:4], v[72:73], v[68:69]
.LBB29_266:
	s_mov_b32 s6, exec_lo
	v_cmpx_ne_u32_e32 4, v0
	s_cbranch_execz .LBB29_270
; %bb.267:
	v_add_nc_u32_e32 v68, 0x1f0, v71
	v_add3_u32 v69, 0, v71, 16
	v_mov_b32_e32 v70, v0
	s_mov_b32 s8, 0
	.p2align	6
.LBB29_268:                             ; =>This Inner Loop Header: Depth=1
	s_clause 0x3
	buffer_load_dword v76, v69, s[0:3], 0 offen offset:8
	buffer_load_dword v77, v69, s[0:3], 0 offen offset:12
	buffer_load_dword v78, v69, s[0:3], 0 offen
	buffer_load_dword v79, v69, s[0:3], 0 offen offset:4
	ds_read_b128 v[72:75], v68
	v_add_nc_u32_e32 v70, 1, v70
	v_add_nc_u32_e32 v68, 16, v68
	v_add_nc_u32_e32 v69, 16, v69
	v_cmp_lt_u32_e32 vcc_lo, 3, v70
	s_or_b32 s8, vcc_lo, s8
	s_waitcnt vmcnt(2) lgkmcnt(0)
	v_mul_f64 v[80:81], v[74:75], v[76:77]
	v_mul_f64 v[76:77], v[72:73], v[76:77]
	s_waitcnt vmcnt(0)
	v_fma_f64 v[72:73], v[72:73], v[78:79], -v[80:81]
	v_fma_f64 v[74:75], v[74:75], v[78:79], v[76:77]
	v_add_f64 v[1:2], v[1:2], v[72:73]
	v_add_f64 v[3:4], v[3:4], v[74:75]
	s_andn2_b32 exec_lo, exec_lo, s8
	s_cbranch_execnz .LBB29_268
; %bb.269:
	s_or_b32 exec_lo, exec_lo, s8
.LBB29_270:
	s_or_b32 exec_lo, exec_lo, s6
	v_mov_b32_e32 v68, 0
	ds_read_b128 v[72:75], v68 offset:80
	s_waitcnt lgkmcnt(0)
	v_mul_f64 v[68:69], v[3:4], v[74:75]
	v_mul_f64 v[74:75], v[1:2], v[74:75]
	v_fma_f64 v[1:2], v[1:2], v[72:73], -v[68:69]
	v_fma_f64 v[3:4], v[3:4], v[72:73], v[74:75]
	buffer_store_dword v2, off, s[0:3], 0 offset:84
	buffer_store_dword v1, off, s[0:3], 0 offset:80
	;; [unrolled: 1-line block ×4, first 2 shown]
.LBB29_271:
	s_or_b32 exec_lo, exec_lo, s4
	v_mov_b32_e32 v4, s31
	s_mov_b32 s4, exec_lo
	s_clause 0x3
	buffer_load_dword v1, v4, s[0:3], 0 offen
	buffer_load_dword v2, v4, s[0:3], 0 offen offset:4
	buffer_load_dword v3, v4, s[0:3], 0 offen offset:8
	;; [unrolled: 1-line block ×3, first 2 shown]
	s_waitcnt vmcnt(0)
	ds_write_b128 v66, v[1:4]
	s_waitcnt lgkmcnt(0)
	s_waitcnt_vscnt null, 0x0
	s_barrier
	buffer_gl0_inv
	v_cmpx_gt_u32_e32 6, v0
	s_cbranch_execz .LBB29_279
; %bb.272:
	ds_read_b128 v[1:4], v66
	v_cmp_ne_u32_e32 vcc_lo, 1, v67
	s_cbranch_vccnz .LBB29_274
; %bb.273:
	s_clause 0x3
	buffer_load_dword v68, v65, s[0:3], 0 offen offset:8
	buffer_load_dword v69, v65, s[0:3], 0 offen offset:12
	buffer_load_dword v72, v65, s[0:3], 0 offen
	buffer_load_dword v73, v65, s[0:3], 0 offen offset:4
	s_waitcnt vmcnt(2) lgkmcnt(0)
	v_mul_f64 v[74:75], v[3:4], v[68:69]
	v_mul_f64 v[68:69], v[1:2], v[68:69]
	s_waitcnt vmcnt(0)
	v_fma_f64 v[1:2], v[1:2], v[72:73], -v[74:75]
	v_fma_f64 v[3:4], v[3:4], v[72:73], v[68:69]
.LBB29_274:
	s_mov_b32 s6, exec_lo
	v_cmpx_ne_u32_e32 5, v0
	s_cbranch_execz .LBB29_278
; %bb.275:
	v_add_nc_u32_e32 v68, 0x1f0, v71
	v_add3_u32 v69, 0, v71, 16
	v_mov_b32_e32 v70, v0
	s_mov_b32 s8, 0
	.p2align	6
.LBB29_276:                             ; =>This Inner Loop Header: Depth=1
	s_clause 0x3
	buffer_load_dword v76, v69, s[0:3], 0 offen offset:8
	buffer_load_dword v77, v69, s[0:3], 0 offen offset:12
	buffer_load_dword v78, v69, s[0:3], 0 offen
	buffer_load_dword v79, v69, s[0:3], 0 offen offset:4
	ds_read_b128 v[72:75], v68
	v_add_nc_u32_e32 v70, 1, v70
	v_add_nc_u32_e32 v68, 16, v68
	;; [unrolled: 1-line block ×3, first 2 shown]
	v_cmp_lt_u32_e32 vcc_lo, 4, v70
	s_or_b32 s8, vcc_lo, s8
	s_waitcnt vmcnt(2) lgkmcnt(0)
	v_mul_f64 v[80:81], v[74:75], v[76:77]
	v_mul_f64 v[76:77], v[72:73], v[76:77]
	s_waitcnt vmcnt(0)
	v_fma_f64 v[72:73], v[72:73], v[78:79], -v[80:81]
	v_fma_f64 v[74:75], v[74:75], v[78:79], v[76:77]
	v_add_f64 v[1:2], v[1:2], v[72:73]
	v_add_f64 v[3:4], v[3:4], v[74:75]
	s_andn2_b32 exec_lo, exec_lo, s8
	s_cbranch_execnz .LBB29_276
; %bb.277:
	s_or_b32 exec_lo, exec_lo, s8
.LBB29_278:
	s_or_b32 exec_lo, exec_lo, s6
	v_mov_b32_e32 v68, 0
	ds_read_b128 v[72:75], v68 offset:96
	s_waitcnt lgkmcnt(0)
	v_mul_f64 v[68:69], v[3:4], v[74:75]
	v_mul_f64 v[74:75], v[1:2], v[74:75]
	v_fma_f64 v[1:2], v[1:2], v[72:73], -v[68:69]
	v_fma_f64 v[3:4], v[3:4], v[72:73], v[74:75]
	buffer_store_dword v2, off, s[0:3], 0 offset:100
	buffer_store_dword v1, off, s[0:3], 0 offset:96
	;; [unrolled: 1-line block ×4, first 2 shown]
.LBB29_279:
	s_or_b32 exec_lo, exec_lo, s4
	v_mov_b32_e32 v4, s30
	s_mov_b32 s4, exec_lo
	s_clause 0x3
	buffer_load_dword v1, v4, s[0:3], 0 offen
	buffer_load_dword v2, v4, s[0:3], 0 offen offset:4
	buffer_load_dword v3, v4, s[0:3], 0 offen offset:8
	;; [unrolled: 1-line block ×3, first 2 shown]
	s_waitcnt vmcnt(0)
	ds_write_b128 v66, v[1:4]
	s_waitcnt lgkmcnt(0)
	s_waitcnt_vscnt null, 0x0
	s_barrier
	buffer_gl0_inv
	v_cmpx_gt_u32_e32 7, v0
	s_cbranch_execz .LBB29_287
; %bb.280:
	ds_read_b128 v[1:4], v66
	v_cmp_ne_u32_e32 vcc_lo, 1, v67
	s_cbranch_vccnz .LBB29_282
; %bb.281:
	s_clause 0x3
	buffer_load_dword v68, v65, s[0:3], 0 offen offset:8
	buffer_load_dword v69, v65, s[0:3], 0 offen offset:12
	buffer_load_dword v72, v65, s[0:3], 0 offen
	buffer_load_dword v73, v65, s[0:3], 0 offen offset:4
	s_waitcnt vmcnt(2) lgkmcnt(0)
	v_mul_f64 v[74:75], v[3:4], v[68:69]
	v_mul_f64 v[68:69], v[1:2], v[68:69]
	s_waitcnt vmcnt(0)
	v_fma_f64 v[1:2], v[1:2], v[72:73], -v[74:75]
	v_fma_f64 v[3:4], v[3:4], v[72:73], v[68:69]
.LBB29_282:
	s_mov_b32 s6, exec_lo
	v_cmpx_ne_u32_e32 6, v0
	s_cbranch_execz .LBB29_286
; %bb.283:
	v_add_nc_u32_e32 v68, 0x1f0, v71
	v_add3_u32 v69, 0, v71, 16
	v_mov_b32_e32 v70, v0
	s_mov_b32 s8, 0
	.p2align	6
.LBB29_284:                             ; =>This Inner Loop Header: Depth=1
	s_clause 0x3
	buffer_load_dword v76, v69, s[0:3], 0 offen offset:8
	buffer_load_dword v77, v69, s[0:3], 0 offen offset:12
	buffer_load_dword v78, v69, s[0:3], 0 offen
	buffer_load_dword v79, v69, s[0:3], 0 offen offset:4
	ds_read_b128 v[72:75], v68
	v_add_nc_u32_e32 v70, 1, v70
	v_add_nc_u32_e32 v68, 16, v68
	;; [unrolled: 1-line block ×3, first 2 shown]
	v_cmp_lt_u32_e32 vcc_lo, 5, v70
	s_or_b32 s8, vcc_lo, s8
	s_waitcnt vmcnt(2) lgkmcnt(0)
	v_mul_f64 v[80:81], v[74:75], v[76:77]
	v_mul_f64 v[76:77], v[72:73], v[76:77]
	s_waitcnt vmcnt(0)
	v_fma_f64 v[72:73], v[72:73], v[78:79], -v[80:81]
	v_fma_f64 v[74:75], v[74:75], v[78:79], v[76:77]
	v_add_f64 v[1:2], v[1:2], v[72:73]
	v_add_f64 v[3:4], v[3:4], v[74:75]
	s_andn2_b32 exec_lo, exec_lo, s8
	s_cbranch_execnz .LBB29_284
; %bb.285:
	s_or_b32 exec_lo, exec_lo, s8
.LBB29_286:
	s_or_b32 exec_lo, exec_lo, s6
	v_mov_b32_e32 v68, 0
	ds_read_b128 v[72:75], v68 offset:112
	s_waitcnt lgkmcnt(0)
	v_mul_f64 v[68:69], v[3:4], v[74:75]
	v_mul_f64 v[74:75], v[1:2], v[74:75]
	v_fma_f64 v[1:2], v[1:2], v[72:73], -v[68:69]
	v_fma_f64 v[3:4], v[3:4], v[72:73], v[74:75]
	buffer_store_dword v2, off, s[0:3], 0 offset:116
	buffer_store_dword v1, off, s[0:3], 0 offset:112
	;; [unrolled: 1-line block ×4, first 2 shown]
.LBB29_287:
	s_or_b32 exec_lo, exec_lo, s4
	v_mov_b32_e32 v4, s29
	s_mov_b32 s4, exec_lo
	s_clause 0x3
	buffer_load_dword v1, v4, s[0:3], 0 offen
	buffer_load_dword v2, v4, s[0:3], 0 offen offset:4
	buffer_load_dword v3, v4, s[0:3], 0 offen offset:8
	;; [unrolled: 1-line block ×3, first 2 shown]
	s_waitcnt vmcnt(0)
	ds_write_b128 v66, v[1:4]
	s_waitcnt lgkmcnt(0)
	s_waitcnt_vscnt null, 0x0
	s_barrier
	buffer_gl0_inv
	v_cmpx_gt_u32_e32 8, v0
	s_cbranch_execz .LBB29_295
; %bb.288:
	ds_read_b128 v[1:4], v66
	v_cmp_ne_u32_e32 vcc_lo, 1, v67
	s_cbranch_vccnz .LBB29_290
; %bb.289:
	s_clause 0x3
	buffer_load_dword v68, v65, s[0:3], 0 offen offset:8
	buffer_load_dword v69, v65, s[0:3], 0 offen offset:12
	buffer_load_dword v72, v65, s[0:3], 0 offen
	buffer_load_dword v73, v65, s[0:3], 0 offen offset:4
	s_waitcnt vmcnt(2) lgkmcnt(0)
	v_mul_f64 v[74:75], v[3:4], v[68:69]
	v_mul_f64 v[68:69], v[1:2], v[68:69]
	s_waitcnt vmcnt(0)
	v_fma_f64 v[1:2], v[1:2], v[72:73], -v[74:75]
	v_fma_f64 v[3:4], v[3:4], v[72:73], v[68:69]
.LBB29_290:
	s_mov_b32 s6, exec_lo
	v_cmpx_ne_u32_e32 7, v0
	s_cbranch_execz .LBB29_294
; %bb.291:
	v_add_nc_u32_e32 v68, 0x1f0, v71
	v_add3_u32 v69, 0, v71, 16
	v_mov_b32_e32 v70, v0
	s_mov_b32 s8, 0
	.p2align	6
.LBB29_292:                             ; =>This Inner Loop Header: Depth=1
	s_clause 0x3
	buffer_load_dword v76, v69, s[0:3], 0 offen offset:8
	buffer_load_dword v77, v69, s[0:3], 0 offen offset:12
	buffer_load_dword v78, v69, s[0:3], 0 offen
	buffer_load_dword v79, v69, s[0:3], 0 offen offset:4
	ds_read_b128 v[72:75], v68
	v_add_nc_u32_e32 v70, 1, v70
	v_add_nc_u32_e32 v68, 16, v68
	v_add_nc_u32_e32 v69, 16, v69
	v_cmp_lt_u32_e32 vcc_lo, 6, v70
	s_or_b32 s8, vcc_lo, s8
	s_waitcnt vmcnt(2) lgkmcnt(0)
	v_mul_f64 v[80:81], v[74:75], v[76:77]
	v_mul_f64 v[76:77], v[72:73], v[76:77]
	s_waitcnt vmcnt(0)
	v_fma_f64 v[72:73], v[72:73], v[78:79], -v[80:81]
	v_fma_f64 v[74:75], v[74:75], v[78:79], v[76:77]
	v_add_f64 v[1:2], v[1:2], v[72:73]
	v_add_f64 v[3:4], v[3:4], v[74:75]
	s_andn2_b32 exec_lo, exec_lo, s8
	s_cbranch_execnz .LBB29_292
; %bb.293:
	s_or_b32 exec_lo, exec_lo, s8
.LBB29_294:
	s_or_b32 exec_lo, exec_lo, s6
	v_mov_b32_e32 v68, 0
	ds_read_b128 v[72:75], v68 offset:128
	s_waitcnt lgkmcnt(0)
	v_mul_f64 v[68:69], v[3:4], v[74:75]
	v_mul_f64 v[74:75], v[1:2], v[74:75]
	v_fma_f64 v[1:2], v[1:2], v[72:73], -v[68:69]
	v_fma_f64 v[3:4], v[3:4], v[72:73], v[74:75]
	buffer_store_dword v2, off, s[0:3], 0 offset:132
	buffer_store_dword v1, off, s[0:3], 0 offset:128
	buffer_store_dword v4, off, s[0:3], 0 offset:140
	buffer_store_dword v3, off, s[0:3], 0 offset:136
.LBB29_295:
	s_or_b32 exec_lo, exec_lo, s4
	v_mov_b32_e32 v4, s28
	s_mov_b32 s4, exec_lo
	s_clause 0x3
	buffer_load_dword v1, v4, s[0:3], 0 offen
	buffer_load_dword v2, v4, s[0:3], 0 offen offset:4
	buffer_load_dword v3, v4, s[0:3], 0 offen offset:8
	;; [unrolled: 1-line block ×3, first 2 shown]
	s_waitcnt vmcnt(0)
	ds_write_b128 v66, v[1:4]
	s_waitcnt lgkmcnt(0)
	s_waitcnt_vscnt null, 0x0
	s_barrier
	buffer_gl0_inv
	v_cmpx_gt_u32_e32 9, v0
	s_cbranch_execz .LBB29_303
; %bb.296:
	ds_read_b128 v[1:4], v66
	v_cmp_ne_u32_e32 vcc_lo, 1, v67
	s_cbranch_vccnz .LBB29_298
; %bb.297:
	s_clause 0x3
	buffer_load_dword v68, v65, s[0:3], 0 offen offset:8
	buffer_load_dword v69, v65, s[0:3], 0 offen offset:12
	buffer_load_dword v72, v65, s[0:3], 0 offen
	buffer_load_dword v73, v65, s[0:3], 0 offen offset:4
	s_waitcnt vmcnt(2) lgkmcnt(0)
	v_mul_f64 v[74:75], v[3:4], v[68:69]
	v_mul_f64 v[68:69], v[1:2], v[68:69]
	s_waitcnt vmcnt(0)
	v_fma_f64 v[1:2], v[1:2], v[72:73], -v[74:75]
	v_fma_f64 v[3:4], v[3:4], v[72:73], v[68:69]
.LBB29_298:
	s_mov_b32 s6, exec_lo
	v_cmpx_ne_u32_e32 8, v0
	s_cbranch_execz .LBB29_302
; %bb.299:
	v_add_nc_u32_e32 v68, 0x1f0, v71
	v_add3_u32 v69, 0, v71, 16
	v_mov_b32_e32 v70, v0
	s_mov_b32 s8, 0
	.p2align	6
.LBB29_300:                             ; =>This Inner Loop Header: Depth=1
	s_clause 0x3
	buffer_load_dword v76, v69, s[0:3], 0 offen offset:8
	buffer_load_dword v77, v69, s[0:3], 0 offen offset:12
	buffer_load_dword v78, v69, s[0:3], 0 offen
	buffer_load_dword v79, v69, s[0:3], 0 offen offset:4
	ds_read_b128 v[72:75], v68
	v_add_nc_u32_e32 v70, 1, v70
	v_add_nc_u32_e32 v68, 16, v68
	;; [unrolled: 1-line block ×3, first 2 shown]
	v_cmp_lt_u32_e32 vcc_lo, 7, v70
	s_or_b32 s8, vcc_lo, s8
	s_waitcnt vmcnt(2) lgkmcnt(0)
	v_mul_f64 v[80:81], v[74:75], v[76:77]
	v_mul_f64 v[76:77], v[72:73], v[76:77]
	s_waitcnt vmcnt(0)
	v_fma_f64 v[72:73], v[72:73], v[78:79], -v[80:81]
	v_fma_f64 v[74:75], v[74:75], v[78:79], v[76:77]
	v_add_f64 v[1:2], v[1:2], v[72:73]
	v_add_f64 v[3:4], v[3:4], v[74:75]
	s_andn2_b32 exec_lo, exec_lo, s8
	s_cbranch_execnz .LBB29_300
; %bb.301:
	s_or_b32 exec_lo, exec_lo, s8
.LBB29_302:
	s_or_b32 exec_lo, exec_lo, s6
	v_mov_b32_e32 v68, 0
	ds_read_b128 v[72:75], v68 offset:144
	s_waitcnt lgkmcnt(0)
	v_mul_f64 v[68:69], v[3:4], v[74:75]
	v_mul_f64 v[74:75], v[1:2], v[74:75]
	v_fma_f64 v[1:2], v[1:2], v[72:73], -v[68:69]
	v_fma_f64 v[3:4], v[3:4], v[72:73], v[74:75]
	buffer_store_dword v2, off, s[0:3], 0 offset:148
	buffer_store_dword v1, off, s[0:3], 0 offset:144
	;; [unrolled: 1-line block ×4, first 2 shown]
.LBB29_303:
	s_or_b32 exec_lo, exec_lo, s4
	v_mov_b32_e32 v4, s27
	s_mov_b32 s4, exec_lo
	s_clause 0x3
	buffer_load_dword v1, v4, s[0:3], 0 offen
	buffer_load_dword v2, v4, s[0:3], 0 offen offset:4
	buffer_load_dword v3, v4, s[0:3], 0 offen offset:8
	buffer_load_dword v4, v4, s[0:3], 0 offen offset:12
	s_waitcnt vmcnt(0)
	ds_write_b128 v66, v[1:4]
	s_waitcnt lgkmcnt(0)
	s_waitcnt_vscnt null, 0x0
	s_barrier
	buffer_gl0_inv
	v_cmpx_gt_u32_e32 10, v0
	s_cbranch_execz .LBB29_311
; %bb.304:
	ds_read_b128 v[1:4], v66
	v_cmp_ne_u32_e32 vcc_lo, 1, v67
	s_cbranch_vccnz .LBB29_306
; %bb.305:
	s_clause 0x3
	buffer_load_dword v68, v65, s[0:3], 0 offen offset:8
	buffer_load_dword v69, v65, s[0:3], 0 offen offset:12
	buffer_load_dword v72, v65, s[0:3], 0 offen
	buffer_load_dword v73, v65, s[0:3], 0 offen offset:4
	s_waitcnt vmcnt(2) lgkmcnt(0)
	v_mul_f64 v[74:75], v[3:4], v[68:69]
	v_mul_f64 v[68:69], v[1:2], v[68:69]
	s_waitcnt vmcnt(0)
	v_fma_f64 v[1:2], v[1:2], v[72:73], -v[74:75]
	v_fma_f64 v[3:4], v[3:4], v[72:73], v[68:69]
.LBB29_306:
	s_mov_b32 s6, exec_lo
	v_cmpx_ne_u32_e32 9, v0
	s_cbranch_execz .LBB29_310
; %bb.307:
	v_add_nc_u32_e32 v68, 0x1f0, v71
	v_add3_u32 v69, 0, v71, 16
	v_mov_b32_e32 v70, v0
	s_mov_b32 s8, 0
	.p2align	6
.LBB29_308:                             ; =>This Inner Loop Header: Depth=1
	s_clause 0x3
	buffer_load_dword v76, v69, s[0:3], 0 offen offset:8
	buffer_load_dword v77, v69, s[0:3], 0 offen offset:12
	buffer_load_dword v78, v69, s[0:3], 0 offen
	buffer_load_dword v79, v69, s[0:3], 0 offen offset:4
	ds_read_b128 v[72:75], v68
	v_add_nc_u32_e32 v70, 1, v70
	v_add_nc_u32_e32 v68, 16, v68
	;; [unrolled: 1-line block ×3, first 2 shown]
	v_cmp_lt_u32_e32 vcc_lo, 8, v70
	s_or_b32 s8, vcc_lo, s8
	s_waitcnt vmcnt(2) lgkmcnt(0)
	v_mul_f64 v[80:81], v[74:75], v[76:77]
	v_mul_f64 v[76:77], v[72:73], v[76:77]
	s_waitcnt vmcnt(0)
	v_fma_f64 v[72:73], v[72:73], v[78:79], -v[80:81]
	v_fma_f64 v[74:75], v[74:75], v[78:79], v[76:77]
	v_add_f64 v[1:2], v[1:2], v[72:73]
	v_add_f64 v[3:4], v[3:4], v[74:75]
	s_andn2_b32 exec_lo, exec_lo, s8
	s_cbranch_execnz .LBB29_308
; %bb.309:
	s_or_b32 exec_lo, exec_lo, s8
.LBB29_310:
	s_or_b32 exec_lo, exec_lo, s6
	v_mov_b32_e32 v68, 0
	ds_read_b128 v[72:75], v68 offset:160
	s_waitcnt lgkmcnt(0)
	v_mul_f64 v[68:69], v[3:4], v[74:75]
	v_mul_f64 v[74:75], v[1:2], v[74:75]
	v_fma_f64 v[1:2], v[1:2], v[72:73], -v[68:69]
	v_fma_f64 v[3:4], v[3:4], v[72:73], v[74:75]
	buffer_store_dword v2, off, s[0:3], 0 offset:164
	buffer_store_dword v1, off, s[0:3], 0 offset:160
	buffer_store_dword v4, off, s[0:3], 0 offset:172
	buffer_store_dword v3, off, s[0:3], 0 offset:168
.LBB29_311:
	s_or_b32 exec_lo, exec_lo, s4
	v_mov_b32_e32 v4, s26
	s_mov_b32 s4, exec_lo
	s_clause 0x3
	buffer_load_dword v1, v4, s[0:3], 0 offen
	buffer_load_dword v2, v4, s[0:3], 0 offen offset:4
	buffer_load_dword v3, v4, s[0:3], 0 offen offset:8
	;; [unrolled: 1-line block ×3, first 2 shown]
	s_waitcnt vmcnt(0)
	ds_write_b128 v66, v[1:4]
	s_waitcnt lgkmcnt(0)
	s_waitcnt_vscnt null, 0x0
	s_barrier
	buffer_gl0_inv
	v_cmpx_gt_u32_e32 11, v0
	s_cbranch_execz .LBB29_319
; %bb.312:
	ds_read_b128 v[1:4], v66
	v_cmp_ne_u32_e32 vcc_lo, 1, v67
	s_cbranch_vccnz .LBB29_314
; %bb.313:
	s_clause 0x3
	buffer_load_dword v68, v65, s[0:3], 0 offen offset:8
	buffer_load_dword v69, v65, s[0:3], 0 offen offset:12
	buffer_load_dword v72, v65, s[0:3], 0 offen
	buffer_load_dword v73, v65, s[0:3], 0 offen offset:4
	s_waitcnt vmcnt(2) lgkmcnt(0)
	v_mul_f64 v[74:75], v[3:4], v[68:69]
	v_mul_f64 v[68:69], v[1:2], v[68:69]
	s_waitcnt vmcnt(0)
	v_fma_f64 v[1:2], v[1:2], v[72:73], -v[74:75]
	v_fma_f64 v[3:4], v[3:4], v[72:73], v[68:69]
.LBB29_314:
	s_mov_b32 s6, exec_lo
	v_cmpx_ne_u32_e32 10, v0
	s_cbranch_execz .LBB29_318
; %bb.315:
	v_add_nc_u32_e32 v68, 0x1f0, v71
	v_add3_u32 v69, 0, v71, 16
	v_mov_b32_e32 v70, v0
	s_mov_b32 s8, 0
	.p2align	6
.LBB29_316:                             ; =>This Inner Loop Header: Depth=1
	s_clause 0x3
	buffer_load_dword v76, v69, s[0:3], 0 offen offset:8
	buffer_load_dword v77, v69, s[0:3], 0 offen offset:12
	buffer_load_dword v78, v69, s[0:3], 0 offen
	buffer_load_dword v79, v69, s[0:3], 0 offen offset:4
	ds_read_b128 v[72:75], v68
	v_add_nc_u32_e32 v70, 1, v70
	v_add_nc_u32_e32 v68, 16, v68
	;; [unrolled: 1-line block ×3, first 2 shown]
	v_cmp_lt_u32_e32 vcc_lo, 9, v70
	s_or_b32 s8, vcc_lo, s8
	s_waitcnt vmcnt(2) lgkmcnt(0)
	v_mul_f64 v[80:81], v[74:75], v[76:77]
	v_mul_f64 v[76:77], v[72:73], v[76:77]
	s_waitcnt vmcnt(0)
	v_fma_f64 v[72:73], v[72:73], v[78:79], -v[80:81]
	v_fma_f64 v[74:75], v[74:75], v[78:79], v[76:77]
	v_add_f64 v[1:2], v[1:2], v[72:73]
	v_add_f64 v[3:4], v[3:4], v[74:75]
	s_andn2_b32 exec_lo, exec_lo, s8
	s_cbranch_execnz .LBB29_316
; %bb.317:
	s_or_b32 exec_lo, exec_lo, s8
.LBB29_318:
	s_or_b32 exec_lo, exec_lo, s6
	v_mov_b32_e32 v68, 0
	ds_read_b128 v[72:75], v68 offset:176
	s_waitcnt lgkmcnt(0)
	v_mul_f64 v[68:69], v[3:4], v[74:75]
	v_mul_f64 v[74:75], v[1:2], v[74:75]
	v_fma_f64 v[1:2], v[1:2], v[72:73], -v[68:69]
	v_fma_f64 v[3:4], v[3:4], v[72:73], v[74:75]
	buffer_store_dword v2, off, s[0:3], 0 offset:180
	buffer_store_dword v1, off, s[0:3], 0 offset:176
	;; [unrolled: 1-line block ×4, first 2 shown]
.LBB29_319:
	s_or_b32 exec_lo, exec_lo, s4
	v_mov_b32_e32 v4, s25
	s_mov_b32 s4, exec_lo
	s_clause 0x3
	buffer_load_dword v1, v4, s[0:3], 0 offen
	buffer_load_dword v2, v4, s[0:3], 0 offen offset:4
	buffer_load_dword v3, v4, s[0:3], 0 offen offset:8
	;; [unrolled: 1-line block ×3, first 2 shown]
	s_waitcnt vmcnt(0)
	ds_write_b128 v66, v[1:4]
	s_waitcnt lgkmcnt(0)
	s_waitcnt_vscnt null, 0x0
	s_barrier
	buffer_gl0_inv
	v_cmpx_gt_u32_e32 12, v0
	s_cbranch_execz .LBB29_327
; %bb.320:
	ds_read_b128 v[1:4], v66
	v_cmp_ne_u32_e32 vcc_lo, 1, v67
	s_cbranch_vccnz .LBB29_322
; %bb.321:
	s_clause 0x3
	buffer_load_dword v68, v65, s[0:3], 0 offen offset:8
	buffer_load_dword v69, v65, s[0:3], 0 offen offset:12
	buffer_load_dword v72, v65, s[0:3], 0 offen
	buffer_load_dword v73, v65, s[0:3], 0 offen offset:4
	s_waitcnt vmcnt(2) lgkmcnt(0)
	v_mul_f64 v[74:75], v[3:4], v[68:69]
	v_mul_f64 v[68:69], v[1:2], v[68:69]
	s_waitcnt vmcnt(0)
	v_fma_f64 v[1:2], v[1:2], v[72:73], -v[74:75]
	v_fma_f64 v[3:4], v[3:4], v[72:73], v[68:69]
.LBB29_322:
	s_mov_b32 s6, exec_lo
	v_cmpx_ne_u32_e32 11, v0
	s_cbranch_execz .LBB29_326
; %bb.323:
	v_add_nc_u32_e32 v68, 0x1f0, v71
	v_add3_u32 v69, 0, v71, 16
	v_mov_b32_e32 v70, v0
	s_mov_b32 s8, 0
	.p2align	6
.LBB29_324:                             ; =>This Inner Loop Header: Depth=1
	s_clause 0x3
	buffer_load_dword v76, v69, s[0:3], 0 offen offset:8
	buffer_load_dword v77, v69, s[0:3], 0 offen offset:12
	buffer_load_dword v78, v69, s[0:3], 0 offen
	buffer_load_dword v79, v69, s[0:3], 0 offen offset:4
	ds_read_b128 v[72:75], v68
	v_add_nc_u32_e32 v70, 1, v70
	v_add_nc_u32_e32 v68, 16, v68
	;; [unrolled: 1-line block ×3, first 2 shown]
	v_cmp_lt_u32_e32 vcc_lo, 10, v70
	s_or_b32 s8, vcc_lo, s8
	s_waitcnt vmcnt(2) lgkmcnt(0)
	v_mul_f64 v[80:81], v[74:75], v[76:77]
	v_mul_f64 v[76:77], v[72:73], v[76:77]
	s_waitcnt vmcnt(0)
	v_fma_f64 v[72:73], v[72:73], v[78:79], -v[80:81]
	v_fma_f64 v[74:75], v[74:75], v[78:79], v[76:77]
	v_add_f64 v[1:2], v[1:2], v[72:73]
	v_add_f64 v[3:4], v[3:4], v[74:75]
	s_andn2_b32 exec_lo, exec_lo, s8
	s_cbranch_execnz .LBB29_324
; %bb.325:
	s_or_b32 exec_lo, exec_lo, s8
.LBB29_326:
	s_or_b32 exec_lo, exec_lo, s6
	v_mov_b32_e32 v68, 0
	ds_read_b128 v[72:75], v68 offset:192
	s_waitcnt lgkmcnt(0)
	v_mul_f64 v[68:69], v[3:4], v[74:75]
	v_mul_f64 v[74:75], v[1:2], v[74:75]
	v_fma_f64 v[1:2], v[1:2], v[72:73], -v[68:69]
	v_fma_f64 v[3:4], v[3:4], v[72:73], v[74:75]
	buffer_store_dword v2, off, s[0:3], 0 offset:196
	buffer_store_dword v1, off, s[0:3], 0 offset:192
	;; [unrolled: 1-line block ×4, first 2 shown]
.LBB29_327:
	s_or_b32 exec_lo, exec_lo, s4
	v_mov_b32_e32 v4, s24
	s_mov_b32 s4, exec_lo
	s_clause 0x3
	buffer_load_dword v1, v4, s[0:3], 0 offen
	buffer_load_dword v2, v4, s[0:3], 0 offen offset:4
	buffer_load_dword v3, v4, s[0:3], 0 offen offset:8
	;; [unrolled: 1-line block ×3, first 2 shown]
	s_waitcnt vmcnt(0)
	ds_write_b128 v66, v[1:4]
	s_waitcnt lgkmcnt(0)
	s_waitcnt_vscnt null, 0x0
	s_barrier
	buffer_gl0_inv
	v_cmpx_gt_u32_e32 13, v0
	s_cbranch_execz .LBB29_335
; %bb.328:
	ds_read_b128 v[1:4], v66
	v_cmp_ne_u32_e32 vcc_lo, 1, v67
	s_cbranch_vccnz .LBB29_330
; %bb.329:
	s_clause 0x3
	buffer_load_dword v68, v65, s[0:3], 0 offen offset:8
	buffer_load_dword v69, v65, s[0:3], 0 offen offset:12
	buffer_load_dword v72, v65, s[0:3], 0 offen
	buffer_load_dword v73, v65, s[0:3], 0 offen offset:4
	s_waitcnt vmcnt(2) lgkmcnt(0)
	v_mul_f64 v[74:75], v[3:4], v[68:69]
	v_mul_f64 v[68:69], v[1:2], v[68:69]
	s_waitcnt vmcnt(0)
	v_fma_f64 v[1:2], v[1:2], v[72:73], -v[74:75]
	v_fma_f64 v[3:4], v[3:4], v[72:73], v[68:69]
.LBB29_330:
	s_mov_b32 s6, exec_lo
	v_cmpx_ne_u32_e32 12, v0
	s_cbranch_execz .LBB29_334
; %bb.331:
	v_add_nc_u32_e32 v68, 0x1f0, v71
	v_add3_u32 v69, 0, v71, 16
	v_mov_b32_e32 v70, v0
	s_mov_b32 s8, 0
	.p2align	6
.LBB29_332:                             ; =>This Inner Loop Header: Depth=1
	s_clause 0x3
	buffer_load_dword v76, v69, s[0:3], 0 offen offset:8
	buffer_load_dword v77, v69, s[0:3], 0 offen offset:12
	buffer_load_dword v78, v69, s[0:3], 0 offen
	buffer_load_dword v79, v69, s[0:3], 0 offen offset:4
	ds_read_b128 v[72:75], v68
	v_add_nc_u32_e32 v70, 1, v70
	v_add_nc_u32_e32 v68, 16, v68
	;; [unrolled: 1-line block ×3, first 2 shown]
	v_cmp_lt_u32_e32 vcc_lo, 11, v70
	s_or_b32 s8, vcc_lo, s8
	s_waitcnt vmcnt(2) lgkmcnt(0)
	v_mul_f64 v[80:81], v[74:75], v[76:77]
	v_mul_f64 v[76:77], v[72:73], v[76:77]
	s_waitcnt vmcnt(0)
	v_fma_f64 v[72:73], v[72:73], v[78:79], -v[80:81]
	v_fma_f64 v[74:75], v[74:75], v[78:79], v[76:77]
	v_add_f64 v[1:2], v[1:2], v[72:73]
	v_add_f64 v[3:4], v[3:4], v[74:75]
	s_andn2_b32 exec_lo, exec_lo, s8
	s_cbranch_execnz .LBB29_332
; %bb.333:
	s_or_b32 exec_lo, exec_lo, s8
.LBB29_334:
	s_or_b32 exec_lo, exec_lo, s6
	v_mov_b32_e32 v68, 0
	ds_read_b128 v[72:75], v68 offset:208
	s_waitcnt lgkmcnt(0)
	v_mul_f64 v[68:69], v[3:4], v[74:75]
	v_mul_f64 v[74:75], v[1:2], v[74:75]
	v_fma_f64 v[1:2], v[1:2], v[72:73], -v[68:69]
	v_fma_f64 v[3:4], v[3:4], v[72:73], v[74:75]
	buffer_store_dword v2, off, s[0:3], 0 offset:212
	buffer_store_dword v1, off, s[0:3], 0 offset:208
	;; [unrolled: 1-line block ×4, first 2 shown]
.LBB29_335:
	s_or_b32 exec_lo, exec_lo, s4
	v_mov_b32_e32 v4, s23
	s_mov_b32 s4, exec_lo
	s_clause 0x3
	buffer_load_dword v1, v4, s[0:3], 0 offen
	buffer_load_dword v2, v4, s[0:3], 0 offen offset:4
	buffer_load_dword v3, v4, s[0:3], 0 offen offset:8
	;; [unrolled: 1-line block ×3, first 2 shown]
	s_waitcnt vmcnt(0)
	ds_write_b128 v66, v[1:4]
	s_waitcnt lgkmcnt(0)
	s_waitcnt_vscnt null, 0x0
	s_barrier
	buffer_gl0_inv
	v_cmpx_gt_u32_e32 14, v0
	s_cbranch_execz .LBB29_343
; %bb.336:
	ds_read_b128 v[1:4], v66
	v_cmp_ne_u32_e32 vcc_lo, 1, v67
	s_cbranch_vccnz .LBB29_338
; %bb.337:
	s_clause 0x3
	buffer_load_dword v68, v65, s[0:3], 0 offen offset:8
	buffer_load_dword v69, v65, s[0:3], 0 offen offset:12
	buffer_load_dword v72, v65, s[0:3], 0 offen
	buffer_load_dword v73, v65, s[0:3], 0 offen offset:4
	s_waitcnt vmcnt(2) lgkmcnt(0)
	v_mul_f64 v[74:75], v[3:4], v[68:69]
	v_mul_f64 v[68:69], v[1:2], v[68:69]
	s_waitcnt vmcnt(0)
	v_fma_f64 v[1:2], v[1:2], v[72:73], -v[74:75]
	v_fma_f64 v[3:4], v[3:4], v[72:73], v[68:69]
.LBB29_338:
	s_mov_b32 s6, exec_lo
	v_cmpx_ne_u32_e32 13, v0
	s_cbranch_execz .LBB29_342
; %bb.339:
	v_add_nc_u32_e32 v68, 0x1f0, v71
	v_add3_u32 v69, 0, v71, 16
	v_mov_b32_e32 v70, v0
	s_mov_b32 s8, 0
	.p2align	6
.LBB29_340:                             ; =>This Inner Loop Header: Depth=1
	s_clause 0x3
	buffer_load_dword v76, v69, s[0:3], 0 offen offset:8
	buffer_load_dword v77, v69, s[0:3], 0 offen offset:12
	buffer_load_dword v78, v69, s[0:3], 0 offen
	buffer_load_dword v79, v69, s[0:3], 0 offen offset:4
	ds_read_b128 v[72:75], v68
	v_add_nc_u32_e32 v70, 1, v70
	v_add_nc_u32_e32 v68, 16, v68
	;; [unrolled: 1-line block ×3, first 2 shown]
	v_cmp_lt_u32_e32 vcc_lo, 12, v70
	s_or_b32 s8, vcc_lo, s8
	s_waitcnt vmcnt(2) lgkmcnt(0)
	v_mul_f64 v[80:81], v[74:75], v[76:77]
	v_mul_f64 v[76:77], v[72:73], v[76:77]
	s_waitcnt vmcnt(0)
	v_fma_f64 v[72:73], v[72:73], v[78:79], -v[80:81]
	v_fma_f64 v[74:75], v[74:75], v[78:79], v[76:77]
	v_add_f64 v[1:2], v[1:2], v[72:73]
	v_add_f64 v[3:4], v[3:4], v[74:75]
	s_andn2_b32 exec_lo, exec_lo, s8
	s_cbranch_execnz .LBB29_340
; %bb.341:
	s_or_b32 exec_lo, exec_lo, s8
.LBB29_342:
	s_or_b32 exec_lo, exec_lo, s6
	v_mov_b32_e32 v68, 0
	ds_read_b128 v[72:75], v68 offset:224
	s_waitcnt lgkmcnt(0)
	v_mul_f64 v[68:69], v[3:4], v[74:75]
	v_mul_f64 v[74:75], v[1:2], v[74:75]
	v_fma_f64 v[1:2], v[1:2], v[72:73], -v[68:69]
	v_fma_f64 v[3:4], v[3:4], v[72:73], v[74:75]
	buffer_store_dword v2, off, s[0:3], 0 offset:228
	buffer_store_dword v1, off, s[0:3], 0 offset:224
	;; [unrolled: 1-line block ×4, first 2 shown]
.LBB29_343:
	s_or_b32 exec_lo, exec_lo, s4
	v_mov_b32_e32 v4, s22
	s_mov_b32 s4, exec_lo
	s_clause 0x3
	buffer_load_dword v1, v4, s[0:3], 0 offen
	buffer_load_dword v2, v4, s[0:3], 0 offen offset:4
	buffer_load_dword v3, v4, s[0:3], 0 offen offset:8
	;; [unrolled: 1-line block ×3, first 2 shown]
	s_waitcnt vmcnt(0)
	ds_write_b128 v66, v[1:4]
	s_waitcnt lgkmcnt(0)
	s_waitcnt_vscnt null, 0x0
	s_barrier
	buffer_gl0_inv
	v_cmpx_gt_u32_e32 15, v0
	s_cbranch_execz .LBB29_351
; %bb.344:
	ds_read_b128 v[1:4], v66
	v_cmp_ne_u32_e32 vcc_lo, 1, v67
	s_cbranch_vccnz .LBB29_346
; %bb.345:
	s_clause 0x3
	buffer_load_dword v68, v65, s[0:3], 0 offen offset:8
	buffer_load_dword v69, v65, s[0:3], 0 offen offset:12
	buffer_load_dword v72, v65, s[0:3], 0 offen
	buffer_load_dword v73, v65, s[0:3], 0 offen offset:4
	s_waitcnt vmcnt(2) lgkmcnt(0)
	v_mul_f64 v[74:75], v[3:4], v[68:69]
	v_mul_f64 v[68:69], v[1:2], v[68:69]
	s_waitcnt vmcnt(0)
	v_fma_f64 v[1:2], v[1:2], v[72:73], -v[74:75]
	v_fma_f64 v[3:4], v[3:4], v[72:73], v[68:69]
.LBB29_346:
	s_mov_b32 s6, exec_lo
	v_cmpx_ne_u32_e32 14, v0
	s_cbranch_execz .LBB29_350
; %bb.347:
	v_add_nc_u32_e32 v68, 0x1f0, v71
	v_add3_u32 v69, 0, v71, 16
	v_mov_b32_e32 v70, v0
	s_mov_b32 s8, 0
	.p2align	6
.LBB29_348:                             ; =>This Inner Loop Header: Depth=1
	s_clause 0x3
	buffer_load_dword v76, v69, s[0:3], 0 offen offset:8
	buffer_load_dword v77, v69, s[0:3], 0 offen offset:12
	buffer_load_dword v78, v69, s[0:3], 0 offen
	buffer_load_dword v79, v69, s[0:3], 0 offen offset:4
	ds_read_b128 v[72:75], v68
	v_add_nc_u32_e32 v70, 1, v70
	v_add_nc_u32_e32 v68, 16, v68
	;; [unrolled: 1-line block ×3, first 2 shown]
	v_cmp_lt_u32_e32 vcc_lo, 13, v70
	s_or_b32 s8, vcc_lo, s8
	s_waitcnt vmcnt(2) lgkmcnt(0)
	v_mul_f64 v[80:81], v[74:75], v[76:77]
	v_mul_f64 v[76:77], v[72:73], v[76:77]
	s_waitcnt vmcnt(0)
	v_fma_f64 v[72:73], v[72:73], v[78:79], -v[80:81]
	v_fma_f64 v[74:75], v[74:75], v[78:79], v[76:77]
	v_add_f64 v[1:2], v[1:2], v[72:73]
	v_add_f64 v[3:4], v[3:4], v[74:75]
	s_andn2_b32 exec_lo, exec_lo, s8
	s_cbranch_execnz .LBB29_348
; %bb.349:
	s_or_b32 exec_lo, exec_lo, s8
.LBB29_350:
	s_or_b32 exec_lo, exec_lo, s6
	v_mov_b32_e32 v68, 0
	ds_read_b128 v[72:75], v68 offset:240
	s_waitcnt lgkmcnt(0)
	v_mul_f64 v[68:69], v[3:4], v[74:75]
	v_mul_f64 v[74:75], v[1:2], v[74:75]
	v_fma_f64 v[1:2], v[1:2], v[72:73], -v[68:69]
	v_fma_f64 v[3:4], v[3:4], v[72:73], v[74:75]
	buffer_store_dword v2, off, s[0:3], 0 offset:244
	buffer_store_dword v1, off, s[0:3], 0 offset:240
	;; [unrolled: 1-line block ×4, first 2 shown]
.LBB29_351:
	s_or_b32 exec_lo, exec_lo, s4
	v_mov_b32_e32 v4, s21
	s_mov_b32 s4, exec_lo
	s_clause 0x3
	buffer_load_dword v1, v4, s[0:3], 0 offen
	buffer_load_dword v2, v4, s[0:3], 0 offen offset:4
	buffer_load_dword v3, v4, s[0:3], 0 offen offset:8
	;; [unrolled: 1-line block ×3, first 2 shown]
	s_waitcnt vmcnt(0)
	ds_write_b128 v66, v[1:4]
	s_waitcnt lgkmcnt(0)
	s_waitcnt_vscnt null, 0x0
	s_barrier
	buffer_gl0_inv
	v_cmpx_gt_u32_e32 16, v0
	s_cbranch_execz .LBB29_359
; %bb.352:
	ds_read_b128 v[1:4], v66
	v_cmp_ne_u32_e32 vcc_lo, 1, v67
	s_cbranch_vccnz .LBB29_354
; %bb.353:
	s_clause 0x3
	buffer_load_dword v68, v65, s[0:3], 0 offen offset:8
	buffer_load_dword v69, v65, s[0:3], 0 offen offset:12
	buffer_load_dword v72, v65, s[0:3], 0 offen
	buffer_load_dword v73, v65, s[0:3], 0 offen offset:4
	s_waitcnt vmcnt(2) lgkmcnt(0)
	v_mul_f64 v[74:75], v[3:4], v[68:69]
	v_mul_f64 v[68:69], v[1:2], v[68:69]
	s_waitcnt vmcnt(0)
	v_fma_f64 v[1:2], v[1:2], v[72:73], -v[74:75]
	v_fma_f64 v[3:4], v[3:4], v[72:73], v[68:69]
.LBB29_354:
	s_mov_b32 s6, exec_lo
	v_cmpx_ne_u32_e32 15, v0
	s_cbranch_execz .LBB29_358
; %bb.355:
	v_add_nc_u32_e32 v68, 0x1f0, v71
	v_add3_u32 v69, 0, v71, 16
	v_mov_b32_e32 v70, v0
	s_mov_b32 s8, 0
	.p2align	6
.LBB29_356:                             ; =>This Inner Loop Header: Depth=1
	s_clause 0x3
	buffer_load_dword v76, v69, s[0:3], 0 offen offset:8
	buffer_load_dword v77, v69, s[0:3], 0 offen offset:12
	buffer_load_dword v78, v69, s[0:3], 0 offen
	buffer_load_dword v79, v69, s[0:3], 0 offen offset:4
	ds_read_b128 v[72:75], v68
	v_add_nc_u32_e32 v70, 1, v70
	v_add_nc_u32_e32 v68, 16, v68
	;; [unrolled: 1-line block ×3, first 2 shown]
	v_cmp_lt_u32_e32 vcc_lo, 14, v70
	s_or_b32 s8, vcc_lo, s8
	s_waitcnt vmcnt(2) lgkmcnt(0)
	v_mul_f64 v[80:81], v[74:75], v[76:77]
	v_mul_f64 v[76:77], v[72:73], v[76:77]
	s_waitcnt vmcnt(0)
	v_fma_f64 v[72:73], v[72:73], v[78:79], -v[80:81]
	v_fma_f64 v[74:75], v[74:75], v[78:79], v[76:77]
	v_add_f64 v[1:2], v[1:2], v[72:73]
	v_add_f64 v[3:4], v[3:4], v[74:75]
	s_andn2_b32 exec_lo, exec_lo, s8
	s_cbranch_execnz .LBB29_356
; %bb.357:
	s_or_b32 exec_lo, exec_lo, s8
.LBB29_358:
	s_or_b32 exec_lo, exec_lo, s6
	v_mov_b32_e32 v68, 0
	ds_read_b128 v[72:75], v68 offset:256
	s_waitcnt lgkmcnt(0)
	v_mul_f64 v[68:69], v[3:4], v[74:75]
	v_mul_f64 v[74:75], v[1:2], v[74:75]
	v_fma_f64 v[1:2], v[1:2], v[72:73], -v[68:69]
	v_fma_f64 v[3:4], v[3:4], v[72:73], v[74:75]
	buffer_store_dword v2, off, s[0:3], 0 offset:260
	buffer_store_dword v1, off, s[0:3], 0 offset:256
	;; [unrolled: 1-line block ×4, first 2 shown]
.LBB29_359:
	s_or_b32 exec_lo, exec_lo, s4
	v_mov_b32_e32 v4, s20
	s_mov_b32 s4, exec_lo
	s_clause 0x3
	buffer_load_dword v1, v4, s[0:3], 0 offen
	buffer_load_dword v2, v4, s[0:3], 0 offen offset:4
	buffer_load_dword v3, v4, s[0:3], 0 offen offset:8
	;; [unrolled: 1-line block ×3, first 2 shown]
	s_waitcnt vmcnt(0)
	ds_write_b128 v66, v[1:4]
	s_waitcnt lgkmcnt(0)
	s_waitcnt_vscnt null, 0x0
	s_barrier
	buffer_gl0_inv
	v_cmpx_gt_u32_e32 17, v0
	s_cbranch_execz .LBB29_367
; %bb.360:
	ds_read_b128 v[1:4], v66
	v_cmp_ne_u32_e32 vcc_lo, 1, v67
	s_cbranch_vccnz .LBB29_362
; %bb.361:
	s_clause 0x3
	buffer_load_dword v68, v65, s[0:3], 0 offen offset:8
	buffer_load_dword v69, v65, s[0:3], 0 offen offset:12
	buffer_load_dword v72, v65, s[0:3], 0 offen
	buffer_load_dword v73, v65, s[0:3], 0 offen offset:4
	s_waitcnt vmcnt(2) lgkmcnt(0)
	v_mul_f64 v[74:75], v[3:4], v[68:69]
	v_mul_f64 v[68:69], v[1:2], v[68:69]
	s_waitcnt vmcnt(0)
	v_fma_f64 v[1:2], v[1:2], v[72:73], -v[74:75]
	v_fma_f64 v[3:4], v[3:4], v[72:73], v[68:69]
.LBB29_362:
	s_mov_b32 s6, exec_lo
	v_cmpx_ne_u32_e32 16, v0
	s_cbranch_execz .LBB29_366
; %bb.363:
	v_add_nc_u32_e32 v68, 0x1f0, v71
	v_add3_u32 v69, 0, v71, 16
	v_mov_b32_e32 v70, v0
	s_mov_b32 s8, 0
	.p2align	6
.LBB29_364:                             ; =>This Inner Loop Header: Depth=1
	s_clause 0x3
	buffer_load_dword v76, v69, s[0:3], 0 offen offset:8
	buffer_load_dword v77, v69, s[0:3], 0 offen offset:12
	buffer_load_dword v78, v69, s[0:3], 0 offen
	buffer_load_dword v79, v69, s[0:3], 0 offen offset:4
	ds_read_b128 v[72:75], v68
	v_add_nc_u32_e32 v70, 1, v70
	v_add_nc_u32_e32 v68, 16, v68
	;; [unrolled: 1-line block ×3, first 2 shown]
	v_cmp_lt_u32_e32 vcc_lo, 15, v70
	s_or_b32 s8, vcc_lo, s8
	s_waitcnt vmcnt(2) lgkmcnt(0)
	v_mul_f64 v[80:81], v[74:75], v[76:77]
	v_mul_f64 v[76:77], v[72:73], v[76:77]
	s_waitcnt vmcnt(0)
	v_fma_f64 v[72:73], v[72:73], v[78:79], -v[80:81]
	v_fma_f64 v[74:75], v[74:75], v[78:79], v[76:77]
	v_add_f64 v[1:2], v[1:2], v[72:73]
	v_add_f64 v[3:4], v[3:4], v[74:75]
	s_andn2_b32 exec_lo, exec_lo, s8
	s_cbranch_execnz .LBB29_364
; %bb.365:
	s_or_b32 exec_lo, exec_lo, s8
.LBB29_366:
	s_or_b32 exec_lo, exec_lo, s6
	v_mov_b32_e32 v68, 0
	ds_read_b128 v[72:75], v68 offset:272
	s_waitcnt lgkmcnt(0)
	v_mul_f64 v[68:69], v[3:4], v[74:75]
	v_mul_f64 v[74:75], v[1:2], v[74:75]
	v_fma_f64 v[1:2], v[1:2], v[72:73], -v[68:69]
	v_fma_f64 v[3:4], v[3:4], v[72:73], v[74:75]
	buffer_store_dword v2, off, s[0:3], 0 offset:276
	buffer_store_dword v1, off, s[0:3], 0 offset:272
	;; [unrolled: 1-line block ×4, first 2 shown]
.LBB29_367:
	s_or_b32 exec_lo, exec_lo, s4
	v_mov_b32_e32 v4, s19
	s_mov_b32 s4, exec_lo
	s_clause 0x3
	buffer_load_dword v1, v4, s[0:3], 0 offen
	buffer_load_dword v2, v4, s[0:3], 0 offen offset:4
	buffer_load_dword v3, v4, s[0:3], 0 offen offset:8
	;; [unrolled: 1-line block ×3, first 2 shown]
	s_waitcnt vmcnt(0)
	ds_write_b128 v66, v[1:4]
	s_waitcnt lgkmcnt(0)
	s_waitcnt_vscnt null, 0x0
	s_barrier
	buffer_gl0_inv
	v_cmpx_gt_u32_e32 18, v0
	s_cbranch_execz .LBB29_375
; %bb.368:
	ds_read_b128 v[1:4], v66
	v_cmp_ne_u32_e32 vcc_lo, 1, v67
	s_cbranch_vccnz .LBB29_370
; %bb.369:
	s_clause 0x3
	buffer_load_dword v68, v65, s[0:3], 0 offen offset:8
	buffer_load_dword v69, v65, s[0:3], 0 offen offset:12
	buffer_load_dword v72, v65, s[0:3], 0 offen
	buffer_load_dword v73, v65, s[0:3], 0 offen offset:4
	s_waitcnt vmcnt(2) lgkmcnt(0)
	v_mul_f64 v[74:75], v[3:4], v[68:69]
	v_mul_f64 v[68:69], v[1:2], v[68:69]
	s_waitcnt vmcnt(0)
	v_fma_f64 v[1:2], v[1:2], v[72:73], -v[74:75]
	v_fma_f64 v[3:4], v[3:4], v[72:73], v[68:69]
.LBB29_370:
	s_mov_b32 s6, exec_lo
	v_cmpx_ne_u32_e32 17, v0
	s_cbranch_execz .LBB29_374
; %bb.371:
	v_add_nc_u32_e32 v68, 0x1f0, v71
	v_add3_u32 v69, 0, v71, 16
	v_mov_b32_e32 v70, v0
	s_mov_b32 s8, 0
	.p2align	6
.LBB29_372:                             ; =>This Inner Loop Header: Depth=1
	s_clause 0x3
	buffer_load_dword v76, v69, s[0:3], 0 offen offset:8
	buffer_load_dword v77, v69, s[0:3], 0 offen offset:12
	buffer_load_dword v78, v69, s[0:3], 0 offen
	buffer_load_dword v79, v69, s[0:3], 0 offen offset:4
	ds_read_b128 v[72:75], v68
	v_add_nc_u32_e32 v70, 1, v70
	v_add_nc_u32_e32 v68, 16, v68
	;; [unrolled: 1-line block ×3, first 2 shown]
	v_cmp_lt_u32_e32 vcc_lo, 16, v70
	s_or_b32 s8, vcc_lo, s8
	s_waitcnt vmcnt(2) lgkmcnt(0)
	v_mul_f64 v[80:81], v[74:75], v[76:77]
	v_mul_f64 v[76:77], v[72:73], v[76:77]
	s_waitcnt vmcnt(0)
	v_fma_f64 v[72:73], v[72:73], v[78:79], -v[80:81]
	v_fma_f64 v[74:75], v[74:75], v[78:79], v[76:77]
	v_add_f64 v[1:2], v[1:2], v[72:73]
	v_add_f64 v[3:4], v[3:4], v[74:75]
	s_andn2_b32 exec_lo, exec_lo, s8
	s_cbranch_execnz .LBB29_372
; %bb.373:
	s_or_b32 exec_lo, exec_lo, s8
.LBB29_374:
	s_or_b32 exec_lo, exec_lo, s6
	v_mov_b32_e32 v68, 0
	ds_read_b128 v[72:75], v68 offset:288
	s_waitcnt lgkmcnt(0)
	v_mul_f64 v[68:69], v[3:4], v[74:75]
	v_mul_f64 v[74:75], v[1:2], v[74:75]
	v_fma_f64 v[1:2], v[1:2], v[72:73], -v[68:69]
	v_fma_f64 v[3:4], v[3:4], v[72:73], v[74:75]
	buffer_store_dword v2, off, s[0:3], 0 offset:292
	buffer_store_dword v1, off, s[0:3], 0 offset:288
	;; [unrolled: 1-line block ×4, first 2 shown]
.LBB29_375:
	s_or_b32 exec_lo, exec_lo, s4
	v_mov_b32_e32 v4, s18
	s_mov_b32 s4, exec_lo
	s_clause 0x3
	buffer_load_dword v1, v4, s[0:3], 0 offen
	buffer_load_dword v2, v4, s[0:3], 0 offen offset:4
	buffer_load_dword v3, v4, s[0:3], 0 offen offset:8
	;; [unrolled: 1-line block ×3, first 2 shown]
	s_waitcnt vmcnt(0)
	ds_write_b128 v66, v[1:4]
	s_waitcnt lgkmcnt(0)
	s_waitcnt_vscnt null, 0x0
	s_barrier
	buffer_gl0_inv
	v_cmpx_gt_u32_e32 19, v0
	s_cbranch_execz .LBB29_383
; %bb.376:
	ds_read_b128 v[1:4], v66
	v_cmp_ne_u32_e32 vcc_lo, 1, v67
	s_cbranch_vccnz .LBB29_378
; %bb.377:
	s_clause 0x3
	buffer_load_dword v68, v65, s[0:3], 0 offen offset:8
	buffer_load_dword v69, v65, s[0:3], 0 offen offset:12
	buffer_load_dword v72, v65, s[0:3], 0 offen
	buffer_load_dword v73, v65, s[0:3], 0 offen offset:4
	s_waitcnt vmcnt(2) lgkmcnt(0)
	v_mul_f64 v[74:75], v[3:4], v[68:69]
	v_mul_f64 v[68:69], v[1:2], v[68:69]
	s_waitcnt vmcnt(0)
	v_fma_f64 v[1:2], v[1:2], v[72:73], -v[74:75]
	v_fma_f64 v[3:4], v[3:4], v[72:73], v[68:69]
.LBB29_378:
	s_mov_b32 s6, exec_lo
	v_cmpx_ne_u32_e32 18, v0
	s_cbranch_execz .LBB29_382
; %bb.379:
	v_add_nc_u32_e32 v68, 0x1f0, v71
	v_add3_u32 v69, 0, v71, 16
	v_mov_b32_e32 v70, v0
	s_mov_b32 s8, 0
	.p2align	6
.LBB29_380:                             ; =>This Inner Loop Header: Depth=1
	s_clause 0x3
	buffer_load_dword v76, v69, s[0:3], 0 offen offset:8
	buffer_load_dword v77, v69, s[0:3], 0 offen offset:12
	buffer_load_dword v78, v69, s[0:3], 0 offen
	buffer_load_dword v79, v69, s[0:3], 0 offen offset:4
	ds_read_b128 v[72:75], v68
	v_add_nc_u32_e32 v70, 1, v70
	v_add_nc_u32_e32 v68, 16, v68
	v_add_nc_u32_e32 v69, 16, v69
	v_cmp_lt_u32_e32 vcc_lo, 17, v70
	s_or_b32 s8, vcc_lo, s8
	s_waitcnt vmcnt(2) lgkmcnt(0)
	v_mul_f64 v[80:81], v[74:75], v[76:77]
	v_mul_f64 v[76:77], v[72:73], v[76:77]
	s_waitcnt vmcnt(0)
	v_fma_f64 v[72:73], v[72:73], v[78:79], -v[80:81]
	v_fma_f64 v[74:75], v[74:75], v[78:79], v[76:77]
	v_add_f64 v[1:2], v[1:2], v[72:73]
	v_add_f64 v[3:4], v[3:4], v[74:75]
	s_andn2_b32 exec_lo, exec_lo, s8
	s_cbranch_execnz .LBB29_380
; %bb.381:
	s_or_b32 exec_lo, exec_lo, s8
.LBB29_382:
	s_or_b32 exec_lo, exec_lo, s6
	v_mov_b32_e32 v68, 0
	ds_read_b128 v[72:75], v68 offset:304
	s_waitcnt lgkmcnt(0)
	v_mul_f64 v[68:69], v[3:4], v[74:75]
	v_mul_f64 v[74:75], v[1:2], v[74:75]
	v_fma_f64 v[1:2], v[1:2], v[72:73], -v[68:69]
	v_fma_f64 v[3:4], v[3:4], v[72:73], v[74:75]
	buffer_store_dword v2, off, s[0:3], 0 offset:308
	buffer_store_dword v1, off, s[0:3], 0 offset:304
	;; [unrolled: 1-line block ×4, first 2 shown]
.LBB29_383:
	s_or_b32 exec_lo, exec_lo, s4
	v_mov_b32_e32 v4, s17
	s_mov_b32 s4, exec_lo
	s_clause 0x3
	buffer_load_dword v1, v4, s[0:3], 0 offen
	buffer_load_dword v2, v4, s[0:3], 0 offen offset:4
	buffer_load_dword v3, v4, s[0:3], 0 offen offset:8
	;; [unrolled: 1-line block ×3, first 2 shown]
	s_waitcnt vmcnt(0)
	ds_write_b128 v66, v[1:4]
	s_waitcnt lgkmcnt(0)
	s_waitcnt_vscnt null, 0x0
	s_barrier
	buffer_gl0_inv
	v_cmpx_gt_u32_e32 20, v0
	s_cbranch_execz .LBB29_391
; %bb.384:
	ds_read_b128 v[1:4], v66
	v_cmp_ne_u32_e32 vcc_lo, 1, v67
	s_cbranch_vccnz .LBB29_386
; %bb.385:
	s_clause 0x3
	buffer_load_dword v68, v65, s[0:3], 0 offen offset:8
	buffer_load_dword v69, v65, s[0:3], 0 offen offset:12
	buffer_load_dword v72, v65, s[0:3], 0 offen
	buffer_load_dword v73, v65, s[0:3], 0 offen offset:4
	s_waitcnt vmcnt(2) lgkmcnt(0)
	v_mul_f64 v[74:75], v[3:4], v[68:69]
	v_mul_f64 v[68:69], v[1:2], v[68:69]
	s_waitcnt vmcnt(0)
	v_fma_f64 v[1:2], v[1:2], v[72:73], -v[74:75]
	v_fma_f64 v[3:4], v[3:4], v[72:73], v[68:69]
.LBB29_386:
	s_mov_b32 s6, exec_lo
	v_cmpx_ne_u32_e32 19, v0
	s_cbranch_execz .LBB29_390
; %bb.387:
	v_add_nc_u32_e32 v68, 0x1f0, v71
	v_add3_u32 v69, 0, v71, 16
	v_mov_b32_e32 v70, v0
	s_mov_b32 s8, 0
	.p2align	6
.LBB29_388:                             ; =>This Inner Loop Header: Depth=1
	s_clause 0x3
	buffer_load_dword v76, v69, s[0:3], 0 offen offset:8
	buffer_load_dword v77, v69, s[0:3], 0 offen offset:12
	buffer_load_dword v78, v69, s[0:3], 0 offen
	buffer_load_dword v79, v69, s[0:3], 0 offen offset:4
	ds_read_b128 v[72:75], v68
	v_add_nc_u32_e32 v70, 1, v70
	v_add_nc_u32_e32 v68, 16, v68
	;; [unrolled: 1-line block ×3, first 2 shown]
	v_cmp_lt_u32_e32 vcc_lo, 18, v70
	s_or_b32 s8, vcc_lo, s8
	s_waitcnt vmcnt(2) lgkmcnt(0)
	v_mul_f64 v[80:81], v[74:75], v[76:77]
	v_mul_f64 v[76:77], v[72:73], v[76:77]
	s_waitcnt vmcnt(0)
	v_fma_f64 v[72:73], v[72:73], v[78:79], -v[80:81]
	v_fma_f64 v[74:75], v[74:75], v[78:79], v[76:77]
	v_add_f64 v[1:2], v[1:2], v[72:73]
	v_add_f64 v[3:4], v[3:4], v[74:75]
	s_andn2_b32 exec_lo, exec_lo, s8
	s_cbranch_execnz .LBB29_388
; %bb.389:
	s_or_b32 exec_lo, exec_lo, s8
.LBB29_390:
	s_or_b32 exec_lo, exec_lo, s6
	v_mov_b32_e32 v68, 0
	ds_read_b128 v[72:75], v68 offset:320
	s_waitcnt lgkmcnt(0)
	v_mul_f64 v[68:69], v[3:4], v[74:75]
	v_mul_f64 v[74:75], v[1:2], v[74:75]
	v_fma_f64 v[1:2], v[1:2], v[72:73], -v[68:69]
	v_fma_f64 v[3:4], v[3:4], v[72:73], v[74:75]
	buffer_store_dword v2, off, s[0:3], 0 offset:324
	buffer_store_dword v1, off, s[0:3], 0 offset:320
	;; [unrolled: 1-line block ×4, first 2 shown]
.LBB29_391:
	s_or_b32 exec_lo, exec_lo, s4
	v_mov_b32_e32 v4, s16
	s_mov_b32 s4, exec_lo
	s_clause 0x3
	buffer_load_dword v1, v4, s[0:3], 0 offen
	buffer_load_dword v2, v4, s[0:3], 0 offen offset:4
	buffer_load_dword v3, v4, s[0:3], 0 offen offset:8
	;; [unrolled: 1-line block ×3, first 2 shown]
	s_waitcnt vmcnt(0)
	ds_write_b128 v66, v[1:4]
	s_waitcnt lgkmcnt(0)
	s_waitcnt_vscnt null, 0x0
	s_barrier
	buffer_gl0_inv
	v_cmpx_gt_u32_e32 21, v0
	s_cbranch_execz .LBB29_399
; %bb.392:
	ds_read_b128 v[1:4], v66
	v_cmp_ne_u32_e32 vcc_lo, 1, v67
	s_cbranch_vccnz .LBB29_394
; %bb.393:
	s_clause 0x3
	buffer_load_dword v68, v65, s[0:3], 0 offen offset:8
	buffer_load_dword v69, v65, s[0:3], 0 offen offset:12
	buffer_load_dword v72, v65, s[0:3], 0 offen
	buffer_load_dword v73, v65, s[0:3], 0 offen offset:4
	s_waitcnt vmcnt(2) lgkmcnt(0)
	v_mul_f64 v[74:75], v[3:4], v[68:69]
	v_mul_f64 v[68:69], v[1:2], v[68:69]
	s_waitcnt vmcnt(0)
	v_fma_f64 v[1:2], v[1:2], v[72:73], -v[74:75]
	v_fma_f64 v[3:4], v[3:4], v[72:73], v[68:69]
.LBB29_394:
	s_mov_b32 s6, exec_lo
	v_cmpx_ne_u32_e32 20, v0
	s_cbranch_execz .LBB29_398
; %bb.395:
	v_add_nc_u32_e32 v68, 0x1f0, v71
	v_add3_u32 v69, 0, v71, 16
	v_mov_b32_e32 v70, v0
	s_mov_b32 s8, 0
	.p2align	6
.LBB29_396:                             ; =>This Inner Loop Header: Depth=1
	s_clause 0x3
	buffer_load_dword v76, v69, s[0:3], 0 offen offset:8
	buffer_load_dword v77, v69, s[0:3], 0 offen offset:12
	buffer_load_dword v78, v69, s[0:3], 0 offen
	buffer_load_dword v79, v69, s[0:3], 0 offen offset:4
	ds_read_b128 v[72:75], v68
	v_add_nc_u32_e32 v70, 1, v70
	v_add_nc_u32_e32 v68, 16, v68
	v_add_nc_u32_e32 v69, 16, v69
	v_cmp_lt_u32_e32 vcc_lo, 19, v70
	s_or_b32 s8, vcc_lo, s8
	s_waitcnt vmcnt(2) lgkmcnt(0)
	v_mul_f64 v[80:81], v[74:75], v[76:77]
	v_mul_f64 v[76:77], v[72:73], v[76:77]
	s_waitcnt vmcnt(0)
	v_fma_f64 v[72:73], v[72:73], v[78:79], -v[80:81]
	v_fma_f64 v[74:75], v[74:75], v[78:79], v[76:77]
	v_add_f64 v[1:2], v[1:2], v[72:73]
	v_add_f64 v[3:4], v[3:4], v[74:75]
	s_andn2_b32 exec_lo, exec_lo, s8
	s_cbranch_execnz .LBB29_396
; %bb.397:
	s_or_b32 exec_lo, exec_lo, s8
.LBB29_398:
	s_or_b32 exec_lo, exec_lo, s6
	v_mov_b32_e32 v68, 0
	ds_read_b128 v[72:75], v68 offset:336
	s_waitcnt lgkmcnt(0)
	v_mul_f64 v[68:69], v[3:4], v[74:75]
	v_mul_f64 v[74:75], v[1:2], v[74:75]
	v_fma_f64 v[1:2], v[1:2], v[72:73], -v[68:69]
	v_fma_f64 v[3:4], v[3:4], v[72:73], v[74:75]
	buffer_store_dword v2, off, s[0:3], 0 offset:340
	buffer_store_dword v1, off, s[0:3], 0 offset:336
	;; [unrolled: 1-line block ×4, first 2 shown]
.LBB29_399:
	s_or_b32 exec_lo, exec_lo, s4
	v_mov_b32_e32 v4, s15
	s_mov_b32 s4, exec_lo
	s_clause 0x3
	buffer_load_dword v1, v4, s[0:3], 0 offen
	buffer_load_dword v2, v4, s[0:3], 0 offen offset:4
	buffer_load_dword v3, v4, s[0:3], 0 offen offset:8
	;; [unrolled: 1-line block ×3, first 2 shown]
	s_waitcnt vmcnt(0)
	ds_write_b128 v66, v[1:4]
	s_waitcnt lgkmcnt(0)
	s_waitcnt_vscnt null, 0x0
	s_barrier
	buffer_gl0_inv
	v_cmpx_gt_u32_e32 22, v0
	s_cbranch_execz .LBB29_407
; %bb.400:
	ds_read_b128 v[1:4], v66
	v_cmp_ne_u32_e32 vcc_lo, 1, v67
	s_cbranch_vccnz .LBB29_402
; %bb.401:
	s_clause 0x3
	buffer_load_dword v68, v65, s[0:3], 0 offen offset:8
	buffer_load_dword v69, v65, s[0:3], 0 offen offset:12
	buffer_load_dword v72, v65, s[0:3], 0 offen
	buffer_load_dword v73, v65, s[0:3], 0 offen offset:4
	s_waitcnt vmcnt(2) lgkmcnt(0)
	v_mul_f64 v[74:75], v[3:4], v[68:69]
	v_mul_f64 v[68:69], v[1:2], v[68:69]
	s_waitcnt vmcnt(0)
	v_fma_f64 v[1:2], v[1:2], v[72:73], -v[74:75]
	v_fma_f64 v[3:4], v[3:4], v[72:73], v[68:69]
.LBB29_402:
	s_mov_b32 s6, exec_lo
	v_cmpx_ne_u32_e32 21, v0
	s_cbranch_execz .LBB29_406
; %bb.403:
	v_add_nc_u32_e32 v68, 0x1f0, v71
	v_add3_u32 v69, 0, v71, 16
	v_mov_b32_e32 v70, v0
	s_mov_b32 s8, 0
	.p2align	6
.LBB29_404:                             ; =>This Inner Loop Header: Depth=1
	s_clause 0x3
	buffer_load_dword v76, v69, s[0:3], 0 offen offset:8
	buffer_load_dword v77, v69, s[0:3], 0 offen offset:12
	buffer_load_dword v78, v69, s[0:3], 0 offen
	buffer_load_dword v79, v69, s[0:3], 0 offen offset:4
	ds_read_b128 v[72:75], v68
	v_add_nc_u32_e32 v70, 1, v70
	v_add_nc_u32_e32 v68, 16, v68
	v_add_nc_u32_e32 v69, 16, v69
	v_cmp_lt_u32_e32 vcc_lo, 20, v70
	s_or_b32 s8, vcc_lo, s8
	s_waitcnt vmcnt(2) lgkmcnt(0)
	v_mul_f64 v[80:81], v[74:75], v[76:77]
	v_mul_f64 v[76:77], v[72:73], v[76:77]
	s_waitcnt vmcnt(0)
	v_fma_f64 v[72:73], v[72:73], v[78:79], -v[80:81]
	v_fma_f64 v[74:75], v[74:75], v[78:79], v[76:77]
	v_add_f64 v[1:2], v[1:2], v[72:73]
	v_add_f64 v[3:4], v[3:4], v[74:75]
	s_andn2_b32 exec_lo, exec_lo, s8
	s_cbranch_execnz .LBB29_404
; %bb.405:
	s_or_b32 exec_lo, exec_lo, s8
.LBB29_406:
	s_or_b32 exec_lo, exec_lo, s6
	v_mov_b32_e32 v68, 0
	ds_read_b128 v[72:75], v68 offset:352
	s_waitcnt lgkmcnt(0)
	v_mul_f64 v[68:69], v[3:4], v[74:75]
	v_mul_f64 v[74:75], v[1:2], v[74:75]
	v_fma_f64 v[1:2], v[1:2], v[72:73], -v[68:69]
	v_fma_f64 v[3:4], v[3:4], v[72:73], v[74:75]
	buffer_store_dword v2, off, s[0:3], 0 offset:356
	buffer_store_dword v1, off, s[0:3], 0 offset:352
	;; [unrolled: 1-line block ×4, first 2 shown]
.LBB29_407:
	s_or_b32 exec_lo, exec_lo, s4
	v_mov_b32_e32 v4, s14
	s_mov_b32 s4, exec_lo
	s_clause 0x3
	buffer_load_dword v1, v4, s[0:3], 0 offen
	buffer_load_dword v2, v4, s[0:3], 0 offen offset:4
	buffer_load_dword v3, v4, s[0:3], 0 offen offset:8
	;; [unrolled: 1-line block ×3, first 2 shown]
	s_waitcnt vmcnt(0)
	ds_write_b128 v66, v[1:4]
	s_waitcnt lgkmcnt(0)
	s_waitcnt_vscnt null, 0x0
	s_barrier
	buffer_gl0_inv
	v_cmpx_gt_u32_e32 23, v0
	s_cbranch_execz .LBB29_415
; %bb.408:
	ds_read_b128 v[1:4], v66
	v_cmp_ne_u32_e32 vcc_lo, 1, v67
	s_cbranch_vccnz .LBB29_410
; %bb.409:
	s_clause 0x3
	buffer_load_dword v68, v65, s[0:3], 0 offen offset:8
	buffer_load_dword v69, v65, s[0:3], 0 offen offset:12
	buffer_load_dword v72, v65, s[0:3], 0 offen
	buffer_load_dword v73, v65, s[0:3], 0 offen offset:4
	s_waitcnt vmcnt(2) lgkmcnt(0)
	v_mul_f64 v[74:75], v[3:4], v[68:69]
	v_mul_f64 v[68:69], v[1:2], v[68:69]
	s_waitcnt vmcnt(0)
	v_fma_f64 v[1:2], v[1:2], v[72:73], -v[74:75]
	v_fma_f64 v[3:4], v[3:4], v[72:73], v[68:69]
.LBB29_410:
	s_mov_b32 s6, exec_lo
	v_cmpx_ne_u32_e32 22, v0
	s_cbranch_execz .LBB29_414
; %bb.411:
	v_add_nc_u32_e32 v68, 0x1f0, v71
	v_add3_u32 v69, 0, v71, 16
	v_mov_b32_e32 v70, v0
	s_mov_b32 s8, 0
	.p2align	6
.LBB29_412:                             ; =>This Inner Loop Header: Depth=1
	s_clause 0x3
	buffer_load_dword v76, v69, s[0:3], 0 offen offset:8
	buffer_load_dword v77, v69, s[0:3], 0 offen offset:12
	buffer_load_dword v78, v69, s[0:3], 0 offen
	buffer_load_dword v79, v69, s[0:3], 0 offen offset:4
	ds_read_b128 v[72:75], v68
	v_add_nc_u32_e32 v70, 1, v70
	v_add_nc_u32_e32 v68, 16, v68
	;; [unrolled: 1-line block ×3, first 2 shown]
	v_cmp_lt_u32_e32 vcc_lo, 21, v70
	s_or_b32 s8, vcc_lo, s8
	s_waitcnt vmcnt(2) lgkmcnt(0)
	v_mul_f64 v[80:81], v[74:75], v[76:77]
	v_mul_f64 v[76:77], v[72:73], v[76:77]
	s_waitcnt vmcnt(0)
	v_fma_f64 v[72:73], v[72:73], v[78:79], -v[80:81]
	v_fma_f64 v[74:75], v[74:75], v[78:79], v[76:77]
	v_add_f64 v[1:2], v[1:2], v[72:73]
	v_add_f64 v[3:4], v[3:4], v[74:75]
	s_andn2_b32 exec_lo, exec_lo, s8
	s_cbranch_execnz .LBB29_412
; %bb.413:
	s_or_b32 exec_lo, exec_lo, s8
.LBB29_414:
	s_or_b32 exec_lo, exec_lo, s6
	v_mov_b32_e32 v68, 0
	ds_read_b128 v[72:75], v68 offset:368
	s_waitcnt lgkmcnt(0)
	v_mul_f64 v[68:69], v[3:4], v[74:75]
	v_mul_f64 v[74:75], v[1:2], v[74:75]
	v_fma_f64 v[1:2], v[1:2], v[72:73], -v[68:69]
	v_fma_f64 v[3:4], v[3:4], v[72:73], v[74:75]
	buffer_store_dword v2, off, s[0:3], 0 offset:372
	buffer_store_dword v1, off, s[0:3], 0 offset:368
	;; [unrolled: 1-line block ×4, first 2 shown]
.LBB29_415:
	s_or_b32 exec_lo, exec_lo, s4
	v_mov_b32_e32 v4, s13
	s_mov_b32 s4, exec_lo
	s_clause 0x3
	buffer_load_dword v1, v4, s[0:3], 0 offen
	buffer_load_dword v2, v4, s[0:3], 0 offen offset:4
	buffer_load_dword v3, v4, s[0:3], 0 offen offset:8
	;; [unrolled: 1-line block ×3, first 2 shown]
	s_waitcnt vmcnt(0)
	ds_write_b128 v66, v[1:4]
	s_waitcnt lgkmcnt(0)
	s_waitcnt_vscnt null, 0x0
	s_barrier
	buffer_gl0_inv
	v_cmpx_gt_u32_e32 24, v0
	s_cbranch_execz .LBB29_423
; %bb.416:
	ds_read_b128 v[1:4], v66
	v_cmp_ne_u32_e32 vcc_lo, 1, v67
	s_cbranch_vccnz .LBB29_418
; %bb.417:
	s_clause 0x3
	buffer_load_dword v68, v65, s[0:3], 0 offen offset:8
	buffer_load_dword v69, v65, s[0:3], 0 offen offset:12
	buffer_load_dword v72, v65, s[0:3], 0 offen
	buffer_load_dword v73, v65, s[0:3], 0 offen offset:4
	s_waitcnt vmcnt(2) lgkmcnt(0)
	v_mul_f64 v[74:75], v[3:4], v[68:69]
	v_mul_f64 v[68:69], v[1:2], v[68:69]
	s_waitcnt vmcnt(0)
	v_fma_f64 v[1:2], v[1:2], v[72:73], -v[74:75]
	v_fma_f64 v[3:4], v[3:4], v[72:73], v[68:69]
.LBB29_418:
	s_mov_b32 s6, exec_lo
	v_cmpx_ne_u32_e32 23, v0
	s_cbranch_execz .LBB29_422
; %bb.419:
	v_add_nc_u32_e32 v68, 0x1f0, v71
	v_add3_u32 v69, 0, v71, 16
	v_mov_b32_e32 v70, v0
	s_mov_b32 s8, 0
	.p2align	6
.LBB29_420:                             ; =>This Inner Loop Header: Depth=1
	s_clause 0x3
	buffer_load_dword v76, v69, s[0:3], 0 offen offset:8
	buffer_load_dword v77, v69, s[0:3], 0 offen offset:12
	buffer_load_dword v78, v69, s[0:3], 0 offen
	buffer_load_dword v79, v69, s[0:3], 0 offen offset:4
	ds_read_b128 v[72:75], v68
	v_add_nc_u32_e32 v70, 1, v70
	v_add_nc_u32_e32 v68, 16, v68
	;; [unrolled: 1-line block ×3, first 2 shown]
	v_cmp_lt_u32_e32 vcc_lo, 22, v70
	s_or_b32 s8, vcc_lo, s8
	s_waitcnt vmcnt(2) lgkmcnt(0)
	v_mul_f64 v[80:81], v[74:75], v[76:77]
	v_mul_f64 v[76:77], v[72:73], v[76:77]
	s_waitcnt vmcnt(0)
	v_fma_f64 v[72:73], v[72:73], v[78:79], -v[80:81]
	v_fma_f64 v[74:75], v[74:75], v[78:79], v[76:77]
	v_add_f64 v[1:2], v[1:2], v[72:73]
	v_add_f64 v[3:4], v[3:4], v[74:75]
	s_andn2_b32 exec_lo, exec_lo, s8
	s_cbranch_execnz .LBB29_420
; %bb.421:
	s_or_b32 exec_lo, exec_lo, s8
.LBB29_422:
	s_or_b32 exec_lo, exec_lo, s6
	v_mov_b32_e32 v68, 0
	ds_read_b128 v[72:75], v68 offset:384
	s_waitcnt lgkmcnt(0)
	v_mul_f64 v[68:69], v[3:4], v[74:75]
	v_mul_f64 v[74:75], v[1:2], v[74:75]
	v_fma_f64 v[1:2], v[1:2], v[72:73], -v[68:69]
	v_fma_f64 v[3:4], v[3:4], v[72:73], v[74:75]
	buffer_store_dword v2, off, s[0:3], 0 offset:388
	buffer_store_dword v1, off, s[0:3], 0 offset:384
	;; [unrolled: 1-line block ×4, first 2 shown]
.LBB29_423:
	s_or_b32 exec_lo, exec_lo, s4
	v_mov_b32_e32 v4, s12
	s_mov_b32 s4, exec_lo
	s_clause 0x3
	buffer_load_dword v1, v4, s[0:3], 0 offen
	buffer_load_dword v2, v4, s[0:3], 0 offen offset:4
	buffer_load_dword v3, v4, s[0:3], 0 offen offset:8
	;; [unrolled: 1-line block ×3, first 2 shown]
	s_waitcnt vmcnt(0)
	ds_write_b128 v66, v[1:4]
	s_waitcnt lgkmcnt(0)
	s_waitcnt_vscnt null, 0x0
	s_barrier
	buffer_gl0_inv
	v_cmpx_gt_u32_e32 25, v0
	s_cbranch_execz .LBB29_431
; %bb.424:
	ds_read_b128 v[1:4], v66
	v_cmp_ne_u32_e32 vcc_lo, 1, v67
	s_cbranch_vccnz .LBB29_426
; %bb.425:
	s_clause 0x3
	buffer_load_dword v68, v65, s[0:3], 0 offen offset:8
	buffer_load_dword v69, v65, s[0:3], 0 offen offset:12
	buffer_load_dword v72, v65, s[0:3], 0 offen
	buffer_load_dword v73, v65, s[0:3], 0 offen offset:4
	s_waitcnt vmcnt(2) lgkmcnt(0)
	v_mul_f64 v[74:75], v[3:4], v[68:69]
	v_mul_f64 v[68:69], v[1:2], v[68:69]
	s_waitcnt vmcnt(0)
	v_fma_f64 v[1:2], v[1:2], v[72:73], -v[74:75]
	v_fma_f64 v[3:4], v[3:4], v[72:73], v[68:69]
.LBB29_426:
	s_mov_b32 s6, exec_lo
	v_cmpx_ne_u32_e32 24, v0
	s_cbranch_execz .LBB29_430
; %bb.427:
	v_add_nc_u32_e32 v68, 0x1f0, v71
	v_add3_u32 v69, 0, v71, 16
	v_mov_b32_e32 v70, v0
	s_mov_b32 s8, 0
	.p2align	6
.LBB29_428:                             ; =>This Inner Loop Header: Depth=1
	s_clause 0x3
	buffer_load_dword v76, v69, s[0:3], 0 offen offset:8
	buffer_load_dword v77, v69, s[0:3], 0 offen offset:12
	buffer_load_dword v78, v69, s[0:3], 0 offen
	buffer_load_dword v79, v69, s[0:3], 0 offen offset:4
	ds_read_b128 v[72:75], v68
	v_add_nc_u32_e32 v70, 1, v70
	v_add_nc_u32_e32 v68, 16, v68
	;; [unrolled: 1-line block ×3, first 2 shown]
	v_cmp_lt_u32_e32 vcc_lo, 23, v70
	s_or_b32 s8, vcc_lo, s8
	s_waitcnt vmcnt(2) lgkmcnt(0)
	v_mul_f64 v[80:81], v[74:75], v[76:77]
	v_mul_f64 v[76:77], v[72:73], v[76:77]
	s_waitcnt vmcnt(0)
	v_fma_f64 v[72:73], v[72:73], v[78:79], -v[80:81]
	v_fma_f64 v[74:75], v[74:75], v[78:79], v[76:77]
	v_add_f64 v[1:2], v[1:2], v[72:73]
	v_add_f64 v[3:4], v[3:4], v[74:75]
	s_andn2_b32 exec_lo, exec_lo, s8
	s_cbranch_execnz .LBB29_428
; %bb.429:
	s_or_b32 exec_lo, exec_lo, s8
.LBB29_430:
	s_or_b32 exec_lo, exec_lo, s6
	v_mov_b32_e32 v68, 0
	ds_read_b128 v[72:75], v68 offset:400
	s_waitcnt lgkmcnt(0)
	v_mul_f64 v[68:69], v[3:4], v[74:75]
	v_mul_f64 v[74:75], v[1:2], v[74:75]
	v_fma_f64 v[1:2], v[1:2], v[72:73], -v[68:69]
	v_fma_f64 v[3:4], v[3:4], v[72:73], v[74:75]
	buffer_store_dword v2, off, s[0:3], 0 offset:404
	buffer_store_dword v1, off, s[0:3], 0 offset:400
	;; [unrolled: 1-line block ×4, first 2 shown]
.LBB29_431:
	s_or_b32 exec_lo, exec_lo, s4
	v_mov_b32_e32 v4, s11
	s_mov_b32 s4, exec_lo
	s_clause 0x3
	buffer_load_dword v1, v4, s[0:3], 0 offen
	buffer_load_dword v2, v4, s[0:3], 0 offen offset:4
	buffer_load_dword v3, v4, s[0:3], 0 offen offset:8
	;; [unrolled: 1-line block ×3, first 2 shown]
	s_waitcnt vmcnt(0)
	ds_write_b128 v66, v[1:4]
	s_waitcnt lgkmcnt(0)
	s_waitcnt_vscnt null, 0x0
	s_barrier
	buffer_gl0_inv
	v_cmpx_gt_u32_e32 26, v0
	s_cbranch_execz .LBB29_439
; %bb.432:
	ds_read_b128 v[1:4], v66
	v_cmp_ne_u32_e32 vcc_lo, 1, v67
	s_cbranch_vccnz .LBB29_434
; %bb.433:
	s_clause 0x3
	buffer_load_dword v68, v65, s[0:3], 0 offen offset:8
	buffer_load_dword v69, v65, s[0:3], 0 offen offset:12
	buffer_load_dword v72, v65, s[0:3], 0 offen
	buffer_load_dword v73, v65, s[0:3], 0 offen offset:4
	s_waitcnt vmcnt(2) lgkmcnt(0)
	v_mul_f64 v[74:75], v[3:4], v[68:69]
	v_mul_f64 v[68:69], v[1:2], v[68:69]
	s_waitcnt vmcnt(0)
	v_fma_f64 v[1:2], v[1:2], v[72:73], -v[74:75]
	v_fma_f64 v[3:4], v[3:4], v[72:73], v[68:69]
.LBB29_434:
	s_mov_b32 s6, exec_lo
	v_cmpx_ne_u32_e32 25, v0
	s_cbranch_execz .LBB29_438
; %bb.435:
	v_add_nc_u32_e32 v68, 0x1f0, v71
	v_add3_u32 v69, 0, v71, 16
	v_mov_b32_e32 v70, v0
	s_mov_b32 s8, 0
	.p2align	6
.LBB29_436:                             ; =>This Inner Loop Header: Depth=1
	s_clause 0x3
	buffer_load_dword v76, v69, s[0:3], 0 offen offset:8
	buffer_load_dword v77, v69, s[0:3], 0 offen offset:12
	buffer_load_dword v78, v69, s[0:3], 0 offen
	buffer_load_dword v79, v69, s[0:3], 0 offen offset:4
	ds_read_b128 v[72:75], v68
	v_add_nc_u32_e32 v70, 1, v70
	v_add_nc_u32_e32 v68, 16, v68
	;; [unrolled: 1-line block ×3, first 2 shown]
	v_cmp_lt_u32_e32 vcc_lo, 24, v70
	s_or_b32 s8, vcc_lo, s8
	s_waitcnt vmcnt(2) lgkmcnt(0)
	v_mul_f64 v[80:81], v[74:75], v[76:77]
	v_mul_f64 v[76:77], v[72:73], v[76:77]
	s_waitcnt vmcnt(0)
	v_fma_f64 v[72:73], v[72:73], v[78:79], -v[80:81]
	v_fma_f64 v[74:75], v[74:75], v[78:79], v[76:77]
	v_add_f64 v[1:2], v[1:2], v[72:73]
	v_add_f64 v[3:4], v[3:4], v[74:75]
	s_andn2_b32 exec_lo, exec_lo, s8
	s_cbranch_execnz .LBB29_436
; %bb.437:
	s_or_b32 exec_lo, exec_lo, s8
.LBB29_438:
	s_or_b32 exec_lo, exec_lo, s6
	v_mov_b32_e32 v68, 0
	ds_read_b128 v[72:75], v68 offset:416
	s_waitcnt lgkmcnt(0)
	v_mul_f64 v[68:69], v[3:4], v[74:75]
	v_mul_f64 v[74:75], v[1:2], v[74:75]
	v_fma_f64 v[1:2], v[1:2], v[72:73], -v[68:69]
	v_fma_f64 v[3:4], v[3:4], v[72:73], v[74:75]
	buffer_store_dword v2, off, s[0:3], 0 offset:420
	buffer_store_dword v1, off, s[0:3], 0 offset:416
	;; [unrolled: 1-line block ×4, first 2 shown]
.LBB29_439:
	s_or_b32 exec_lo, exec_lo, s4
	v_mov_b32_e32 v4, s10
	s_mov_b32 s4, exec_lo
	s_clause 0x3
	buffer_load_dword v1, v4, s[0:3], 0 offen
	buffer_load_dword v2, v4, s[0:3], 0 offen offset:4
	buffer_load_dword v3, v4, s[0:3], 0 offen offset:8
	;; [unrolled: 1-line block ×3, first 2 shown]
	s_waitcnt vmcnt(0)
	ds_write_b128 v66, v[1:4]
	s_waitcnt lgkmcnt(0)
	s_waitcnt_vscnt null, 0x0
	s_barrier
	buffer_gl0_inv
	v_cmpx_gt_u32_e32 27, v0
	s_cbranch_execz .LBB29_447
; %bb.440:
	ds_read_b128 v[1:4], v66
	v_cmp_ne_u32_e32 vcc_lo, 1, v67
	s_cbranch_vccnz .LBB29_442
; %bb.441:
	s_clause 0x3
	buffer_load_dword v68, v65, s[0:3], 0 offen offset:8
	buffer_load_dword v69, v65, s[0:3], 0 offen offset:12
	buffer_load_dword v72, v65, s[0:3], 0 offen
	buffer_load_dword v73, v65, s[0:3], 0 offen offset:4
	s_waitcnt vmcnt(2) lgkmcnt(0)
	v_mul_f64 v[74:75], v[3:4], v[68:69]
	v_mul_f64 v[68:69], v[1:2], v[68:69]
	s_waitcnt vmcnt(0)
	v_fma_f64 v[1:2], v[1:2], v[72:73], -v[74:75]
	v_fma_f64 v[3:4], v[3:4], v[72:73], v[68:69]
.LBB29_442:
	s_mov_b32 s6, exec_lo
	v_cmpx_ne_u32_e32 26, v0
	s_cbranch_execz .LBB29_446
; %bb.443:
	v_add_nc_u32_e32 v68, 0x1f0, v71
	v_add3_u32 v69, 0, v71, 16
	v_mov_b32_e32 v70, v0
	s_mov_b32 s8, 0
	.p2align	6
.LBB29_444:                             ; =>This Inner Loop Header: Depth=1
	s_clause 0x3
	buffer_load_dword v76, v69, s[0:3], 0 offen offset:8
	buffer_load_dword v77, v69, s[0:3], 0 offen offset:12
	buffer_load_dword v78, v69, s[0:3], 0 offen
	buffer_load_dword v79, v69, s[0:3], 0 offen offset:4
	ds_read_b128 v[72:75], v68
	v_add_nc_u32_e32 v70, 1, v70
	v_add_nc_u32_e32 v68, 16, v68
	;; [unrolled: 1-line block ×3, first 2 shown]
	v_cmp_lt_u32_e32 vcc_lo, 25, v70
	s_or_b32 s8, vcc_lo, s8
	s_waitcnt vmcnt(2) lgkmcnt(0)
	v_mul_f64 v[80:81], v[74:75], v[76:77]
	v_mul_f64 v[76:77], v[72:73], v[76:77]
	s_waitcnt vmcnt(0)
	v_fma_f64 v[72:73], v[72:73], v[78:79], -v[80:81]
	v_fma_f64 v[74:75], v[74:75], v[78:79], v[76:77]
	v_add_f64 v[1:2], v[1:2], v[72:73]
	v_add_f64 v[3:4], v[3:4], v[74:75]
	s_andn2_b32 exec_lo, exec_lo, s8
	s_cbranch_execnz .LBB29_444
; %bb.445:
	s_or_b32 exec_lo, exec_lo, s8
.LBB29_446:
	s_or_b32 exec_lo, exec_lo, s6
	v_mov_b32_e32 v68, 0
	ds_read_b128 v[72:75], v68 offset:432
	s_waitcnt lgkmcnt(0)
	v_mul_f64 v[68:69], v[3:4], v[74:75]
	v_mul_f64 v[74:75], v[1:2], v[74:75]
	v_fma_f64 v[1:2], v[1:2], v[72:73], -v[68:69]
	v_fma_f64 v[3:4], v[3:4], v[72:73], v[74:75]
	buffer_store_dword v2, off, s[0:3], 0 offset:436
	buffer_store_dword v1, off, s[0:3], 0 offset:432
	;; [unrolled: 1-line block ×4, first 2 shown]
.LBB29_447:
	s_or_b32 exec_lo, exec_lo, s4
	v_mov_b32_e32 v4, s9
	v_cmp_gt_u32_e64 s4, 28, v0
	s_clause 0x3
	buffer_load_dword v1, v4, s[0:3], 0 offen
	buffer_load_dword v2, v4, s[0:3], 0 offen offset:4
	buffer_load_dword v3, v4, s[0:3], 0 offen offset:8
	;; [unrolled: 1-line block ×3, first 2 shown]
	s_waitcnt vmcnt(0)
	ds_write_b128 v66, v[1:4]
	s_waitcnt lgkmcnt(0)
	s_waitcnt_vscnt null, 0x0
	s_barrier
	buffer_gl0_inv
	s_and_saveexec_b32 s6, s4
	s_cbranch_execz .LBB29_455
; %bb.448:
	ds_read_b128 v[1:4], v66
	v_cmp_ne_u32_e32 vcc_lo, 1, v67
	s_cbranch_vccnz .LBB29_450
; %bb.449:
	s_clause 0x3
	buffer_load_dword v68, v65, s[0:3], 0 offen offset:8
	buffer_load_dword v69, v65, s[0:3], 0 offen offset:12
	buffer_load_dword v72, v65, s[0:3], 0 offen
	buffer_load_dword v73, v65, s[0:3], 0 offen offset:4
	s_waitcnt vmcnt(2) lgkmcnt(0)
	v_mul_f64 v[74:75], v[3:4], v[68:69]
	v_mul_f64 v[68:69], v[1:2], v[68:69]
	s_waitcnt vmcnt(0)
	v_fma_f64 v[1:2], v[1:2], v[72:73], -v[74:75]
	v_fma_f64 v[3:4], v[3:4], v[72:73], v[68:69]
.LBB29_450:
	s_mov_b32 s8, exec_lo
	v_cmpx_ne_u32_e32 27, v0
	s_cbranch_execz .LBB29_454
; %bb.451:
	v_add_nc_u32_e32 v68, 0x1f0, v71
	v_add3_u32 v69, 0, v71, 16
	v_mov_b32_e32 v70, v0
	s_mov_b32 s38, 0
	.p2align	6
.LBB29_452:                             ; =>This Inner Loop Header: Depth=1
	s_clause 0x3
	buffer_load_dword v76, v69, s[0:3], 0 offen offset:8
	buffer_load_dword v77, v69, s[0:3], 0 offen offset:12
	buffer_load_dword v78, v69, s[0:3], 0 offen
	buffer_load_dword v79, v69, s[0:3], 0 offen offset:4
	ds_read_b128 v[72:75], v68
	v_add_nc_u32_e32 v70, 1, v70
	v_add_nc_u32_e32 v68, 16, v68
	;; [unrolled: 1-line block ×3, first 2 shown]
	v_cmp_lt_u32_e32 vcc_lo, 26, v70
	s_or_b32 s38, vcc_lo, s38
	s_waitcnt vmcnt(2) lgkmcnt(0)
	v_mul_f64 v[80:81], v[74:75], v[76:77]
	v_mul_f64 v[76:77], v[72:73], v[76:77]
	s_waitcnt vmcnt(0)
	v_fma_f64 v[72:73], v[72:73], v[78:79], -v[80:81]
	v_fma_f64 v[74:75], v[74:75], v[78:79], v[76:77]
	v_add_f64 v[1:2], v[1:2], v[72:73]
	v_add_f64 v[3:4], v[3:4], v[74:75]
	s_andn2_b32 exec_lo, exec_lo, s38
	s_cbranch_execnz .LBB29_452
; %bb.453:
	s_or_b32 exec_lo, exec_lo, s38
.LBB29_454:
	s_or_b32 exec_lo, exec_lo, s8
	v_mov_b32_e32 v68, 0
	ds_read_b128 v[72:75], v68 offset:448
	s_waitcnt lgkmcnt(0)
	v_mul_f64 v[68:69], v[3:4], v[74:75]
	v_mul_f64 v[74:75], v[1:2], v[74:75]
	v_fma_f64 v[1:2], v[1:2], v[72:73], -v[68:69]
	v_fma_f64 v[3:4], v[3:4], v[72:73], v[74:75]
	buffer_store_dword v2, off, s[0:3], 0 offset:452
	buffer_store_dword v1, off, s[0:3], 0 offset:448
	;; [unrolled: 1-line block ×4, first 2 shown]
.LBB29_455:
	s_or_b32 exec_lo, exec_lo, s6
	v_mov_b32_e32 v4, s7
	s_mov_b32 s6, exec_lo
                                        ; implicit-def: $sgpr39
	s_clause 0x3
	buffer_load_dword v1, v4, s[0:3], 0 offen
	buffer_load_dword v2, v4, s[0:3], 0 offen offset:4
	buffer_load_dword v3, v4, s[0:3], 0 offen offset:8
	;; [unrolled: 1-line block ×3, first 2 shown]
	s_waitcnt vmcnt(0)
	ds_write_b128 v66, v[1:4]
	s_waitcnt lgkmcnt(0)
	s_waitcnt_vscnt null, 0x0
	s_barrier
	buffer_gl0_inv
                                        ; implicit-def: $vgpr1_vgpr2
	v_cmpx_ne_u32_e32 29, v0
	s_cbranch_execz .LBB29_463
; %bb.456:
	ds_read_b128 v[1:4], v66
	v_cmp_ne_u32_e32 vcc_lo, 1, v67
	s_cbranch_vccnz .LBB29_458
; %bb.457:
	s_clause 0x3
	buffer_load_dword v66, v65, s[0:3], 0 offen offset:8
	buffer_load_dword v67, v65, s[0:3], 0 offen offset:12
	buffer_load_dword v68, v65, s[0:3], 0 offen
	buffer_load_dword v69, v65, s[0:3], 0 offen offset:4
	s_waitcnt vmcnt(2) lgkmcnt(0)
	v_mul_f64 v[72:73], v[3:4], v[66:67]
	v_mul_f64 v[65:66], v[1:2], v[66:67]
	s_waitcnt vmcnt(0)
	v_fma_f64 v[1:2], v[1:2], v[68:69], -v[72:73]
	v_fma_f64 v[3:4], v[3:4], v[68:69], v[65:66]
.LBB29_458:
	s_and_saveexec_b32 s8, s4
	s_cbranch_execz .LBB29_462
; %bb.459:
	v_add_nc_u32_e32 v65, 0x1f0, v71
	v_add3_u32 v66, 0, v71, 16
	s_mov_b32 s4, 0
	.p2align	6
.LBB29_460:                             ; =>This Inner Loop Header: Depth=1
	s_clause 0x3
	buffer_load_dword v71, v66, s[0:3], 0 offen offset:8
	buffer_load_dword v72, v66, s[0:3], 0 offen offset:12
	buffer_load_dword v73, v66, s[0:3], 0 offen
	buffer_load_dword v74, v66, s[0:3], 0 offen offset:4
	ds_read_b128 v[67:70], v65
	v_add_nc_u32_e32 v0, 1, v0
	v_add_nc_u32_e32 v65, 16, v65
	;; [unrolled: 1-line block ×3, first 2 shown]
	v_cmp_lt_u32_e32 vcc_lo, 27, v0
	s_or_b32 s4, vcc_lo, s4
	s_waitcnt vmcnt(2) lgkmcnt(0)
	v_mul_f64 v[75:76], v[69:70], v[71:72]
	v_mul_f64 v[71:72], v[67:68], v[71:72]
	s_waitcnt vmcnt(0)
	v_fma_f64 v[67:68], v[67:68], v[73:74], -v[75:76]
	v_fma_f64 v[69:70], v[69:70], v[73:74], v[71:72]
	v_add_f64 v[1:2], v[1:2], v[67:68]
	v_add_f64 v[3:4], v[3:4], v[69:70]
	s_andn2_b32 exec_lo, exec_lo, s4
	s_cbranch_execnz .LBB29_460
; %bb.461:
	s_or_b32 exec_lo, exec_lo, s4
.LBB29_462:
	s_or_b32 exec_lo, exec_lo, s8
	v_mov_b32_e32 v0, 0
	s_movk_i32 s39, 0x1d8
	s_or_b32 s5, s5, exec_lo
	ds_read_b128 v[65:68], v0 offset:464
	s_waitcnt lgkmcnt(0)
	v_mul_f64 v[69:70], v[3:4], v[67:68]
	v_mul_f64 v[67:68], v[1:2], v[67:68]
	v_fma_f64 v[69:70], v[1:2], v[65:66], -v[69:70]
	v_fma_f64 v[1:2], v[3:4], v[65:66], v[67:68]
	buffer_store_dword v70, off, s[0:3], 0 offset:468
	buffer_store_dword v69, off, s[0:3], 0 offset:464
.LBB29_463:
	s_or_b32 exec_lo, exec_lo, s6
.LBB29_464:
	s_and_saveexec_b32 s4, s5
	s_cbranch_execz .LBB29_466
; %bb.465:
	v_mov_b32_e32 v0, s39
	buffer_store_dword v2, v0, s[0:3], 0 offen offset:4
	buffer_store_dword v1, v0, s[0:3], 0 offen
.LBB29_466:
	s_or_b32 exec_lo, exec_lo, s4
	s_clause 0x3
	buffer_load_dword v0, off, s[0:3], 0
	buffer_load_dword v1, off, s[0:3], 0 offset:4
	buffer_load_dword v2, off, s[0:3], 0 offset:8
	;; [unrolled: 1-line block ×3, first 2 shown]
	v_mov_b32_e32 v4, s37
	v_mov_b32_e32 v88, s31
	;; [unrolled: 1-line block ×4, first 2 shown]
	s_clause 0x3
	buffer_load_dword v65, v4, s[0:3], 0 offen
	buffer_load_dword v66, v4, s[0:3], 0 offen offset:4
	buffer_load_dword v67, v4, s[0:3], 0 offen offset:8
	;; [unrolled: 1-line block ×3, first 2 shown]
	v_mov_b32_e32 v4, s36
	v_mov_b32_e32 v100, s13
	v_mov_b32_e32 v102, s11
	s_clause 0x3
	buffer_load_dword v69, v4, s[0:3], 0 offen
	buffer_load_dword v70, v4, s[0:3], 0 offen offset:4
	buffer_load_dword v71, v4, s[0:3], 0 offen offset:8
	;; [unrolled: 1-line block ×3, first 2 shown]
	v_mov_b32_e32 v4, s35
	v_mov_b32_e32 v97, s16
	s_clause 0x3
	buffer_load_dword v73, v4, s[0:3], 0 offen
	buffer_load_dword v74, v4, s[0:3], 0 offen offset:4
	buffer_load_dword v75, v4, s[0:3], 0 offen offset:8
	buffer_load_dword v76, v4, s[0:3], 0 offen offset:12
	v_mov_b32_e32 v4, s34
	s_clause 0x3
	buffer_load_dword v77, v4, s[0:3], 0 offen
	buffer_load_dword v78, v4, s[0:3], 0 offen offset:4
	buffer_load_dword v79, v4, s[0:3], 0 offen offset:8
	buffer_load_dword v80, v4, s[0:3], 0 offen offset:12
	;; [unrolled: 6-line block ×4, first 2 shown]
	v_mov_b32_e32 v104, s9
	v_mov_b32_e32 v99, s14
	;; [unrolled: 1-line block ×5, first 2 shown]
	s_waitcnt vmcnt(24)
	global_store_dwordx4 v[43:44], v[0:3], off
	s_clause 0x7
	buffer_load_dword v0, v4, s[0:3], 0 offen
	buffer_load_dword v1, v4, s[0:3], 0 offen offset:4
	buffer_load_dword v2, v4, s[0:3], 0 offen offset:8
	;; [unrolled: 1-line block ×3, first 2 shown]
	buffer_load_dword v89, v92, s[0:3], 0 offen
	buffer_load_dword v90, v92, s[0:3], 0 offen offset:4
	buffer_load_dword v91, v92, s[0:3], 0 offen offset:8
	buffer_load_dword v92, v92, s[0:3], 0 offen offset:12
	v_mov_b32_e32 v4, s28
	v_mov_b32_e32 v43, s27
	;; [unrolled: 1-line block ×3, first 2 shown]
	s_waitcnt vmcnt(28)
	global_store_dwordx4 v[39:40], v[65:68], off
	s_clause 0x7
	buffer_load_dword v65, v4, s[0:3], 0 offen
	buffer_load_dword v66, v4, s[0:3], 0 offen offset:4
	buffer_load_dword v67, v4, s[0:3], 0 offen offset:8
	;; [unrolled: 1-line block ×3, first 2 shown]
	buffer_load_dword v93, v43, s[0:3], 0 offen
	buffer_load_dword v94, v43, s[0:3], 0 offen offset:4
	buffer_load_dword v95, v43, s[0:3], 0 offen offset:8
	;; [unrolled: 1-line block ×3, first 2 shown]
	v_mov_b32_e32 v4, s26
	v_mov_b32_e32 v39, s24
	;; [unrolled: 1-line block ×3, first 2 shown]
	s_waitcnt vmcnt(32)
	global_store_dwordx4 v[33:34], v[69:72], off
	s_clause 0x3
	buffer_load_dword v69, v4, s[0:3], 0 offen
	buffer_load_dword v70, v4, s[0:3], 0 offen offset:4
	buffer_load_dword v71, v4, s[0:3], 0 offen offset:8
	;; [unrolled: 1-line block ×3, first 2 shown]
	v_mov_b32_e32 v4, s25
	s_waitcnt vmcnt(32)
	global_store_dwordx4 v[31:32], v[73:76], off
	s_clause 0x7
	buffer_load_dword v31, v4, s[0:3], 0 offen
	buffer_load_dword v32, v4, s[0:3], 0 offen offset:4
	buffer_load_dword v33, v4, s[0:3], 0 offen offset:8
	;; [unrolled: 1-line block ×3, first 2 shown]
	buffer_load_dword v73, v39, s[0:3], 0 offen
	buffer_load_dword v74, v39, s[0:3], 0 offen offset:4
	buffer_load_dword v75, v39, s[0:3], 0 offen offset:8
	;; [unrolled: 1-line block ×3, first 2 shown]
	v_mov_b32_e32 v4, s23
	s_waitcnt vmcnt(36)
	global_store_dwordx4 v[29:30], v[77:80], off
	s_clause 0x3
	buffer_load_dword v77, v4, s[0:3], 0 offen
	buffer_load_dword v78, v4, s[0:3], 0 offen offset:4
	buffer_load_dword v79, v4, s[0:3], 0 offen offset:8
	;; [unrolled: 1-line block ×3, first 2 shown]
	v_mov_b32_e32 v4, s22
	v_mov_b32_e32 v30, s21
	s_waitcnt vmcnt(36)
	global_store_dwordx4 v[41:42], v[81:84], off
	v_mov_b32_e32 v84, s17
	s_waitcnt vmcnt(32)
	global_store_dwordx4 v[27:28], v[85:88], off
	;; [unrolled: 3-line block ×3, first 2 shown]
	s_clause 0x3
	buffer_load_dword v0, v4, s[0:3], 0 offen
	buffer_load_dword v1, v4, s[0:3], 0 offen offset:4
	buffer_load_dword v2, v4, s[0:3], 0 offen offset:8
	buffer_load_dword v3, v4, s[0:3], 0 offen offset:12
	s_waitcnt vmcnt(28)
	global_store_dwordx4 v[9:10], v[89:92], off
	s_clause 0x7
	buffer_load_dword v27, v30, s[0:3], 0 offen
	buffer_load_dword v28, v30, s[0:3], 0 offen offset:4
	buffer_load_dword v29, v30, s[0:3], 0 offen offset:8
	buffer_load_dword v30, v30, s[0:3], 0 offen offset:12
	buffer_load_dword v39, v42, s[0:3], 0 offen
	buffer_load_dword v40, v42, s[0:3], 0 offen offset:4
	buffer_load_dword v41, v42, s[0:3], 0 offen offset:8
	buffer_load_dword v42, v42, s[0:3], 0 offen offset:12
	s_waitcnt vmcnt(32)
	global_store_dwordx4 v[11:12], v[65:68], off
	s_clause 0x7
	buffer_load_dword v9, v43, s[0:3], 0 offen
	buffer_load_dword v10, v43, s[0:3], 0 offen offset:4
	buffer_load_dword v11, v43, s[0:3], 0 offen offset:8
	buffer_load_dword v12, v43, s[0:3], 0 offen offset:12
	;; [unrolled: 11-line block ×7, first 2 shown]
	buffer_load_dword v77, v105, s[0:3], 0 offen
	buffer_load_dword v78, v105, s[0:3], 0 offen offset:4
	buffer_load_dword v79, v105, s[0:3], 0 offen offset:8
	;; [unrolled: 1-line block ×3, first 2 shown]
	s_waitcnt vmcnt(56)
	global_store_dwordx4 v[23:24], v[0:3], off
	s_waitcnt vmcnt(52)
	global_store_dwordx4 v[25:26], v[27:30], off
	;; [unrolled: 2-line block ×15, first 2 shown]
.LBB29_467:
	s_endpgm
	.section	.rodata,"a",@progbits
	.p2align	6, 0x0
	.amdhsa_kernel _ZN9rocsolver6v33100L18trti2_kernel_smallILi30E19rocblas_complex_numIdEPS3_EEv13rocblas_fill_17rocblas_diagonal_T1_iil
		.amdhsa_group_segment_fixed_size 960
		.amdhsa_private_segment_fixed_size 496
		.amdhsa_kernarg_size 32
		.amdhsa_user_sgpr_count 6
		.amdhsa_user_sgpr_private_segment_buffer 1
		.amdhsa_user_sgpr_dispatch_ptr 0
		.amdhsa_user_sgpr_queue_ptr 0
		.amdhsa_user_sgpr_kernarg_segment_ptr 1
		.amdhsa_user_sgpr_dispatch_id 0
		.amdhsa_user_sgpr_flat_scratch_init 0
		.amdhsa_user_sgpr_private_segment_size 0
		.amdhsa_wavefront_size32 1
		.amdhsa_uses_dynamic_stack 0
		.amdhsa_system_sgpr_private_segment_wavefront_offset 1
		.amdhsa_system_sgpr_workgroup_id_x 1
		.amdhsa_system_sgpr_workgroup_id_y 0
		.amdhsa_system_sgpr_workgroup_id_z 0
		.amdhsa_system_sgpr_workgroup_info 0
		.amdhsa_system_vgpr_workitem_id 0
		.amdhsa_next_free_vgpr 106
		.amdhsa_next_free_sgpr 50
		.amdhsa_reserve_vcc 1
		.amdhsa_reserve_flat_scratch 0
		.amdhsa_float_round_mode_32 0
		.amdhsa_float_round_mode_16_64 0
		.amdhsa_float_denorm_mode_32 3
		.amdhsa_float_denorm_mode_16_64 3
		.amdhsa_dx10_clamp 1
		.amdhsa_ieee_mode 1
		.amdhsa_fp16_overflow 0
		.amdhsa_workgroup_processor_mode 1
		.amdhsa_memory_ordered 1
		.amdhsa_forward_progress 1
		.amdhsa_shared_vgpr_count 0
		.amdhsa_exception_fp_ieee_invalid_op 0
		.amdhsa_exception_fp_denorm_src 0
		.amdhsa_exception_fp_ieee_div_zero 0
		.amdhsa_exception_fp_ieee_overflow 0
		.amdhsa_exception_fp_ieee_underflow 0
		.amdhsa_exception_fp_ieee_inexact 0
		.amdhsa_exception_int_div_zero 0
	.end_amdhsa_kernel
	.section	.text._ZN9rocsolver6v33100L18trti2_kernel_smallILi30E19rocblas_complex_numIdEPS3_EEv13rocblas_fill_17rocblas_diagonal_T1_iil,"axG",@progbits,_ZN9rocsolver6v33100L18trti2_kernel_smallILi30E19rocblas_complex_numIdEPS3_EEv13rocblas_fill_17rocblas_diagonal_T1_iil,comdat
.Lfunc_end29:
	.size	_ZN9rocsolver6v33100L18trti2_kernel_smallILi30E19rocblas_complex_numIdEPS3_EEv13rocblas_fill_17rocblas_diagonal_T1_iil, .Lfunc_end29-_ZN9rocsolver6v33100L18trti2_kernel_smallILi30E19rocblas_complex_numIdEPS3_EEv13rocblas_fill_17rocblas_diagonal_T1_iil
                                        ; -- End function
	.set _ZN9rocsolver6v33100L18trti2_kernel_smallILi30E19rocblas_complex_numIdEPS3_EEv13rocblas_fill_17rocblas_diagonal_T1_iil.num_vgpr, 106
	.set _ZN9rocsolver6v33100L18trti2_kernel_smallILi30E19rocblas_complex_numIdEPS3_EEv13rocblas_fill_17rocblas_diagonal_T1_iil.num_agpr, 0
	.set _ZN9rocsolver6v33100L18trti2_kernel_smallILi30E19rocblas_complex_numIdEPS3_EEv13rocblas_fill_17rocblas_diagonal_T1_iil.numbered_sgpr, 50
	.set _ZN9rocsolver6v33100L18trti2_kernel_smallILi30E19rocblas_complex_numIdEPS3_EEv13rocblas_fill_17rocblas_diagonal_T1_iil.num_named_barrier, 0
	.set _ZN9rocsolver6v33100L18trti2_kernel_smallILi30E19rocblas_complex_numIdEPS3_EEv13rocblas_fill_17rocblas_diagonal_T1_iil.private_seg_size, 496
	.set _ZN9rocsolver6v33100L18trti2_kernel_smallILi30E19rocblas_complex_numIdEPS3_EEv13rocblas_fill_17rocblas_diagonal_T1_iil.uses_vcc, 1
	.set _ZN9rocsolver6v33100L18trti2_kernel_smallILi30E19rocblas_complex_numIdEPS3_EEv13rocblas_fill_17rocblas_diagonal_T1_iil.uses_flat_scratch, 0
	.set _ZN9rocsolver6v33100L18trti2_kernel_smallILi30E19rocblas_complex_numIdEPS3_EEv13rocblas_fill_17rocblas_diagonal_T1_iil.has_dyn_sized_stack, 0
	.set _ZN9rocsolver6v33100L18trti2_kernel_smallILi30E19rocblas_complex_numIdEPS3_EEv13rocblas_fill_17rocblas_diagonal_T1_iil.has_recursion, 0
	.set _ZN9rocsolver6v33100L18trti2_kernel_smallILi30E19rocblas_complex_numIdEPS3_EEv13rocblas_fill_17rocblas_diagonal_T1_iil.has_indirect_call, 0
	.section	.AMDGPU.csdata,"",@progbits
; Kernel info:
; codeLenInByte = 30244
; TotalNumSgprs: 52
; NumVgprs: 106
; ScratchSize: 496
; MemoryBound: 0
; FloatMode: 240
; IeeeMode: 1
; LDSByteSize: 960 bytes/workgroup (compile time only)
; SGPRBlocks: 0
; VGPRBlocks: 13
; NumSGPRsForWavesPerEU: 52
; NumVGPRsForWavesPerEU: 106
; Occupancy: 9
; WaveLimiterHint : 0
; COMPUTE_PGM_RSRC2:SCRATCH_EN: 1
; COMPUTE_PGM_RSRC2:USER_SGPR: 6
; COMPUTE_PGM_RSRC2:TRAP_HANDLER: 0
; COMPUTE_PGM_RSRC2:TGID_X_EN: 1
; COMPUTE_PGM_RSRC2:TGID_Y_EN: 0
; COMPUTE_PGM_RSRC2:TGID_Z_EN: 0
; COMPUTE_PGM_RSRC2:TIDIG_COMP_CNT: 0
	.section	.text._ZN9rocsolver6v33100L18trti2_kernel_smallILi31E19rocblas_complex_numIdEPS3_EEv13rocblas_fill_17rocblas_diagonal_T1_iil,"axG",@progbits,_ZN9rocsolver6v33100L18trti2_kernel_smallILi31E19rocblas_complex_numIdEPS3_EEv13rocblas_fill_17rocblas_diagonal_T1_iil,comdat
	.globl	_ZN9rocsolver6v33100L18trti2_kernel_smallILi31E19rocblas_complex_numIdEPS3_EEv13rocblas_fill_17rocblas_diagonal_T1_iil ; -- Begin function _ZN9rocsolver6v33100L18trti2_kernel_smallILi31E19rocblas_complex_numIdEPS3_EEv13rocblas_fill_17rocblas_diagonal_T1_iil
	.p2align	8
	.type	_ZN9rocsolver6v33100L18trti2_kernel_smallILi31E19rocblas_complex_numIdEPS3_EEv13rocblas_fill_17rocblas_diagonal_T1_iil,@function
_ZN9rocsolver6v33100L18trti2_kernel_smallILi31E19rocblas_complex_numIdEPS3_EEv13rocblas_fill_17rocblas_diagonal_T1_iil: ; @_ZN9rocsolver6v33100L18trti2_kernel_smallILi31E19rocblas_complex_numIdEPS3_EEv13rocblas_fill_17rocblas_diagonal_T1_iil
; %bb.0:
	s_add_u32 s0, s0, s7
	s_addc_u32 s1, s1, 0
	s_mov_b32 s7, exec_lo
	v_cmpx_gt_u32_e32 31, v0
	s_cbranch_execz .LBB30_483
; %bb.1:
	s_load_dwordx8 s[8:15], s[4:5], 0x0
	s_ashr_i32 s4, s6, 31
	v_lshlrev_b32_e32 v73, 4, v0
	s_movk_i32 s17, 0x100
	s_movk_i32 s18, 0x110
	;; [unrolled: 1-line block ×15, first 2 shown]
	s_waitcnt lgkmcnt(0)
	s_mul_hi_u32 s5, s14, s6
	s_mul_i32 s16, s14, s4
	s_mul_i32 s15, s15, s6
	s_add_i32 s5, s5, s16
	s_mul_i32 s4, s14, s6
	v_add3_u32 v11, s13, s13, v0
	s_add_i32 s5, s5, s15
	s_ashr_i32 s7, s12, 31
	s_lshl_b64 s[4:5], s[4:5], 4
	s_mov_b32 s6, s12
	s_add_u32 s10, s10, s4
	v_ashrrev_i32_e32 v12, 31, v11
	s_addc_u32 s11, s11, s5
	s_lshl_b64 s[4:5], s[6:7], 4
	s_mov_b32 s14, s13
	s_add_u32 s4, s10, s4
	s_addc_u32 s5, s11, s5
	v_add_co_u32 v7, s6, s4, v73
	v_lshlrev_b64 v[5:6], 4, v[11:12]
	s_ashr_i32 s15, s13, 31
	v_add_co_ci_u32_e64 v8, null, s5, 0, s6
	s_lshl_b64 s[6:7], s[14:15], 4
	global_load_dwordx4 v[1:4], v73, s[4:5]
	v_add_co_u32 v9, vcc_lo, v7, s6
	v_add_co_ci_u32_e64 v10, null, s7, v8, vcc_lo
	v_add_co_u32 v5, vcc_lo, s4, v5
	v_add_co_ci_u32_e64 v6, null, s5, v6, vcc_lo
	s_clause 0x1
	global_load_dwordx4 v[67:70], v[9:10], off
	global_load_dwordx4 v[74:77], v[5:6], off
	v_add_nc_u32_e32 v11, s13, v11
	s_cmpk_lg_i32 s9, 0x84
	s_movk_i32 s6, 0x70
	s_movk_i32 s7, 0x80
	s_movk_i32 s10, 0x90
	v_add_nc_u32_e32 v13, s13, v11
	v_ashrrev_i32_e32 v12, 31, v11
	s_movk_i32 s11, 0xa0
	s_movk_i32 s12, 0xb0
	;; [unrolled: 1-line block ×3, first 2 shown]
	v_add_nc_u32_e32 v15, s13, v13
	v_ashrrev_i32_e32 v14, 31, v13
	v_lshlrev_b64 v[11:12], 4, v[11:12]
	s_movk_i32 s15, 0xe0
	s_movk_i32 s16, 0xf0
	v_ashrrev_i32_e32 v16, 31, v15
	v_add_nc_u32_e32 v17, s13, v15
	v_lshlrev_b64 v[13:14], 4, v[13:14]
	v_add_co_u32 v51, vcc_lo, s4, v11
	v_add_co_ci_u32_e64 v52, null, s5, v12, vcc_lo
	v_lshlrev_b64 v[11:12], 4, v[15:16]
	v_ashrrev_i32_e32 v18, 31, v17
	v_add_nc_u32_e32 v15, s13, v17
	v_add_co_u32 v49, vcc_lo, s4, v13
	v_add_co_ci_u32_e64 v50, null, s5, v14, vcc_lo
	v_lshlrev_b64 v[13:14], 4, v[17:18]
	v_ashrrev_i32_e32 v16, 31, v15
	v_add_nc_u32_e32 v17, s13, v15
	v_add_co_u32 v45, vcc_lo, s4, v11
	v_add_co_ci_u32_e64 v46, null, s5, v12, vcc_lo
	s_clause 0x1
	global_load_dwordx4 v[78:81], v[51:52], off
	global_load_dwordx4 v[82:85], v[49:50], off
	v_lshlrev_b64 v[11:12], 4, v[15:16]
	v_add_nc_u32_e32 v15, s13, v17
	v_ashrrev_i32_e32 v18, 31, v17
	global_load_dwordx4 v[86:89], v[45:46], off
	v_add_co_u32 v43, vcc_lo, s4, v13
	v_ashrrev_i32_e32 v16, 31, v15
	v_add_co_ci_u32_e64 v44, null, s5, v14, vcc_lo
	v_lshlrev_b64 v[13:14], 4, v[17:18]
	v_add_co_u32 v37, vcc_lo, s4, v11
	v_add_co_ci_u32_e64 v38, null, s5, v12, vcc_lo
	v_lshlrev_b64 v[11:12], 4, v[15:16]
	global_load_dwordx4 v[90:93], v[43:44], off
	v_add_co_u32 v35, vcc_lo, s4, v13
	v_add_co_ci_u32_e64 v36, null, s5, v14, vcc_lo
	v_add_co_u32 v33, vcc_lo, s4, v11
	v_add_co_ci_u32_e64 v34, null, s5, v12, vcc_lo
	v_add_nc_u32_e32 v17, s13, v15
	s_cselect_b32 s38, -1, 0
	s_cmpk_eq_i32 s9, 0x84
	s_waitcnt vmcnt(6)
	buffer_store_dword v4, off, s[0:3], 0 offset:12
	buffer_store_dword v3, off, s[0:3], 0 offset:8
	;; [unrolled: 1-line block ×3, first 2 shown]
	buffer_store_dword v1, off, s[0:3], 0
	global_load_dwordx4 v[1:4], v[37:38], off
	s_waitcnt vmcnt(6)
	buffer_store_dword v70, off, s[0:3], 0 offset:28
	buffer_store_dword v69, off, s[0:3], 0 offset:24
	;; [unrolled: 1-line block ×4, first 2 shown]
	global_load_dwordx4 v[67:70], v[35:36], off
	s_waitcnt vmcnt(6)
	buffer_store_dword v77, off, s[0:3], 0 offset:44
	buffer_store_dword v76, off, s[0:3], 0 offset:40
	;; [unrolled: 1-line block ×4, first 2 shown]
	global_load_dwordx4 v[74:77], v[33:34], off
	v_ashrrev_i32_e32 v18, 31, v17
	v_add_nc_u32_e32 v15, s13, v17
	s_waitcnt vmcnt(6)
	buffer_store_dword v81, off, s[0:3], 0 offset:60
	buffer_store_dword v80, off, s[0:3], 0 offset:56
	;; [unrolled: 1-line block ×4, first 2 shown]
	v_lshlrev_b64 v[13:14], 4, v[17:18]
	v_ashrrev_i32_e32 v16, 31, v15
	v_add_nc_u32_e32 v17, s13, v15
	v_lshlrev_b64 v[11:12], 4, v[15:16]
	v_ashrrev_i32_e32 v18, 31, v17
	v_add_nc_u32_e32 v15, s13, v17
	v_add_co_u32 v31, vcc_lo, s4, v13
	v_add_co_ci_u32_e64 v32, null, s5, v14, vcc_lo
	v_lshlrev_b64 v[13:14], 4, v[17:18]
	v_ashrrev_i32_e32 v16, 31, v15
	v_add_nc_u32_e32 v17, s13, v15
	v_add_co_u32 v29, vcc_lo, s4, v11
	v_add_co_ci_u32_e64 v30, null, s5, v12, vcc_lo
	;; [unrolled: 5-line block ×3, first 2 shown]
	global_load_dwordx4 v[78:81], v[31:32], off
	s_waitcnt vmcnt(6)
	buffer_store_dword v85, off, s[0:3], 0 offset:76
	buffer_store_dword v84, off, s[0:3], 0 offset:72
	buffer_store_dword v83, off, s[0:3], 0 offset:68
	buffer_store_dword v82, off, s[0:3], 0 offset:64
	global_load_dwordx4 v[82:85], v[29:30], off
	v_lshlrev_b64 v[13:14], 4, v[17:18]
	v_add_nc_u32_e32 v17, s13, v15
	v_ashrrev_i32_e32 v16, 31, v15
	s_waitcnt vmcnt(6)
	buffer_store_dword v89, off, s[0:3], 0 offset:92
	buffer_store_dword v88, off, s[0:3], 0 offset:88
	;; [unrolled: 1-line block ×4, first 2 shown]
	global_load_dwordx4 v[86:89], v[27:28], off
	v_add_co_u32 v23, vcc_lo, s4, v11
	v_ashrrev_i32_e32 v18, 31, v17
	v_add_co_ci_u32_e64 v24, null, s5, v12, vcc_lo
	v_lshlrev_b64 v[11:12], 4, v[15:16]
	v_add_co_u32 v19, vcc_lo, s4, v13
	v_add_co_ci_u32_e64 v20, null, s5, v14, vcc_lo
	v_lshlrev_b64 v[13:14], 4, v[17:18]
	s_waitcnt vmcnt(6)
	buffer_store_dword v93, off, s[0:3], 0 offset:108
	buffer_store_dword v92, off, s[0:3], 0 offset:104
	;; [unrolled: 1-line block ×4, first 2 shown]
	global_load_dwordx4 v[90:93], v[23:24], off
	v_add_co_u32 v15, vcc_lo, s4, v11
	v_add_co_ci_u32_e64 v16, null, s5, v12, vcc_lo
	v_add_co_u32 v11, vcc_lo, s4, v13
	v_add_co_ci_u32_e64 v12, null, s5, v14, vcc_lo
	v_add_nc_u32_e32 v21, s13, v17
	s_waitcnt vmcnt(6)
	buffer_store_dword v4, off, s[0:3], 0 offset:124
	buffer_store_dword v3, off, s[0:3], 0 offset:120
	buffer_store_dword v2, off, s[0:3], 0 offset:116
	buffer_store_dword v1, off, s[0:3], 0 offset:112
	global_load_dwordx4 v[1:4], v[19:20], off
	s_waitcnt vmcnt(6)
	buffer_store_dword v70, off, s[0:3], 0 offset:140
	buffer_store_dword v69, off, s[0:3], 0 offset:136
	buffer_store_dword v68, off, s[0:3], 0 offset:132
	buffer_store_dword v67, off, s[0:3], 0 offset:128
	global_load_dwordx4 v[67:70], v[15:16], off
	;; [unrolled: 6-line block ×3, first 2 shown]
	v_add_nc_u32_e32 v17, s13, v21
	v_ashrrev_i32_e32 v22, 31, v21
	s_waitcnt vmcnt(6)
	buffer_store_dword v78, off, s[0:3], 0 offset:160
	buffer_store_dword v79, off, s[0:3], 0 offset:164
	;; [unrolled: 1-line block ×4, first 2 shown]
	v_add_nc_u32_e32 v25, s13, v17
	v_ashrrev_i32_e32 v18, 31, v17
	v_lshlrev_b64 v[21:22], 4, v[21:22]
	v_ashrrev_i32_e32 v26, 31, v25
	v_add_nc_u32_e32 v39, s13, v25
	v_lshlrev_b64 v[17:18], 4, v[17:18]
	v_add_co_u32 v13, vcc_lo, s4, v21
	v_add_co_ci_u32_e64 v14, null, s5, v22, vcc_lo
	v_lshlrev_b64 v[21:22], 4, v[25:26]
	v_add_nc_u32_e32 v25, s13, v39
	v_add_co_u32 v17, vcc_lo, s4, v17
	v_ashrrev_i32_e32 v40, 31, v39
	v_add_co_ci_u32_e64 v18, null, s5, v18, vcc_lo
	v_add_nc_u32_e32 v41, s13, v25
	v_add_co_u32 v21, vcc_lo, s4, v21
	v_ashrrev_i32_e32 v26, 31, v25
	v_lshlrev_b64 v[39:40], 4, v[39:40]
	v_add_co_ci_u32_e64 v22, null, s5, v22, vcc_lo
	global_load_dwordx4 v[78:81], v[13:14], off
	s_waitcnt vmcnt(6)
	buffer_store_dword v82, off, s[0:3], 0 offset:176
	buffer_store_dword v83, off, s[0:3], 0 offset:180
	;; [unrolled: 1-line block ×4, first 2 shown]
	global_load_dwordx4 v[82:85], v[17:18], off
	v_add_nc_u32_e32 v53, s13, v41
	v_ashrrev_i32_e32 v42, 31, v41
	v_lshlrev_b64 v[47:48], 4, v[25:26]
	s_waitcnt vmcnt(6)
	buffer_store_dword v89, off, s[0:3], 0 offset:204
	buffer_store_dword v88, off, s[0:3], 0 offset:200
	;; [unrolled: 1-line block ×4, first 2 shown]
	global_load_dwordx4 v[86:89], v[21:22], off
	v_add_co_u32 v25, vcc_lo, s4, v39
	v_ashrrev_i32_e32 v54, 31, v53
	v_add_co_ci_u32_e64 v26, null, s5, v40, vcc_lo
	v_lshlrev_b64 v[41:42], 4, v[41:42]
	v_add_co_u32 v39, vcc_lo, s4, v47
	v_add_co_ci_u32_e64 v40, null, s5, v48, vcc_lo
	v_lshlrev_b64 v[47:48], 4, v[53:54]
	s_waitcnt vmcnt(6)
	buffer_store_dword v93, off, s[0:3], 0 offset:220
	buffer_store_dword v92, off, s[0:3], 0 offset:216
	;; [unrolled: 1-line block ×4, first 2 shown]
	global_load_dwordx4 v[90:93], v[25:26], off
	v_add_co_u32 v41, vcc_lo, s4, v41
	v_add_co_ci_u32_e64 v42, null, s5, v42, vcc_lo
	v_add_co_u32 v47, vcc_lo, s4, v47
	v_add_co_ci_u32_e64 v48, null, s5, v48, vcc_lo
	v_add_nc_u32_e32 v55, s13, v53
	s_waitcnt vmcnt(6)
	buffer_store_dword v4, off, s[0:3], 0 offset:236
	buffer_store_dword v3, off, s[0:3], 0 offset:232
	buffer_store_dword v2, off, s[0:3], 0 offset:228
	buffer_store_dword v1, off, s[0:3], 0 offset:224
	global_load_dwordx4 v[1:4], v[39:40], off
	s_waitcnt vmcnt(6)
	buffer_store_dword v70, off, s[0:3], 0 offset:252
	buffer_store_dword v69, off, s[0:3], 0 offset:248
	buffer_store_dword v68, off, s[0:3], 0 offset:244
	buffer_store_dword v67, off, s[0:3], 0 offset:240
	global_load_dwordx4 v[67:70], v[41:42], off
	;; [unrolled: 6-line block ×3, first 2 shown]
	v_add_nc_u32_e32 v53, s13, v55
	v_ashrrev_i32_e32 v56, 31, v55
	s_waitcnt vmcnt(6)
	buffer_store_dword v81, off, s[0:3], 0 offset:284
	buffer_store_dword v80, off, s[0:3], 0 offset:280
	;; [unrolled: 1-line block ×4, first 2 shown]
	v_add_nc_u32_e32 v57, s13, v53
	v_ashrrev_i32_e32 v54, 31, v53
	v_lshlrev_b64 v[55:56], 4, v[55:56]
	v_ashrrev_i32_e32 v58, 31, v57
	v_lshlrev_b64 v[59:60], 4, v[53:54]
	v_add_nc_u32_e32 v61, s13, v57
	v_add_co_u32 v53, vcc_lo, s4, v55
	v_lshlrev_b64 v[57:58], 4, v[57:58]
	v_add_co_ci_u32_e64 v54, null, s5, v56, vcc_lo
	v_ashrrev_i32_e32 v62, 31, v61
	v_add_nc_u32_e32 v63, s13, v61
	v_add_co_u32 v55, vcc_lo, s4, v59
	v_add_co_ci_u32_e64 v56, null, s5, v60, vcc_lo
	v_add_co_u32 v57, vcc_lo, s4, v57
	v_lshlrev_b64 v[59:60], 4, v[61:62]
	v_add_nc_u32_e32 v61, s13, v63
	v_add_co_ci_u32_e64 v58, null, s5, v58, vcc_lo
	v_ashrrev_i32_e32 v64, 31, v63
	global_load_dwordx4 v[78:81], v[53:54], off
	s_waitcnt vmcnt(6)
	buffer_store_dword v85, off, s[0:3], 0 offset:300
	buffer_store_dword v84, off, s[0:3], 0 offset:296
	;; [unrolled: 1-line block ×4, first 2 shown]
	s_waitcnt vmcnt(5)
	buffer_store_dword v89, off, s[0:3], 0 offset:316
	buffer_store_dword v88, off, s[0:3], 0 offset:312
	;; [unrolled: 1-line block ×4, first 2 shown]
	s_clause 0x1
	global_load_dwordx4 v[82:85], v[55:56], off
	global_load_dwordx4 v[86:89], v[57:58], off
	v_add_nc_u32_e32 v65, s13, v61
	v_ashrrev_i32_e32 v62, 31, v61
	v_lshlrev_b64 v[63:64], 4, v[63:64]
	v_add_co_u32 v59, vcc_lo, s4, v59
	v_ashrrev_i32_e32 v66, 31, v65
	v_add_co_ci_u32_e64 v60, null, s5, v60, vcc_lo
	v_lshlrev_b64 v[71:72], 4, v[61:62]
	v_add_co_u32 v61, vcc_lo, s4, v63
	v_add_co_ci_u32_e64 v62, null, s5, v64, vcc_lo
	v_lshlrev_b64 v[63:64], 4, v[65:66]
	s_waitcnt vmcnt(6)
	buffer_store_dword v93, off, s[0:3], 0 offset:332
	buffer_store_dword v92, off, s[0:3], 0 offset:328
	;; [unrolled: 1-line block ×4, first 2 shown]
	global_load_dwordx4 v[90:93], v[59:60], off
	v_add_co_u32 v65, vcc_lo, s4, v71
	v_add_co_ci_u32_e64 v66, null, s5, v72, vcc_lo
	v_add_co_u32 v63, vcc_lo, s4, v63
	v_add_co_ci_u32_e64 v64, null, s5, v64, vcc_lo
	s_movk_i32 s4, 0x50
	s_movk_i32 s5, 0x60
	;; [unrolled: 1-line block ×3, first 2 shown]
	s_waitcnt vmcnt(6)
	buffer_store_dword v4, off, s[0:3], 0 offset:348
	buffer_store_dword v3, off, s[0:3], 0 offset:344
	buffer_store_dword v2, off, s[0:3], 0 offset:340
	buffer_store_dword v1, off, s[0:3], 0 offset:336
	global_load_dwordx4 v[1:4], v[61:62], off
	s_waitcnt vmcnt(6)
	buffer_store_dword v70, off, s[0:3], 0 offset:364
	buffer_store_dword v69, off, s[0:3], 0 offset:360
	buffer_store_dword v68, off, s[0:3], 0 offset:356
	buffer_store_dword v67, off, s[0:3], 0 offset:352
	global_load_dwordx4 v[67:70], v[65:66], off
	;; [unrolled: 6-line block ×3, first 2 shown]
	s_waitcnt vmcnt(6)
	buffer_store_dword v81, off, s[0:3], 0 offset:396
	buffer_store_dword v80, off, s[0:3], 0 offset:392
	buffer_store_dword v79, off, s[0:3], 0 offset:388
	buffer_store_dword v78, off, s[0:3], 0 offset:384
	s_waitcnt vmcnt(5)
	buffer_store_dword v85, off, s[0:3], 0 offset:412
	buffer_store_dword v84, off, s[0:3], 0 offset:408
	buffer_store_dword v83, off, s[0:3], 0 offset:404
	buffer_store_dword v82, off, s[0:3], 0 offset:400
	;; [unrolled: 5-line block ×7, first 2 shown]
	s_cbranch_scc1 .LBB30_7
; %bb.2:
	v_lshl_add_u32 v74, v0, 4, 0
                                        ; implicit-def: $vgpr69_vgpr70
                                        ; implicit-def: $vgpr3_vgpr4
	s_clause 0x3
	buffer_load_dword v67, v74, s[0:3], 0 offen
	buffer_load_dword v68, v74, s[0:3], 0 offen offset:4
	buffer_load_dword v71, v74, s[0:3], 0 offen offset:8
	;; [unrolled: 1-line block ×3, first 2 shown]
	s_waitcnt vmcnt(0)
	v_cmp_ngt_f64_e64 s9, |v[67:68]|, |v[71:72]|
	s_and_saveexec_b32 s20, s9
	s_xor_b32 s9, exec_lo, s20
	s_cbranch_execz .LBB30_4
; %bb.3:
	v_div_scale_f64 v[1:2], null, v[71:72], v[71:72], v[67:68]
	v_div_scale_f64 v[75:76], vcc_lo, v[67:68], v[71:72], v[67:68]
	v_rcp_f64_e32 v[3:4], v[1:2]
	v_fma_f64 v[69:70], -v[1:2], v[3:4], 1.0
	v_fma_f64 v[3:4], v[3:4], v[69:70], v[3:4]
	v_fma_f64 v[69:70], -v[1:2], v[3:4], 1.0
	v_fma_f64 v[3:4], v[3:4], v[69:70], v[3:4]
	v_mul_f64 v[69:70], v[75:76], v[3:4]
	v_fma_f64 v[1:2], -v[1:2], v[69:70], v[75:76]
	v_div_fmas_f64 v[1:2], v[1:2], v[3:4], v[69:70]
	v_div_fixup_f64 v[1:2], v[1:2], v[71:72], v[67:68]
	v_fma_f64 v[3:4], v[67:68], v[1:2], v[71:72]
	v_div_scale_f64 v[67:68], null, v[3:4], v[3:4], 1.0
	v_div_scale_f64 v[75:76], vcc_lo, 1.0, v[3:4], 1.0
	v_rcp_f64_e32 v[69:70], v[67:68]
	v_fma_f64 v[71:72], -v[67:68], v[69:70], 1.0
	v_fma_f64 v[69:70], v[69:70], v[71:72], v[69:70]
	v_fma_f64 v[71:72], -v[67:68], v[69:70], 1.0
	v_fma_f64 v[69:70], v[69:70], v[71:72], v[69:70]
	v_mul_f64 v[71:72], v[75:76], v[69:70]
	v_fma_f64 v[67:68], -v[67:68], v[71:72], v[75:76]
	v_div_fmas_f64 v[67:68], v[67:68], v[69:70], v[71:72]
                                        ; implicit-def: $vgpr71_vgpr72
	v_div_fixup_f64 v[3:4], v[67:68], v[3:4], 1.0
                                        ; implicit-def: $vgpr67_vgpr68
	v_mul_f64 v[69:70], v[1:2], v[3:4]
	v_xor_b32_e32 v4, 0x80000000, v4
	v_xor_b32_e32 v2, 0x80000000, v70
	v_mov_b32_e32 v1, v69
.LBB30_4:
	s_andn2_saveexec_b32 s9, s9
	s_cbranch_execz .LBB30_6
; %bb.5:
	v_div_scale_f64 v[1:2], null, v[67:68], v[67:68], v[71:72]
	v_div_scale_f64 v[75:76], vcc_lo, v[71:72], v[67:68], v[71:72]
	v_rcp_f64_e32 v[3:4], v[1:2]
	v_fma_f64 v[69:70], -v[1:2], v[3:4], 1.0
	v_fma_f64 v[3:4], v[3:4], v[69:70], v[3:4]
	v_fma_f64 v[69:70], -v[1:2], v[3:4], 1.0
	v_fma_f64 v[3:4], v[3:4], v[69:70], v[3:4]
	v_mul_f64 v[69:70], v[75:76], v[3:4]
	v_fma_f64 v[1:2], -v[1:2], v[69:70], v[75:76]
	v_div_fmas_f64 v[1:2], v[1:2], v[3:4], v[69:70]
	v_div_fixup_f64 v[1:2], v[1:2], v[67:68], v[71:72]
	v_fma_f64 v[3:4], v[71:72], v[1:2], v[67:68]
	v_div_scale_f64 v[67:68], null, v[3:4], v[3:4], 1.0
	v_rcp_f64_e32 v[69:70], v[67:68]
	v_fma_f64 v[71:72], -v[67:68], v[69:70], 1.0
	v_fma_f64 v[69:70], v[69:70], v[71:72], v[69:70]
	v_fma_f64 v[71:72], -v[67:68], v[69:70], 1.0
	v_fma_f64 v[69:70], v[69:70], v[71:72], v[69:70]
	v_div_scale_f64 v[71:72], vcc_lo, 1.0, v[3:4], 1.0
	v_mul_f64 v[75:76], v[71:72], v[69:70]
	v_fma_f64 v[67:68], -v[67:68], v[75:76], v[71:72]
	v_div_fmas_f64 v[67:68], v[67:68], v[69:70], v[75:76]
	v_div_fixup_f64 v[69:70], v[67:68], v[3:4], 1.0
	v_mul_f64 v[3:4], v[1:2], -v[69:70]
	v_xor_b32_e32 v2, 0x80000000, v70
	v_mov_b32_e32 v1, v69
.LBB30_6:
	s_or_b32 exec_lo, exec_lo, s9
	buffer_store_dword v4, v74, s[0:3], 0 offen offset:12
	v_xor_b32_e32 v4, 0x80000000, v4
	buffer_store_dword v70, v74, s[0:3], 0 offen offset:4
	buffer_store_dword v69, v74, s[0:3], 0 offen
	buffer_store_dword v3, v74, s[0:3], 0 offen offset:8
	s_branch .LBB30_8
.LBB30_7:
	v_mov_b32_e32 v1, 0
	v_mov_b32_e32 v3, 0
	;; [unrolled: 1-line block ×4, first 2 shown]
.LBB30_8:
	v_add_nc_u32_e32 v68, 0x1f0, v73
	v_mov_b32_e32 v67, v73
	s_mov_b32 s37, 16
	s_mov_b32 s36, 32
	;; [unrolled: 1-line block ×29, first 2 shown]
	s_cmpk_eq_i32 s8, 0x79
	ds_write_b128 v73, v[1:4]
	s_cbranch_scc1 .LBB30_244
; %bb.9:
	v_mov_b32_e32 v4, s7
	v_cmp_eq_u32_e64 s4, 30, v0
	s_clause 0x3
	buffer_load_dword v1, v4, s[0:3], 0 offen
	buffer_load_dword v2, v4, s[0:3], 0 offen offset:4
	buffer_load_dword v3, v4, s[0:3], 0 offen offset:8
	;; [unrolled: 1-line block ×3, first 2 shown]
	s_waitcnt vmcnt(0)
	ds_write_b128 v68, v[1:4]
	s_waitcnt lgkmcnt(0)
	s_waitcnt_vscnt null, 0x0
	s_barrier
	buffer_gl0_inv
	s_and_saveexec_b32 s5, s4
	s_cbranch_execz .LBB30_13
; %bb.10:
	ds_read_b128 v[1:4], v68
	s_andn2_b32 vcc_lo, exec_lo, s38
	s_cbranch_vccnz .LBB30_12
; %bb.11:
	s_clause 0x3
	buffer_load_dword v69, v67, s[0:3], 0 offen offset:8
	buffer_load_dword v70, v67, s[0:3], 0 offen offset:12
	buffer_load_dword v71, v67, s[0:3], 0 offen
	buffer_load_dword v72, v67, s[0:3], 0 offen offset:4
	s_waitcnt vmcnt(2) lgkmcnt(0)
	v_mul_f64 v[74:75], v[3:4], v[69:70]
	v_mul_f64 v[69:70], v[1:2], v[69:70]
	s_waitcnt vmcnt(0)
	v_fma_f64 v[1:2], v[1:2], v[71:72], -v[74:75]
	v_fma_f64 v[3:4], v[3:4], v[71:72], v[69:70]
.LBB30_12:
	v_mov_b32_e32 v69, 0
	ds_read_b128 v[69:72], v69 offset:464
	s_waitcnt lgkmcnt(0)
	v_mul_f64 v[74:75], v[3:4], v[71:72]
	v_mul_f64 v[71:72], v[1:2], v[71:72]
	v_fma_f64 v[1:2], v[1:2], v[69:70], -v[74:75]
	v_fma_f64 v[3:4], v[3:4], v[69:70], v[71:72]
	buffer_store_dword v2, off, s[0:3], 0 offset:468
	buffer_store_dword v1, off, s[0:3], 0 offset:464
	;; [unrolled: 1-line block ×4, first 2 shown]
.LBB30_13:
	s_or_b32 exec_lo, exec_lo, s5
	v_mov_b32_e32 v4, s9
	v_cmp_lt_u32_e64 s5, 28, v0
	s_clause 0x3
	buffer_load_dword v1, v4, s[0:3], 0 offen
	buffer_load_dword v2, v4, s[0:3], 0 offen offset:4
	buffer_load_dword v3, v4, s[0:3], 0 offen offset:8
	;; [unrolled: 1-line block ×3, first 2 shown]
	s_waitcnt vmcnt(0)
	ds_write_b128 v68, v[1:4]
	s_waitcnt lgkmcnt(0)
	s_waitcnt_vscnt null, 0x0
	s_barrier
	buffer_gl0_inv
	s_and_saveexec_b32 s8, s5
	s_cbranch_execz .LBB30_19
; %bb.14:
	ds_read_b128 v[1:4], v68
	s_andn2_b32 vcc_lo, exec_lo, s38
	s_cbranch_vccnz .LBB30_16
; %bb.15:
	s_clause 0x3
	buffer_load_dword v69, v67, s[0:3], 0 offen offset:8
	buffer_load_dword v70, v67, s[0:3], 0 offen offset:12
	buffer_load_dword v71, v67, s[0:3], 0 offen
	buffer_load_dword v72, v67, s[0:3], 0 offen offset:4
	s_waitcnt vmcnt(2) lgkmcnt(0)
	v_mul_f64 v[74:75], v[3:4], v[69:70]
	v_mul_f64 v[69:70], v[1:2], v[69:70]
	s_waitcnt vmcnt(0)
	v_fma_f64 v[1:2], v[1:2], v[71:72], -v[74:75]
	v_fma_f64 v[3:4], v[3:4], v[71:72], v[69:70]
.LBB30_16:
	s_and_saveexec_b32 s39, s4
	s_cbranch_execz .LBB30_18
; %bb.17:
	s_clause 0x3
	buffer_load_dword v74, off, s[0:3], 0 offset:472
	buffer_load_dword v75, off, s[0:3], 0 offset:476
	;; [unrolled: 1-line block ×4, first 2 shown]
	v_mov_b32_e32 v69, 0
	ds_read_b128 v[69:72], v69 offset:960
	s_waitcnt vmcnt(2) lgkmcnt(0)
	v_mul_f64 v[78:79], v[69:70], v[74:75]
	v_mul_f64 v[74:75], v[71:72], v[74:75]
	s_waitcnt vmcnt(0)
	v_fma_f64 v[71:72], v[71:72], v[76:77], v[78:79]
	v_fma_f64 v[69:70], v[69:70], v[76:77], -v[74:75]
	v_add_f64 v[3:4], v[3:4], v[71:72]
	v_add_f64 v[1:2], v[1:2], v[69:70]
.LBB30_18:
	s_or_b32 exec_lo, exec_lo, s39
	v_mov_b32_e32 v69, 0
	ds_read_b128 v[69:72], v69 offset:448
	s_waitcnt lgkmcnt(0)
	v_mul_f64 v[74:75], v[3:4], v[71:72]
	v_mul_f64 v[71:72], v[1:2], v[71:72]
	v_fma_f64 v[1:2], v[1:2], v[69:70], -v[74:75]
	v_fma_f64 v[3:4], v[3:4], v[69:70], v[71:72]
	buffer_store_dword v2, off, s[0:3], 0 offset:452
	buffer_store_dword v1, off, s[0:3], 0 offset:448
	;; [unrolled: 1-line block ×4, first 2 shown]
.LBB30_19:
	s_or_b32 exec_lo, exec_lo, s8
	v_mov_b32_e32 v4, s10
	v_cmp_lt_u32_e64 s4, 27, v0
	s_clause 0x3
	buffer_load_dword v1, v4, s[0:3], 0 offen
	buffer_load_dword v2, v4, s[0:3], 0 offen offset:4
	buffer_load_dword v3, v4, s[0:3], 0 offen offset:8
	;; [unrolled: 1-line block ×3, first 2 shown]
	s_waitcnt vmcnt(0)
	ds_write_b128 v68, v[1:4]
	s_waitcnt lgkmcnt(0)
	s_waitcnt_vscnt null, 0x0
	s_barrier
	buffer_gl0_inv
	s_and_saveexec_b32 s8, s4
	s_cbranch_execz .LBB30_27
; %bb.20:
	ds_read_b128 v[1:4], v68
	s_andn2_b32 vcc_lo, exec_lo, s38
	s_cbranch_vccnz .LBB30_22
; %bb.21:
	s_clause 0x3
	buffer_load_dword v69, v67, s[0:3], 0 offen offset:8
	buffer_load_dword v70, v67, s[0:3], 0 offen offset:12
	buffer_load_dword v71, v67, s[0:3], 0 offen
	buffer_load_dword v72, v67, s[0:3], 0 offen offset:4
	s_waitcnt vmcnt(2) lgkmcnt(0)
	v_mul_f64 v[74:75], v[3:4], v[69:70]
	v_mul_f64 v[69:70], v[1:2], v[69:70]
	s_waitcnt vmcnt(0)
	v_fma_f64 v[1:2], v[1:2], v[71:72], -v[74:75]
	v_fma_f64 v[3:4], v[3:4], v[71:72], v[69:70]
.LBB30_22:
	s_and_saveexec_b32 s39, s5
	s_cbranch_execz .LBB30_26
; %bb.23:
	v_subrev_nc_u32_e32 v69, 28, v0
	s_movk_i32 s40, 0x3b0
	s_mov_b32 s5, 0
	s_mov_b32 s41, s9
	.p2align	6
.LBB30_24:                              ; =>This Inner Loop Header: Depth=1
	v_mov_b32_e32 v72, s41
	v_add_nc_u32_e32 v69, -1, v69
	s_add_i32 s41, s41, 16
	s_clause 0x3
	buffer_load_dword v70, v72, s[0:3], 0 offen offset:8
	buffer_load_dword v71, v72, s[0:3], 0 offen offset:12
	buffer_load_dword v78, v72, s[0:3], 0 offen
	buffer_load_dword v79, v72, s[0:3], 0 offen offset:4
	v_mov_b32_e32 v72, s40
	v_cmp_eq_u32_e32 vcc_lo, 0, v69
	s_add_i32 s40, s40, 16
	ds_read_b128 v[74:77], v72
	s_or_b32 s5, vcc_lo, s5
	s_waitcnt vmcnt(2) lgkmcnt(0)
	v_mul_f64 v[80:81], v[76:77], v[70:71]
	v_mul_f64 v[70:71], v[74:75], v[70:71]
	s_waitcnt vmcnt(0)
	v_fma_f64 v[74:75], v[74:75], v[78:79], -v[80:81]
	v_fma_f64 v[70:71], v[76:77], v[78:79], v[70:71]
	v_add_f64 v[1:2], v[1:2], v[74:75]
	v_add_f64 v[3:4], v[3:4], v[70:71]
	s_andn2_b32 exec_lo, exec_lo, s5
	s_cbranch_execnz .LBB30_24
; %bb.25:
	s_or_b32 exec_lo, exec_lo, s5
.LBB30_26:
	s_or_b32 exec_lo, exec_lo, s39
	v_mov_b32_e32 v69, 0
	ds_read_b128 v[69:72], v69 offset:432
	s_waitcnt lgkmcnt(0)
	v_mul_f64 v[74:75], v[3:4], v[71:72]
	v_mul_f64 v[71:72], v[1:2], v[71:72]
	v_fma_f64 v[1:2], v[1:2], v[69:70], -v[74:75]
	v_fma_f64 v[3:4], v[3:4], v[69:70], v[71:72]
	buffer_store_dword v2, off, s[0:3], 0 offset:436
	buffer_store_dword v1, off, s[0:3], 0 offset:432
	;; [unrolled: 1-line block ×4, first 2 shown]
.LBB30_27:
	s_or_b32 exec_lo, exec_lo, s8
	v_mov_b32_e32 v4, s11
	v_cmp_lt_u32_e64 s5, 26, v0
	s_clause 0x3
	buffer_load_dword v1, v4, s[0:3], 0 offen
	buffer_load_dword v2, v4, s[0:3], 0 offen offset:4
	buffer_load_dword v3, v4, s[0:3], 0 offen offset:8
	;; [unrolled: 1-line block ×3, first 2 shown]
	s_waitcnt vmcnt(0)
	ds_write_b128 v68, v[1:4]
	s_waitcnt lgkmcnt(0)
	s_waitcnt_vscnt null, 0x0
	s_barrier
	buffer_gl0_inv
	s_and_saveexec_b32 s8, s5
	s_cbranch_execz .LBB30_35
; %bb.28:
	ds_read_b128 v[1:4], v68
	s_andn2_b32 vcc_lo, exec_lo, s38
	s_cbranch_vccnz .LBB30_30
; %bb.29:
	s_clause 0x3
	buffer_load_dword v69, v67, s[0:3], 0 offen offset:8
	buffer_load_dword v70, v67, s[0:3], 0 offen offset:12
	buffer_load_dword v71, v67, s[0:3], 0 offen
	buffer_load_dword v72, v67, s[0:3], 0 offen offset:4
	s_waitcnt vmcnt(2) lgkmcnt(0)
	v_mul_f64 v[74:75], v[3:4], v[69:70]
	v_mul_f64 v[69:70], v[1:2], v[69:70]
	s_waitcnt vmcnt(0)
	v_fma_f64 v[1:2], v[1:2], v[71:72], -v[74:75]
	v_fma_f64 v[3:4], v[3:4], v[71:72], v[69:70]
.LBB30_30:
	s_and_saveexec_b32 s39, s4
	s_cbranch_execz .LBB30_34
; %bb.31:
	v_subrev_nc_u32_e32 v69, 27, v0
	s_movk_i32 s40, 0x3a0
	s_mov_b32 s4, 0
	s_mov_b32 s41, s10
	.p2align	6
.LBB30_32:                              ; =>This Inner Loop Header: Depth=1
	v_mov_b32_e32 v72, s41
	v_add_nc_u32_e32 v69, -1, v69
	s_add_i32 s41, s41, 16
	s_clause 0x3
	buffer_load_dword v70, v72, s[0:3], 0 offen offset:8
	buffer_load_dword v71, v72, s[0:3], 0 offen offset:12
	buffer_load_dword v78, v72, s[0:3], 0 offen
	buffer_load_dword v79, v72, s[0:3], 0 offen offset:4
	v_mov_b32_e32 v72, s40
	v_cmp_eq_u32_e32 vcc_lo, 0, v69
	s_add_i32 s40, s40, 16
	ds_read_b128 v[74:77], v72
	s_or_b32 s4, vcc_lo, s4
	s_waitcnt vmcnt(2) lgkmcnt(0)
	v_mul_f64 v[80:81], v[76:77], v[70:71]
	v_mul_f64 v[70:71], v[74:75], v[70:71]
	s_waitcnt vmcnt(0)
	v_fma_f64 v[74:75], v[74:75], v[78:79], -v[80:81]
	v_fma_f64 v[70:71], v[76:77], v[78:79], v[70:71]
	v_add_f64 v[1:2], v[1:2], v[74:75]
	v_add_f64 v[3:4], v[3:4], v[70:71]
	s_andn2_b32 exec_lo, exec_lo, s4
	s_cbranch_execnz .LBB30_32
; %bb.33:
	s_or_b32 exec_lo, exec_lo, s4
.LBB30_34:
	s_or_b32 exec_lo, exec_lo, s39
	v_mov_b32_e32 v69, 0
	ds_read_b128 v[69:72], v69 offset:416
	s_waitcnt lgkmcnt(0)
	v_mul_f64 v[74:75], v[3:4], v[71:72]
	v_mul_f64 v[71:72], v[1:2], v[71:72]
	v_fma_f64 v[1:2], v[1:2], v[69:70], -v[74:75]
	v_fma_f64 v[3:4], v[3:4], v[69:70], v[71:72]
	buffer_store_dword v2, off, s[0:3], 0 offset:420
	buffer_store_dword v1, off, s[0:3], 0 offset:416
	;; [unrolled: 1-line block ×4, first 2 shown]
.LBB30_35:
	s_or_b32 exec_lo, exec_lo, s8
	v_mov_b32_e32 v4, s12
	v_cmp_lt_u32_e64 s4, 25, v0
	s_clause 0x3
	buffer_load_dword v1, v4, s[0:3], 0 offen
	buffer_load_dword v2, v4, s[0:3], 0 offen offset:4
	buffer_load_dword v3, v4, s[0:3], 0 offen offset:8
	;; [unrolled: 1-line block ×3, first 2 shown]
	s_waitcnt vmcnt(0)
	ds_write_b128 v68, v[1:4]
	s_waitcnt lgkmcnt(0)
	s_waitcnt_vscnt null, 0x0
	s_barrier
	buffer_gl0_inv
	s_and_saveexec_b32 s8, s4
	s_cbranch_execz .LBB30_43
; %bb.36:
	ds_read_b128 v[1:4], v68
	s_andn2_b32 vcc_lo, exec_lo, s38
	s_cbranch_vccnz .LBB30_38
; %bb.37:
	s_clause 0x3
	buffer_load_dword v69, v67, s[0:3], 0 offen offset:8
	buffer_load_dword v70, v67, s[0:3], 0 offen offset:12
	buffer_load_dword v71, v67, s[0:3], 0 offen
	buffer_load_dword v72, v67, s[0:3], 0 offen offset:4
	s_waitcnt vmcnt(2) lgkmcnt(0)
	v_mul_f64 v[74:75], v[3:4], v[69:70]
	v_mul_f64 v[69:70], v[1:2], v[69:70]
	s_waitcnt vmcnt(0)
	v_fma_f64 v[1:2], v[1:2], v[71:72], -v[74:75]
	v_fma_f64 v[3:4], v[3:4], v[71:72], v[69:70]
.LBB30_38:
	s_and_saveexec_b32 s39, s5
	s_cbranch_execz .LBB30_42
; %bb.39:
	v_subrev_nc_u32_e32 v69, 26, v0
	s_movk_i32 s40, 0x390
	s_mov_b32 s5, 0
	s_mov_b32 s41, s11
	.p2align	6
.LBB30_40:                              ; =>This Inner Loop Header: Depth=1
	v_mov_b32_e32 v72, s41
	v_add_nc_u32_e32 v69, -1, v69
	s_add_i32 s41, s41, 16
	s_clause 0x3
	buffer_load_dword v70, v72, s[0:3], 0 offen offset:8
	buffer_load_dword v71, v72, s[0:3], 0 offen offset:12
	buffer_load_dword v78, v72, s[0:3], 0 offen
	buffer_load_dword v79, v72, s[0:3], 0 offen offset:4
	v_mov_b32_e32 v72, s40
	v_cmp_eq_u32_e32 vcc_lo, 0, v69
	s_add_i32 s40, s40, 16
	ds_read_b128 v[74:77], v72
	s_or_b32 s5, vcc_lo, s5
	s_waitcnt vmcnt(2) lgkmcnt(0)
	v_mul_f64 v[80:81], v[76:77], v[70:71]
	v_mul_f64 v[70:71], v[74:75], v[70:71]
	s_waitcnt vmcnt(0)
	v_fma_f64 v[74:75], v[74:75], v[78:79], -v[80:81]
	v_fma_f64 v[70:71], v[76:77], v[78:79], v[70:71]
	v_add_f64 v[1:2], v[1:2], v[74:75]
	v_add_f64 v[3:4], v[3:4], v[70:71]
	s_andn2_b32 exec_lo, exec_lo, s5
	s_cbranch_execnz .LBB30_40
; %bb.41:
	s_or_b32 exec_lo, exec_lo, s5
.LBB30_42:
	s_or_b32 exec_lo, exec_lo, s39
	v_mov_b32_e32 v69, 0
	ds_read_b128 v[69:72], v69 offset:400
	s_waitcnt lgkmcnt(0)
	v_mul_f64 v[74:75], v[3:4], v[71:72]
	v_mul_f64 v[71:72], v[1:2], v[71:72]
	v_fma_f64 v[1:2], v[1:2], v[69:70], -v[74:75]
	v_fma_f64 v[3:4], v[3:4], v[69:70], v[71:72]
	buffer_store_dword v2, off, s[0:3], 0 offset:404
	buffer_store_dword v1, off, s[0:3], 0 offset:400
	;; [unrolled: 1-line block ×4, first 2 shown]
.LBB30_43:
	s_or_b32 exec_lo, exec_lo, s8
	v_mov_b32_e32 v4, s13
	v_cmp_lt_u32_e64 s5, 24, v0
	s_clause 0x3
	buffer_load_dword v1, v4, s[0:3], 0 offen
	buffer_load_dword v2, v4, s[0:3], 0 offen offset:4
	buffer_load_dword v3, v4, s[0:3], 0 offen offset:8
	;; [unrolled: 1-line block ×3, first 2 shown]
	s_waitcnt vmcnt(0)
	ds_write_b128 v68, v[1:4]
	s_waitcnt lgkmcnt(0)
	s_waitcnt_vscnt null, 0x0
	s_barrier
	buffer_gl0_inv
	s_and_saveexec_b32 s8, s5
	s_cbranch_execz .LBB30_51
; %bb.44:
	ds_read_b128 v[1:4], v68
	s_andn2_b32 vcc_lo, exec_lo, s38
	s_cbranch_vccnz .LBB30_46
; %bb.45:
	s_clause 0x3
	buffer_load_dword v69, v67, s[0:3], 0 offen offset:8
	buffer_load_dword v70, v67, s[0:3], 0 offen offset:12
	buffer_load_dword v71, v67, s[0:3], 0 offen
	buffer_load_dword v72, v67, s[0:3], 0 offen offset:4
	s_waitcnt vmcnt(2) lgkmcnt(0)
	v_mul_f64 v[74:75], v[3:4], v[69:70]
	v_mul_f64 v[69:70], v[1:2], v[69:70]
	s_waitcnt vmcnt(0)
	v_fma_f64 v[1:2], v[1:2], v[71:72], -v[74:75]
	v_fma_f64 v[3:4], v[3:4], v[71:72], v[69:70]
.LBB30_46:
	s_and_saveexec_b32 s39, s4
	s_cbranch_execz .LBB30_50
; %bb.47:
	v_subrev_nc_u32_e32 v69, 25, v0
	s_movk_i32 s40, 0x380
	s_mov_b32 s4, 0
	s_mov_b32 s41, s12
	.p2align	6
.LBB30_48:                              ; =>This Inner Loop Header: Depth=1
	v_mov_b32_e32 v72, s41
	v_add_nc_u32_e32 v69, -1, v69
	s_add_i32 s41, s41, 16
	s_clause 0x3
	buffer_load_dword v70, v72, s[0:3], 0 offen offset:8
	buffer_load_dword v71, v72, s[0:3], 0 offen offset:12
	buffer_load_dword v78, v72, s[0:3], 0 offen
	buffer_load_dword v79, v72, s[0:3], 0 offen offset:4
	v_mov_b32_e32 v72, s40
	v_cmp_eq_u32_e32 vcc_lo, 0, v69
	s_add_i32 s40, s40, 16
	ds_read_b128 v[74:77], v72
	s_or_b32 s4, vcc_lo, s4
	s_waitcnt vmcnt(2) lgkmcnt(0)
	v_mul_f64 v[80:81], v[76:77], v[70:71]
	v_mul_f64 v[70:71], v[74:75], v[70:71]
	s_waitcnt vmcnt(0)
	v_fma_f64 v[74:75], v[74:75], v[78:79], -v[80:81]
	v_fma_f64 v[70:71], v[76:77], v[78:79], v[70:71]
	v_add_f64 v[1:2], v[1:2], v[74:75]
	v_add_f64 v[3:4], v[3:4], v[70:71]
	s_andn2_b32 exec_lo, exec_lo, s4
	s_cbranch_execnz .LBB30_48
; %bb.49:
	s_or_b32 exec_lo, exec_lo, s4
.LBB30_50:
	s_or_b32 exec_lo, exec_lo, s39
	v_mov_b32_e32 v69, 0
	ds_read_b128 v[69:72], v69 offset:384
	s_waitcnt lgkmcnt(0)
	v_mul_f64 v[74:75], v[3:4], v[71:72]
	v_mul_f64 v[71:72], v[1:2], v[71:72]
	v_fma_f64 v[1:2], v[1:2], v[69:70], -v[74:75]
	v_fma_f64 v[3:4], v[3:4], v[69:70], v[71:72]
	buffer_store_dword v2, off, s[0:3], 0 offset:388
	buffer_store_dword v1, off, s[0:3], 0 offset:384
	;; [unrolled: 1-line block ×4, first 2 shown]
.LBB30_51:
	s_or_b32 exec_lo, exec_lo, s8
	v_mov_b32_e32 v4, s14
	v_cmp_lt_u32_e64 s4, 23, v0
	s_clause 0x3
	buffer_load_dword v1, v4, s[0:3], 0 offen
	buffer_load_dword v2, v4, s[0:3], 0 offen offset:4
	buffer_load_dword v3, v4, s[0:3], 0 offen offset:8
	;; [unrolled: 1-line block ×3, first 2 shown]
	s_waitcnt vmcnt(0)
	ds_write_b128 v68, v[1:4]
	s_waitcnt lgkmcnt(0)
	s_waitcnt_vscnt null, 0x0
	s_barrier
	buffer_gl0_inv
	s_and_saveexec_b32 s8, s4
	s_cbranch_execz .LBB30_59
; %bb.52:
	ds_read_b128 v[1:4], v68
	s_andn2_b32 vcc_lo, exec_lo, s38
	s_cbranch_vccnz .LBB30_54
; %bb.53:
	s_clause 0x3
	buffer_load_dword v69, v67, s[0:3], 0 offen offset:8
	buffer_load_dword v70, v67, s[0:3], 0 offen offset:12
	buffer_load_dword v71, v67, s[0:3], 0 offen
	buffer_load_dword v72, v67, s[0:3], 0 offen offset:4
	s_waitcnt vmcnt(2) lgkmcnt(0)
	v_mul_f64 v[74:75], v[3:4], v[69:70]
	v_mul_f64 v[69:70], v[1:2], v[69:70]
	s_waitcnt vmcnt(0)
	v_fma_f64 v[1:2], v[1:2], v[71:72], -v[74:75]
	v_fma_f64 v[3:4], v[3:4], v[71:72], v[69:70]
.LBB30_54:
	s_and_saveexec_b32 s39, s5
	s_cbranch_execz .LBB30_58
; %bb.55:
	v_subrev_nc_u32_e32 v69, 24, v0
	s_movk_i32 s40, 0x370
	s_mov_b32 s5, 0
	s_mov_b32 s41, s13
	.p2align	6
.LBB30_56:                              ; =>This Inner Loop Header: Depth=1
	v_mov_b32_e32 v72, s41
	v_add_nc_u32_e32 v69, -1, v69
	s_add_i32 s41, s41, 16
	s_clause 0x3
	buffer_load_dword v70, v72, s[0:3], 0 offen offset:8
	buffer_load_dword v71, v72, s[0:3], 0 offen offset:12
	buffer_load_dword v78, v72, s[0:3], 0 offen
	buffer_load_dword v79, v72, s[0:3], 0 offen offset:4
	v_mov_b32_e32 v72, s40
	v_cmp_eq_u32_e32 vcc_lo, 0, v69
	s_add_i32 s40, s40, 16
	ds_read_b128 v[74:77], v72
	s_or_b32 s5, vcc_lo, s5
	s_waitcnt vmcnt(2) lgkmcnt(0)
	v_mul_f64 v[80:81], v[76:77], v[70:71]
	v_mul_f64 v[70:71], v[74:75], v[70:71]
	s_waitcnt vmcnt(0)
	v_fma_f64 v[74:75], v[74:75], v[78:79], -v[80:81]
	v_fma_f64 v[70:71], v[76:77], v[78:79], v[70:71]
	v_add_f64 v[1:2], v[1:2], v[74:75]
	v_add_f64 v[3:4], v[3:4], v[70:71]
	s_andn2_b32 exec_lo, exec_lo, s5
	s_cbranch_execnz .LBB30_56
; %bb.57:
	s_or_b32 exec_lo, exec_lo, s5
.LBB30_58:
	s_or_b32 exec_lo, exec_lo, s39
	v_mov_b32_e32 v69, 0
	ds_read_b128 v[69:72], v69 offset:368
	s_waitcnt lgkmcnt(0)
	v_mul_f64 v[74:75], v[3:4], v[71:72]
	v_mul_f64 v[71:72], v[1:2], v[71:72]
	v_fma_f64 v[1:2], v[1:2], v[69:70], -v[74:75]
	v_fma_f64 v[3:4], v[3:4], v[69:70], v[71:72]
	buffer_store_dword v2, off, s[0:3], 0 offset:372
	buffer_store_dword v1, off, s[0:3], 0 offset:368
	;; [unrolled: 1-line block ×4, first 2 shown]
.LBB30_59:
	s_or_b32 exec_lo, exec_lo, s8
	v_mov_b32_e32 v4, s15
	v_cmp_lt_u32_e64 s5, 22, v0
	s_clause 0x3
	buffer_load_dword v1, v4, s[0:3], 0 offen
	buffer_load_dword v2, v4, s[0:3], 0 offen offset:4
	buffer_load_dword v3, v4, s[0:3], 0 offen offset:8
	;; [unrolled: 1-line block ×3, first 2 shown]
	s_waitcnt vmcnt(0)
	ds_write_b128 v68, v[1:4]
	s_waitcnt lgkmcnt(0)
	s_waitcnt_vscnt null, 0x0
	s_barrier
	buffer_gl0_inv
	s_and_saveexec_b32 s8, s5
	s_cbranch_execz .LBB30_67
; %bb.60:
	ds_read_b128 v[1:4], v68
	s_andn2_b32 vcc_lo, exec_lo, s38
	s_cbranch_vccnz .LBB30_62
; %bb.61:
	s_clause 0x3
	buffer_load_dword v69, v67, s[0:3], 0 offen offset:8
	buffer_load_dword v70, v67, s[0:3], 0 offen offset:12
	buffer_load_dword v71, v67, s[0:3], 0 offen
	buffer_load_dword v72, v67, s[0:3], 0 offen offset:4
	s_waitcnt vmcnt(2) lgkmcnt(0)
	v_mul_f64 v[74:75], v[3:4], v[69:70]
	v_mul_f64 v[69:70], v[1:2], v[69:70]
	s_waitcnt vmcnt(0)
	v_fma_f64 v[1:2], v[1:2], v[71:72], -v[74:75]
	v_fma_f64 v[3:4], v[3:4], v[71:72], v[69:70]
.LBB30_62:
	s_and_saveexec_b32 s39, s4
	s_cbranch_execz .LBB30_66
; %bb.63:
	v_subrev_nc_u32_e32 v69, 23, v0
	s_movk_i32 s40, 0x360
	s_mov_b32 s4, 0
	s_mov_b32 s41, s14
	.p2align	6
.LBB30_64:                              ; =>This Inner Loop Header: Depth=1
	v_mov_b32_e32 v72, s41
	v_add_nc_u32_e32 v69, -1, v69
	s_add_i32 s41, s41, 16
	s_clause 0x3
	buffer_load_dword v70, v72, s[0:3], 0 offen offset:8
	buffer_load_dword v71, v72, s[0:3], 0 offen offset:12
	buffer_load_dword v78, v72, s[0:3], 0 offen
	buffer_load_dword v79, v72, s[0:3], 0 offen offset:4
	v_mov_b32_e32 v72, s40
	v_cmp_eq_u32_e32 vcc_lo, 0, v69
	s_add_i32 s40, s40, 16
	ds_read_b128 v[74:77], v72
	s_or_b32 s4, vcc_lo, s4
	s_waitcnt vmcnt(2) lgkmcnt(0)
	v_mul_f64 v[80:81], v[76:77], v[70:71]
	v_mul_f64 v[70:71], v[74:75], v[70:71]
	s_waitcnt vmcnt(0)
	v_fma_f64 v[74:75], v[74:75], v[78:79], -v[80:81]
	v_fma_f64 v[70:71], v[76:77], v[78:79], v[70:71]
	v_add_f64 v[1:2], v[1:2], v[74:75]
	v_add_f64 v[3:4], v[3:4], v[70:71]
	s_andn2_b32 exec_lo, exec_lo, s4
	s_cbranch_execnz .LBB30_64
; %bb.65:
	s_or_b32 exec_lo, exec_lo, s4
.LBB30_66:
	s_or_b32 exec_lo, exec_lo, s39
	v_mov_b32_e32 v69, 0
	ds_read_b128 v[69:72], v69 offset:352
	s_waitcnt lgkmcnt(0)
	v_mul_f64 v[74:75], v[3:4], v[71:72]
	v_mul_f64 v[71:72], v[1:2], v[71:72]
	v_fma_f64 v[1:2], v[1:2], v[69:70], -v[74:75]
	v_fma_f64 v[3:4], v[3:4], v[69:70], v[71:72]
	buffer_store_dword v2, off, s[0:3], 0 offset:356
	buffer_store_dword v1, off, s[0:3], 0 offset:352
	;; [unrolled: 1-line block ×4, first 2 shown]
.LBB30_67:
	s_or_b32 exec_lo, exec_lo, s8
	v_mov_b32_e32 v4, s16
	v_cmp_lt_u32_e64 s4, 21, v0
	s_clause 0x3
	buffer_load_dword v1, v4, s[0:3], 0 offen
	buffer_load_dword v2, v4, s[0:3], 0 offen offset:4
	buffer_load_dword v3, v4, s[0:3], 0 offen offset:8
	;; [unrolled: 1-line block ×3, first 2 shown]
	s_waitcnt vmcnt(0)
	ds_write_b128 v68, v[1:4]
	s_waitcnt lgkmcnt(0)
	s_waitcnt_vscnt null, 0x0
	s_barrier
	buffer_gl0_inv
	s_and_saveexec_b32 s8, s4
	s_cbranch_execz .LBB30_75
; %bb.68:
	ds_read_b128 v[1:4], v68
	s_andn2_b32 vcc_lo, exec_lo, s38
	s_cbranch_vccnz .LBB30_70
; %bb.69:
	s_clause 0x3
	buffer_load_dword v69, v67, s[0:3], 0 offen offset:8
	buffer_load_dword v70, v67, s[0:3], 0 offen offset:12
	buffer_load_dword v71, v67, s[0:3], 0 offen
	buffer_load_dword v72, v67, s[0:3], 0 offen offset:4
	s_waitcnt vmcnt(2) lgkmcnt(0)
	v_mul_f64 v[74:75], v[3:4], v[69:70]
	v_mul_f64 v[69:70], v[1:2], v[69:70]
	s_waitcnt vmcnt(0)
	v_fma_f64 v[1:2], v[1:2], v[71:72], -v[74:75]
	v_fma_f64 v[3:4], v[3:4], v[71:72], v[69:70]
.LBB30_70:
	s_and_saveexec_b32 s39, s5
	s_cbranch_execz .LBB30_74
; %bb.71:
	v_subrev_nc_u32_e32 v69, 22, v0
	s_movk_i32 s40, 0x350
	s_mov_b32 s5, 0
	s_mov_b32 s41, s15
	.p2align	6
.LBB30_72:                              ; =>This Inner Loop Header: Depth=1
	v_mov_b32_e32 v72, s41
	v_add_nc_u32_e32 v69, -1, v69
	s_add_i32 s41, s41, 16
	s_clause 0x3
	buffer_load_dword v70, v72, s[0:3], 0 offen offset:8
	buffer_load_dword v71, v72, s[0:3], 0 offen offset:12
	buffer_load_dword v78, v72, s[0:3], 0 offen
	buffer_load_dword v79, v72, s[0:3], 0 offen offset:4
	v_mov_b32_e32 v72, s40
	v_cmp_eq_u32_e32 vcc_lo, 0, v69
	s_add_i32 s40, s40, 16
	ds_read_b128 v[74:77], v72
	s_or_b32 s5, vcc_lo, s5
	s_waitcnt vmcnt(2) lgkmcnt(0)
	v_mul_f64 v[80:81], v[76:77], v[70:71]
	v_mul_f64 v[70:71], v[74:75], v[70:71]
	s_waitcnt vmcnt(0)
	v_fma_f64 v[74:75], v[74:75], v[78:79], -v[80:81]
	v_fma_f64 v[70:71], v[76:77], v[78:79], v[70:71]
	v_add_f64 v[1:2], v[1:2], v[74:75]
	v_add_f64 v[3:4], v[3:4], v[70:71]
	s_andn2_b32 exec_lo, exec_lo, s5
	s_cbranch_execnz .LBB30_72
; %bb.73:
	s_or_b32 exec_lo, exec_lo, s5
.LBB30_74:
	s_or_b32 exec_lo, exec_lo, s39
	v_mov_b32_e32 v69, 0
	ds_read_b128 v[69:72], v69 offset:336
	s_waitcnt lgkmcnt(0)
	v_mul_f64 v[74:75], v[3:4], v[71:72]
	v_mul_f64 v[71:72], v[1:2], v[71:72]
	v_fma_f64 v[1:2], v[1:2], v[69:70], -v[74:75]
	v_fma_f64 v[3:4], v[3:4], v[69:70], v[71:72]
	buffer_store_dword v2, off, s[0:3], 0 offset:340
	buffer_store_dword v1, off, s[0:3], 0 offset:336
	;; [unrolled: 1-line block ×4, first 2 shown]
.LBB30_75:
	s_or_b32 exec_lo, exec_lo, s8
	v_mov_b32_e32 v4, s17
	v_cmp_lt_u32_e64 s5, 20, v0
	s_clause 0x3
	buffer_load_dword v1, v4, s[0:3], 0 offen
	buffer_load_dword v2, v4, s[0:3], 0 offen offset:4
	buffer_load_dword v3, v4, s[0:3], 0 offen offset:8
	;; [unrolled: 1-line block ×3, first 2 shown]
	s_waitcnt vmcnt(0)
	ds_write_b128 v68, v[1:4]
	s_waitcnt lgkmcnt(0)
	s_waitcnt_vscnt null, 0x0
	s_barrier
	buffer_gl0_inv
	s_and_saveexec_b32 s8, s5
	s_cbranch_execz .LBB30_83
; %bb.76:
	ds_read_b128 v[1:4], v68
	s_andn2_b32 vcc_lo, exec_lo, s38
	s_cbranch_vccnz .LBB30_78
; %bb.77:
	s_clause 0x3
	buffer_load_dword v69, v67, s[0:3], 0 offen offset:8
	buffer_load_dword v70, v67, s[0:3], 0 offen offset:12
	buffer_load_dword v71, v67, s[0:3], 0 offen
	buffer_load_dword v72, v67, s[0:3], 0 offen offset:4
	s_waitcnt vmcnt(2) lgkmcnt(0)
	v_mul_f64 v[74:75], v[3:4], v[69:70]
	v_mul_f64 v[69:70], v[1:2], v[69:70]
	s_waitcnt vmcnt(0)
	v_fma_f64 v[1:2], v[1:2], v[71:72], -v[74:75]
	v_fma_f64 v[3:4], v[3:4], v[71:72], v[69:70]
.LBB30_78:
	s_and_saveexec_b32 s39, s4
	s_cbranch_execz .LBB30_82
; %bb.79:
	v_subrev_nc_u32_e32 v69, 21, v0
	s_movk_i32 s40, 0x340
	s_mov_b32 s4, 0
	s_mov_b32 s41, s16
	.p2align	6
.LBB30_80:                              ; =>This Inner Loop Header: Depth=1
	v_mov_b32_e32 v72, s41
	v_add_nc_u32_e32 v69, -1, v69
	s_add_i32 s41, s41, 16
	s_clause 0x3
	buffer_load_dword v70, v72, s[0:3], 0 offen offset:8
	buffer_load_dword v71, v72, s[0:3], 0 offen offset:12
	buffer_load_dword v78, v72, s[0:3], 0 offen
	buffer_load_dword v79, v72, s[0:3], 0 offen offset:4
	v_mov_b32_e32 v72, s40
	v_cmp_eq_u32_e32 vcc_lo, 0, v69
	s_add_i32 s40, s40, 16
	ds_read_b128 v[74:77], v72
	s_or_b32 s4, vcc_lo, s4
	s_waitcnt vmcnt(2) lgkmcnt(0)
	v_mul_f64 v[80:81], v[76:77], v[70:71]
	v_mul_f64 v[70:71], v[74:75], v[70:71]
	s_waitcnt vmcnt(0)
	v_fma_f64 v[74:75], v[74:75], v[78:79], -v[80:81]
	v_fma_f64 v[70:71], v[76:77], v[78:79], v[70:71]
	v_add_f64 v[1:2], v[1:2], v[74:75]
	v_add_f64 v[3:4], v[3:4], v[70:71]
	s_andn2_b32 exec_lo, exec_lo, s4
	s_cbranch_execnz .LBB30_80
; %bb.81:
	s_or_b32 exec_lo, exec_lo, s4
.LBB30_82:
	s_or_b32 exec_lo, exec_lo, s39
	v_mov_b32_e32 v69, 0
	ds_read_b128 v[69:72], v69 offset:320
	s_waitcnt lgkmcnt(0)
	v_mul_f64 v[74:75], v[3:4], v[71:72]
	v_mul_f64 v[71:72], v[1:2], v[71:72]
	v_fma_f64 v[1:2], v[1:2], v[69:70], -v[74:75]
	v_fma_f64 v[3:4], v[3:4], v[69:70], v[71:72]
	buffer_store_dword v2, off, s[0:3], 0 offset:324
	buffer_store_dword v1, off, s[0:3], 0 offset:320
	;; [unrolled: 1-line block ×4, first 2 shown]
.LBB30_83:
	s_or_b32 exec_lo, exec_lo, s8
	v_mov_b32_e32 v4, s18
	v_cmp_lt_u32_e64 s4, 19, v0
	s_clause 0x3
	buffer_load_dword v1, v4, s[0:3], 0 offen
	buffer_load_dword v2, v4, s[0:3], 0 offen offset:4
	buffer_load_dword v3, v4, s[0:3], 0 offen offset:8
	;; [unrolled: 1-line block ×3, first 2 shown]
	s_waitcnt vmcnt(0)
	ds_write_b128 v68, v[1:4]
	s_waitcnt lgkmcnt(0)
	s_waitcnt_vscnt null, 0x0
	s_barrier
	buffer_gl0_inv
	s_and_saveexec_b32 s8, s4
	s_cbranch_execz .LBB30_91
; %bb.84:
	ds_read_b128 v[1:4], v68
	s_andn2_b32 vcc_lo, exec_lo, s38
	s_cbranch_vccnz .LBB30_86
; %bb.85:
	s_clause 0x3
	buffer_load_dword v69, v67, s[0:3], 0 offen offset:8
	buffer_load_dword v70, v67, s[0:3], 0 offen offset:12
	buffer_load_dword v71, v67, s[0:3], 0 offen
	buffer_load_dword v72, v67, s[0:3], 0 offen offset:4
	s_waitcnt vmcnt(2) lgkmcnt(0)
	v_mul_f64 v[74:75], v[3:4], v[69:70]
	v_mul_f64 v[69:70], v[1:2], v[69:70]
	s_waitcnt vmcnt(0)
	v_fma_f64 v[1:2], v[1:2], v[71:72], -v[74:75]
	v_fma_f64 v[3:4], v[3:4], v[71:72], v[69:70]
.LBB30_86:
	s_and_saveexec_b32 s39, s5
	s_cbranch_execz .LBB30_90
; %bb.87:
	v_subrev_nc_u32_e32 v69, 20, v0
	s_movk_i32 s40, 0x330
	s_mov_b32 s5, 0
	s_mov_b32 s41, s17
	.p2align	6
.LBB30_88:                              ; =>This Inner Loop Header: Depth=1
	v_mov_b32_e32 v72, s41
	v_add_nc_u32_e32 v69, -1, v69
	s_add_i32 s41, s41, 16
	s_clause 0x3
	buffer_load_dword v70, v72, s[0:3], 0 offen offset:8
	buffer_load_dword v71, v72, s[0:3], 0 offen offset:12
	buffer_load_dword v78, v72, s[0:3], 0 offen
	buffer_load_dword v79, v72, s[0:3], 0 offen offset:4
	v_mov_b32_e32 v72, s40
	v_cmp_eq_u32_e32 vcc_lo, 0, v69
	s_add_i32 s40, s40, 16
	ds_read_b128 v[74:77], v72
	s_or_b32 s5, vcc_lo, s5
	s_waitcnt vmcnt(2) lgkmcnt(0)
	v_mul_f64 v[80:81], v[76:77], v[70:71]
	v_mul_f64 v[70:71], v[74:75], v[70:71]
	s_waitcnt vmcnt(0)
	v_fma_f64 v[74:75], v[74:75], v[78:79], -v[80:81]
	v_fma_f64 v[70:71], v[76:77], v[78:79], v[70:71]
	v_add_f64 v[1:2], v[1:2], v[74:75]
	v_add_f64 v[3:4], v[3:4], v[70:71]
	s_andn2_b32 exec_lo, exec_lo, s5
	s_cbranch_execnz .LBB30_88
; %bb.89:
	s_or_b32 exec_lo, exec_lo, s5
.LBB30_90:
	s_or_b32 exec_lo, exec_lo, s39
	v_mov_b32_e32 v69, 0
	ds_read_b128 v[69:72], v69 offset:304
	s_waitcnt lgkmcnt(0)
	v_mul_f64 v[74:75], v[3:4], v[71:72]
	v_mul_f64 v[71:72], v[1:2], v[71:72]
	v_fma_f64 v[1:2], v[1:2], v[69:70], -v[74:75]
	v_fma_f64 v[3:4], v[3:4], v[69:70], v[71:72]
	buffer_store_dword v2, off, s[0:3], 0 offset:308
	buffer_store_dword v1, off, s[0:3], 0 offset:304
	;; [unrolled: 1-line block ×4, first 2 shown]
.LBB30_91:
	s_or_b32 exec_lo, exec_lo, s8
	v_mov_b32_e32 v4, s19
	v_cmp_lt_u32_e64 s5, 18, v0
	s_clause 0x3
	buffer_load_dword v1, v4, s[0:3], 0 offen
	buffer_load_dword v2, v4, s[0:3], 0 offen offset:4
	buffer_load_dword v3, v4, s[0:3], 0 offen offset:8
	;; [unrolled: 1-line block ×3, first 2 shown]
	s_waitcnt vmcnt(0)
	ds_write_b128 v68, v[1:4]
	s_waitcnt lgkmcnt(0)
	s_waitcnt_vscnt null, 0x0
	s_barrier
	buffer_gl0_inv
	s_and_saveexec_b32 s8, s5
	s_cbranch_execz .LBB30_99
; %bb.92:
	ds_read_b128 v[1:4], v68
	s_andn2_b32 vcc_lo, exec_lo, s38
	s_cbranch_vccnz .LBB30_94
; %bb.93:
	s_clause 0x3
	buffer_load_dword v69, v67, s[0:3], 0 offen offset:8
	buffer_load_dword v70, v67, s[0:3], 0 offen offset:12
	buffer_load_dword v71, v67, s[0:3], 0 offen
	buffer_load_dword v72, v67, s[0:3], 0 offen offset:4
	s_waitcnt vmcnt(2) lgkmcnt(0)
	v_mul_f64 v[74:75], v[3:4], v[69:70]
	v_mul_f64 v[69:70], v[1:2], v[69:70]
	s_waitcnt vmcnt(0)
	v_fma_f64 v[1:2], v[1:2], v[71:72], -v[74:75]
	v_fma_f64 v[3:4], v[3:4], v[71:72], v[69:70]
.LBB30_94:
	s_and_saveexec_b32 s39, s4
	s_cbranch_execz .LBB30_98
; %bb.95:
	v_subrev_nc_u32_e32 v69, 19, v0
	s_movk_i32 s40, 0x320
	s_mov_b32 s4, 0
	s_mov_b32 s41, s18
	.p2align	6
.LBB30_96:                              ; =>This Inner Loop Header: Depth=1
	v_mov_b32_e32 v72, s41
	v_add_nc_u32_e32 v69, -1, v69
	s_add_i32 s41, s41, 16
	s_clause 0x3
	buffer_load_dword v70, v72, s[0:3], 0 offen offset:8
	buffer_load_dword v71, v72, s[0:3], 0 offen offset:12
	buffer_load_dword v78, v72, s[0:3], 0 offen
	buffer_load_dword v79, v72, s[0:3], 0 offen offset:4
	v_mov_b32_e32 v72, s40
	v_cmp_eq_u32_e32 vcc_lo, 0, v69
	s_add_i32 s40, s40, 16
	ds_read_b128 v[74:77], v72
	s_or_b32 s4, vcc_lo, s4
	s_waitcnt vmcnt(2) lgkmcnt(0)
	v_mul_f64 v[80:81], v[76:77], v[70:71]
	v_mul_f64 v[70:71], v[74:75], v[70:71]
	s_waitcnt vmcnt(0)
	v_fma_f64 v[74:75], v[74:75], v[78:79], -v[80:81]
	v_fma_f64 v[70:71], v[76:77], v[78:79], v[70:71]
	v_add_f64 v[1:2], v[1:2], v[74:75]
	v_add_f64 v[3:4], v[3:4], v[70:71]
	s_andn2_b32 exec_lo, exec_lo, s4
	s_cbranch_execnz .LBB30_96
; %bb.97:
	s_or_b32 exec_lo, exec_lo, s4
.LBB30_98:
	s_or_b32 exec_lo, exec_lo, s39
	v_mov_b32_e32 v69, 0
	ds_read_b128 v[69:72], v69 offset:288
	s_waitcnt lgkmcnt(0)
	v_mul_f64 v[74:75], v[3:4], v[71:72]
	v_mul_f64 v[71:72], v[1:2], v[71:72]
	v_fma_f64 v[1:2], v[1:2], v[69:70], -v[74:75]
	v_fma_f64 v[3:4], v[3:4], v[69:70], v[71:72]
	buffer_store_dword v2, off, s[0:3], 0 offset:292
	buffer_store_dword v1, off, s[0:3], 0 offset:288
	buffer_store_dword v4, off, s[0:3], 0 offset:300
	buffer_store_dword v3, off, s[0:3], 0 offset:296
.LBB30_99:
	s_or_b32 exec_lo, exec_lo, s8
	v_mov_b32_e32 v4, s20
	v_cmp_lt_u32_e64 s4, 17, v0
	s_clause 0x3
	buffer_load_dword v1, v4, s[0:3], 0 offen
	buffer_load_dword v2, v4, s[0:3], 0 offen offset:4
	buffer_load_dword v3, v4, s[0:3], 0 offen offset:8
	;; [unrolled: 1-line block ×3, first 2 shown]
	s_waitcnt vmcnt(0)
	ds_write_b128 v68, v[1:4]
	s_waitcnt lgkmcnt(0)
	s_waitcnt_vscnt null, 0x0
	s_barrier
	buffer_gl0_inv
	s_and_saveexec_b32 s8, s4
	s_cbranch_execz .LBB30_107
; %bb.100:
	ds_read_b128 v[1:4], v68
	s_andn2_b32 vcc_lo, exec_lo, s38
	s_cbranch_vccnz .LBB30_102
; %bb.101:
	s_clause 0x3
	buffer_load_dword v69, v67, s[0:3], 0 offen offset:8
	buffer_load_dword v70, v67, s[0:3], 0 offen offset:12
	buffer_load_dword v71, v67, s[0:3], 0 offen
	buffer_load_dword v72, v67, s[0:3], 0 offen offset:4
	s_waitcnt vmcnt(2) lgkmcnt(0)
	v_mul_f64 v[74:75], v[3:4], v[69:70]
	v_mul_f64 v[69:70], v[1:2], v[69:70]
	s_waitcnt vmcnt(0)
	v_fma_f64 v[1:2], v[1:2], v[71:72], -v[74:75]
	v_fma_f64 v[3:4], v[3:4], v[71:72], v[69:70]
.LBB30_102:
	s_and_saveexec_b32 s39, s5
	s_cbranch_execz .LBB30_106
; %bb.103:
	v_subrev_nc_u32_e32 v69, 18, v0
	s_movk_i32 s40, 0x310
	s_mov_b32 s5, 0
	s_mov_b32 s41, s19
	.p2align	6
.LBB30_104:                             ; =>This Inner Loop Header: Depth=1
	v_mov_b32_e32 v72, s41
	v_add_nc_u32_e32 v69, -1, v69
	s_add_i32 s41, s41, 16
	s_clause 0x3
	buffer_load_dword v70, v72, s[0:3], 0 offen offset:8
	buffer_load_dword v71, v72, s[0:3], 0 offen offset:12
	buffer_load_dword v78, v72, s[0:3], 0 offen
	buffer_load_dword v79, v72, s[0:3], 0 offen offset:4
	v_mov_b32_e32 v72, s40
	v_cmp_eq_u32_e32 vcc_lo, 0, v69
	s_add_i32 s40, s40, 16
	ds_read_b128 v[74:77], v72
	s_or_b32 s5, vcc_lo, s5
	s_waitcnt vmcnt(2) lgkmcnt(0)
	v_mul_f64 v[80:81], v[76:77], v[70:71]
	v_mul_f64 v[70:71], v[74:75], v[70:71]
	s_waitcnt vmcnt(0)
	v_fma_f64 v[74:75], v[74:75], v[78:79], -v[80:81]
	v_fma_f64 v[70:71], v[76:77], v[78:79], v[70:71]
	v_add_f64 v[1:2], v[1:2], v[74:75]
	v_add_f64 v[3:4], v[3:4], v[70:71]
	s_andn2_b32 exec_lo, exec_lo, s5
	s_cbranch_execnz .LBB30_104
; %bb.105:
	s_or_b32 exec_lo, exec_lo, s5
.LBB30_106:
	s_or_b32 exec_lo, exec_lo, s39
	v_mov_b32_e32 v69, 0
	ds_read_b128 v[69:72], v69 offset:272
	s_waitcnt lgkmcnt(0)
	v_mul_f64 v[74:75], v[3:4], v[71:72]
	v_mul_f64 v[71:72], v[1:2], v[71:72]
	v_fma_f64 v[1:2], v[1:2], v[69:70], -v[74:75]
	v_fma_f64 v[3:4], v[3:4], v[69:70], v[71:72]
	buffer_store_dword v2, off, s[0:3], 0 offset:276
	buffer_store_dword v1, off, s[0:3], 0 offset:272
	;; [unrolled: 1-line block ×4, first 2 shown]
.LBB30_107:
	s_or_b32 exec_lo, exec_lo, s8
	v_mov_b32_e32 v4, s21
	v_cmp_lt_u32_e64 s5, 16, v0
	s_clause 0x3
	buffer_load_dword v1, v4, s[0:3], 0 offen
	buffer_load_dword v2, v4, s[0:3], 0 offen offset:4
	buffer_load_dword v3, v4, s[0:3], 0 offen offset:8
	;; [unrolled: 1-line block ×3, first 2 shown]
	s_waitcnt vmcnt(0)
	ds_write_b128 v68, v[1:4]
	s_waitcnt lgkmcnt(0)
	s_waitcnt_vscnt null, 0x0
	s_barrier
	buffer_gl0_inv
	s_and_saveexec_b32 s8, s5
	s_cbranch_execz .LBB30_115
; %bb.108:
	ds_read_b128 v[1:4], v68
	s_andn2_b32 vcc_lo, exec_lo, s38
	s_cbranch_vccnz .LBB30_110
; %bb.109:
	s_clause 0x3
	buffer_load_dword v69, v67, s[0:3], 0 offen offset:8
	buffer_load_dword v70, v67, s[0:3], 0 offen offset:12
	buffer_load_dword v71, v67, s[0:3], 0 offen
	buffer_load_dword v72, v67, s[0:3], 0 offen offset:4
	s_waitcnt vmcnt(2) lgkmcnt(0)
	v_mul_f64 v[74:75], v[3:4], v[69:70]
	v_mul_f64 v[69:70], v[1:2], v[69:70]
	s_waitcnt vmcnt(0)
	v_fma_f64 v[1:2], v[1:2], v[71:72], -v[74:75]
	v_fma_f64 v[3:4], v[3:4], v[71:72], v[69:70]
.LBB30_110:
	s_and_saveexec_b32 s39, s4
	s_cbranch_execz .LBB30_114
; %bb.111:
	v_subrev_nc_u32_e32 v69, 17, v0
	s_movk_i32 s40, 0x300
	s_mov_b32 s4, 0
	s_mov_b32 s41, s20
	.p2align	6
.LBB30_112:                             ; =>This Inner Loop Header: Depth=1
	v_mov_b32_e32 v72, s41
	v_add_nc_u32_e32 v69, -1, v69
	s_add_i32 s41, s41, 16
	s_clause 0x3
	buffer_load_dword v70, v72, s[0:3], 0 offen offset:8
	buffer_load_dword v71, v72, s[0:3], 0 offen offset:12
	buffer_load_dword v78, v72, s[0:3], 0 offen
	buffer_load_dword v79, v72, s[0:3], 0 offen offset:4
	v_mov_b32_e32 v72, s40
	v_cmp_eq_u32_e32 vcc_lo, 0, v69
	s_add_i32 s40, s40, 16
	ds_read_b128 v[74:77], v72
	s_or_b32 s4, vcc_lo, s4
	s_waitcnt vmcnt(2) lgkmcnt(0)
	v_mul_f64 v[80:81], v[76:77], v[70:71]
	v_mul_f64 v[70:71], v[74:75], v[70:71]
	s_waitcnt vmcnt(0)
	v_fma_f64 v[74:75], v[74:75], v[78:79], -v[80:81]
	v_fma_f64 v[70:71], v[76:77], v[78:79], v[70:71]
	v_add_f64 v[1:2], v[1:2], v[74:75]
	v_add_f64 v[3:4], v[3:4], v[70:71]
	s_andn2_b32 exec_lo, exec_lo, s4
	s_cbranch_execnz .LBB30_112
; %bb.113:
	s_or_b32 exec_lo, exec_lo, s4
.LBB30_114:
	s_or_b32 exec_lo, exec_lo, s39
	v_mov_b32_e32 v69, 0
	ds_read_b128 v[69:72], v69 offset:256
	s_waitcnt lgkmcnt(0)
	v_mul_f64 v[74:75], v[3:4], v[71:72]
	v_mul_f64 v[71:72], v[1:2], v[71:72]
	v_fma_f64 v[1:2], v[1:2], v[69:70], -v[74:75]
	v_fma_f64 v[3:4], v[3:4], v[69:70], v[71:72]
	buffer_store_dword v2, off, s[0:3], 0 offset:260
	buffer_store_dword v1, off, s[0:3], 0 offset:256
	;; [unrolled: 1-line block ×4, first 2 shown]
.LBB30_115:
	s_or_b32 exec_lo, exec_lo, s8
	v_mov_b32_e32 v4, s22
	v_cmp_lt_u32_e64 s4, 15, v0
	s_clause 0x3
	buffer_load_dword v1, v4, s[0:3], 0 offen
	buffer_load_dword v2, v4, s[0:3], 0 offen offset:4
	buffer_load_dword v3, v4, s[0:3], 0 offen offset:8
	;; [unrolled: 1-line block ×3, first 2 shown]
	s_waitcnt vmcnt(0)
	ds_write_b128 v68, v[1:4]
	s_waitcnt lgkmcnt(0)
	s_waitcnt_vscnt null, 0x0
	s_barrier
	buffer_gl0_inv
	s_and_saveexec_b32 s8, s4
	s_cbranch_execz .LBB30_123
; %bb.116:
	ds_read_b128 v[1:4], v68
	s_andn2_b32 vcc_lo, exec_lo, s38
	s_cbranch_vccnz .LBB30_118
; %bb.117:
	s_clause 0x3
	buffer_load_dword v69, v67, s[0:3], 0 offen offset:8
	buffer_load_dword v70, v67, s[0:3], 0 offen offset:12
	buffer_load_dword v71, v67, s[0:3], 0 offen
	buffer_load_dword v72, v67, s[0:3], 0 offen offset:4
	s_waitcnt vmcnt(2) lgkmcnt(0)
	v_mul_f64 v[74:75], v[3:4], v[69:70]
	v_mul_f64 v[69:70], v[1:2], v[69:70]
	s_waitcnt vmcnt(0)
	v_fma_f64 v[1:2], v[1:2], v[71:72], -v[74:75]
	v_fma_f64 v[3:4], v[3:4], v[71:72], v[69:70]
.LBB30_118:
	s_and_saveexec_b32 s39, s5
	s_cbranch_execz .LBB30_122
; %bb.119:
	v_add_nc_u32_e32 v69, -16, v0
	s_movk_i32 s40, 0x2f0
	s_mov_b32 s5, 0
	s_mov_b32 s41, s21
	.p2align	6
.LBB30_120:                             ; =>This Inner Loop Header: Depth=1
	v_mov_b32_e32 v72, s41
	v_add_nc_u32_e32 v69, -1, v69
	s_add_i32 s41, s41, 16
	s_clause 0x3
	buffer_load_dword v70, v72, s[0:3], 0 offen offset:8
	buffer_load_dword v71, v72, s[0:3], 0 offen offset:12
	buffer_load_dword v78, v72, s[0:3], 0 offen
	buffer_load_dword v79, v72, s[0:3], 0 offen offset:4
	v_mov_b32_e32 v72, s40
	v_cmp_eq_u32_e32 vcc_lo, 0, v69
	s_add_i32 s40, s40, 16
	ds_read_b128 v[74:77], v72
	s_or_b32 s5, vcc_lo, s5
	s_waitcnt vmcnt(2) lgkmcnt(0)
	v_mul_f64 v[80:81], v[76:77], v[70:71]
	v_mul_f64 v[70:71], v[74:75], v[70:71]
	s_waitcnt vmcnt(0)
	v_fma_f64 v[74:75], v[74:75], v[78:79], -v[80:81]
	v_fma_f64 v[70:71], v[76:77], v[78:79], v[70:71]
	v_add_f64 v[1:2], v[1:2], v[74:75]
	v_add_f64 v[3:4], v[3:4], v[70:71]
	s_andn2_b32 exec_lo, exec_lo, s5
	s_cbranch_execnz .LBB30_120
; %bb.121:
	s_or_b32 exec_lo, exec_lo, s5
.LBB30_122:
	s_or_b32 exec_lo, exec_lo, s39
	v_mov_b32_e32 v69, 0
	ds_read_b128 v[69:72], v69 offset:240
	s_waitcnt lgkmcnt(0)
	v_mul_f64 v[74:75], v[3:4], v[71:72]
	v_mul_f64 v[71:72], v[1:2], v[71:72]
	v_fma_f64 v[1:2], v[1:2], v[69:70], -v[74:75]
	v_fma_f64 v[3:4], v[3:4], v[69:70], v[71:72]
	buffer_store_dword v2, off, s[0:3], 0 offset:244
	buffer_store_dword v1, off, s[0:3], 0 offset:240
	buffer_store_dword v4, off, s[0:3], 0 offset:252
	buffer_store_dword v3, off, s[0:3], 0 offset:248
.LBB30_123:
	s_or_b32 exec_lo, exec_lo, s8
	v_mov_b32_e32 v4, s23
	v_cmp_lt_u32_e64 s5, 14, v0
	s_clause 0x3
	buffer_load_dword v1, v4, s[0:3], 0 offen
	buffer_load_dword v2, v4, s[0:3], 0 offen offset:4
	buffer_load_dword v3, v4, s[0:3], 0 offen offset:8
	;; [unrolled: 1-line block ×3, first 2 shown]
	s_waitcnt vmcnt(0)
	ds_write_b128 v68, v[1:4]
	s_waitcnt lgkmcnt(0)
	s_waitcnt_vscnt null, 0x0
	s_barrier
	buffer_gl0_inv
	s_and_saveexec_b32 s8, s5
	s_cbranch_execz .LBB30_131
; %bb.124:
	ds_read_b128 v[1:4], v68
	s_andn2_b32 vcc_lo, exec_lo, s38
	s_cbranch_vccnz .LBB30_126
; %bb.125:
	s_clause 0x3
	buffer_load_dword v69, v67, s[0:3], 0 offen offset:8
	buffer_load_dword v70, v67, s[0:3], 0 offen offset:12
	buffer_load_dword v71, v67, s[0:3], 0 offen
	buffer_load_dword v72, v67, s[0:3], 0 offen offset:4
	s_waitcnt vmcnt(2) lgkmcnt(0)
	v_mul_f64 v[74:75], v[3:4], v[69:70]
	v_mul_f64 v[69:70], v[1:2], v[69:70]
	s_waitcnt vmcnt(0)
	v_fma_f64 v[1:2], v[1:2], v[71:72], -v[74:75]
	v_fma_f64 v[3:4], v[3:4], v[71:72], v[69:70]
.LBB30_126:
	s_and_saveexec_b32 s39, s4
	s_cbranch_execz .LBB30_130
; %bb.127:
	v_add_nc_u32_e32 v69, -15, v0
	s_movk_i32 s40, 0x2e0
	s_mov_b32 s4, 0
	s_mov_b32 s41, s22
	.p2align	6
.LBB30_128:                             ; =>This Inner Loop Header: Depth=1
	v_mov_b32_e32 v72, s41
	v_add_nc_u32_e32 v69, -1, v69
	s_add_i32 s41, s41, 16
	s_clause 0x3
	buffer_load_dword v70, v72, s[0:3], 0 offen offset:8
	buffer_load_dword v71, v72, s[0:3], 0 offen offset:12
	buffer_load_dword v78, v72, s[0:3], 0 offen
	buffer_load_dword v79, v72, s[0:3], 0 offen offset:4
	v_mov_b32_e32 v72, s40
	v_cmp_eq_u32_e32 vcc_lo, 0, v69
	s_add_i32 s40, s40, 16
	ds_read_b128 v[74:77], v72
	s_or_b32 s4, vcc_lo, s4
	s_waitcnt vmcnt(2) lgkmcnt(0)
	v_mul_f64 v[80:81], v[76:77], v[70:71]
	v_mul_f64 v[70:71], v[74:75], v[70:71]
	s_waitcnt vmcnt(0)
	v_fma_f64 v[74:75], v[74:75], v[78:79], -v[80:81]
	v_fma_f64 v[70:71], v[76:77], v[78:79], v[70:71]
	v_add_f64 v[1:2], v[1:2], v[74:75]
	v_add_f64 v[3:4], v[3:4], v[70:71]
	s_andn2_b32 exec_lo, exec_lo, s4
	s_cbranch_execnz .LBB30_128
; %bb.129:
	s_or_b32 exec_lo, exec_lo, s4
.LBB30_130:
	s_or_b32 exec_lo, exec_lo, s39
	v_mov_b32_e32 v69, 0
	ds_read_b128 v[69:72], v69 offset:224
	s_waitcnt lgkmcnt(0)
	v_mul_f64 v[74:75], v[3:4], v[71:72]
	v_mul_f64 v[71:72], v[1:2], v[71:72]
	v_fma_f64 v[1:2], v[1:2], v[69:70], -v[74:75]
	v_fma_f64 v[3:4], v[3:4], v[69:70], v[71:72]
	buffer_store_dword v2, off, s[0:3], 0 offset:228
	buffer_store_dword v1, off, s[0:3], 0 offset:224
	;; [unrolled: 1-line block ×4, first 2 shown]
.LBB30_131:
	s_or_b32 exec_lo, exec_lo, s8
	v_mov_b32_e32 v4, s24
	v_cmp_lt_u32_e64 s4, 13, v0
	s_clause 0x3
	buffer_load_dword v1, v4, s[0:3], 0 offen
	buffer_load_dword v2, v4, s[0:3], 0 offen offset:4
	buffer_load_dword v3, v4, s[0:3], 0 offen offset:8
	;; [unrolled: 1-line block ×3, first 2 shown]
	s_waitcnt vmcnt(0)
	ds_write_b128 v68, v[1:4]
	s_waitcnt lgkmcnt(0)
	s_waitcnt_vscnt null, 0x0
	s_barrier
	buffer_gl0_inv
	s_and_saveexec_b32 s8, s4
	s_cbranch_execz .LBB30_139
; %bb.132:
	ds_read_b128 v[1:4], v68
	s_andn2_b32 vcc_lo, exec_lo, s38
	s_cbranch_vccnz .LBB30_134
; %bb.133:
	s_clause 0x3
	buffer_load_dword v69, v67, s[0:3], 0 offen offset:8
	buffer_load_dword v70, v67, s[0:3], 0 offen offset:12
	buffer_load_dword v71, v67, s[0:3], 0 offen
	buffer_load_dword v72, v67, s[0:3], 0 offen offset:4
	s_waitcnt vmcnt(2) lgkmcnt(0)
	v_mul_f64 v[74:75], v[3:4], v[69:70]
	v_mul_f64 v[69:70], v[1:2], v[69:70]
	s_waitcnt vmcnt(0)
	v_fma_f64 v[1:2], v[1:2], v[71:72], -v[74:75]
	v_fma_f64 v[3:4], v[3:4], v[71:72], v[69:70]
.LBB30_134:
	s_and_saveexec_b32 s39, s5
	s_cbranch_execz .LBB30_138
; %bb.135:
	v_add_nc_u32_e32 v69, -14, v0
	s_movk_i32 s40, 0x2d0
	s_mov_b32 s5, 0
	s_mov_b32 s41, s23
	.p2align	6
.LBB30_136:                             ; =>This Inner Loop Header: Depth=1
	v_mov_b32_e32 v72, s41
	v_add_nc_u32_e32 v69, -1, v69
	s_add_i32 s41, s41, 16
	s_clause 0x3
	buffer_load_dword v70, v72, s[0:3], 0 offen offset:8
	buffer_load_dword v71, v72, s[0:3], 0 offen offset:12
	buffer_load_dword v78, v72, s[0:3], 0 offen
	buffer_load_dword v79, v72, s[0:3], 0 offen offset:4
	v_mov_b32_e32 v72, s40
	v_cmp_eq_u32_e32 vcc_lo, 0, v69
	s_add_i32 s40, s40, 16
	ds_read_b128 v[74:77], v72
	s_or_b32 s5, vcc_lo, s5
	s_waitcnt vmcnt(2) lgkmcnt(0)
	v_mul_f64 v[80:81], v[76:77], v[70:71]
	v_mul_f64 v[70:71], v[74:75], v[70:71]
	s_waitcnt vmcnt(0)
	v_fma_f64 v[74:75], v[74:75], v[78:79], -v[80:81]
	v_fma_f64 v[70:71], v[76:77], v[78:79], v[70:71]
	v_add_f64 v[1:2], v[1:2], v[74:75]
	v_add_f64 v[3:4], v[3:4], v[70:71]
	s_andn2_b32 exec_lo, exec_lo, s5
	s_cbranch_execnz .LBB30_136
; %bb.137:
	s_or_b32 exec_lo, exec_lo, s5
.LBB30_138:
	s_or_b32 exec_lo, exec_lo, s39
	v_mov_b32_e32 v69, 0
	ds_read_b128 v[69:72], v69 offset:208
	s_waitcnt lgkmcnt(0)
	v_mul_f64 v[74:75], v[3:4], v[71:72]
	v_mul_f64 v[71:72], v[1:2], v[71:72]
	v_fma_f64 v[1:2], v[1:2], v[69:70], -v[74:75]
	v_fma_f64 v[3:4], v[3:4], v[69:70], v[71:72]
	buffer_store_dword v2, off, s[0:3], 0 offset:212
	buffer_store_dword v1, off, s[0:3], 0 offset:208
	;; [unrolled: 1-line block ×4, first 2 shown]
.LBB30_139:
	s_or_b32 exec_lo, exec_lo, s8
	v_mov_b32_e32 v4, s25
	v_cmp_lt_u32_e64 s5, 12, v0
	s_clause 0x3
	buffer_load_dword v1, v4, s[0:3], 0 offen
	buffer_load_dword v2, v4, s[0:3], 0 offen offset:4
	buffer_load_dword v3, v4, s[0:3], 0 offen offset:8
	;; [unrolled: 1-line block ×3, first 2 shown]
	s_waitcnt vmcnt(0)
	ds_write_b128 v68, v[1:4]
	s_waitcnt lgkmcnt(0)
	s_waitcnt_vscnt null, 0x0
	s_barrier
	buffer_gl0_inv
	s_and_saveexec_b32 s8, s5
	s_cbranch_execz .LBB30_147
; %bb.140:
	ds_read_b128 v[1:4], v68
	s_andn2_b32 vcc_lo, exec_lo, s38
	s_cbranch_vccnz .LBB30_142
; %bb.141:
	s_clause 0x3
	buffer_load_dword v69, v67, s[0:3], 0 offen offset:8
	buffer_load_dword v70, v67, s[0:3], 0 offen offset:12
	buffer_load_dword v71, v67, s[0:3], 0 offen
	buffer_load_dword v72, v67, s[0:3], 0 offen offset:4
	s_waitcnt vmcnt(2) lgkmcnt(0)
	v_mul_f64 v[74:75], v[3:4], v[69:70]
	v_mul_f64 v[69:70], v[1:2], v[69:70]
	s_waitcnt vmcnt(0)
	v_fma_f64 v[1:2], v[1:2], v[71:72], -v[74:75]
	v_fma_f64 v[3:4], v[3:4], v[71:72], v[69:70]
.LBB30_142:
	s_and_saveexec_b32 s39, s4
	s_cbranch_execz .LBB30_146
; %bb.143:
	v_add_nc_u32_e32 v69, -13, v0
	s_movk_i32 s40, 0x2c0
	s_mov_b32 s4, 0
	s_mov_b32 s41, s24
	.p2align	6
.LBB30_144:                             ; =>This Inner Loop Header: Depth=1
	v_mov_b32_e32 v72, s41
	v_add_nc_u32_e32 v69, -1, v69
	s_add_i32 s41, s41, 16
	s_clause 0x3
	buffer_load_dword v70, v72, s[0:3], 0 offen offset:8
	buffer_load_dword v71, v72, s[0:3], 0 offen offset:12
	buffer_load_dword v78, v72, s[0:3], 0 offen
	buffer_load_dword v79, v72, s[0:3], 0 offen offset:4
	v_mov_b32_e32 v72, s40
	v_cmp_eq_u32_e32 vcc_lo, 0, v69
	s_add_i32 s40, s40, 16
	ds_read_b128 v[74:77], v72
	s_or_b32 s4, vcc_lo, s4
	s_waitcnt vmcnt(2) lgkmcnt(0)
	v_mul_f64 v[80:81], v[76:77], v[70:71]
	v_mul_f64 v[70:71], v[74:75], v[70:71]
	s_waitcnt vmcnt(0)
	v_fma_f64 v[74:75], v[74:75], v[78:79], -v[80:81]
	v_fma_f64 v[70:71], v[76:77], v[78:79], v[70:71]
	v_add_f64 v[1:2], v[1:2], v[74:75]
	v_add_f64 v[3:4], v[3:4], v[70:71]
	s_andn2_b32 exec_lo, exec_lo, s4
	s_cbranch_execnz .LBB30_144
; %bb.145:
	s_or_b32 exec_lo, exec_lo, s4
.LBB30_146:
	s_or_b32 exec_lo, exec_lo, s39
	v_mov_b32_e32 v69, 0
	ds_read_b128 v[69:72], v69 offset:192
	s_waitcnt lgkmcnt(0)
	v_mul_f64 v[74:75], v[3:4], v[71:72]
	v_mul_f64 v[71:72], v[1:2], v[71:72]
	v_fma_f64 v[1:2], v[1:2], v[69:70], -v[74:75]
	v_fma_f64 v[3:4], v[3:4], v[69:70], v[71:72]
	buffer_store_dword v2, off, s[0:3], 0 offset:196
	buffer_store_dword v1, off, s[0:3], 0 offset:192
	;; [unrolled: 1-line block ×4, first 2 shown]
.LBB30_147:
	s_or_b32 exec_lo, exec_lo, s8
	v_mov_b32_e32 v4, s26
	v_cmp_lt_u32_e64 s4, 11, v0
	s_clause 0x3
	buffer_load_dword v1, v4, s[0:3], 0 offen
	buffer_load_dword v2, v4, s[0:3], 0 offen offset:4
	buffer_load_dword v3, v4, s[0:3], 0 offen offset:8
	;; [unrolled: 1-line block ×3, first 2 shown]
	s_waitcnt vmcnt(0)
	ds_write_b128 v68, v[1:4]
	s_waitcnt lgkmcnt(0)
	s_waitcnt_vscnt null, 0x0
	s_barrier
	buffer_gl0_inv
	s_and_saveexec_b32 s8, s4
	s_cbranch_execz .LBB30_155
; %bb.148:
	ds_read_b128 v[1:4], v68
	s_andn2_b32 vcc_lo, exec_lo, s38
	s_cbranch_vccnz .LBB30_150
; %bb.149:
	s_clause 0x3
	buffer_load_dword v69, v67, s[0:3], 0 offen offset:8
	buffer_load_dword v70, v67, s[0:3], 0 offen offset:12
	buffer_load_dword v71, v67, s[0:3], 0 offen
	buffer_load_dword v72, v67, s[0:3], 0 offen offset:4
	s_waitcnt vmcnt(2) lgkmcnt(0)
	v_mul_f64 v[74:75], v[3:4], v[69:70]
	v_mul_f64 v[69:70], v[1:2], v[69:70]
	s_waitcnt vmcnt(0)
	v_fma_f64 v[1:2], v[1:2], v[71:72], -v[74:75]
	v_fma_f64 v[3:4], v[3:4], v[71:72], v[69:70]
.LBB30_150:
	s_and_saveexec_b32 s39, s5
	s_cbranch_execz .LBB30_154
; %bb.151:
	v_add_nc_u32_e32 v69, -12, v0
	s_movk_i32 s40, 0x2b0
	s_mov_b32 s5, 0
	s_mov_b32 s41, s25
	.p2align	6
.LBB30_152:                             ; =>This Inner Loop Header: Depth=1
	v_mov_b32_e32 v72, s41
	v_add_nc_u32_e32 v69, -1, v69
	s_add_i32 s41, s41, 16
	s_clause 0x3
	buffer_load_dword v70, v72, s[0:3], 0 offen offset:8
	buffer_load_dword v71, v72, s[0:3], 0 offen offset:12
	buffer_load_dword v78, v72, s[0:3], 0 offen
	buffer_load_dword v79, v72, s[0:3], 0 offen offset:4
	v_mov_b32_e32 v72, s40
	v_cmp_eq_u32_e32 vcc_lo, 0, v69
	s_add_i32 s40, s40, 16
	ds_read_b128 v[74:77], v72
	s_or_b32 s5, vcc_lo, s5
	s_waitcnt vmcnt(2) lgkmcnt(0)
	v_mul_f64 v[80:81], v[76:77], v[70:71]
	v_mul_f64 v[70:71], v[74:75], v[70:71]
	s_waitcnt vmcnt(0)
	v_fma_f64 v[74:75], v[74:75], v[78:79], -v[80:81]
	v_fma_f64 v[70:71], v[76:77], v[78:79], v[70:71]
	v_add_f64 v[1:2], v[1:2], v[74:75]
	v_add_f64 v[3:4], v[3:4], v[70:71]
	s_andn2_b32 exec_lo, exec_lo, s5
	s_cbranch_execnz .LBB30_152
; %bb.153:
	s_or_b32 exec_lo, exec_lo, s5
.LBB30_154:
	s_or_b32 exec_lo, exec_lo, s39
	v_mov_b32_e32 v69, 0
	ds_read_b128 v[69:72], v69 offset:176
	s_waitcnt lgkmcnt(0)
	v_mul_f64 v[74:75], v[3:4], v[71:72]
	v_mul_f64 v[71:72], v[1:2], v[71:72]
	v_fma_f64 v[1:2], v[1:2], v[69:70], -v[74:75]
	v_fma_f64 v[3:4], v[3:4], v[69:70], v[71:72]
	buffer_store_dword v2, off, s[0:3], 0 offset:180
	buffer_store_dword v1, off, s[0:3], 0 offset:176
	;; [unrolled: 1-line block ×4, first 2 shown]
.LBB30_155:
	s_or_b32 exec_lo, exec_lo, s8
	v_mov_b32_e32 v4, s27
	v_cmp_lt_u32_e64 s5, 10, v0
	s_clause 0x3
	buffer_load_dword v1, v4, s[0:3], 0 offen
	buffer_load_dword v2, v4, s[0:3], 0 offen offset:4
	buffer_load_dword v3, v4, s[0:3], 0 offen offset:8
	;; [unrolled: 1-line block ×3, first 2 shown]
	s_waitcnt vmcnt(0)
	ds_write_b128 v68, v[1:4]
	s_waitcnt lgkmcnt(0)
	s_waitcnt_vscnt null, 0x0
	s_barrier
	buffer_gl0_inv
	s_and_saveexec_b32 s8, s5
	s_cbranch_execz .LBB30_163
; %bb.156:
	ds_read_b128 v[1:4], v68
	s_andn2_b32 vcc_lo, exec_lo, s38
	s_cbranch_vccnz .LBB30_158
; %bb.157:
	s_clause 0x3
	buffer_load_dword v69, v67, s[0:3], 0 offen offset:8
	buffer_load_dword v70, v67, s[0:3], 0 offen offset:12
	buffer_load_dword v71, v67, s[0:3], 0 offen
	buffer_load_dword v72, v67, s[0:3], 0 offen offset:4
	s_waitcnt vmcnt(2) lgkmcnt(0)
	v_mul_f64 v[74:75], v[3:4], v[69:70]
	v_mul_f64 v[69:70], v[1:2], v[69:70]
	s_waitcnt vmcnt(0)
	v_fma_f64 v[1:2], v[1:2], v[71:72], -v[74:75]
	v_fma_f64 v[3:4], v[3:4], v[71:72], v[69:70]
.LBB30_158:
	s_and_saveexec_b32 s39, s4
	s_cbranch_execz .LBB30_162
; %bb.159:
	v_add_nc_u32_e32 v69, -11, v0
	s_movk_i32 s40, 0x2a0
	s_mov_b32 s4, 0
	s_mov_b32 s41, s26
	.p2align	6
.LBB30_160:                             ; =>This Inner Loop Header: Depth=1
	v_mov_b32_e32 v72, s41
	v_add_nc_u32_e32 v69, -1, v69
	s_add_i32 s41, s41, 16
	s_clause 0x3
	buffer_load_dword v70, v72, s[0:3], 0 offen offset:8
	buffer_load_dword v71, v72, s[0:3], 0 offen offset:12
	buffer_load_dword v78, v72, s[0:3], 0 offen
	buffer_load_dword v79, v72, s[0:3], 0 offen offset:4
	v_mov_b32_e32 v72, s40
	v_cmp_eq_u32_e32 vcc_lo, 0, v69
	s_add_i32 s40, s40, 16
	ds_read_b128 v[74:77], v72
	s_or_b32 s4, vcc_lo, s4
	s_waitcnt vmcnt(2) lgkmcnt(0)
	v_mul_f64 v[80:81], v[76:77], v[70:71]
	v_mul_f64 v[70:71], v[74:75], v[70:71]
	s_waitcnt vmcnt(0)
	v_fma_f64 v[74:75], v[74:75], v[78:79], -v[80:81]
	v_fma_f64 v[70:71], v[76:77], v[78:79], v[70:71]
	v_add_f64 v[1:2], v[1:2], v[74:75]
	v_add_f64 v[3:4], v[3:4], v[70:71]
	s_andn2_b32 exec_lo, exec_lo, s4
	s_cbranch_execnz .LBB30_160
; %bb.161:
	s_or_b32 exec_lo, exec_lo, s4
.LBB30_162:
	s_or_b32 exec_lo, exec_lo, s39
	v_mov_b32_e32 v69, 0
	ds_read_b128 v[69:72], v69 offset:160
	s_waitcnt lgkmcnt(0)
	v_mul_f64 v[74:75], v[3:4], v[71:72]
	v_mul_f64 v[71:72], v[1:2], v[71:72]
	v_fma_f64 v[1:2], v[1:2], v[69:70], -v[74:75]
	v_fma_f64 v[3:4], v[3:4], v[69:70], v[71:72]
	buffer_store_dword v2, off, s[0:3], 0 offset:164
	buffer_store_dword v1, off, s[0:3], 0 offset:160
	;; [unrolled: 1-line block ×4, first 2 shown]
.LBB30_163:
	s_or_b32 exec_lo, exec_lo, s8
	v_mov_b32_e32 v4, s28
	v_cmp_lt_u32_e64 s4, 9, v0
	s_clause 0x3
	buffer_load_dword v1, v4, s[0:3], 0 offen
	buffer_load_dword v2, v4, s[0:3], 0 offen offset:4
	buffer_load_dword v3, v4, s[0:3], 0 offen offset:8
	;; [unrolled: 1-line block ×3, first 2 shown]
	s_waitcnt vmcnt(0)
	ds_write_b128 v68, v[1:4]
	s_waitcnt lgkmcnt(0)
	s_waitcnt_vscnt null, 0x0
	s_barrier
	buffer_gl0_inv
	s_and_saveexec_b32 s8, s4
	s_cbranch_execz .LBB30_171
; %bb.164:
	ds_read_b128 v[1:4], v68
	s_andn2_b32 vcc_lo, exec_lo, s38
	s_cbranch_vccnz .LBB30_166
; %bb.165:
	s_clause 0x3
	buffer_load_dword v69, v67, s[0:3], 0 offen offset:8
	buffer_load_dword v70, v67, s[0:3], 0 offen offset:12
	buffer_load_dword v71, v67, s[0:3], 0 offen
	buffer_load_dword v72, v67, s[0:3], 0 offen offset:4
	s_waitcnt vmcnt(2) lgkmcnt(0)
	v_mul_f64 v[74:75], v[3:4], v[69:70]
	v_mul_f64 v[69:70], v[1:2], v[69:70]
	s_waitcnt vmcnt(0)
	v_fma_f64 v[1:2], v[1:2], v[71:72], -v[74:75]
	v_fma_f64 v[3:4], v[3:4], v[71:72], v[69:70]
.LBB30_166:
	s_and_saveexec_b32 s39, s5
	s_cbranch_execz .LBB30_170
; %bb.167:
	v_add_nc_u32_e32 v69, -10, v0
	s_movk_i32 s40, 0x290
	s_mov_b32 s5, 0
	s_mov_b32 s41, s27
	.p2align	6
.LBB30_168:                             ; =>This Inner Loop Header: Depth=1
	v_mov_b32_e32 v72, s41
	v_add_nc_u32_e32 v69, -1, v69
	s_add_i32 s41, s41, 16
	s_clause 0x3
	buffer_load_dword v70, v72, s[0:3], 0 offen offset:8
	buffer_load_dword v71, v72, s[0:3], 0 offen offset:12
	buffer_load_dword v78, v72, s[0:3], 0 offen
	buffer_load_dword v79, v72, s[0:3], 0 offen offset:4
	v_mov_b32_e32 v72, s40
	v_cmp_eq_u32_e32 vcc_lo, 0, v69
	s_add_i32 s40, s40, 16
	ds_read_b128 v[74:77], v72
	s_or_b32 s5, vcc_lo, s5
	s_waitcnt vmcnt(2) lgkmcnt(0)
	v_mul_f64 v[80:81], v[76:77], v[70:71]
	v_mul_f64 v[70:71], v[74:75], v[70:71]
	s_waitcnt vmcnt(0)
	v_fma_f64 v[74:75], v[74:75], v[78:79], -v[80:81]
	v_fma_f64 v[70:71], v[76:77], v[78:79], v[70:71]
	v_add_f64 v[1:2], v[1:2], v[74:75]
	v_add_f64 v[3:4], v[3:4], v[70:71]
	s_andn2_b32 exec_lo, exec_lo, s5
	s_cbranch_execnz .LBB30_168
; %bb.169:
	s_or_b32 exec_lo, exec_lo, s5
.LBB30_170:
	s_or_b32 exec_lo, exec_lo, s39
	v_mov_b32_e32 v69, 0
	ds_read_b128 v[69:72], v69 offset:144
	s_waitcnt lgkmcnt(0)
	v_mul_f64 v[74:75], v[3:4], v[71:72]
	v_mul_f64 v[71:72], v[1:2], v[71:72]
	v_fma_f64 v[1:2], v[1:2], v[69:70], -v[74:75]
	v_fma_f64 v[3:4], v[3:4], v[69:70], v[71:72]
	buffer_store_dword v2, off, s[0:3], 0 offset:148
	buffer_store_dword v1, off, s[0:3], 0 offset:144
	;; [unrolled: 1-line block ×4, first 2 shown]
.LBB30_171:
	s_or_b32 exec_lo, exec_lo, s8
	v_mov_b32_e32 v4, s29
	v_cmp_lt_u32_e64 s5, 8, v0
	s_clause 0x3
	buffer_load_dword v1, v4, s[0:3], 0 offen
	buffer_load_dword v2, v4, s[0:3], 0 offen offset:4
	buffer_load_dword v3, v4, s[0:3], 0 offen offset:8
	;; [unrolled: 1-line block ×3, first 2 shown]
	s_waitcnt vmcnt(0)
	ds_write_b128 v68, v[1:4]
	s_waitcnt lgkmcnt(0)
	s_waitcnt_vscnt null, 0x0
	s_barrier
	buffer_gl0_inv
	s_and_saveexec_b32 s8, s5
	s_cbranch_execz .LBB30_179
; %bb.172:
	ds_read_b128 v[1:4], v68
	s_andn2_b32 vcc_lo, exec_lo, s38
	s_cbranch_vccnz .LBB30_174
; %bb.173:
	s_clause 0x3
	buffer_load_dword v69, v67, s[0:3], 0 offen offset:8
	buffer_load_dword v70, v67, s[0:3], 0 offen offset:12
	buffer_load_dword v71, v67, s[0:3], 0 offen
	buffer_load_dword v72, v67, s[0:3], 0 offen offset:4
	s_waitcnt vmcnt(2) lgkmcnt(0)
	v_mul_f64 v[74:75], v[3:4], v[69:70]
	v_mul_f64 v[69:70], v[1:2], v[69:70]
	s_waitcnt vmcnt(0)
	v_fma_f64 v[1:2], v[1:2], v[71:72], -v[74:75]
	v_fma_f64 v[3:4], v[3:4], v[71:72], v[69:70]
.LBB30_174:
	s_and_saveexec_b32 s39, s4
	s_cbranch_execz .LBB30_178
; %bb.175:
	v_add_nc_u32_e32 v69, -9, v0
	s_movk_i32 s40, 0x280
	s_mov_b32 s4, 0
	s_mov_b32 s41, s28
	.p2align	6
.LBB30_176:                             ; =>This Inner Loop Header: Depth=1
	v_mov_b32_e32 v72, s41
	v_add_nc_u32_e32 v69, -1, v69
	s_add_i32 s41, s41, 16
	s_clause 0x3
	buffer_load_dword v70, v72, s[0:3], 0 offen offset:8
	buffer_load_dword v71, v72, s[0:3], 0 offen offset:12
	buffer_load_dword v78, v72, s[0:3], 0 offen
	buffer_load_dword v79, v72, s[0:3], 0 offen offset:4
	v_mov_b32_e32 v72, s40
	v_cmp_eq_u32_e32 vcc_lo, 0, v69
	s_add_i32 s40, s40, 16
	ds_read_b128 v[74:77], v72
	s_or_b32 s4, vcc_lo, s4
	s_waitcnt vmcnt(2) lgkmcnt(0)
	v_mul_f64 v[80:81], v[76:77], v[70:71]
	v_mul_f64 v[70:71], v[74:75], v[70:71]
	s_waitcnt vmcnt(0)
	v_fma_f64 v[74:75], v[74:75], v[78:79], -v[80:81]
	v_fma_f64 v[70:71], v[76:77], v[78:79], v[70:71]
	v_add_f64 v[1:2], v[1:2], v[74:75]
	v_add_f64 v[3:4], v[3:4], v[70:71]
	s_andn2_b32 exec_lo, exec_lo, s4
	s_cbranch_execnz .LBB30_176
; %bb.177:
	s_or_b32 exec_lo, exec_lo, s4
.LBB30_178:
	s_or_b32 exec_lo, exec_lo, s39
	v_mov_b32_e32 v69, 0
	ds_read_b128 v[69:72], v69 offset:128
	s_waitcnt lgkmcnt(0)
	v_mul_f64 v[74:75], v[3:4], v[71:72]
	v_mul_f64 v[71:72], v[1:2], v[71:72]
	v_fma_f64 v[1:2], v[1:2], v[69:70], -v[74:75]
	v_fma_f64 v[3:4], v[3:4], v[69:70], v[71:72]
	buffer_store_dword v2, off, s[0:3], 0 offset:132
	buffer_store_dword v1, off, s[0:3], 0 offset:128
	;; [unrolled: 1-line block ×4, first 2 shown]
.LBB30_179:
	s_or_b32 exec_lo, exec_lo, s8
	v_mov_b32_e32 v4, s30
	v_cmp_lt_u32_e64 s4, 7, v0
	s_clause 0x3
	buffer_load_dword v1, v4, s[0:3], 0 offen
	buffer_load_dword v2, v4, s[0:3], 0 offen offset:4
	buffer_load_dword v3, v4, s[0:3], 0 offen offset:8
	;; [unrolled: 1-line block ×3, first 2 shown]
	s_waitcnt vmcnt(0)
	ds_write_b128 v68, v[1:4]
	s_waitcnt lgkmcnt(0)
	s_waitcnt_vscnt null, 0x0
	s_barrier
	buffer_gl0_inv
	s_and_saveexec_b32 s8, s4
	s_cbranch_execz .LBB30_187
; %bb.180:
	ds_read_b128 v[1:4], v68
	s_andn2_b32 vcc_lo, exec_lo, s38
	s_cbranch_vccnz .LBB30_182
; %bb.181:
	s_clause 0x3
	buffer_load_dword v69, v67, s[0:3], 0 offen offset:8
	buffer_load_dword v70, v67, s[0:3], 0 offen offset:12
	buffer_load_dword v71, v67, s[0:3], 0 offen
	buffer_load_dword v72, v67, s[0:3], 0 offen offset:4
	s_waitcnt vmcnt(2) lgkmcnt(0)
	v_mul_f64 v[74:75], v[3:4], v[69:70]
	v_mul_f64 v[69:70], v[1:2], v[69:70]
	s_waitcnt vmcnt(0)
	v_fma_f64 v[1:2], v[1:2], v[71:72], -v[74:75]
	v_fma_f64 v[3:4], v[3:4], v[71:72], v[69:70]
.LBB30_182:
	s_and_saveexec_b32 s39, s5
	s_cbranch_execz .LBB30_186
; %bb.183:
	v_add_nc_u32_e32 v69, -8, v0
	s_movk_i32 s40, 0x270
	s_mov_b32 s5, 0
	s_mov_b32 s41, s29
	.p2align	6
.LBB30_184:                             ; =>This Inner Loop Header: Depth=1
	v_mov_b32_e32 v72, s41
	v_add_nc_u32_e32 v69, -1, v69
	s_add_i32 s41, s41, 16
	s_clause 0x3
	buffer_load_dword v70, v72, s[0:3], 0 offen offset:8
	buffer_load_dword v71, v72, s[0:3], 0 offen offset:12
	buffer_load_dword v78, v72, s[0:3], 0 offen
	buffer_load_dword v79, v72, s[0:3], 0 offen offset:4
	v_mov_b32_e32 v72, s40
	v_cmp_eq_u32_e32 vcc_lo, 0, v69
	s_add_i32 s40, s40, 16
	ds_read_b128 v[74:77], v72
	s_or_b32 s5, vcc_lo, s5
	s_waitcnt vmcnt(2) lgkmcnt(0)
	v_mul_f64 v[80:81], v[76:77], v[70:71]
	v_mul_f64 v[70:71], v[74:75], v[70:71]
	s_waitcnt vmcnt(0)
	v_fma_f64 v[74:75], v[74:75], v[78:79], -v[80:81]
	v_fma_f64 v[70:71], v[76:77], v[78:79], v[70:71]
	v_add_f64 v[1:2], v[1:2], v[74:75]
	v_add_f64 v[3:4], v[3:4], v[70:71]
	s_andn2_b32 exec_lo, exec_lo, s5
	s_cbranch_execnz .LBB30_184
; %bb.185:
	s_or_b32 exec_lo, exec_lo, s5
.LBB30_186:
	s_or_b32 exec_lo, exec_lo, s39
	v_mov_b32_e32 v69, 0
	ds_read_b128 v[69:72], v69 offset:112
	s_waitcnt lgkmcnt(0)
	v_mul_f64 v[74:75], v[3:4], v[71:72]
	v_mul_f64 v[71:72], v[1:2], v[71:72]
	v_fma_f64 v[1:2], v[1:2], v[69:70], -v[74:75]
	v_fma_f64 v[3:4], v[3:4], v[69:70], v[71:72]
	buffer_store_dword v2, off, s[0:3], 0 offset:116
	buffer_store_dword v1, off, s[0:3], 0 offset:112
	buffer_store_dword v4, off, s[0:3], 0 offset:124
	buffer_store_dword v3, off, s[0:3], 0 offset:120
.LBB30_187:
	s_or_b32 exec_lo, exec_lo, s8
	v_mov_b32_e32 v4, s31
	v_cmp_lt_u32_e64 s5, 6, v0
	s_clause 0x3
	buffer_load_dword v1, v4, s[0:3], 0 offen
	buffer_load_dword v2, v4, s[0:3], 0 offen offset:4
	buffer_load_dword v3, v4, s[0:3], 0 offen offset:8
	;; [unrolled: 1-line block ×3, first 2 shown]
	s_waitcnt vmcnt(0)
	ds_write_b128 v68, v[1:4]
	s_waitcnt lgkmcnt(0)
	s_waitcnt_vscnt null, 0x0
	s_barrier
	buffer_gl0_inv
	s_and_saveexec_b32 s8, s5
	s_cbranch_execz .LBB30_195
; %bb.188:
	ds_read_b128 v[1:4], v68
	s_andn2_b32 vcc_lo, exec_lo, s38
	s_cbranch_vccnz .LBB30_190
; %bb.189:
	s_clause 0x3
	buffer_load_dword v69, v67, s[0:3], 0 offen offset:8
	buffer_load_dword v70, v67, s[0:3], 0 offen offset:12
	buffer_load_dword v71, v67, s[0:3], 0 offen
	buffer_load_dword v72, v67, s[0:3], 0 offen offset:4
	s_waitcnt vmcnt(2) lgkmcnt(0)
	v_mul_f64 v[74:75], v[3:4], v[69:70]
	v_mul_f64 v[69:70], v[1:2], v[69:70]
	s_waitcnt vmcnt(0)
	v_fma_f64 v[1:2], v[1:2], v[71:72], -v[74:75]
	v_fma_f64 v[3:4], v[3:4], v[71:72], v[69:70]
.LBB30_190:
	s_and_saveexec_b32 s39, s4
	s_cbranch_execz .LBB30_194
; %bb.191:
	v_add_nc_u32_e32 v69, -7, v0
	s_movk_i32 s40, 0x260
	s_mov_b32 s4, 0
	s_mov_b32 s41, s30
	.p2align	6
.LBB30_192:                             ; =>This Inner Loop Header: Depth=1
	v_mov_b32_e32 v72, s41
	v_add_nc_u32_e32 v69, -1, v69
	s_add_i32 s41, s41, 16
	s_clause 0x3
	buffer_load_dword v70, v72, s[0:3], 0 offen offset:8
	buffer_load_dword v71, v72, s[0:3], 0 offen offset:12
	buffer_load_dword v78, v72, s[0:3], 0 offen
	buffer_load_dword v79, v72, s[0:3], 0 offen offset:4
	v_mov_b32_e32 v72, s40
	v_cmp_eq_u32_e32 vcc_lo, 0, v69
	s_add_i32 s40, s40, 16
	ds_read_b128 v[74:77], v72
	s_or_b32 s4, vcc_lo, s4
	s_waitcnt vmcnt(2) lgkmcnt(0)
	v_mul_f64 v[80:81], v[76:77], v[70:71]
	v_mul_f64 v[70:71], v[74:75], v[70:71]
	s_waitcnt vmcnt(0)
	v_fma_f64 v[74:75], v[74:75], v[78:79], -v[80:81]
	v_fma_f64 v[70:71], v[76:77], v[78:79], v[70:71]
	v_add_f64 v[1:2], v[1:2], v[74:75]
	v_add_f64 v[3:4], v[3:4], v[70:71]
	s_andn2_b32 exec_lo, exec_lo, s4
	s_cbranch_execnz .LBB30_192
; %bb.193:
	s_or_b32 exec_lo, exec_lo, s4
.LBB30_194:
	s_or_b32 exec_lo, exec_lo, s39
	v_mov_b32_e32 v69, 0
	ds_read_b128 v[69:72], v69 offset:96
	s_waitcnt lgkmcnt(0)
	v_mul_f64 v[74:75], v[3:4], v[71:72]
	v_mul_f64 v[71:72], v[1:2], v[71:72]
	v_fma_f64 v[1:2], v[1:2], v[69:70], -v[74:75]
	v_fma_f64 v[3:4], v[3:4], v[69:70], v[71:72]
	buffer_store_dword v2, off, s[0:3], 0 offset:100
	buffer_store_dword v1, off, s[0:3], 0 offset:96
	;; [unrolled: 1-line block ×4, first 2 shown]
.LBB30_195:
	s_or_b32 exec_lo, exec_lo, s8
	v_mov_b32_e32 v4, s33
	v_cmp_lt_u32_e64 s4, 5, v0
	s_clause 0x3
	buffer_load_dword v1, v4, s[0:3], 0 offen
	buffer_load_dword v2, v4, s[0:3], 0 offen offset:4
	buffer_load_dword v3, v4, s[0:3], 0 offen offset:8
	;; [unrolled: 1-line block ×3, first 2 shown]
	s_waitcnt vmcnt(0)
	ds_write_b128 v68, v[1:4]
	s_waitcnt lgkmcnt(0)
	s_waitcnt_vscnt null, 0x0
	s_barrier
	buffer_gl0_inv
	s_and_saveexec_b32 s8, s4
	s_cbranch_execz .LBB30_203
; %bb.196:
	ds_read_b128 v[1:4], v68
	s_andn2_b32 vcc_lo, exec_lo, s38
	s_cbranch_vccnz .LBB30_198
; %bb.197:
	s_clause 0x3
	buffer_load_dword v69, v67, s[0:3], 0 offen offset:8
	buffer_load_dword v70, v67, s[0:3], 0 offen offset:12
	buffer_load_dword v71, v67, s[0:3], 0 offen
	buffer_load_dword v72, v67, s[0:3], 0 offen offset:4
	s_waitcnt vmcnt(2) lgkmcnt(0)
	v_mul_f64 v[74:75], v[3:4], v[69:70]
	v_mul_f64 v[69:70], v[1:2], v[69:70]
	s_waitcnt vmcnt(0)
	v_fma_f64 v[1:2], v[1:2], v[71:72], -v[74:75]
	v_fma_f64 v[3:4], v[3:4], v[71:72], v[69:70]
.LBB30_198:
	s_and_saveexec_b32 s39, s5
	s_cbranch_execz .LBB30_202
; %bb.199:
	v_add_nc_u32_e32 v69, -6, v0
	s_movk_i32 s40, 0x250
	s_mov_b32 s5, 0
	s_mov_b32 s41, s31
	.p2align	6
.LBB30_200:                             ; =>This Inner Loop Header: Depth=1
	v_mov_b32_e32 v72, s41
	v_add_nc_u32_e32 v69, -1, v69
	s_add_i32 s41, s41, 16
	s_clause 0x3
	buffer_load_dword v70, v72, s[0:3], 0 offen offset:8
	buffer_load_dword v71, v72, s[0:3], 0 offen offset:12
	buffer_load_dword v78, v72, s[0:3], 0 offen
	buffer_load_dword v79, v72, s[0:3], 0 offen offset:4
	v_mov_b32_e32 v72, s40
	v_cmp_eq_u32_e32 vcc_lo, 0, v69
	s_add_i32 s40, s40, 16
	ds_read_b128 v[74:77], v72
	s_or_b32 s5, vcc_lo, s5
	s_waitcnt vmcnt(2) lgkmcnt(0)
	v_mul_f64 v[80:81], v[76:77], v[70:71]
	v_mul_f64 v[70:71], v[74:75], v[70:71]
	s_waitcnt vmcnt(0)
	v_fma_f64 v[74:75], v[74:75], v[78:79], -v[80:81]
	v_fma_f64 v[70:71], v[76:77], v[78:79], v[70:71]
	v_add_f64 v[1:2], v[1:2], v[74:75]
	v_add_f64 v[3:4], v[3:4], v[70:71]
	s_andn2_b32 exec_lo, exec_lo, s5
	s_cbranch_execnz .LBB30_200
; %bb.201:
	s_or_b32 exec_lo, exec_lo, s5
.LBB30_202:
	s_or_b32 exec_lo, exec_lo, s39
	v_mov_b32_e32 v69, 0
	ds_read_b128 v[69:72], v69 offset:80
	s_waitcnt lgkmcnt(0)
	v_mul_f64 v[74:75], v[3:4], v[71:72]
	v_mul_f64 v[71:72], v[1:2], v[71:72]
	v_fma_f64 v[1:2], v[1:2], v[69:70], -v[74:75]
	v_fma_f64 v[3:4], v[3:4], v[69:70], v[71:72]
	buffer_store_dword v2, off, s[0:3], 0 offset:84
	buffer_store_dword v1, off, s[0:3], 0 offset:80
	;; [unrolled: 1-line block ×4, first 2 shown]
.LBB30_203:
	s_or_b32 exec_lo, exec_lo, s8
	v_mov_b32_e32 v4, s34
	v_cmp_lt_u32_e64 s5, 4, v0
	s_clause 0x3
	buffer_load_dword v1, v4, s[0:3], 0 offen
	buffer_load_dword v2, v4, s[0:3], 0 offen offset:4
	buffer_load_dword v3, v4, s[0:3], 0 offen offset:8
	;; [unrolled: 1-line block ×3, first 2 shown]
	s_waitcnt vmcnt(0)
	ds_write_b128 v68, v[1:4]
	s_waitcnt lgkmcnt(0)
	s_waitcnt_vscnt null, 0x0
	s_barrier
	buffer_gl0_inv
	s_and_saveexec_b32 s8, s5
	s_cbranch_execz .LBB30_211
; %bb.204:
	ds_read_b128 v[1:4], v68
	s_andn2_b32 vcc_lo, exec_lo, s38
	s_cbranch_vccnz .LBB30_206
; %bb.205:
	s_clause 0x3
	buffer_load_dword v69, v67, s[0:3], 0 offen offset:8
	buffer_load_dword v70, v67, s[0:3], 0 offen offset:12
	buffer_load_dword v71, v67, s[0:3], 0 offen
	buffer_load_dword v72, v67, s[0:3], 0 offen offset:4
	s_waitcnt vmcnt(2) lgkmcnt(0)
	v_mul_f64 v[74:75], v[3:4], v[69:70]
	v_mul_f64 v[69:70], v[1:2], v[69:70]
	s_waitcnt vmcnt(0)
	v_fma_f64 v[1:2], v[1:2], v[71:72], -v[74:75]
	v_fma_f64 v[3:4], v[3:4], v[71:72], v[69:70]
.LBB30_206:
	s_and_saveexec_b32 s39, s4
	s_cbranch_execz .LBB30_210
; %bb.207:
	v_add_nc_u32_e32 v69, -5, v0
	s_movk_i32 s40, 0x240
	s_mov_b32 s4, 0
	s_mov_b32 s41, s33
	.p2align	6
.LBB30_208:                             ; =>This Inner Loop Header: Depth=1
	v_mov_b32_e32 v72, s41
	v_add_nc_u32_e32 v69, -1, v69
	s_add_i32 s41, s41, 16
	s_clause 0x3
	buffer_load_dword v70, v72, s[0:3], 0 offen offset:8
	buffer_load_dword v71, v72, s[0:3], 0 offen offset:12
	buffer_load_dword v78, v72, s[0:3], 0 offen
	buffer_load_dword v79, v72, s[0:3], 0 offen offset:4
	v_mov_b32_e32 v72, s40
	v_cmp_eq_u32_e32 vcc_lo, 0, v69
	s_add_i32 s40, s40, 16
	ds_read_b128 v[74:77], v72
	s_or_b32 s4, vcc_lo, s4
	s_waitcnt vmcnt(2) lgkmcnt(0)
	v_mul_f64 v[80:81], v[76:77], v[70:71]
	v_mul_f64 v[70:71], v[74:75], v[70:71]
	s_waitcnt vmcnt(0)
	v_fma_f64 v[74:75], v[74:75], v[78:79], -v[80:81]
	v_fma_f64 v[70:71], v[76:77], v[78:79], v[70:71]
	v_add_f64 v[1:2], v[1:2], v[74:75]
	v_add_f64 v[3:4], v[3:4], v[70:71]
	s_andn2_b32 exec_lo, exec_lo, s4
	s_cbranch_execnz .LBB30_208
; %bb.209:
	s_or_b32 exec_lo, exec_lo, s4
.LBB30_210:
	s_or_b32 exec_lo, exec_lo, s39
	v_mov_b32_e32 v69, 0
	ds_read_b128 v[69:72], v69 offset:64
	s_waitcnt lgkmcnt(0)
	v_mul_f64 v[74:75], v[3:4], v[71:72]
	v_mul_f64 v[71:72], v[1:2], v[71:72]
	v_fma_f64 v[1:2], v[1:2], v[69:70], -v[74:75]
	v_fma_f64 v[3:4], v[3:4], v[69:70], v[71:72]
	buffer_store_dword v2, off, s[0:3], 0 offset:68
	buffer_store_dword v1, off, s[0:3], 0 offset:64
	;; [unrolled: 1-line block ×4, first 2 shown]
.LBB30_211:
	s_or_b32 exec_lo, exec_lo, s8
	v_mov_b32_e32 v4, s35
	v_cmp_lt_u32_e64 s4, 3, v0
	s_clause 0x3
	buffer_load_dword v1, v4, s[0:3], 0 offen
	buffer_load_dword v2, v4, s[0:3], 0 offen offset:4
	buffer_load_dword v3, v4, s[0:3], 0 offen offset:8
	;; [unrolled: 1-line block ×3, first 2 shown]
	s_waitcnt vmcnt(0)
	ds_write_b128 v68, v[1:4]
	s_waitcnt lgkmcnt(0)
	s_waitcnt_vscnt null, 0x0
	s_barrier
	buffer_gl0_inv
	s_and_saveexec_b32 s8, s4
	s_cbranch_execz .LBB30_219
; %bb.212:
	ds_read_b128 v[1:4], v68
	s_andn2_b32 vcc_lo, exec_lo, s38
	s_cbranch_vccnz .LBB30_214
; %bb.213:
	s_clause 0x3
	buffer_load_dword v69, v67, s[0:3], 0 offen offset:8
	buffer_load_dword v70, v67, s[0:3], 0 offen offset:12
	buffer_load_dword v71, v67, s[0:3], 0 offen
	buffer_load_dword v72, v67, s[0:3], 0 offen offset:4
	s_waitcnt vmcnt(2) lgkmcnt(0)
	v_mul_f64 v[74:75], v[3:4], v[69:70]
	v_mul_f64 v[69:70], v[1:2], v[69:70]
	s_waitcnt vmcnt(0)
	v_fma_f64 v[1:2], v[1:2], v[71:72], -v[74:75]
	v_fma_f64 v[3:4], v[3:4], v[71:72], v[69:70]
.LBB30_214:
	s_and_saveexec_b32 s39, s5
	s_cbranch_execz .LBB30_218
; %bb.215:
	v_add_nc_u32_e32 v69, -4, v0
	s_movk_i32 s40, 0x230
	s_mov_b32 s5, 0
	s_mov_b32 s41, s34
	.p2align	6
.LBB30_216:                             ; =>This Inner Loop Header: Depth=1
	v_mov_b32_e32 v72, s41
	v_add_nc_u32_e32 v69, -1, v69
	s_add_i32 s41, s41, 16
	s_clause 0x3
	buffer_load_dword v70, v72, s[0:3], 0 offen offset:8
	buffer_load_dword v71, v72, s[0:3], 0 offen offset:12
	buffer_load_dword v78, v72, s[0:3], 0 offen
	buffer_load_dword v79, v72, s[0:3], 0 offen offset:4
	v_mov_b32_e32 v72, s40
	v_cmp_eq_u32_e32 vcc_lo, 0, v69
	s_add_i32 s40, s40, 16
	ds_read_b128 v[74:77], v72
	s_or_b32 s5, vcc_lo, s5
	s_waitcnt vmcnt(2) lgkmcnt(0)
	v_mul_f64 v[80:81], v[76:77], v[70:71]
	v_mul_f64 v[70:71], v[74:75], v[70:71]
	s_waitcnt vmcnt(0)
	v_fma_f64 v[74:75], v[74:75], v[78:79], -v[80:81]
	v_fma_f64 v[70:71], v[76:77], v[78:79], v[70:71]
	v_add_f64 v[1:2], v[1:2], v[74:75]
	v_add_f64 v[3:4], v[3:4], v[70:71]
	s_andn2_b32 exec_lo, exec_lo, s5
	s_cbranch_execnz .LBB30_216
; %bb.217:
	s_or_b32 exec_lo, exec_lo, s5
.LBB30_218:
	s_or_b32 exec_lo, exec_lo, s39
	v_mov_b32_e32 v69, 0
	ds_read_b128 v[69:72], v69 offset:48
	s_waitcnt lgkmcnt(0)
	v_mul_f64 v[74:75], v[3:4], v[71:72]
	v_mul_f64 v[71:72], v[1:2], v[71:72]
	v_fma_f64 v[1:2], v[1:2], v[69:70], -v[74:75]
	v_fma_f64 v[3:4], v[3:4], v[69:70], v[71:72]
	buffer_store_dword v2, off, s[0:3], 0 offset:52
	buffer_store_dword v1, off, s[0:3], 0 offset:48
	;; [unrolled: 1-line block ×4, first 2 shown]
.LBB30_219:
	s_or_b32 exec_lo, exec_lo, s8
	v_mov_b32_e32 v4, s36
	v_cmp_lt_u32_e64 s5, 2, v0
	s_clause 0x3
	buffer_load_dword v1, v4, s[0:3], 0 offen
	buffer_load_dword v2, v4, s[0:3], 0 offen offset:4
	buffer_load_dword v3, v4, s[0:3], 0 offen offset:8
	;; [unrolled: 1-line block ×3, first 2 shown]
	s_waitcnt vmcnt(0)
	ds_write_b128 v68, v[1:4]
	s_waitcnt lgkmcnt(0)
	s_waitcnt_vscnt null, 0x0
	s_barrier
	buffer_gl0_inv
	s_and_saveexec_b32 s8, s5
	s_cbranch_execz .LBB30_227
; %bb.220:
	ds_read_b128 v[1:4], v68
	s_andn2_b32 vcc_lo, exec_lo, s38
	s_cbranch_vccnz .LBB30_222
; %bb.221:
	s_clause 0x3
	buffer_load_dword v69, v67, s[0:3], 0 offen offset:8
	buffer_load_dword v70, v67, s[0:3], 0 offen offset:12
	buffer_load_dword v71, v67, s[0:3], 0 offen
	buffer_load_dword v72, v67, s[0:3], 0 offen offset:4
	s_waitcnt vmcnt(2) lgkmcnt(0)
	v_mul_f64 v[74:75], v[3:4], v[69:70]
	v_mul_f64 v[69:70], v[1:2], v[69:70]
	s_waitcnt vmcnt(0)
	v_fma_f64 v[1:2], v[1:2], v[71:72], -v[74:75]
	v_fma_f64 v[3:4], v[3:4], v[71:72], v[69:70]
.LBB30_222:
	s_and_saveexec_b32 s39, s4
	s_cbranch_execz .LBB30_226
; %bb.223:
	v_add_nc_u32_e32 v69, -3, v0
	s_movk_i32 s40, 0x220
	s_mov_b32 s4, 0
	s_mov_b32 s41, s35
	.p2align	6
.LBB30_224:                             ; =>This Inner Loop Header: Depth=1
	v_mov_b32_e32 v72, s41
	v_add_nc_u32_e32 v69, -1, v69
	s_add_i32 s41, s41, 16
	s_clause 0x3
	buffer_load_dword v70, v72, s[0:3], 0 offen offset:8
	buffer_load_dword v71, v72, s[0:3], 0 offen offset:12
	buffer_load_dword v78, v72, s[0:3], 0 offen
	buffer_load_dword v79, v72, s[0:3], 0 offen offset:4
	v_mov_b32_e32 v72, s40
	v_cmp_eq_u32_e32 vcc_lo, 0, v69
	s_add_i32 s40, s40, 16
	ds_read_b128 v[74:77], v72
	s_or_b32 s4, vcc_lo, s4
	s_waitcnt vmcnt(2) lgkmcnt(0)
	v_mul_f64 v[80:81], v[76:77], v[70:71]
	v_mul_f64 v[70:71], v[74:75], v[70:71]
	s_waitcnt vmcnt(0)
	v_fma_f64 v[74:75], v[74:75], v[78:79], -v[80:81]
	v_fma_f64 v[70:71], v[76:77], v[78:79], v[70:71]
	v_add_f64 v[1:2], v[1:2], v[74:75]
	v_add_f64 v[3:4], v[3:4], v[70:71]
	s_andn2_b32 exec_lo, exec_lo, s4
	s_cbranch_execnz .LBB30_224
; %bb.225:
	s_or_b32 exec_lo, exec_lo, s4
.LBB30_226:
	s_or_b32 exec_lo, exec_lo, s39
	v_mov_b32_e32 v69, 0
	ds_read_b128 v[69:72], v69 offset:32
	s_waitcnt lgkmcnt(0)
	v_mul_f64 v[74:75], v[3:4], v[71:72]
	v_mul_f64 v[71:72], v[1:2], v[71:72]
	v_fma_f64 v[1:2], v[1:2], v[69:70], -v[74:75]
	v_fma_f64 v[3:4], v[3:4], v[69:70], v[71:72]
	buffer_store_dword v2, off, s[0:3], 0 offset:36
	buffer_store_dword v1, off, s[0:3], 0 offset:32
	;; [unrolled: 1-line block ×4, first 2 shown]
.LBB30_227:
	s_or_b32 exec_lo, exec_lo, s8
	v_mov_b32_e32 v4, s37
	v_cmp_lt_u32_e64 s4, 1, v0
	s_clause 0x3
	buffer_load_dword v1, v4, s[0:3], 0 offen
	buffer_load_dword v2, v4, s[0:3], 0 offen offset:4
	buffer_load_dword v3, v4, s[0:3], 0 offen offset:8
	;; [unrolled: 1-line block ×3, first 2 shown]
	s_waitcnt vmcnt(0)
	ds_write_b128 v68, v[1:4]
	s_waitcnt lgkmcnt(0)
	s_waitcnt_vscnt null, 0x0
	s_barrier
	buffer_gl0_inv
	s_and_saveexec_b32 s8, s4
	s_cbranch_execz .LBB30_235
; %bb.228:
	ds_read_b128 v[1:4], v68
	s_andn2_b32 vcc_lo, exec_lo, s38
	s_cbranch_vccnz .LBB30_230
; %bb.229:
	s_clause 0x3
	buffer_load_dword v69, v67, s[0:3], 0 offen offset:8
	buffer_load_dword v70, v67, s[0:3], 0 offen offset:12
	buffer_load_dword v71, v67, s[0:3], 0 offen
	buffer_load_dword v72, v67, s[0:3], 0 offen offset:4
	s_waitcnt vmcnt(2) lgkmcnt(0)
	v_mul_f64 v[74:75], v[3:4], v[69:70]
	v_mul_f64 v[69:70], v[1:2], v[69:70]
	s_waitcnt vmcnt(0)
	v_fma_f64 v[1:2], v[1:2], v[71:72], -v[74:75]
	v_fma_f64 v[3:4], v[3:4], v[71:72], v[69:70]
.LBB30_230:
	s_and_saveexec_b32 s39, s5
	s_cbranch_execz .LBB30_234
; %bb.231:
	v_add_nc_u32_e32 v69, -2, v0
	s_movk_i32 s40, 0x210
	s_mov_b32 s5, 0
	s_mov_b32 s41, s36
	.p2align	6
.LBB30_232:                             ; =>This Inner Loop Header: Depth=1
	v_mov_b32_e32 v72, s41
	v_add_nc_u32_e32 v69, -1, v69
	s_add_i32 s41, s41, 16
	s_clause 0x3
	buffer_load_dword v70, v72, s[0:3], 0 offen offset:8
	buffer_load_dword v71, v72, s[0:3], 0 offen offset:12
	buffer_load_dword v78, v72, s[0:3], 0 offen
	buffer_load_dword v79, v72, s[0:3], 0 offen offset:4
	v_mov_b32_e32 v72, s40
	v_cmp_eq_u32_e32 vcc_lo, 0, v69
	s_add_i32 s40, s40, 16
	ds_read_b128 v[74:77], v72
	s_or_b32 s5, vcc_lo, s5
	s_waitcnt vmcnt(2) lgkmcnt(0)
	v_mul_f64 v[80:81], v[76:77], v[70:71]
	v_mul_f64 v[70:71], v[74:75], v[70:71]
	s_waitcnt vmcnt(0)
	v_fma_f64 v[74:75], v[74:75], v[78:79], -v[80:81]
	v_fma_f64 v[70:71], v[76:77], v[78:79], v[70:71]
	v_add_f64 v[1:2], v[1:2], v[74:75]
	v_add_f64 v[3:4], v[3:4], v[70:71]
	s_andn2_b32 exec_lo, exec_lo, s5
	s_cbranch_execnz .LBB30_232
; %bb.233:
	s_or_b32 exec_lo, exec_lo, s5
.LBB30_234:
	s_or_b32 exec_lo, exec_lo, s39
	v_mov_b32_e32 v69, 0
	ds_read_b128 v[69:72], v69 offset:16
	s_waitcnt lgkmcnt(0)
	v_mul_f64 v[74:75], v[3:4], v[71:72]
	v_mul_f64 v[71:72], v[1:2], v[71:72]
	v_fma_f64 v[1:2], v[1:2], v[69:70], -v[74:75]
	v_fma_f64 v[3:4], v[3:4], v[69:70], v[71:72]
	buffer_store_dword v2, off, s[0:3], 0 offset:20
	buffer_store_dword v1, off, s[0:3], 0 offset:16
	;; [unrolled: 1-line block ×4, first 2 shown]
.LBB30_235:
	s_or_b32 exec_lo, exec_lo, s8
	s_clause 0x3
	buffer_load_dword v1, off, s[0:3], 0
	buffer_load_dword v2, off, s[0:3], 0 offset:4
	buffer_load_dword v3, off, s[0:3], 0 offset:8
	;; [unrolled: 1-line block ×3, first 2 shown]
	s_mov_b32 s8, 0
	s_mov_b32 s5, 0
	s_mov_b32 s39, exec_lo
                                        ; implicit-def: $sgpr40
	s_waitcnt vmcnt(0)
	ds_write_b128 v68, v[1:4]
	s_waitcnt lgkmcnt(0)
	s_waitcnt_vscnt null, 0x0
	s_barrier
	buffer_gl0_inv
                                        ; implicit-def: $vgpr1_vgpr2
	v_cmpx_ne_u32_e32 0, v0
	s_cbranch_execz .LBB30_243
; %bb.236:
	ds_read_b128 v[1:4], v68
	s_andn2_b32 vcc_lo, exec_lo, s38
	s_cbranch_vccnz .LBB30_238
; %bb.237:
	s_clause 0x3
	buffer_load_dword v69, v67, s[0:3], 0 offen offset:8
	buffer_load_dword v70, v67, s[0:3], 0 offen offset:12
	buffer_load_dword v71, v67, s[0:3], 0 offen
	buffer_load_dword v72, v67, s[0:3], 0 offen offset:4
	s_waitcnt vmcnt(2) lgkmcnt(0)
	v_mul_f64 v[74:75], v[3:4], v[69:70]
	v_mul_f64 v[69:70], v[1:2], v[69:70]
	s_waitcnt vmcnt(0)
	v_fma_f64 v[1:2], v[1:2], v[71:72], -v[74:75]
	v_fma_f64 v[3:4], v[3:4], v[71:72], v[69:70]
.LBB30_238:
	s_and_saveexec_b32 s5, s4
	s_cbranch_execz .LBB30_242
; %bb.239:
	v_add_nc_u32_e32 v69, -1, v0
	s_movk_i32 s40, 0x200
	s_mov_b32 s4, 0
	s_mov_b32 s41, s37
	.p2align	6
.LBB30_240:                             ; =>This Inner Loop Header: Depth=1
	v_mov_b32_e32 v72, s41
	v_add_nc_u32_e32 v69, -1, v69
	s_add_i32 s41, s41, 16
	s_clause 0x3
	buffer_load_dword v70, v72, s[0:3], 0 offen offset:8
	buffer_load_dword v71, v72, s[0:3], 0 offen offset:12
	buffer_load_dword v78, v72, s[0:3], 0 offen
	buffer_load_dword v79, v72, s[0:3], 0 offen offset:4
	v_mov_b32_e32 v72, s40
	v_cmp_eq_u32_e32 vcc_lo, 0, v69
	s_add_i32 s40, s40, 16
	ds_read_b128 v[74:77], v72
	s_or_b32 s4, vcc_lo, s4
	s_waitcnt vmcnt(2) lgkmcnt(0)
	v_mul_f64 v[80:81], v[76:77], v[70:71]
	v_mul_f64 v[70:71], v[74:75], v[70:71]
	s_waitcnt vmcnt(0)
	v_fma_f64 v[74:75], v[74:75], v[78:79], -v[80:81]
	v_fma_f64 v[70:71], v[76:77], v[78:79], v[70:71]
	v_add_f64 v[1:2], v[1:2], v[74:75]
	v_add_f64 v[3:4], v[3:4], v[70:71]
	s_andn2_b32 exec_lo, exec_lo, s4
	s_cbranch_execnz .LBB30_240
; %bb.241:
	s_or_b32 exec_lo, exec_lo, s4
.LBB30_242:
	s_or_b32 exec_lo, exec_lo, s5
	v_mov_b32_e32 v69, 0
	s_mov_b32 s5, exec_lo
	s_or_b32 s40, 0, 8
	ds_read_b128 v[69:72], v69
	s_waitcnt lgkmcnt(0)
	v_mul_f64 v[74:75], v[3:4], v[71:72]
	v_mul_f64 v[71:72], v[1:2], v[71:72]
	v_fma_f64 v[74:75], v[1:2], v[69:70], -v[74:75]
	v_fma_f64 v[1:2], v[3:4], v[69:70], v[71:72]
	buffer_store_dword v75, off, s[0:3], 0 offset:4
	buffer_store_dword v74, off, s[0:3], 0
.LBB30_243:
	s_or_b32 exec_lo, exec_lo, s39
	s_and_b32 vcc_lo, exec_lo, s8
	s_cbranch_vccnz .LBB30_245
	s_branch .LBB30_480
.LBB30_244:
	s_mov_b32 s5, 0
                                        ; implicit-def: $vgpr1_vgpr2
                                        ; implicit-def: $sgpr40
	s_cbranch_execz .LBB30_480
.LBB30_245:
	v_mov_b32_e32 v4, s37
	v_cmp_eq_u32_e64 s4, 0, v0
	v_cndmask_b32_e64 v69, 0, 1, s38
	s_clause 0x3
	buffer_load_dword v1, v4, s[0:3], 0 offen
	buffer_load_dword v2, v4, s[0:3], 0 offen offset:4
	buffer_load_dword v3, v4, s[0:3], 0 offen offset:8
	;; [unrolled: 1-line block ×3, first 2 shown]
	s_waitcnt vmcnt(0)
	ds_write_b128 v68, v[1:4]
	s_waitcnt lgkmcnt(0)
	s_waitcnt_vscnt null, 0x0
	s_barrier
	buffer_gl0_inv
	s_and_saveexec_b32 s8, s4
	s_cbranch_execz .LBB30_249
; %bb.246:
	ds_read_b128 v[1:4], v68
	s_andn2_b32 vcc_lo, exec_lo, s38
	s_cbranch_vccnz .LBB30_248
; %bb.247:
	s_clause 0x3
	buffer_load_dword v70, v67, s[0:3], 0 offen offset:8
	buffer_load_dword v71, v67, s[0:3], 0 offen offset:12
	buffer_load_dword v74, v67, s[0:3], 0 offen
	buffer_load_dword v75, v67, s[0:3], 0 offen offset:4
	s_waitcnt vmcnt(2) lgkmcnt(0)
	v_mul_f64 v[76:77], v[3:4], v[70:71]
	v_mul_f64 v[70:71], v[1:2], v[70:71]
	s_waitcnt vmcnt(0)
	v_fma_f64 v[1:2], v[1:2], v[74:75], -v[76:77]
	v_fma_f64 v[3:4], v[3:4], v[74:75], v[70:71]
.LBB30_248:
	v_mov_b32_e32 v70, 0
	ds_read_b128 v[74:77], v70 offset:16
	s_waitcnt lgkmcnt(0)
	v_mul_f64 v[70:71], v[3:4], v[76:77]
	v_mul_f64 v[76:77], v[1:2], v[76:77]
	v_fma_f64 v[1:2], v[1:2], v[74:75], -v[70:71]
	v_fma_f64 v[3:4], v[3:4], v[74:75], v[76:77]
	buffer_store_dword v2, off, s[0:3], 0 offset:20
	buffer_store_dword v1, off, s[0:3], 0 offset:16
	buffer_store_dword v4, off, s[0:3], 0 offset:28
	buffer_store_dword v3, off, s[0:3], 0 offset:24
.LBB30_249:
	s_or_b32 exec_lo, exec_lo, s8
	v_mov_b32_e32 v4, s36
	s_mov_b32 s8, exec_lo
	s_clause 0x3
	buffer_load_dword v1, v4, s[0:3], 0 offen
	buffer_load_dword v2, v4, s[0:3], 0 offen offset:4
	buffer_load_dword v3, v4, s[0:3], 0 offen offset:8
	;; [unrolled: 1-line block ×3, first 2 shown]
	s_waitcnt vmcnt(0)
	ds_write_b128 v68, v[1:4]
	s_waitcnt lgkmcnt(0)
	s_waitcnt_vscnt null, 0x0
	s_barrier
	buffer_gl0_inv
	v_cmpx_gt_u32_e32 2, v0
	s_cbranch_execz .LBB30_255
; %bb.250:
	ds_read_b128 v[1:4], v68
	v_cmp_ne_u32_e32 vcc_lo, 1, v69
	s_cbranch_vccnz .LBB30_252
; %bb.251:
	s_clause 0x3
	buffer_load_dword v70, v67, s[0:3], 0 offen offset:8
	buffer_load_dword v71, v67, s[0:3], 0 offen offset:12
	buffer_load_dword v74, v67, s[0:3], 0 offen
	buffer_load_dword v75, v67, s[0:3], 0 offen offset:4
	s_waitcnt vmcnt(2) lgkmcnt(0)
	v_mul_f64 v[76:77], v[3:4], v[70:71]
	v_mul_f64 v[70:71], v[1:2], v[70:71]
	s_waitcnt vmcnt(0)
	v_fma_f64 v[1:2], v[1:2], v[74:75], -v[76:77]
	v_fma_f64 v[3:4], v[3:4], v[74:75], v[70:71]
.LBB30_252:
	s_and_saveexec_b32 s38, s4
	s_cbranch_execz .LBB30_254
; %bb.253:
	s_clause 0x3
	buffer_load_dword v70, off, s[0:3], 0 offset:24
	buffer_load_dword v71, off, s[0:3], 0 offset:28
	;; [unrolled: 1-line block ×4, first 2 shown]
	v_mov_b32_e32 v72, 0
	ds_read_b128 v[74:77], v72 offset:512
	s_waitcnt vmcnt(2) lgkmcnt(0)
	v_mul_f64 v[80:81], v[76:77], v[70:71]
	v_mul_f64 v[70:71], v[74:75], v[70:71]
	s_waitcnt vmcnt(0)
	v_fma_f64 v[74:75], v[74:75], v[78:79], -v[80:81]
	v_fma_f64 v[70:71], v[76:77], v[78:79], v[70:71]
	v_add_f64 v[1:2], v[1:2], v[74:75]
	v_add_f64 v[3:4], v[3:4], v[70:71]
.LBB30_254:
	s_or_b32 exec_lo, exec_lo, s38
	v_mov_b32_e32 v70, 0
	ds_read_b128 v[74:77], v70 offset:32
	s_waitcnt lgkmcnt(0)
	v_mul_f64 v[70:71], v[3:4], v[76:77]
	v_mul_f64 v[76:77], v[1:2], v[76:77]
	v_fma_f64 v[1:2], v[1:2], v[74:75], -v[70:71]
	v_fma_f64 v[3:4], v[3:4], v[74:75], v[76:77]
	buffer_store_dword v2, off, s[0:3], 0 offset:36
	buffer_store_dword v1, off, s[0:3], 0 offset:32
	;; [unrolled: 1-line block ×4, first 2 shown]
.LBB30_255:
	s_or_b32 exec_lo, exec_lo, s8
	v_mov_b32_e32 v4, s35
	s_mov_b32 s8, exec_lo
	s_clause 0x3
	buffer_load_dword v1, v4, s[0:3], 0 offen
	buffer_load_dword v2, v4, s[0:3], 0 offen offset:4
	buffer_load_dword v3, v4, s[0:3], 0 offen offset:8
	;; [unrolled: 1-line block ×3, first 2 shown]
	s_waitcnt vmcnt(0)
	ds_write_b128 v68, v[1:4]
	s_waitcnt lgkmcnt(0)
	s_waitcnt_vscnt null, 0x0
	s_barrier
	buffer_gl0_inv
	v_cmpx_gt_u32_e32 3, v0
	s_cbranch_execz .LBB30_263
; %bb.256:
	ds_read_b128 v[1:4], v68
	v_cmp_ne_u32_e32 vcc_lo, 1, v69
	s_cbranch_vccnz .LBB30_258
; %bb.257:
	s_clause 0x3
	buffer_load_dword v70, v67, s[0:3], 0 offen offset:8
	buffer_load_dword v71, v67, s[0:3], 0 offen offset:12
	buffer_load_dword v74, v67, s[0:3], 0 offen
	buffer_load_dword v75, v67, s[0:3], 0 offen offset:4
	s_waitcnt vmcnt(2) lgkmcnt(0)
	v_mul_f64 v[76:77], v[3:4], v[70:71]
	v_mul_f64 v[70:71], v[1:2], v[70:71]
	s_waitcnt vmcnt(0)
	v_fma_f64 v[1:2], v[1:2], v[74:75], -v[76:77]
	v_fma_f64 v[3:4], v[3:4], v[74:75], v[70:71]
.LBB30_258:
	s_mov_b32 s38, exec_lo
	v_cmpx_ne_u32_e32 2, v0
	s_cbranch_execz .LBB30_262
; %bb.259:
	s_clause 0x3
	buffer_load_dword v70, v67, s[0:3], 0 offen offset:24
	buffer_load_dword v71, v67, s[0:3], 0 offen offset:28
	buffer_load_dword v78, v67, s[0:3], 0 offen offset:16
	buffer_load_dword v79, v67, s[0:3], 0 offen offset:20
	ds_read_b128 v[74:77], v68 offset:16
	s_waitcnt vmcnt(2) lgkmcnt(0)
	v_mul_f64 v[80:81], v[76:77], v[70:71]
	v_mul_f64 v[70:71], v[74:75], v[70:71]
	s_waitcnt vmcnt(0)
	v_fma_f64 v[74:75], v[74:75], v[78:79], -v[80:81]
	v_fma_f64 v[70:71], v[76:77], v[78:79], v[70:71]
	v_add_f64 v[1:2], v[1:2], v[74:75]
	v_add_f64 v[3:4], v[3:4], v[70:71]
	s_and_saveexec_b32 s39, s4
	s_cbranch_execz .LBB30_261
; %bb.260:
	s_clause 0x3
	buffer_load_dword v70, off, s[0:3], 0 offset:40
	buffer_load_dword v71, off, s[0:3], 0 offset:44
	;; [unrolled: 1-line block ×4, first 2 shown]
	v_mov_b32_e32 v72, 0
	ds_read_b128 v[74:77], v72 offset:528
	s_waitcnt vmcnt(2) lgkmcnt(0)
	v_mul_f64 v[80:81], v[74:75], v[70:71]
	v_mul_f64 v[70:71], v[76:77], v[70:71]
	s_waitcnt vmcnt(0)
	v_fma_f64 v[76:77], v[76:77], v[78:79], v[80:81]
	v_fma_f64 v[70:71], v[74:75], v[78:79], -v[70:71]
	v_add_f64 v[3:4], v[3:4], v[76:77]
	v_add_f64 v[1:2], v[1:2], v[70:71]
.LBB30_261:
	s_or_b32 exec_lo, exec_lo, s39
.LBB30_262:
	s_or_b32 exec_lo, exec_lo, s38
	v_mov_b32_e32 v70, 0
	ds_read_b128 v[74:77], v70 offset:48
	s_waitcnt lgkmcnt(0)
	v_mul_f64 v[70:71], v[3:4], v[76:77]
	v_mul_f64 v[76:77], v[1:2], v[76:77]
	v_fma_f64 v[1:2], v[1:2], v[74:75], -v[70:71]
	v_fma_f64 v[3:4], v[3:4], v[74:75], v[76:77]
	buffer_store_dword v2, off, s[0:3], 0 offset:52
	buffer_store_dword v1, off, s[0:3], 0 offset:48
	;; [unrolled: 1-line block ×4, first 2 shown]
.LBB30_263:
	s_or_b32 exec_lo, exec_lo, s8
	v_mov_b32_e32 v4, s34
	s_mov_b32 s4, exec_lo
	s_clause 0x3
	buffer_load_dword v1, v4, s[0:3], 0 offen
	buffer_load_dword v2, v4, s[0:3], 0 offen offset:4
	buffer_load_dword v3, v4, s[0:3], 0 offen offset:8
	;; [unrolled: 1-line block ×3, first 2 shown]
	s_waitcnt vmcnt(0)
	ds_write_b128 v68, v[1:4]
	s_waitcnt lgkmcnt(0)
	s_waitcnt_vscnt null, 0x0
	s_barrier
	buffer_gl0_inv
	v_cmpx_gt_u32_e32 4, v0
	s_cbranch_execz .LBB30_271
; %bb.264:
	ds_read_b128 v[1:4], v68
	v_cmp_ne_u32_e32 vcc_lo, 1, v69
	s_cbranch_vccnz .LBB30_266
; %bb.265:
	s_clause 0x3
	buffer_load_dword v70, v67, s[0:3], 0 offen offset:8
	buffer_load_dword v71, v67, s[0:3], 0 offen offset:12
	buffer_load_dword v74, v67, s[0:3], 0 offen
	buffer_load_dword v75, v67, s[0:3], 0 offen offset:4
	s_waitcnt vmcnt(2) lgkmcnt(0)
	v_mul_f64 v[76:77], v[3:4], v[70:71]
	v_mul_f64 v[70:71], v[1:2], v[70:71]
	s_waitcnt vmcnt(0)
	v_fma_f64 v[1:2], v[1:2], v[74:75], -v[76:77]
	v_fma_f64 v[3:4], v[3:4], v[74:75], v[70:71]
.LBB30_266:
	s_mov_b32 s8, exec_lo
	v_cmpx_ne_u32_e32 3, v0
	s_cbranch_execz .LBB30_270
; %bb.267:
	v_add_nc_u32_e32 v70, 0x200, v73
	v_add3_u32 v71, 0, v73, 16
	v_mov_b32_e32 v72, v0
	s_mov_b32 s38, 0
	.p2align	6
.LBB30_268:                             ; =>This Inner Loop Header: Depth=1
	s_clause 0x3
	buffer_load_dword v78, v71, s[0:3], 0 offen offset:8
	buffer_load_dword v79, v71, s[0:3], 0 offen offset:12
	buffer_load_dword v80, v71, s[0:3], 0 offen
	buffer_load_dword v81, v71, s[0:3], 0 offen offset:4
	ds_read_b128 v[74:77], v70
	v_add_nc_u32_e32 v72, 1, v72
	v_add_nc_u32_e32 v70, 16, v70
	;; [unrolled: 1-line block ×3, first 2 shown]
	v_cmp_lt_u32_e32 vcc_lo, 2, v72
	s_or_b32 s38, vcc_lo, s38
	s_waitcnt vmcnt(2) lgkmcnt(0)
	v_mul_f64 v[82:83], v[76:77], v[78:79]
	v_mul_f64 v[78:79], v[74:75], v[78:79]
	s_waitcnt vmcnt(0)
	v_fma_f64 v[74:75], v[74:75], v[80:81], -v[82:83]
	v_fma_f64 v[76:77], v[76:77], v[80:81], v[78:79]
	v_add_f64 v[1:2], v[1:2], v[74:75]
	v_add_f64 v[3:4], v[3:4], v[76:77]
	s_andn2_b32 exec_lo, exec_lo, s38
	s_cbranch_execnz .LBB30_268
; %bb.269:
	s_or_b32 exec_lo, exec_lo, s38
.LBB30_270:
	s_or_b32 exec_lo, exec_lo, s8
	v_mov_b32_e32 v70, 0
	ds_read_b128 v[74:77], v70 offset:64
	s_waitcnt lgkmcnt(0)
	v_mul_f64 v[70:71], v[3:4], v[76:77]
	v_mul_f64 v[76:77], v[1:2], v[76:77]
	v_fma_f64 v[1:2], v[1:2], v[74:75], -v[70:71]
	v_fma_f64 v[3:4], v[3:4], v[74:75], v[76:77]
	buffer_store_dword v2, off, s[0:3], 0 offset:68
	buffer_store_dword v1, off, s[0:3], 0 offset:64
	;; [unrolled: 1-line block ×4, first 2 shown]
.LBB30_271:
	s_or_b32 exec_lo, exec_lo, s4
	v_mov_b32_e32 v4, s33
	s_mov_b32 s4, exec_lo
	s_clause 0x3
	buffer_load_dword v1, v4, s[0:3], 0 offen
	buffer_load_dword v2, v4, s[0:3], 0 offen offset:4
	buffer_load_dword v3, v4, s[0:3], 0 offen offset:8
	buffer_load_dword v4, v4, s[0:3], 0 offen offset:12
	s_waitcnt vmcnt(0)
	ds_write_b128 v68, v[1:4]
	s_waitcnt lgkmcnt(0)
	s_waitcnt_vscnt null, 0x0
	s_barrier
	buffer_gl0_inv
	v_cmpx_gt_u32_e32 5, v0
	s_cbranch_execz .LBB30_279
; %bb.272:
	ds_read_b128 v[1:4], v68
	v_cmp_ne_u32_e32 vcc_lo, 1, v69
	s_cbranch_vccnz .LBB30_274
; %bb.273:
	s_clause 0x3
	buffer_load_dword v70, v67, s[0:3], 0 offen offset:8
	buffer_load_dword v71, v67, s[0:3], 0 offen offset:12
	buffer_load_dword v74, v67, s[0:3], 0 offen
	buffer_load_dword v75, v67, s[0:3], 0 offen offset:4
	s_waitcnt vmcnt(2) lgkmcnt(0)
	v_mul_f64 v[76:77], v[3:4], v[70:71]
	v_mul_f64 v[70:71], v[1:2], v[70:71]
	s_waitcnt vmcnt(0)
	v_fma_f64 v[1:2], v[1:2], v[74:75], -v[76:77]
	v_fma_f64 v[3:4], v[3:4], v[74:75], v[70:71]
.LBB30_274:
	s_mov_b32 s8, exec_lo
	v_cmpx_ne_u32_e32 4, v0
	s_cbranch_execz .LBB30_278
; %bb.275:
	v_add_nc_u32_e32 v70, 0x200, v73
	v_add3_u32 v71, 0, v73, 16
	v_mov_b32_e32 v72, v0
	s_mov_b32 s38, 0
	.p2align	6
.LBB30_276:                             ; =>This Inner Loop Header: Depth=1
	s_clause 0x3
	buffer_load_dword v78, v71, s[0:3], 0 offen offset:8
	buffer_load_dword v79, v71, s[0:3], 0 offen offset:12
	buffer_load_dword v80, v71, s[0:3], 0 offen
	buffer_load_dword v81, v71, s[0:3], 0 offen offset:4
	ds_read_b128 v[74:77], v70
	v_add_nc_u32_e32 v72, 1, v72
	v_add_nc_u32_e32 v70, 16, v70
	;; [unrolled: 1-line block ×3, first 2 shown]
	v_cmp_lt_u32_e32 vcc_lo, 3, v72
	s_or_b32 s38, vcc_lo, s38
	s_waitcnt vmcnt(2) lgkmcnt(0)
	v_mul_f64 v[82:83], v[76:77], v[78:79]
	v_mul_f64 v[78:79], v[74:75], v[78:79]
	s_waitcnt vmcnt(0)
	v_fma_f64 v[74:75], v[74:75], v[80:81], -v[82:83]
	v_fma_f64 v[76:77], v[76:77], v[80:81], v[78:79]
	v_add_f64 v[1:2], v[1:2], v[74:75]
	v_add_f64 v[3:4], v[3:4], v[76:77]
	s_andn2_b32 exec_lo, exec_lo, s38
	s_cbranch_execnz .LBB30_276
; %bb.277:
	s_or_b32 exec_lo, exec_lo, s38
.LBB30_278:
	s_or_b32 exec_lo, exec_lo, s8
	v_mov_b32_e32 v70, 0
	ds_read_b128 v[74:77], v70 offset:80
	s_waitcnt lgkmcnt(0)
	v_mul_f64 v[70:71], v[3:4], v[76:77]
	v_mul_f64 v[76:77], v[1:2], v[76:77]
	v_fma_f64 v[1:2], v[1:2], v[74:75], -v[70:71]
	v_fma_f64 v[3:4], v[3:4], v[74:75], v[76:77]
	buffer_store_dword v2, off, s[0:3], 0 offset:84
	buffer_store_dword v1, off, s[0:3], 0 offset:80
	;; [unrolled: 1-line block ×4, first 2 shown]
.LBB30_279:
	s_or_b32 exec_lo, exec_lo, s4
	v_mov_b32_e32 v4, s31
	s_mov_b32 s4, exec_lo
	s_clause 0x3
	buffer_load_dword v1, v4, s[0:3], 0 offen
	buffer_load_dword v2, v4, s[0:3], 0 offen offset:4
	buffer_load_dword v3, v4, s[0:3], 0 offen offset:8
	;; [unrolled: 1-line block ×3, first 2 shown]
	s_waitcnt vmcnt(0)
	ds_write_b128 v68, v[1:4]
	s_waitcnt lgkmcnt(0)
	s_waitcnt_vscnt null, 0x0
	s_barrier
	buffer_gl0_inv
	v_cmpx_gt_u32_e32 6, v0
	s_cbranch_execz .LBB30_287
; %bb.280:
	ds_read_b128 v[1:4], v68
	v_cmp_ne_u32_e32 vcc_lo, 1, v69
	s_cbranch_vccnz .LBB30_282
; %bb.281:
	s_clause 0x3
	buffer_load_dword v70, v67, s[0:3], 0 offen offset:8
	buffer_load_dword v71, v67, s[0:3], 0 offen offset:12
	buffer_load_dword v74, v67, s[0:3], 0 offen
	buffer_load_dword v75, v67, s[0:3], 0 offen offset:4
	s_waitcnt vmcnt(2) lgkmcnt(0)
	v_mul_f64 v[76:77], v[3:4], v[70:71]
	v_mul_f64 v[70:71], v[1:2], v[70:71]
	s_waitcnt vmcnt(0)
	v_fma_f64 v[1:2], v[1:2], v[74:75], -v[76:77]
	v_fma_f64 v[3:4], v[3:4], v[74:75], v[70:71]
.LBB30_282:
	s_mov_b32 s8, exec_lo
	v_cmpx_ne_u32_e32 5, v0
	s_cbranch_execz .LBB30_286
; %bb.283:
	v_add_nc_u32_e32 v70, 0x200, v73
	v_add3_u32 v71, 0, v73, 16
	v_mov_b32_e32 v72, v0
	s_mov_b32 s38, 0
	.p2align	6
.LBB30_284:                             ; =>This Inner Loop Header: Depth=1
	s_clause 0x3
	buffer_load_dword v78, v71, s[0:3], 0 offen offset:8
	buffer_load_dword v79, v71, s[0:3], 0 offen offset:12
	buffer_load_dword v80, v71, s[0:3], 0 offen
	buffer_load_dword v81, v71, s[0:3], 0 offen offset:4
	ds_read_b128 v[74:77], v70
	v_add_nc_u32_e32 v72, 1, v72
	v_add_nc_u32_e32 v70, 16, v70
	;; [unrolled: 1-line block ×3, first 2 shown]
	v_cmp_lt_u32_e32 vcc_lo, 4, v72
	s_or_b32 s38, vcc_lo, s38
	s_waitcnt vmcnt(2) lgkmcnt(0)
	v_mul_f64 v[82:83], v[76:77], v[78:79]
	v_mul_f64 v[78:79], v[74:75], v[78:79]
	s_waitcnt vmcnt(0)
	v_fma_f64 v[74:75], v[74:75], v[80:81], -v[82:83]
	v_fma_f64 v[76:77], v[76:77], v[80:81], v[78:79]
	v_add_f64 v[1:2], v[1:2], v[74:75]
	v_add_f64 v[3:4], v[3:4], v[76:77]
	s_andn2_b32 exec_lo, exec_lo, s38
	s_cbranch_execnz .LBB30_284
; %bb.285:
	s_or_b32 exec_lo, exec_lo, s38
.LBB30_286:
	s_or_b32 exec_lo, exec_lo, s8
	v_mov_b32_e32 v70, 0
	ds_read_b128 v[74:77], v70 offset:96
	s_waitcnt lgkmcnt(0)
	v_mul_f64 v[70:71], v[3:4], v[76:77]
	v_mul_f64 v[76:77], v[1:2], v[76:77]
	v_fma_f64 v[1:2], v[1:2], v[74:75], -v[70:71]
	v_fma_f64 v[3:4], v[3:4], v[74:75], v[76:77]
	buffer_store_dword v2, off, s[0:3], 0 offset:100
	buffer_store_dword v1, off, s[0:3], 0 offset:96
	;; [unrolled: 1-line block ×4, first 2 shown]
.LBB30_287:
	s_or_b32 exec_lo, exec_lo, s4
	v_mov_b32_e32 v4, s30
	s_mov_b32 s4, exec_lo
	s_clause 0x3
	buffer_load_dword v1, v4, s[0:3], 0 offen
	buffer_load_dword v2, v4, s[0:3], 0 offen offset:4
	buffer_load_dword v3, v4, s[0:3], 0 offen offset:8
	;; [unrolled: 1-line block ×3, first 2 shown]
	s_waitcnt vmcnt(0)
	ds_write_b128 v68, v[1:4]
	s_waitcnt lgkmcnt(0)
	s_waitcnt_vscnt null, 0x0
	s_barrier
	buffer_gl0_inv
	v_cmpx_gt_u32_e32 7, v0
	s_cbranch_execz .LBB30_295
; %bb.288:
	ds_read_b128 v[1:4], v68
	v_cmp_ne_u32_e32 vcc_lo, 1, v69
	s_cbranch_vccnz .LBB30_290
; %bb.289:
	s_clause 0x3
	buffer_load_dword v70, v67, s[0:3], 0 offen offset:8
	buffer_load_dword v71, v67, s[0:3], 0 offen offset:12
	buffer_load_dword v74, v67, s[0:3], 0 offen
	buffer_load_dword v75, v67, s[0:3], 0 offen offset:4
	s_waitcnt vmcnt(2) lgkmcnt(0)
	v_mul_f64 v[76:77], v[3:4], v[70:71]
	v_mul_f64 v[70:71], v[1:2], v[70:71]
	s_waitcnt vmcnt(0)
	v_fma_f64 v[1:2], v[1:2], v[74:75], -v[76:77]
	v_fma_f64 v[3:4], v[3:4], v[74:75], v[70:71]
.LBB30_290:
	s_mov_b32 s8, exec_lo
	v_cmpx_ne_u32_e32 6, v0
	s_cbranch_execz .LBB30_294
; %bb.291:
	v_add_nc_u32_e32 v70, 0x200, v73
	v_add3_u32 v71, 0, v73, 16
	v_mov_b32_e32 v72, v0
	s_mov_b32 s38, 0
	.p2align	6
.LBB30_292:                             ; =>This Inner Loop Header: Depth=1
	s_clause 0x3
	buffer_load_dword v78, v71, s[0:3], 0 offen offset:8
	buffer_load_dword v79, v71, s[0:3], 0 offen offset:12
	buffer_load_dword v80, v71, s[0:3], 0 offen
	buffer_load_dword v81, v71, s[0:3], 0 offen offset:4
	ds_read_b128 v[74:77], v70
	v_add_nc_u32_e32 v72, 1, v72
	v_add_nc_u32_e32 v70, 16, v70
	;; [unrolled: 1-line block ×3, first 2 shown]
	v_cmp_lt_u32_e32 vcc_lo, 5, v72
	s_or_b32 s38, vcc_lo, s38
	s_waitcnt vmcnt(2) lgkmcnt(0)
	v_mul_f64 v[82:83], v[76:77], v[78:79]
	v_mul_f64 v[78:79], v[74:75], v[78:79]
	s_waitcnt vmcnt(0)
	v_fma_f64 v[74:75], v[74:75], v[80:81], -v[82:83]
	v_fma_f64 v[76:77], v[76:77], v[80:81], v[78:79]
	v_add_f64 v[1:2], v[1:2], v[74:75]
	v_add_f64 v[3:4], v[3:4], v[76:77]
	s_andn2_b32 exec_lo, exec_lo, s38
	s_cbranch_execnz .LBB30_292
; %bb.293:
	s_or_b32 exec_lo, exec_lo, s38
.LBB30_294:
	s_or_b32 exec_lo, exec_lo, s8
	v_mov_b32_e32 v70, 0
	ds_read_b128 v[74:77], v70 offset:112
	s_waitcnt lgkmcnt(0)
	v_mul_f64 v[70:71], v[3:4], v[76:77]
	v_mul_f64 v[76:77], v[1:2], v[76:77]
	v_fma_f64 v[1:2], v[1:2], v[74:75], -v[70:71]
	v_fma_f64 v[3:4], v[3:4], v[74:75], v[76:77]
	buffer_store_dword v2, off, s[0:3], 0 offset:116
	buffer_store_dword v1, off, s[0:3], 0 offset:112
	;; [unrolled: 1-line block ×4, first 2 shown]
.LBB30_295:
	s_or_b32 exec_lo, exec_lo, s4
	v_mov_b32_e32 v4, s29
	s_mov_b32 s4, exec_lo
	s_clause 0x3
	buffer_load_dword v1, v4, s[0:3], 0 offen
	buffer_load_dword v2, v4, s[0:3], 0 offen offset:4
	buffer_load_dword v3, v4, s[0:3], 0 offen offset:8
	;; [unrolled: 1-line block ×3, first 2 shown]
	s_waitcnt vmcnt(0)
	ds_write_b128 v68, v[1:4]
	s_waitcnt lgkmcnt(0)
	s_waitcnt_vscnt null, 0x0
	s_barrier
	buffer_gl0_inv
	v_cmpx_gt_u32_e32 8, v0
	s_cbranch_execz .LBB30_303
; %bb.296:
	ds_read_b128 v[1:4], v68
	v_cmp_ne_u32_e32 vcc_lo, 1, v69
	s_cbranch_vccnz .LBB30_298
; %bb.297:
	s_clause 0x3
	buffer_load_dword v70, v67, s[0:3], 0 offen offset:8
	buffer_load_dword v71, v67, s[0:3], 0 offen offset:12
	buffer_load_dword v74, v67, s[0:3], 0 offen
	buffer_load_dword v75, v67, s[0:3], 0 offen offset:4
	s_waitcnt vmcnt(2) lgkmcnt(0)
	v_mul_f64 v[76:77], v[3:4], v[70:71]
	v_mul_f64 v[70:71], v[1:2], v[70:71]
	s_waitcnt vmcnt(0)
	v_fma_f64 v[1:2], v[1:2], v[74:75], -v[76:77]
	v_fma_f64 v[3:4], v[3:4], v[74:75], v[70:71]
.LBB30_298:
	s_mov_b32 s8, exec_lo
	v_cmpx_ne_u32_e32 7, v0
	s_cbranch_execz .LBB30_302
; %bb.299:
	v_add_nc_u32_e32 v70, 0x200, v73
	v_add3_u32 v71, 0, v73, 16
	v_mov_b32_e32 v72, v0
	s_mov_b32 s38, 0
	.p2align	6
.LBB30_300:                             ; =>This Inner Loop Header: Depth=1
	s_clause 0x3
	buffer_load_dword v78, v71, s[0:3], 0 offen offset:8
	buffer_load_dword v79, v71, s[0:3], 0 offen offset:12
	buffer_load_dword v80, v71, s[0:3], 0 offen
	buffer_load_dword v81, v71, s[0:3], 0 offen offset:4
	ds_read_b128 v[74:77], v70
	v_add_nc_u32_e32 v72, 1, v72
	v_add_nc_u32_e32 v70, 16, v70
	;; [unrolled: 1-line block ×3, first 2 shown]
	v_cmp_lt_u32_e32 vcc_lo, 6, v72
	s_or_b32 s38, vcc_lo, s38
	s_waitcnt vmcnt(2) lgkmcnt(0)
	v_mul_f64 v[82:83], v[76:77], v[78:79]
	v_mul_f64 v[78:79], v[74:75], v[78:79]
	s_waitcnt vmcnt(0)
	v_fma_f64 v[74:75], v[74:75], v[80:81], -v[82:83]
	v_fma_f64 v[76:77], v[76:77], v[80:81], v[78:79]
	v_add_f64 v[1:2], v[1:2], v[74:75]
	v_add_f64 v[3:4], v[3:4], v[76:77]
	s_andn2_b32 exec_lo, exec_lo, s38
	s_cbranch_execnz .LBB30_300
; %bb.301:
	s_or_b32 exec_lo, exec_lo, s38
.LBB30_302:
	s_or_b32 exec_lo, exec_lo, s8
	v_mov_b32_e32 v70, 0
	ds_read_b128 v[74:77], v70 offset:128
	s_waitcnt lgkmcnt(0)
	v_mul_f64 v[70:71], v[3:4], v[76:77]
	v_mul_f64 v[76:77], v[1:2], v[76:77]
	v_fma_f64 v[1:2], v[1:2], v[74:75], -v[70:71]
	v_fma_f64 v[3:4], v[3:4], v[74:75], v[76:77]
	buffer_store_dword v2, off, s[0:3], 0 offset:132
	buffer_store_dword v1, off, s[0:3], 0 offset:128
	;; [unrolled: 1-line block ×4, first 2 shown]
.LBB30_303:
	s_or_b32 exec_lo, exec_lo, s4
	v_mov_b32_e32 v4, s28
	s_mov_b32 s4, exec_lo
	s_clause 0x3
	buffer_load_dword v1, v4, s[0:3], 0 offen
	buffer_load_dword v2, v4, s[0:3], 0 offen offset:4
	buffer_load_dword v3, v4, s[0:3], 0 offen offset:8
	;; [unrolled: 1-line block ×3, first 2 shown]
	s_waitcnt vmcnt(0)
	ds_write_b128 v68, v[1:4]
	s_waitcnt lgkmcnt(0)
	s_waitcnt_vscnt null, 0x0
	s_barrier
	buffer_gl0_inv
	v_cmpx_gt_u32_e32 9, v0
	s_cbranch_execz .LBB30_311
; %bb.304:
	ds_read_b128 v[1:4], v68
	v_cmp_ne_u32_e32 vcc_lo, 1, v69
	s_cbranch_vccnz .LBB30_306
; %bb.305:
	s_clause 0x3
	buffer_load_dword v70, v67, s[0:3], 0 offen offset:8
	buffer_load_dword v71, v67, s[0:3], 0 offen offset:12
	buffer_load_dword v74, v67, s[0:3], 0 offen
	buffer_load_dword v75, v67, s[0:3], 0 offen offset:4
	s_waitcnt vmcnt(2) lgkmcnt(0)
	v_mul_f64 v[76:77], v[3:4], v[70:71]
	v_mul_f64 v[70:71], v[1:2], v[70:71]
	s_waitcnt vmcnt(0)
	v_fma_f64 v[1:2], v[1:2], v[74:75], -v[76:77]
	v_fma_f64 v[3:4], v[3:4], v[74:75], v[70:71]
.LBB30_306:
	s_mov_b32 s8, exec_lo
	v_cmpx_ne_u32_e32 8, v0
	s_cbranch_execz .LBB30_310
; %bb.307:
	v_add_nc_u32_e32 v70, 0x200, v73
	v_add3_u32 v71, 0, v73, 16
	v_mov_b32_e32 v72, v0
	s_mov_b32 s38, 0
	.p2align	6
.LBB30_308:                             ; =>This Inner Loop Header: Depth=1
	s_clause 0x3
	buffer_load_dword v78, v71, s[0:3], 0 offen offset:8
	buffer_load_dword v79, v71, s[0:3], 0 offen offset:12
	buffer_load_dword v80, v71, s[0:3], 0 offen
	buffer_load_dword v81, v71, s[0:3], 0 offen offset:4
	ds_read_b128 v[74:77], v70
	v_add_nc_u32_e32 v72, 1, v72
	v_add_nc_u32_e32 v70, 16, v70
	;; [unrolled: 1-line block ×3, first 2 shown]
	v_cmp_lt_u32_e32 vcc_lo, 7, v72
	s_or_b32 s38, vcc_lo, s38
	s_waitcnt vmcnt(2) lgkmcnt(0)
	v_mul_f64 v[82:83], v[76:77], v[78:79]
	v_mul_f64 v[78:79], v[74:75], v[78:79]
	s_waitcnt vmcnt(0)
	v_fma_f64 v[74:75], v[74:75], v[80:81], -v[82:83]
	v_fma_f64 v[76:77], v[76:77], v[80:81], v[78:79]
	v_add_f64 v[1:2], v[1:2], v[74:75]
	v_add_f64 v[3:4], v[3:4], v[76:77]
	s_andn2_b32 exec_lo, exec_lo, s38
	s_cbranch_execnz .LBB30_308
; %bb.309:
	s_or_b32 exec_lo, exec_lo, s38
.LBB30_310:
	s_or_b32 exec_lo, exec_lo, s8
	v_mov_b32_e32 v70, 0
	ds_read_b128 v[74:77], v70 offset:144
	s_waitcnt lgkmcnt(0)
	v_mul_f64 v[70:71], v[3:4], v[76:77]
	v_mul_f64 v[76:77], v[1:2], v[76:77]
	v_fma_f64 v[1:2], v[1:2], v[74:75], -v[70:71]
	v_fma_f64 v[3:4], v[3:4], v[74:75], v[76:77]
	buffer_store_dword v2, off, s[0:3], 0 offset:148
	buffer_store_dword v1, off, s[0:3], 0 offset:144
	;; [unrolled: 1-line block ×4, first 2 shown]
.LBB30_311:
	s_or_b32 exec_lo, exec_lo, s4
	v_mov_b32_e32 v4, s27
	s_mov_b32 s4, exec_lo
	s_clause 0x3
	buffer_load_dword v1, v4, s[0:3], 0 offen
	buffer_load_dword v2, v4, s[0:3], 0 offen offset:4
	buffer_load_dword v3, v4, s[0:3], 0 offen offset:8
	;; [unrolled: 1-line block ×3, first 2 shown]
	s_waitcnt vmcnt(0)
	ds_write_b128 v68, v[1:4]
	s_waitcnt lgkmcnt(0)
	s_waitcnt_vscnt null, 0x0
	s_barrier
	buffer_gl0_inv
	v_cmpx_gt_u32_e32 10, v0
	s_cbranch_execz .LBB30_319
; %bb.312:
	ds_read_b128 v[1:4], v68
	v_cmp_ne_u32_e32 vcc_lo, 1, v69
	s_cbranch_vccnz .LBB30_314
; %bb.313:
	s_clause 0x3
	buffer_load_dword v70, v67, s[0:3], 0 offen offset:8
	buffer_load_dword v71, v67, s[0:3], 0 offen offset:12
	buffer_load_dword v74, v67, s[0:3], 0 offen
	buffer_load_dword v75, v67, s[0:3], 0 offen offset:4
	s_waitcnt vmcnt(2) lgkmcnt(0)
	v_mul_f64 v[76:77], v[3:4], v[70:71]
	v_mul_f64 v[70:71], v[1:2], v[70:71]
	s_waitcnt vmcnt(0)
	v_fma_f64 v[1:2], v[1:2], v[74:75], -v[76:77]
	v_fma_f64 v[3:4], v[3:4], v[74:75], v[70:71]
.LBB30_314:
	s_mov_b32 s8, exec_lo
	v_cmpx_ne_u32_e32 9, v0
	s_cbranch_execz .LBB30_318
; %bb.315:
	v_add_nc_u32_e32 v70, 0x200, v73
	v_add3_u32 v71, 0, v73, 16
	v_mov_b32_e32 v72, v0
	s_mov_b32 s38, 0
	.p2align	6
.LBB30_316:                             ; =>This Inner Loop Header: Depth=1
	s_clause 0x3
	buffer_load_dword v78, v71, s[0:3], 0 offen offset:8
	buffer_load_dword v79, v71, s[0:3], 0 offen offset:12
	buffer_load_dword v80, v71, s[0:3], 0 offen
	buffer_load_dword v81, v71, s[0:3], 0 offen offset:4
	ds_read_b128 v[74:77], v70
	v_add_nc_u32_e32 v72, 1, v72
	v_add_nc_u32_e32 v70, 16, v70
	;; [unrolled: 1-line block ×3, first 2 shown]
	v_cmp_lt_u32_e32 vcc_lo, 8, v72
	s_or_b32 s38, vcc_lo, s38
	s_waitcnt vmcnt(2) lgkmcnt(0)
	v_mul_f64 v[82:83], v[76:77], v[78:79]
	v_mul_f64 v[78:79], v[74:75], v[78:79]
	s_waitcnt vmcnt(0)
	v_fma_f64 v[74:75], v[74:75], v[80:81], -v[82:83]
	v_fma_f64 v[76:77], v[76:77], v[80:81], v[78:79]
	v_add_f64 v[1:2], v[1:2], v[74:75]
	v_add_f64 v[3:4], v[3:4], v[76:77]
	s_andn2_b32 exec_lo, exec_lo, s38
	s_cbranch_execnz .LBB30_316
; %bb.317:
	s_or_b32 exec_lo, exec_lo, s38
.LBB30_318:
	s_or_b32 exec_lo, exec_lo, s8
	v_mov_b32_e32 v70, 0
	ds_read_b128 v[74:77], v70 offset:160
	s_waitcnt lgkmcnt(0)
	v_mul_f64 v[70:71], v[3:4], v[76:77]
	v_mul_f64 v[76:77], v[1:2], v[76:77]
	v_fma_f64 v[1:2], v[1:2], v[74:75], -v[70:71]
	v_fma_f64 v[3:4], v[3:4], v[74:75], v[76:77]
	buffer_store_dword v2, off, s[0:3], 0 offset:164
	buffer_store_dword v1, off, s[0:3], 0 offset:160
	;; [unrolled: 1-line block ×4, first 2 shown]
.LBB30_319:
	s_or_b32 exec_lo, exec_lo, s4
	v_mov_b32_e32 v4, s26
	s_mov_b32 s4, exec_lo
	s_clause 0x3
	buffer_load_dword v1, v4, s[0:3], 0 offen
	buffer_load_dword v2, v4, s[0:3], 0 offen offset:4
	buffer_load_dword v3, v4, s[0:3], 0 offen offset:8
	buffer_load_dword v4, v4, s[0:3], 0 offen offset:12
	s_waitcnt vmcnt(0)
	ds_write_b128 v68, v[1:4]
	s_waitcnt lgkmcnt(0)
	s_waitcnt_vscnt null, 0x0
	s_barrier
	buffer_gl0_inv
	v_cmpx_gt_u32_e32 11, v0
	s_cbranch_execz .LBB30_327
; %bb.320:
	ds_read_b128 v[1:4], v68
	v_cmp_ne_u32_e32 vcc_lo, 1, v69
	s_cbranch_vccnz .LBB30_322
; %bb.321:
	s_clause 0x3
	buffer_load_dword v70, v67, s[0:3], 0 offen offset:8
	buffer_load_dword v71, v67, s[0:3], 0 offen offset:12
	buffer_load_dword v74, v67, s[0:3], 0 offen
	buffer_load_dword v75, v67, s[0:3], 0 offen offset:4
	s_waitcnt vmcnt(2) lgkmcnt(0)
	v_mul_f64 v[76:77], v[3:4], v[70:71]
	v_mul_f64 v[70:71], v[1:2], v[70:71]
	s_waitcnt vmcnt(0)
	v_fma_f64 v[1:2], v[1:2], v[74:75], -v[76:77]
	v_fma_f64 v[3:4], v[3:4], v[74:75], v[70:71]
.LBB30_322:
	s_mov_b32 s8, exec_lo
	v_cmpx_ne_u32_e32 10, v0
	s_cbranch_execz .LBB30_326
; %bb.323:
	v_add_nc_u32_e32 v70, 0x200, v73
	v_add3_u32 v71, 0, v73, 16
	v_mov_b32_e32 v72, v0
	s_mov_b32 s38, 0
	.p2align	6
.LBB30_324:                             ; =>This Inner Loop Header: Depth=1
	s_clause 0x3
	buffer_load_dword v78, v71, s[0:3], 0 offen offset:8
	buffer_load_dword v79, v71, s[0:3], 0 offen offset:12
	buffer_load_dword v80, v71, s[0:3], 0 offen
	buffer_load_dword v81, v71, s[0:3], 0 offen offset:4
	ds_read_b128 v[74:77], v70
	v_add_nc_u32_e32 v72, 1, v72
	v_add_nc_u32_e32 v70, 16, v70
	;; [unrolled: 1-line block ×3, first 2 shown]
	v_cmp_lt_u32_e32 vcc_lo, 9, v72
	s_or_b32 s38, vcc_lo, s38
	s_waitcnt vmcnt(2) lgkmcnt(0)
	v_mul_f64 v[82:83], v[76:77], v[78:79]
	v_mul_f64 v[78:79], v[74:75], v[78:79]
	s_waitcnt vmcnt(0)
	v_fma_f64 v[74:75], v[74:75], v[80:81], -v[82:83]
	v_fma_f64 v[76:77], v[76:77], v[80:81], v[78:79]
	v_add_f64 v[1:2], v[1:2], v[74:75]
	v_add_f64 v[3:4], v[3:4], v[76:77]
	s_andn2_b32 exec_lo, exec_lo, s38
	s_cbranch_execnz .LBB30_324
; %bb.325:
	s_or_b32 exec_lo, exec_lo, s38
.LBB30_326:
	s_or_b32 exec_lo, exec_lo, s8
	v_mov_b32_e32 v70, 0
	ds_read_b128 v[74:77], v70 offset:176
	s_waitcnt lgkmcnt(0)
	v_mul_f64 v[70:71], v[3:4], v[76:77]
	v_mul_f64 v[76:77], v[1:2], v[76:77]
	v_fma_f64 v[1:2], v[1:2], v[74:75], -v[70:71]
	v_fma_f64 v[3:4], v[3:4], v[74:75], v[76:77]
	buffer_store_dword v2, off, s[0:3], 0 offset:180
	buffer_store_dword v1, off, s[0:3], 0 offset:176
	;; [unrolled: 1-line block ×4, first 2 shown]
.LBB30_327:
	s_or_b32 exec_lo, exec_lo, s4
	v_mov_b32_e32 v4, s25
	s_mov_b32 s4, exec_lo
	s_clause 0x3
	buffer_load_dword v1, v4, s[0:3], 0 offen
	buffer_load_dword v2, v4, s[0:3], 0 offen offset:4
	buffer_load_dword v3, v4, s[0:3], 0 offen offset:8
	;; [unrolled: 1-line block ×3, first 2 shown]
	s_waitcnt vmcnt(0)
	ds_write_b128 v68, v[1:4]
	s_waitcnt lgkmcnt(0)
	s_waitcnt_vscnt null, 0x0
	s_barrier
	buffer_gl0_inv
	v_cmpx_gt_u32_e32 12, v0
	s_cbranch_execz .LBB30_335
; %bb.328:
	ds_read_b128 v[1:4], v68
	v_cmp_ne_u32_e32 vcc_lo, 1, v69
	s_cbranch_vccnz .LBB30_330
; %bb.329:
	s_clause 0x3
	buffer_load_dword v70, v67, s[0:3], 0 offen offset:8
	buffer_load_dword v71, v67, s[0:3], 0 offen offset:12
	buffer_load_dword v74, v67, s[0:3], 0 offen
	buffer_load_dword v75, v67, s[0:3], 0 offen offset:4
	s_waitcnt vmcnt(2) lgkmcnt(0)
	v_mul_f64 v[76:77], v[3:4], v[70:71]
	v_mul_f64 v[70:71], v[1:2], v[70:71]
	s_waitcnt vmcnt(0)
	v_fma_f64 v[1:2], v[1:2], v[74:75], -v[76:77]
	v_fma_f64 v[3:4], v[3:4], v[74:75], v[70:71]
.LBB30_330:
	s_mov_b32 s8, exec_lo
	v_cmpx_ne_u32_e32 11, v0
	s_cbranch_execz .LBB30_334
; %bb.331:
	v_add_nc_u32_e32 v70, 0x200, v73
	v_add3_u32 v71, 0, v73, 16
	v_mov_b32_e32 v72, v0
	s_mov_b32 s38, 0
	.p2align	6
.LBB30_332:                             ; =>This Inner Loop Header: Depth=1
	s_clause 0x3
	buffer_load_dword v78, v71, s[0:3], 0 offen offset:8
	buffer_load_dword v79, v71, s[0:3], 0 offen offset:12
	buffer_load_dword v80, v71, s[0:3], 0 offen
	buffer_load_dword v81, v71, s[0:3], 0 offen offset:4
	ds_read_b128 v[74:77], v70
	v_add_nc_u32_e32 v72, 1, v72
	v_add_nc_u32_e32 v70, 16, v70
	;; [unrolled: 1-line block ×3, first 2 shown]
	v_cmp_lt_u32_e32 vcc_lo, 10, v72
	s_or_b32 s38, vcc_lo, s38
	s_waitcnt vmcnt(2) lgkmcnt(0)
	v_mul_f64 v[82:83], v[76:77], v[78:79]
	v_mul_f64 v[78:79], v[74:75], v[78:79]
	s_waitcnt vmcnt(0)
	v_fma_f64 v[74:75], v[74:75], v[80:81], -v[82:83]
	v_fma_f64 v[76:77], v[76:77], v[80:81], v[78:79]
	v_add_f64 v[1:2], v[1:2], v[74:75]
	v_add_f64 v[3:4], v[3:4], v[76:77]
	s_andn2_b32 exec_lo, exec_lo, s38
	s_cbranch_execnz .LBB30_332
; %bb.333:
	s_or_b32 exec_lo, exec_lo, s38
.LBB30_334:
	s_or_b32 exec_lo, exec_lo, s8
	v_mov_b32_e32 v70, 0
	ds_read_b128 v[74:77], v70 offset:192
	s_waitcnt lgkmcnt(0)
	v_mul_f64 v[70:71], v[3:4], v[76:77]
	v_mul_f64 v[76:77], v[1:2], v[76:77]
	v_fma_f64 v[1:2], v[1:2], v[74:75], -v[70:71]
	v_fma_f64 v[3:4], v[3:4], v[74:75], v[76:77]
	buffer_store_dword v2, off, s[0:3], 0 offset:196
	buffer_store_dword v1, off, s[0:3], 0 offset:192
	buffer_store_dword v4, off, s[0:3], 0 offset:204
	buffer_store_dword v3, off, s[0:3], 0 offset:200
.LBB30_335:
	s_or_b32 exec_lo, exec_lo, s4
	v_mov_b32_e32 v4, s24
	s_mov_b32 s4, exec_lo
	s_clause 0x3
	buffer_load_dword v1, v4, s[0:3], 0 offen
	buffer_load_dword v2, v4, s[0:3], 0 offen offset:4
	buffer_load_dword v3, v4, s[0:3], 0 offen offset:8
	buffer_load_dword v4, v4, s[0:3], 0 offen offset:12
	s_waitcnt vmcnt(0)
	ds_write_b128 v68, v[1:4]
	s_waitcnt lgkmcnt(0)
	s_waitcnt_vscnt null, 0x0
	s_barrier
	buffer_gl0_inv
	v_cmpx_gt_u32_e32 13, v0
	s_cbranch_execz .LBB30_343
; %bb.336:
	ds_read_b128 v[1:4], v68
	v_cmp_ne_u32_e32 vcc_lo, 1, v69
	s_cbranch_vccnz .LBB30_338
; %bb.337:
	s_clause 0x3
	buffer_load_dword v70, v67, s[0:3], 0 offen offset:8
	buffer_load_dword v71, v67, s[0:3], 0 offen offset:12
	buffer_load_dword v74, v67, s[0:3], 0 offen
	buffer_load_dword v75, v67, s[0:3], 0 offen offset:4
	s_waitcnt vmcnt(2) lgkmcnt(0)
	v_mul_f64 v[76:77], v[3:4], v[70:71]
	v_mul_f64 v[70:71], v[1:2], v[70:71]
	s_waitcnt vmcnt(0)
	v_fma_f64 v[1:2], v[1:2], v[74:75], -v[76:77]
	v_fma_f64 v[3:4], v[3:4], v[74:75], v[70:71]
.LBB30_338:
	s_mov_b32 s8, exec_lo
	v_cmpx_ne_u32_e32 12, v0
	s_cbranch_execz .LBB30_342
; %bb.339:
	v_add_nc_u32_e32 v70, 0x200, v73
	v_add3_u32 v71, 0, v73, 16
	v_mov_b32_e32 v72, v0
	s_mov_b32 s38, 0
	.p2align	6
.LBB30_340:                             ; =>This Inner Loop Header: Depth=1
	s_clause 0x3
	buffer_load_dword v78, v71, s[0:3], 0 offen offset:8
	buffer_load_dword v79, v71, s[0:3], 0 offen offset:12
	buffer_load_dword v80, v71, s[0:3], 0 offen
	buffer_load_dword v81, v71, s[0:3], 0 offen offset:4
	ds_read_b128 v[74:77], v70
	v_add_nc_u32_e32 v72, 1, v72
	v_add_nc_u32_e32 v70, 16, v70
	;; [unrolled: 1-line block ×3, first 2 shown]
	v_cmp_lt_u32_e32 vcc_lo, 11, v72
	s_or_b32 s38, vcc_lo, s38
	s_waitcnt vmcnt(2) lgkmcnt(0)
	v_mul_f64 v[82:83], v[76:77], v[78:79]
	v_mul_f64 v[78:79], v[74:75], v[78:79]
	s_waitcnt vmcnt(0)
	v_fma_f64 v[74:75], v[74:75], v[80:81], -v[82:83]
	v_fma_f64 v[76:77], v[76:77], v[80:81], v[78:79]
	v_add_f64 v[1:2], v[1:2], v[74:75]
	v_add_f64 v[3:4], v[3:4], v[76:77]
	s_andn2_b32 exec_lo, exec_lo, s38
	s_cbranch_execnz .LBB30_340
; %bb.341:
	s_or_b32 exec_lo, exec_lo, s38
.LBB30_342:
	s_or_b32 exec_lo, exec_lo, s8
	v_mov_b32_e32 v70, 0
	ds_read_b128 v[74:77], v70 offset:208
	s_waitcnt lgkmcnt(0)
	v_mul_f64 v[70:71], v[3:4], v[76:77]
	v_mul_f64 v[76:77], v[1:2], v[76:77]
	v_fma_f64 v[1:2], v[1:2], v[74:75], -v[70:71]
	v_fma_f64 v[3:4], v[3:4], v[74:75], v[76:77]
	buffer_store_dword v2, off, s[0:3], 0 offset:212
	buffer_store_dword v1, off, s[0:3], 0 offset:208
	;; [unrolled: 1-line block ×4, first 2 shown]
.LBB30_343:
	s_or_b32 exec_lo, exec_lo, s4
	v_mov_b32_e32 v4, s23
	s_mov_b32 s4, exec_lo
	s_clause 0x3
	buffer_load_dword v1, v4, s[0:3], 0 offen
	buffer_load_dword v2, v4, s[0:3], 0 offen offset:4
	buffer_load_dword v3, v4, s[0:3], 0 offen offset:8
	;; [unrolled: 1-line block ×3, first 2 shown]
	s_waitcnt vmcnt(0)
	ds_write_b128 v68, v[1:4]
	s_waitcnt lgkmcnt(0)
	s_waitcnt_vscnt null, 0x0
	s_barrier
	buffer_gl0_inv
	v_cmpx_gt_u32_e32 14, v0
	s_cbranch_execz .LBB30_351
; %bb.344:
	ds_read_b128 v[1:4], v68
	v_cmp_ne_u32_e32 vcc_lo, 1, v69
	s_cbranch_vccnz .LBB30_346
; %bb.345:
	s_clause 0x3
	buffer_load_dword v70, v67, s[0:3], 0 offen offset:8
	buffer_load_dword v71, v67, s[0:3], 0 offen offset:12
	buffer_load_dword v74, v67, s[0:3], 0 offen
	buffer_load_dword v75, v67, s[0:3], 0 offen offset:4
	s_waitcnt vmcnt(2) lgkmcnt(0)
	v_mul_f64 v[76:77], v[3:4], v[70:71]
	v_mul_f64 v[70:71], v[1:2], v[70:71]
	s_waitcnt vmcnt(0)
	v_fma_f64 v[1:2], v[1:2], v[74:75], -v[76:77]
	v_fma_f64 v[3:4], v[3:4], v[74:75], v[70:71]
.LBB30_346:
	s_mov_b32 s8, exec_lo
	v_cmpx_ne_u32_e32 13, v0
	s_cbranch_execz .LBB30_350
; %bb.347:
	v_add_nc_u32_e32 v70, 0x200, v73
	v_add3_u32 v71, 0, v73, 16
	v_mov_b32_e32 v72, v0
	s_mov_b32 s38, 0
	.p2align	6
.LBB30_348:                             ; =>This Inner Loop Header: Depth=1
	s_clause 0x3
	buffer_load_dword v78, v71, s[0:3], 0 offen offset:8
	buffer_load_dword v79, v71, s[0:3], 0 offen offset:12
	buffer_load_dword v80, v71, s[0:3], 0 offen
	buffer_load_dword v81, v71, s[0:3], 0 offen offset:4
	ds_read_b128 v[74:77], v70
	v_add_nc_u32_e32 v72, 1, v72
	v_add_nc_u32_e32 v70, 16, v70
	;; [unrolled: 1-line block ×3, first 2 shown]
	v_cmp_lt_u32_e32 vcc_lo, 12, v72
	s_or_b32 s38, vcc_lo, s38
	s_waitcnt vmcnt(2) lgkmcnt(0)
	v_mul_f64 v[82:83], v[76:77], v[78:79]
	v_mul_f64 v[78:79], v[74:75], v[78:79]
	s_waitcnt vmcnt(0)
	v_fma_f64 v[74:75], v[74:75], v[80:81], -v[82:83]
	v_fma_f64 v[76:77], v[76:77], v[80:81], v[78:79]
	v_add_f64 v[1:2], v[1:2], v[74:75]
	v_add_f64 v[3:4], v[3:4], v[76:77]
	s_andn2_b32 exec_lo, exec_lo, s38
	s_cbranch_execnz .LBB30_348
; %bb.349:
	s_or_b32 exec_lo, exec_lo, s38
.LBB30_350:
	s_or_b32 exec_lo, exec_lo, s8
	v_mov_b32_e32 v70, 0
	ds_read_b128 v[74:77], v70 offset:224
	s_waitcnt lgkmcnt(0)
	v_mul_f64 v[70:71], v[3:4], v[76:77]
	v_mul_f64 v[76:77], v[1:2], v[76:77]
	v_fma_f64 v[1:2], v[1:2], v[74:75], -v[70:71]
	v_fma_f64 v[3:4], v[3:4], v[74:75], v[76:77]
	buffer_store_dword v2, off, s[0:3], 0 offset:228
	buffer_store_dword v1, off, s[0:3], 0 offset:224
	;; [unrolled: 1-line block ×4, first 2 shown]
.LBB30_351:
	s_or_b32 exec_lo, exec_lo, s4
	v_mov_b32_e32 v4, s22
	s_mov_b32 s4, exec_lo
	s_clause 0x3
	buffer_load_dword v1, v4, s[0:3], 0 offen
	buffer_load_dword v2, v4, s[0:3], 0 offen offset:4
	buffer_load_dword v3, v4, s[0:3], 0 offen offset:8
	buffer_load_dword v4, v4, s[0:3], 0 offen offset:12
	s_waitcnt vmcnt(0)
	ds_write_b128 v68, v[1:4]
	s_waitcnt lgkmcnt(0)
	s_waitcnt_vscnt null, 0x0
	s_barrier
	buffer_gl0_inv
	v_cmpx_gt_u32_e32 15, v0
	s_cbranch_execz .LBB30_359
; %bb.352:
	ds_read_b128 v[1:4], v68
	v_cmp_ne_u32_e32 vcc_lo, 1, v69
	s_cbranch_vccnz .LBB30_354
; %bb.353:
	s_clause 0x3
	buffer_load_dword v70, v67, s[0:3], 0 offen offset:8
	buffer_load_dword v71, v67, s[0:3], 0 offen offset:12
	buffer_load_dword v74, v67, s[0:3], 0 offen
	buffer_load_dword v75, v67, s[0:3], 0 offen offset:4
	s_waitcnt vmcnt(2) lgkmcnt(0)
	v_mul_f64 v[76:77], v[3:4], v[70:71]
	v_mul_f64 v[70:71], v[1:2], v[70:71]
	s_waitcnt vmcnt(0)
	v_fma_f64 v[1:2], v[1:2], v[74:75], -v[76:77]
	v_fma_f64 v[3:4], v[3:4], v[74:75], v[70:71]
.LBB30_354:
	s_mov_b32 s8, exec_lo
	v_cmpx_ne_u32_e32 14, v0
	s_cbranch_execz .LBB30_358
; %bb.355:
	v_add_nc_u32_e32 v70, 0x200, v73
	v_add3_u32 v71, 0, v73, 16
	v_mov_b32_e32 v72, v0
	s_mov_b32 s38, 0
	.p2align	6
.LBB30_356:                             ; =>This Inner Loop Header: Depth=1
	s_clause 0x3
	buffer_load_dword v78, v71, s[0:3], 0 offen offset:8
	buffer_load_dword v79, v71, s[0:3], 0 offen offset:12
	buffer_load_dword v80, v71, s[0:3], 0 offen
	buffer_load_dword v81, v71, s[0:3], 0 offen offset:4
	ds_read_b128 v[74:77], v70
	v_add_nc_u32_e32 v72, 1, v72
	v_add_nc_u32_e32 v70, 16, v70
	;; [unrolled: 1-line block ×3, first 2 shown]
	v_cmp_lt_u32_e32 vcc_lo, 13, v72
	s_or_b32 s38, vcc_lo, s38
	s_waitcnt vmcnt(2) lgkmcnt(0)
	v_mul_f64 v[82:83], v[76:77], v[78:79]
	v_mul_f64 v[78:79], v[74:75], v[78:79]
	s_waitcnt vmcnt(0)
	v_fma_f64 v[74:75], v[74:75], v[80:81], -v[82:83]
	v_fma_f64 v[76:77], v[76:77], v[80:81], v[78:79]
	v_add_f64 v[1:2], v[1:2], v[74:75]
	v_add_f64 v[3:4], v[3:4], v[76:77]
	s_andn2_b32 exec_lo, exec_lo, s38
	s_cbranch_execnz .LBB30_356
; %bb.357:
	s_or_b32 exec_lo, exec_lo, s38
.LBB30_358:
	s_or_b32 exec_lo, exec_lo, s8
	v_mov_b32_e32 v70, 0
	ds_read_b128 v[74:77], v70 offset:240
	s_waitcnt lgkmcnt(0)
	v_mul_f64 v[70:71], v[3:4], v[76:77]
	v_mul_f64 v[76:77], v[1:2], v[76:77]
	v_fma_f64 v[1:2], v[1:2], v[74:75], -v[70:71]
	v_fma_f64 v[3:4], v[3:4], v[74:75], v[76:77]
	buffer_store_dword v2, off, s[0:3], 0 offset:244
	buffer_store_dword v1, off, s[0:3], 0 offset:240
	;; [unrolled: 1-line block ×4, first 2 shown]
.LBB30_359:
	s_or_b32 exec_lo, exec_lo, s4
	v_mov_b32_e32 v4, s21
	s_mov_b32 s4, exec_lo
	s_clause 0x3
	buffer_load_dword v1, v4, s[0:3], 0 offen
	buffer_load_dword v2, v4, s[0:3], 0 offen offset:4
	buffer_load_dword v3, v4, s[0:3], 0 offen offset:8
	buffer_load_dword v4, v4, s[0:3], 0 offen offset:12
	s_waitcnt vmcnt(0)
	ds_write_b128 v68, v[1:4]
	s_waitcnt lgkmcnt(0)
	s_waitcnt_vscnt null, 0x0
	s_barrier
	buffer_gl0_inv
	v_cmpx_gt_u32_e32 16, v0
	s_cbranch_execz .LBB30_367
; %bb.360:
	ds_read_b128 v[1:4], v68
	v_cmp_ne_u32_e32 vcc_lo, 1, v69
	s_cbranch_vccnz .LBB30_362
; %bb.361:
	s_clause 0x3
	buffer_load_dword v70, v67, s[0:3], 0 offen offset:8
	buffer_load_dword v71, v67, s[0:3], 0 offen offset:12
	buffer_load_dword v74, v67, s[0:3], 0 offen
	buffer_load_dword v75, v67, s[0:3], 0 offen offset:4
	s_waitcnt vmcnt(2) lgkmcnt(0)
	v_mul_f64 v[76:77], v[3:4], v[70:71]
	v_mul_f64 v[70:71], v[1:2], v[70:71]
	s_waitcnt vmcnt(0)
	v_fma_f64 v[1:2], v[1:2], v[74:75], -v[76:77]
	v_fma_f64 v[3:4], v[3:4], v[74:75], v[70:71]
.LBB30_362:
	s_mov_b32 s8, exec_lo
	v_cmpx_ne_u32_e32 15, v0
	s_cbranch_execz .LBB30_366
; %bb.363:
	v_add_nc_u32_e32 v70, 0x200, v73
	v_add3_u32 v71, 0, v73, 16
	v_mov_b32_e32 v72, v0
	s_mov_b32 s38, 0
	.p2align	6
.LBB30_364:                             ; =>This Inner Loop Header: Depth=1
	s_clause 0x3
	buffer_load_dword v78, v71, s[0:3], 0 offen offset:8
	buffer_load_dword v79, v71, s[0:3], 0 offen offset:12
	buffer_load_dword v80, v71, s[0:3], 0 offen
	buffer_load_dword v81, v71, s[0:3], 0 offen offset:4
	ds_read_b128 v[74:77], v70
	v_add_nc_u32_e32 v72, 1, v72
	v_add_nc_u32_e32 v70, 16, v70
	;; [unrolled: 1-line block ×3, first 2 shown]
	v_cmp_lt_u32_e32 vcc_lo, 14, v72
	s_or_b32 s38, vcc_lo, s38
	s_waitcnt vmcnt(2) lgkmcnt(0)
	v_mul_f64 v[82:83], v[76:77], v[78:79]
	v_mul_f64 v[78:79], v[74:75], v[78:79]
	s_waitcnt vmcnt(0)
	v_fma_f64 v[74:75], v[74:75], v[80:81], -v[82:83]
	v_fma_f64 v[76:77], v[76:77], v[80:81], v[78:79]
	v_add_f64 v[1:2], v[1:2], v[74:75]
	v_add_f64 v[3:4], v[3:4], v[76:77]
	s_andn2_b32 exec_lo, exec_lo, s38
	s_cbranch_execnz .LBB30_364
; %bb.365:
	s_or_b32 exec_lo, exec_lo, s38
.LBB30_366:
	s_or_b32 exec_lo, exec_lo, s8
	v_mov_b32_e32 v70, 0
	ds_read_b128 v[74:77], v70 offset:256
	s_waitcnt lgkmcnt(0)
	v_mul_f64 v[70:71], v[3:4], v[76:77]
	v_mul_f64 v[76:77], v[1:2], v[76:77]
	v_fma_f64 v[1:2], v[1:2], v[74:75], -v[70:71]
	v_fma_f64 v[3:4], v[3:4], v[74:75], v[76:77]
	buffer_store_dword v2, off, s[0:3], 0 offset:260
	buffer_store_dword v1, off, s[0:3], 0 offset:256
	;; [unrolled: 1-line block ×4, first 2 shown]
.LBB30_367:
	s_or_b32 exec_lo, exec_lo, s4
	v_mov_b32_e32 v4, s20
	s_mov_b32 s4, exec_lo
	s_clause 0x3
	buffer_load_dword v1, v4, s[0:3], 0 offen
	buffer_load_dword v2, v4, s[0:3], 0 offen offset:4
	buffer_load_dword v3, v4, s[0:3], 0 offen offset:8
	;; [unrolled: 1-line block ×3, first 2 shown]
	s_waitcnt vmcnt(0)
	ds_write_b128 v68, v[1:4]
	s_waitcnt lgkmcnt(0)
	s_waitcnt_vscnt null, 0x0
	s_barrier
	buffer_gl0_inv
	v_cmpx_gt_u32_e32 17, v0
	s_cbranch_execz .LBB30_375
; %bb.368:
	ds_read_b128 v[1:4], v68
	v_cmp_ne_u32_e32 vcc_lo, 1, v69
	s_cbranch_vccnz .LBB30_370
; %bb.369:
	s_clause 0x3
	buffer_load_dword v70, v67, s[0:3], 0 offen offset:8
	buffer_load_dword v71, v67, s[0:3], 0 offen offset:12
	buffer_load_dword v74, v67, s[0:3], 0 offen
	buffer_load_dword v75, v67, s[0:3], 0 offen offset:4
	s_waitcnt vmcnt(2) lgkmcnt(0)
	v_mul_f64 v[76:77], v[3:4], v[70:71]
	v_mul_f64 v[70:71], v[1:2], v[70:71]
	s_waitcnt vmcnt(0)
	v_fma_f64 v[1:2], v[1:2], v[74:75], -v[76:77]
	v_fma_f64 v[3:4], v[3:4], v[74:75], v[70:71]
.LBB30_370:
	s_mov_b32 s8, exec_lo
	v_cmpx_ne_u32_e32 16, v0
	s_cbranch_execz .LBB30_374
; %bb.371:
	v_add_nc_u32_e32 v70, 0x200, v73
	v_add3_u32 v71, 0, v73, 16
	v_mov_b32_e32 v72, v0
	s_mov_b32 s38, 0
	.p2align	6
.LBB30_372:                             ; =>This Inner Loop Header: Depth=1
	s_clause 0x3
	buffer_load_dword v78, v71, s[0:3], 0 offen offset:8
	buffer_load_dword v79, v71, s[0:3], 0 offen offset:12
	buffer_load_dword v80, v71, s[0:3], 0 offen
	buffer_load_dword v81, v71, s[0:3], 0 offen offset:4
	ds_read_b128 v[74:77], v70
	v_add_nc_u32_e32 v72, 1, v72
	v_add_nc_u32_e32 v70, 16, v70
	;; [unrolled: 1-line block ×3, first 2 shown]
	v_cmp_lt_u32_e32 vcc_lo, 15, v72
	s_or_b32 s38, vcc_lo, s38
	s_waitcnt vmcnt(2) lgkmcnt(0)
	v_mul_f64 v[82:83], v[76:77], v[78:79]
	v_mul_f64 v[78:79], v[74:75], v[78:79]
	s_waitcnt vmcnt(0)
	v_fma_f64 v[74:75], v[74:75], v[80:81], -v[82:83]
	v_fma_f64 v[76:77], v[76:77], v[80:81], v[78:79]
	v_add_f64 v[1:2], v[1:2], v[74:75]
	v_add_f64 v[3:4], v[3:4], v[76:77]
	s_andn2_b32 exec_lo, exec_lo, s38
	s_cbranch_execnz .LBB30_372
; %bb.373:
	s_or_b32 exec_lo, exec_lo, s38
.LBB30_374:
	s_or_b32 exec_lo, exec_lo, s8
	v_mov_b32_e32 v70, 0
	ds_read_b128 v[74:77], v70 offset:272
	s_waitcnt lgkmcnt(0)
	v_mul_f64 v[70:71], v[3:4], v[76:77]
	v_mul_f64 v[76:77], v[1:2], v[76:77]
	v_fma_f64 v[1:2], v[1:2], v[74:75], -v[70:71]
	v_fma_f64 v[3:4], v[3:4], v[74:75], v[76:77]
	buffer_store_dword v2, off, s[0:3], 0 offset:276
	buffer_store_dword v1, off, s[0:3], 0 offset:272
	;; [unrolled: 1-line block ×4, first 2 shown]
.LBB30_375:
	s_or_b32 exec_lo, exec_lo, s4
	v_mov_b32_e32 v4, s19
	s_mov_b32 s4, exec_lo
	s_clause 0x3
	buffer_load_dword v1, v4, s[0:3], 0 offen
	buffer_load_dword v2, v4, s[0:3], 0 offen offset:4
	buffer_load_dword v3, v4, s[0:3], 0 offen offset:8
	;; [unrolled: 1-line block ×3, first 2 shown]
	s_waitcnt vmcnt(0)
	ds_write_b128 v68, v[1:4]
	s_waitcnt lgkmcnt(0)
	s_waitcnt_vscnt null, 0x0
	s_barrier
	buffer_gl0_inv
	v_cmpx_gt_u32_e32 18, v0
	s_cbranch_execz .LBB30_383
; %bb.376:
	ds_read_b128 v[1:4], v68
	v_cmp_ne_u32_e32 vcc_lo, 1, v69
	s_cbranch_vccnz .LBB30_378
; %bb.377:
	s_clause 0x3
	buffer_load_dword v70, v67, s[0:3], 0 offen offset:8
	buffer_load_dword v71, v67, s[0:3], 0 offen offset:12
	buffer_load_dword v74, v67, s[0:3], 0 offen
	buffer_load_dword v75, v67, s[0:3], 0 offen offset:4
	s_waitcnt vmcnt(2) lgkmcnt(0)
	v_mul_f64 v[76:77], v[3:4], v[70:71]
	v_mul_f64 v[70:71], v[1:2], v[70:71]
	s_waitcnt vmcnt(0)
	v_fma_f64 v[1:2], v[1:2], v[74:75], -v[76:77]
	v_fma_f64 v[3:4], v[3:4], v[74:75], v[70:71]
.LBB30_378:
	s_mov_b32 s8, exec_lo
	v_cmpx_ne_u32_e32 17, v0
	s_cbranch_execz .LBB30_382
; %bb.379:
	v_add_nc_u32_e32 v70, 0x200, v73
	v_add3_u32 v71, 0, v73, 16
	v_mov_b32_e32 v72, v0
	s_mov_b32 s38, 0
	.p2align	6
.LBB30_380:                             ; =>This Inner Loop Header: Depth=1
	s_clause 0x3
	buffer_load_dword v78, v71, s[0:3], 0 offen offset:8
	buffer_load_dword v79, v71, s[0:3], 0 offen offset:12
	buffer_load_dword v80, v71, s[0:3], 0 offen
	buffer_load_dword v81, v71, s[0:3], 0 offen offset:4
	ds_read_b128 v[74:77], v70
	v_add_nc_u32_e32 v72, 1, v72
	v_add_nc_u32_e32 v70, 16, v70
	;; [unrolled: 1-line block ×3, first 2 shown]
	v_cmp_lt_u32_e32 vcc_lo, 16, v72
	s_or_b32 s38, vcc_lo, s38
	s_waitcnt vmcnt(2) lgkmcnt(0)
	v_mul_f64 v[82:83], v[76:77], v[78:79]
	v_mul_f64 v[78:79], v[74:75], v[78:79]
	s_waitcnt vmcnt(0)
	v_fma_f64 v[74:75], v[74:75], v[80:81], -v[82:83]
	v_fma_f64 v[76:77], v[76:77], v[80:81], v[78:79]
	v_add_f64 v[1:2], v[1:2], v[74:75]
	v_add_f64 v[3:4], v[3:4], v[76:77]
	s_andn2_b32 exec_lo, exec_lo, s38
	s_cbranch_execnz .LBB30_380
; %bb.381:
	s_or_b32 exec_lo, exec_lo, s38
.LBB30_382:
	s_or_b32 exec_lo, exec_lo, s8
	v_mov_b32_e32 v70, 0
	ds_read_b128 v[74:77], v70 offset:288
	s_waitcnt lgkmcnt(0)
	v_mul_f64 v[70:71], v[3:4], v[76:77]
	v_mul_f64 v[76:77], v[1:2], v[76:77]
	v_fma_f64 v[1:2], v[1:2], v[74:75], -v[70:71]
	v_fma_f64 v[3:4], v[3:4], v[74:75], v[76:77]
	buffer_store_dword v2, off, s[0:3], 0 offset:292
	buffer_store_dword v1, off, s[0:3], 0 offset:288
	;; [unrolled: 1-line block ×4, first 2 shown]
.LBB30_383:
	s_or_b32 exec_lo, exec_lo, s4
	v_mov_b32_e32 v4, s18
	s_mov_b32 s4, exec_lo
	s_clause 0x3
	buffer_load_dword v1, v4, s[0:3], 0 offen
	buffer_load_dword v2, v4, s[0:3], 0 offen offset:4
	buffer_load_dword v3, v4, s[0:3], 0 offen offset:8
	;; [unrolled: 1-line block ×3, first 2 shown]
	s_waitcnt vmcnt(0)
	ds_write_b128 v68, v[1:4]
	s_waitcnt lgkmcnt(0)
	s_waitcnt_vscnt null, 0x0
	s_barrier
	buffer_gl0_inv
	v_cmpx_gt_u32_e32 19, v0
	s_cbranch_execz .LBB30_391
; %bb.384:
	ds_read_b128 v[1:4], v68
	v_cmp_ne_u32_e32 vcc_lo, 1, v69
	s_cbranch_vccnz .LBB30_386
; %bb.385:
	s_clause 0x3
	buffer_load_dword v70, v67, s[0:3], 0 offen offset:8
	buffer_load_dword v71, v67, s[0:3], 0 offen offset:12
	buffer_load_dword v74, v67, s[0:3], 0 offen
	buffer_load_dword v75, v67, s[0:3], 0 offen offset:4
	s_waitcnt vmcnt(2) lgkmcnt(0)
	v_mul_f64 v[76:77], v[3:4], v[70:71]
	v_mul_f64 v[70:71], v[1:2], v[70:71]
	s_waitcnt vmcnt(0)
	v_fma_f64 v[1:2], v[1:2], v[74:75], -v[76:77]
	v_fma_f64 v[3:4], v[3:4], v[74:75], v[70:71]
.LBB30_386:
	s_mov_b32 s8, exec_lo
	v_cmpx_ne_u32_e32 18, v0
	s_cbranch_execz .LBB30_390
; %bb.387:
	v_add_nc_u32_e32 v70, 0x200, v73
	v_add3_u32 v71, 0, v73, 16
	v_mov_b32_e32 v72, v0
	s_mov_b32 s38, 0
	.p2align	6
.LBB30_388:                             ; =>This Inner Loop Header: Depth=1
	s_clause 0x3
	buffer_load_dword v78, v71, s[0:3], 0 offen offset:8
	buffer_load_dword v79, v71, s[0:3], 0 offen offset:12
	buffer_load_dword v80, v71, s[0:3], 0 offen
	buffer_load_dword v81, v71, s[0:3], 0 offen offset:4
	ds_read_b128 v[74:77], v70
	v_add_nc_u32_e32 v72, 1, v72
	v_add_nc_u32_e32 v70, 16, v70
	;; [unrolled: 1-line block ×3, first 2 shown]
	v_cmp_lt_u32_e32 vcc_lo, 17, v72
	s_or_b32 s38, vcc_lo, s38
	s_waitcnt vmcnt(2) lgkmcnt(0)
	v_mul_f64 v[82:83], v[76:77], v[78:79]
	v_mul_f64 v[78:79], v[74:75], v[78:79]
	s_waitcnt vmcnt(0)
	v_fma_f64 v[74:75], v[74:75], v[80:81], -v[82:83]
	v_fma_f64 v[76:77], v[76:77], v[80:81], v[78:79]
	v_add_f64 v[1:2], v[1:2], v[74:75]
	v_add_f64 v[3:4], v[3:4], v[76:77]
	s_andn2_b32 exec_lo, exec_lo, s38
	s_cbranch_execnz .LBB30_388
; %bb.389:
	s_or_b32 exec_lo, exec_lo, s38
.LBB30_390:
	s_or_b32 exec_lo, exec_lo, s8
	v_mov_b32_e32 v70, 0
	ds_read_b128 v[74:77], v70 offset:304
	s_waitcnt lgkmcnt(0)
	v_mul_f64 v[70:71], v[3:4], v[76:77]
	v_mul_f64 v[76:77], v[1:2], v[76:77]
	v_fma_f64 v[1:2], v[1:2], v[74:75], -v[70:71]
	v_fma_f64 v[3:4], v[3:4], v[74:75], v[76:77]
	buffer_store_dword v2, off, s[0:3], 0 offset:308
	buffer_store_dword v1, off, s[0:3], 0 offset:304
	;; [unrolled: 1-line block ×4, first 2 shown]
.LBB30_391:
	s_or_b32 exec_lo, exec_lo, s4
	v_mov_b32_e32 v4, s17
	s_mov_b32 s4, exec_lo
	s_clause 0x3
	buffer_load_dword v1, v4, s[0:3], 0 offen
	buffer_load_dword v2, v4, s[0:3], 0 offen offset:4
	buffer_load_dword v3, v4, s[0:3], 0 offen offset:8
	;; [unrolled: 1-line block ×3, first 2 shown]
	s_waitcnt vmcnt(0)
	ds_write_b128 v68, v[1:4]
	s_waitcnt lgkmcnt(0)
	s_waitcnt_vscnt null, 0x0
	s_barrier
	buffer_gl0_inv
	v_cmpx_gt_u32_e32 20, v0
	s_cbranch_execz .LBB30_399
; %bb.392:
	ds_read_b128 v[1:4], v68
	v_cmp_ne_u32_e32 vcc_lo, 1, v69
	s_cbranch_vccnz .LBB30_394
; %bb.393:
	s_clause 0x3
	buffer_load_dword v70, v67, s[0:3], 0 offen offset:8
	buffer_load_dword v71, v67, s[0:3], 0 offen offset:12
	buffer_load_dword v74, v67, s[0:3], 0 offen
	buffer_load_dword v75, v67, s[0:3], 0 offen offset:4
	s_waitcnt vmcnt(2) lgkmcnt(0)
	v_mul_f64 v[76:77], v[3:4], v[70:71]
	v_mul_f64 v[70:71], v[1:2], v[70:71]
	s_waitcnt vmcnt(0)
	v_fma_f64 v[1:2], v[1:2], v[74:75], -v[76:77]
	v_fma_f64 v[3:4], v[3:4], v[74:75], v[70:71]
.LBB30_394:
	s_mov_b32 s8, exec_lo
	v_cmpx_ne_u32_e32 19, v0
	s_cbranch_execz .LBB30_398
; %bb.395:
	v_add_nc_u32_e32 v70, 0x200, v73
	v_add3_u32 v71, 0, v73, 16
	v_mov_b32_e32 v72, v0
	s_mov_b32 s38, 0
	.p2align	6
.LBB30_396:                             ; =>This Inner Loop Header: Depth=1
	s_clause 0x3
	buffer_load_dword v78, v71, s[0:3], 0 offen offset:8
	buffer_load_dword v79, v71, s[0:3], 0 offen offset:12
	buffer_load_dword v80, v71, s[0:3], 0 offen
	buffer_load_dword v81, v71, s[0:3], 0 offen offset:4
	ds_read_b128 v[74:77], v70
	v_add_nc_u32_e32 v72, 1, v72
	v_add_nc_u32_e32 v70, 16, v70
	;; [unrolled: 1-line block ×3, first 2 shown]
	v_cmp_lt_u32_e32 vcc_lo, 18, v72
	s_or_b32 s38, vcc_lo, s38
	s_waitcnt vmcnt(2) lgkmcnt(0)
	v_mul_f64 v[82:83], v[76:77], v[78:79]
	v_mul_f64 v[78:79], v[74:75], v[78:79]
	s_waitcnt vmcnt(0)
	v_fma_f64 v[74:75], v[74:75], v[80:81], -v[82:83]
	v_fma_f64 v[76:77], v[76:77], v[80:81], v[78:79]
	v_add_f64 v[1:2], v[1:2], v[74:75]
	v_add_f64 v[3:4], v[3:4], v[76:77]
	s_andn2_b32 exec_lo, exec_lo, s38
	s_cbranch_execnz .LBB30_396
; %bb.397:
	s_or_b32 exec_lo, exec_lo, s38
.LBB30_398:
	s_or_b32 exec_lo, exec_lo, s8
	v_mov_b32_e32 v70, 0
	ds_read_b128 v[74:77], v70 offset:320
	s_waitcnt lgkmcnt(0)
	v_mul_f64 v[70:71], v[3:4], v[76:77]
	v_mul_f64 v[76:77], v[1:2], v[76:77]
	v_fma_f64 v[1:2], v[1:2], v[74:75], -v[70:71]
	v_fma_f64 v[3:4], v[3:4], v[74:75], v[76:77]
	buffer_store_dword v2, off, s[0:3], 0 offset:324
	buffer_store_dword v1, off, s[0:3], 0 offset:320
	;; [unrolled: 1-line block ×4, first 2 shown]
.LBB30_399:
	s_or_b32 exec_lo, exec_lo, s4
	v_mov_b32_e32 v4, s16
	s_mov_b32 s4, exec_lo
	s_clause 0x3
	buffer_load_dword v1, v4, s[0:3], 0 offen
	buffer_load_dword v2, v4, s[0:3], 0 offen offset:4
	buffer_load_dword v3, v4, s[0:3], 0 offen offset:8
	;; [unrolled: 1-line block ×3, first 2 shown]
	s_waitcnt vmcnt(0)
	ds_write_b128 v68, v[1:4]
	s_waitcnt lgkmcnt(0)
	s_waitcnt_vscnt null, 0x0
	s_barrier
	buffer_gl0_inv
	v_cmpx_gt_u32_e32 21, v0
	s_cbranch_execz .LBB30_407
; %bb.400:
	ds_read_b128 v[1:4], v68
	v_cmp_ne_u32_e32 vcc_lo, 1, v69
	s_cbranch_vccnz .LBB30_402
; %bb.401:
	s_clause 0x3
	buffer_load_dword v70, v67, s[0:3], 0 offen offset:8
	buffer_load_dword v71, v67, s[0:3], 0 offen offset:12
	buffer_load_dword v74, v67, s[0:3], 0 offen
	buffer_load_dword v75, v67, s[0:3], 0 offen offset:4
	s_waitcnt vmcnt(2) lgkmcnt(0)
	v_mul_f64 v[76:77], v[3:4], v[70:71]
	v_mul_f64 v[70:71], v[1:2], v[70:71]
	s_waitcnt vmcnt(0)
	v_fma_f64 v[1:2], v[1:2], v[74:75], -v[76:77]
	v_fma_f64 v[3:4], v[3:4], v[74:75], v[70:71]
.LBB30_402:
	s_mov_b32 s8, exec_lo
	v_cmpx_ne_u32_e32 20, v0
	s_cbranch_execz .LBB30_406
; %bb.403:
	v_add_nc_u32_e32 v70, 0x200, v73
	v_add3_u32 v71, 0, v73, 16
	v_mov_b32_e32 v72, v0
	s_mov_b32 s38, 0
	.p2align	6
.LBB30_404:                             ; =>This Inner Loop Header: Depth=1
	s_clause 0x3
	buffer_load_dword v78, v71, s[0:3], 0 offen offset:8
	buffer_load_dword v79, v71, s[0:3], 0 offen offset:12
	buffer_load_dword v80, v71, s[0:3], 0 offen
	buffer_load_dword v81, v71, s[0:3], 0 offen offset:4
	ds_read_b128 v[74:77], v70
	v_add_nc_u32_e32 v72, 1, v72
	v_add_nc_u32_e32 v70, 16, v70
	;; [unrolled: 1-line block ×3, first 2 shown]
	v_cmp_lt_u32_e32 vcc_lo, 19, v72
	s_or_b32 s38, vcc_lo, s38
	s_waitcnt vmcnt(2) lgkmcnt(0)
	v_mul_f64 v[82:83], v[76:77], v[78:79]
	v_mul_f64 v[78:79], v[74:75], v[78:79]
	s_waitcnt vmcnt(0)
	v_fma_f64 v[74:75], v[74:75], v[80:81], -v[82:83]
	v_fma_f64 v[76:77], v[76:77], v[80:81], v[78:79]
	v_add_f64 v[1:2], v[1:2], v[74:75]
	v_add_f64 v[3:4], v[3:4], v[76:77]
	s_andn2_b32 exec_lo, exec_lo, s38
	s_cbranch_execnz .LBB30_404
; %bb.405:
	s_or_b32 exec_lo, exec_lo, s38
.LBB30_406:
	s_or_b32 exec_lo, exec_lo, s8
	v_mov_b32_e32 v70, 0
	ds_read_b128 v[74:77], v70 offset:336
	s_waitcnt lgkmcnt(0)
	v_mul_f64 v[70:71], v[3:4], v[76:77]
	v_mul_f64 v[76:77], v[1:2], v[76:77]
	v_fma_f64 v[1:2], v[1:2], v[74:75], -v[70:71]
	v_fma_f64 v[3:4], v[3:4], v[74:75], v[76:77]
	buffer_store_dword v2, off, s[0:3], 0 offset:340
	buffer_store_dword v1, off, s[0:3], 0 offset:336
	buffer_store_dword v4, off, s[0:3], 0 offset:348
	buffer_store_dword v3, off, s[0:3], 0 offset:344
.LBB30_407:
	s_or_b32 exec_lo, exec_lo, s4
	v_mov_b32_e32 v4, s15
	s_mov_b32 s4, exec_lo
	s_clause 0x3
	buffer_load_dword v1, v4, s[0:3], 0 offen
	buffer_load_dword v2, v4, s[0:3], 0 offen offset:4
	buffer_load_dword v3, v4, s[0:3], 0 offen offset:8
	;; [unrolled: 1-line block ×3, first 2 shown]
	s_waitcnt vmcnt(0)
	ds_write_b128 v68, v[1:4]
	s_waitcnt lgkmcnt(0)
	s_waitcnt_vscnt null, 0x0
	s_barrier
	buffer_gl0_inv
	v_cmpx_gt_u32_e32 22, v0
	s_cbranch_execz .LBB30_415
; %bb.408:
	ds_read_b128 v[1:4], v68
	v_cmp_ne_u32_e32 vcc_lo, 1, v69
	s_cbranch_vccnz .LBB30_410
; %bb.409:
	s_clause 0x3
	buffer_load_dword v70, v67, s[0:3], 0 offen offset:8
	buffer_load_dword v71, v67, s[0:3], 0 offen offset:12
	buffer_load_dword v74, v67, s[0:3], 0 offen
	buffer_load_dword v75, v67, s[0:3], 0 offen offset:4
	s_waitcnt vmcnt(2) lgkmcnt(0)
	v_mul_f64 v[76:77], v[3:4], v[70:71]
	v_mul_f64 v[70:71], v[1:2], v[70:71]
	s_waitcnt vmcnt(0)
	v_fma_f64 v[1:2], v[1:2], v[74:75], -v[76:77]
	v_fma_f64 v[3:4], v[3:4], v[74:75], v[70:71]
.LBB30_410:
	s_mov_b32 s8, exec_lo
	v_cmpx_ne_u32_e32 21, v0
	s_cbranch_execz .LBB30_414
; %bb.411:
	v_add_nc_u32_e32 v70, 0x200, v73
	v_add3_u32 v71, 0, v73, 16
	v_mov_b32_e32 v72, v0
	s_mov_b32 s38, 0
	.p2align	6
.LBB30_412:                             ; =>This Inner Loop Header: Depth=1
	s_clause 0x3
	buffer_load_dword v78, v71, s[0:3], 0 offen offset:8
	buffer_load_dword v79, v71, s[0:3], 0 offen offset:12
	buffer_load_dword v80, v71, s[0:3], 0 offen
	buffer_load_dword v81, v71, s[0:3], 0 offen offset:4
	ds_read_b128 v[74:77], v70
	v_add_nc_u32_e32 v72, 1, v72
	v_add_nc_u32_e32 v70, 16, v70
	;; [unrolled: 1-line block ×3, first 2 shown]
	v_cmp_lt_u32_e32 vcc_lo, 20, v72
	s_or_b32 s38, vcc_lo, s38
	s_waitcnt vmcnt(2) lgkmcnt(0)
	v_mul_f64 v[82:83], v[76:77], v[78:79]
	v_mul_f64 v[78:79], v[74:75], v[78:79]
	s_waitcnt vmcnt(0)
	v_fma_f64 v[74:75], v[74:75], v[80:81], -v[82:83]
	v_fma_f64 v[76:77], v[76:77], v[80:81], v[78:79]
	v_add_f64 v[1:2], v[1:2], v[74:75]
	v_add_f64 v[3:4], v[3:4], v[76:77]
	s_andn2_b32 exec_lo, exec_lo, s38
	s_cbranch_execnz .LBB30_412
; %bb.413:
	s_or_b32 exec_lo, exec_lo, s38
.LBB30_414:
	s_or_b32 exec_lo, exec_lo, s8
	v_mov_b32_e32 v70, 0
	ds_read_b128 v[74:77], v70 offset:352
	s_waitcnt lgkmcnt(0)
	v_mul_f64 v[70:71], v[3:4], v[76:77]
	v_mul_f64 v[76:77], v[1:2], v[76:77]
	v_fma_f64 v[1:2], v[1:2], v[74:75], -v[70:71]
	v_fma_f64 v[3:4], v[3:4], v[74:75], v[76:77]
	buffer_store_dword v2, off, s[0:3], 0 offset:356
	buffer_store_dword v1, off, s[0:3], 0 offset:352
	;; [unrolled: 1-line block ×4, first 2 shown]
.LBB30_415:
	s_or_b32 exec_lo, exec_lo, s4
	v_mov_b32_e32 v4, s14
	s_mov_b32 s4, exec_lo
	s_clause 0x3
	buffer_load_dword v1, v4, s[0:3], 0 offen
	buffer_load_dword v2, v4, s[0:3], 0 offen offset:4
	buffer_load_dword v3, v4, s[0:3], 0 offen offset:8
	buffer_load_dword v4, v4, s[0:3], 0 offen offset:12
	s_waitcnt vmcnt(0)
	ds_write_b128 v68, v[1:4]
	s_waitcnt lgkmcnt(0)
	s_waitcnt_vscnt null, 0x0
	s_barrier
	buffer_gl0_inv
	v_cmpx_gt_u32_e32 23, v0
	s_cbranch_execz .LBB30_423
; %bb.416:
	ds_read_b128 v[1:4], v68
	v_cmp_ne_u32_e32 vcc_lo, 1, v69
	s_cbranch_vccnz .LBB30_418
; %bb.417:
	s_clause 0x3
	buffer_load_dword v70, v67, s[0:3], 0 offen offset:8
	buffer_load_dword v71, v67, s[0:3], 0 offen offset:12
	buffer_load_dword v74, v67, s[0:3], 0 offen
	buffer_load_dword v75, v67, s[0:3], 0 offen offset:4
	s_waitcnt vmcnt(2) lgkmcnt(0)
	v_mul_f64 v[76:77], v[3:4], v[70:71]
	v_mul_f64 v[70:71], v[1:2], v[70:71]
	s_waitcnt vmcnt(0)
	v_fma_f64 v[1:2], v[1:2], v[74:75], -v[76:77]
	v_fma_f64 v[3:4], v[3:4], v[74:75], v[70:71]
.LBB30_418:
	s_mov_b32 s8, exec_lo
	v_cmpx_ne_u32_e32 22, v0
	s_cbranch_execz .LBB30_422
; %bb.419:
	v_add_nc_u32_e32 v70, 0x200, v73
	v_add3_u32 v71, 0, v73, 16
	v_mov_b32_e32 v72, v0
	s_mov_b32 s38, 0
	.p2align	6
.LBB30_420:                             ; =>This Inner Loop Header: Depth=1
	s_clause 0x3
	buffer_load_dword v78, v71, s[0:3], 0 offen offset:8
	buffer_load_dword v79, v71, s[0:3], 0 offen offset:12
	buffer_load_dword v80, v71, s[0:3], 0 offen
	buffer_load_dword v81, v71, s[0:3], 0 offen offset:4
	ds_read_b128 v[74:77], v70
	v_add_nc_u32_e32 v72, 1, v72
	v_add_nc_u32_e32 v70, 16, v70
	;; [unrolled: 1-line block ×3, first 2 shown]
	v_cmp_lt_u32_e32 vcc_lo, 21, v72
	s_or_b32 s38, vcc_lo, s38
	s_waitcnt vmcnt(2) lgkmcnt(0)
	v_mul_f64 v[82:83], v[76:77], v[78:79]
	v_mul_f64 v[78:79], v[74:75], v[78:79]
	s_waitcnt vmcnt(0)
	v_fma_f64 v[74:75], v[74:75], v[80:81], -v[82:83]
	v_fma_f64 v[76:77], v[76:77], v[80:81], v[78:79]
	v_add_f64 v[1:2], v[1:2], v[74:75]
	v_add_f64 v[3:4], v[3:4], v[76:77]
	s_andn2_b32 exec_lo, exec_lo, s38
	s_cbranch_execnz .LBB30_420
; %bb.421:
	s_or_b32 exec_lo, exec_lo, s38
.LBB30_422:
	s_or_b32 exec_lo, exec_lo, s8
	v_mov_b32_e32 v70, 0
	ds_read_b128 v[74:77], v70 offset:368
	s_waitcnt lgkmcnt(0)
	v_mul_f64 v[70:71], v[3:4], v[76:77]
	v_mul_f64 v[76:77], v[1:2], v[76:77]
	v_fma_f64 v[1:2], v[1:2], v[74:75], -v[70:71]
	v_fma_f64 v[3:4], v[3:4], v[74:75], v[76:77]
	buffer_store_dword v2, off, s[0:3], 0 offset:372
	buffer_store_dword v1, off, s[0:3], 0 offset:368
	;; [unrolled: 1-line block ×4, first 2 shown]
.LBB30_423:
	s_or_b32 exec_lo, exec_lo, s4
	v_mov_b32_e32 v4, s13
	s_mov_b32 s4, exec_lo
	s_clause 0x3
	buffer_load_dword v1, v4, s[0:3], 0 offen
	buffer_load_dword v2, v4, s[0:3], 0 offen offset:4
	buffer_load_dword v3, v4, s[0:3], 0 offen offset:8
	;; [unrolled: 1-line block ×3, first 2 shown]
	s_waitcnt vmcnt(0)
	ds_write_b128 v68, v[1:4]
	s_waitcnt lgkmcnt(0)
	s_waitcnt_vscnt null, 0x0
	s_barrier
	buffer_gl0_inv
	v_cmpx_gt_u32_e32 24, v0
	s_cbranch_execz .LBB30_431
; %bb.424:
	ds_read_b128 v[1:4], v68
	v_cmp_ne_u32_e32 vcc_lo, 1, v69
	s_cbranch_vccnz .LBB30_426
; %bb.425:
	s_clause 0x3
	buffer_load_dword v70, v67, s[0:3], 0 offen offset:8
	buffer_load_dword v71, v67, s[0:3], 0 offen offset:12
	buffer_load_dword v74, v67, s[0:3], 0 offen
	buffer_load_dword v75, v67, s[0:3], 0 offen offset:4
	s_waitcnt vmcnt(2) lgkmcnt(0)
	v_mul_f64 v[76:77], v[3:4], v[70:71]
	v_mul_f64 v[70:71], v[1:2], v[70:71]
	s_waitcnt vmcnt(0)
	v_fma_f64 v[1:2], v[1:2], v[74:75], -v[76:77]
	v_fma_f64 v[3:4], v[3:4], v[74:75], v[70:71]
.LBB30_426:
	s_mov_b32 s8, exec_lo
	v_cmpx_ne_u32_e32 23, v0
	s_cbranch_execz .LBB30_430
; %bb.427:
	v_add_nc_u32_e32 v70, 0x200, v73
	v_add3_u32 v71, 0, v73, 16
	v_mov_b32_e32 v72, v0
	s_mov_b32 s38, 0
	.p2align	6
.LBB30_428:                             ; =>This Inner Loop Header: Depth=1
	s_clause 0x3
	buffer_load_dword v78, v71, s[0:3], 0 offen offset:8
	buffer_load_dword v79, v71, s[0:3], 0 offen offset:12
	buffer_load_dword v80, v71, s[0:3], 0 offen
	buffer_load_dword v81, v71, s[0:3], 0 offen offset:4
	ds_read_b128 v[74:77], v70
	v_add_nc_u32_e32 v72, 1, v72
	v_add_nc_u32_e32 v70, 16, v70
	;; [unrolled: 1-line block ×3, first 2 shown]
	v_cmp_lt_u32_e32 vcc_lo, 22, v72
	s_or_b32 s38, vcc_lo, s38
	s_waitcnt vmcnt(2) lgkmcnt(0)
	v_mul_f64 v[82:83], v[76:77], v[78:79]
	v_mul_f64 v[78:79], v[74:75], v[78:79]
	s_waitcnt vmcnt(0)
	v_fma_f64 v[74:75], v[74:75], v[80:81], -v[82:83]
	v_fma_f64 v[76:77], v[76:77], v[80:81], v[78:79]
	v_add_f64 v[1:2], v[1:2], v[74:75]
	v_add_f64 v[3:4], v[3:4], v[76:77]
	s_andn2_b32 exec_lo, exec_lo, s38
	s_cbranch_execnz .LBB30_428
; %bb.429:
	s_or_b32 exec_lo, exec_lo, s38
.LBB30_430:
	s_or_b32 exec_lo, exec_lo, s8
	v_mov_b32_e32 v70, 0
	ds_read_b128 v[74:77], v70 offset:384
	s_waitcnt lgkmcnt(0)
	v_mul_f64 v[70:71], v[3:4], v[76:77]
	v_mul_f64 v[76:77], v[1:2], v[76:77]
	v_fma_f64 v[1:2], v[1:2], v[74:75], -v[70:71]
	v_fma_f64 v[3:4], v[3:4], v[74:75], v[76:77]
	buffer_store_dword v2, off, s[0:3], 0 offset:388
	buffer_store_dword v1, off, s[0:3], 0 offset:384
	;; [unrolled: 1-line block ×4, first 2 shown]
.LBB30_431:
	s_or_b32 exec_lo, exec_lo, s4
	v_mov_b32_e32 v4, s12
	s_mov_b32 s4, exec_lo
	s_clause 0x3
	buffer_load_dword v1, v4, s[0:3], 0 offen
	buffer_load_dword v2, v4, s[0:3], 0 offen offset:4
	buffer_load_dword v3, v4, s[0:3], 0 offen offset:8
	;; [unrolled: 1-line block ×3, first 2 shown]
	s_waitcnt vmcnt(0)
	ds_write_b128 v68, v[1:4]
	s_waitcnt lgkmcnt(0)
	s_waitcnt_vscnt null, 0x0
	s_barrier
	buffer_gl0_inv
	v_cmpx_gt_u32_e32 25, v0
	s_cbranch_execz .LBB30_439
; %bb.432:
	ds_read_b128 v[1:4], v68
	v_cmp_ne_u32_e32 vcc_lo, 1, v69
	s_cbranch_vccnz .LBB30_434
; %bb.433:
	s_clause 0x3
	buffer_load_dword v70, v67, s[0:3], 0 offen offset:8
	buffer_load_dword v71, v67, s[0:3], 0 offen offset:12
	buffer_load_dword v74, v67, s[0:3], 0 offen
	buffer_load_dword v75, v67, s[0:3], 0 offen offset:4
	s_waitcnt vmcnt(2) lgkmcnt(0)
	v_mul_f64 v[76:77], v[3:4], v[70:71]
	v_mul_f64 v[70:71], v[1:2], v[70:71]
	s_waitcnt vmcnt(0)
	v_fma_f64 v[1:2], v[1:2], v[74:75], -v[76:77]
	v_fma_f64 v[3:4], v[3:4], v[74:75], v[70:71]
.LBB30_434:
	s_mov_b32 s8, exec_lo
	v_cmpx_ne_u32_e32 24, v0
	s_cbranch_execz .LBB30_438
; %bb.435:
	v_add_nc_u32_e32 v70, 0x200, v73
	v_add3_u32 v71, 0, v73, 16
	v_mov_b32_e32 v72, v0
	s_mov_b32 s38, 0
	.p2align	6
.LBB30_436:                             ; =>This Inner Loop Header: Depth=1
	s_clause 0x3
	buffer_load_dword v78, v71, s[0:3], 0 offen offset:8
	buffer_load_dword v79, v71, s[0:3], 0 offen offset:12
	buffer_load_dword v80, v71, s[0:3], 0 offen
	buffer_load_dword v81, v71, s[0:3], 0 offen offset:4
	ds_read_b128 v[74:77], v70
	v_add_nc_u32_e32 v72, 1, v72
	v_add_nc_u32_e32 v70, 16, v70
	;; [unrolled: 1-line block ×3, first 2 shown]
	v_cmp_lt_u32_e32 vcc_lo, 23, v72
	s_or_b32 s38, vcc_lo, s38
	s_waitcnt vmcnt(2) lgkmcnt(0)
	v_mul_f64 v[82:83], v[76:77], v[78:79]
	v_mul_f64 v[78:79], v[74:75], v[78:79]
	s_waitcnt vmcnt(0)
	v_fma_f64 v[74:75], v[74:75], v[80:81], -v[82:83]
	v_fma_f64 v[76:77], v[76:77], v[80:81], v[78:79]
	v_add_f64 v[1:2], v[1:2], v[74:75]
	v_add_f64 v[3:4], v[3:4], v[76:77]
	s_andn2_b32 exec_lo, exec_lo, s38
	s_cbranch_execnz .LBB30_436
; %bb.437:
	s_or_b32 exec_lo, exec_lo, s38
.LBB30_438:
	s_or_b32 exec_lo, exec_lo, s8
	v_mov_b32_e32 v70, 0
	ds_read_b128 v[74:77], v70 offset:400
	s_waitcnt lgkmcnt(0)
	v_mul_f64 v[70:71], v[3:4], v[76:77]
	v_mul_f64 v[76:77], v[1:2], v[76:77]
	v_fma_f64 v[1:2], v[1:2], v[74:75], -v[70:71]
	v_fma_f64 v[3:4], v[3:4], v[74:75], v[76:77]
	buffer_store_dword v2, off, s[0:3], 0 offset:404
	buffer_store_dword v1, off, s[0:3], 0 offset:400
	;; [unrolled: 1-line block ×4, first 2 shown]
.LBB30_439:
	s_or_b32 exec_lo, exec_lo, s4
	v_mov_b32_e32 v4, s11
	s_mov_b32 s4, exec_lo
	s_clause 0x3
	buffer_load_dword v1, v4, s[0:3], 0 offen
	buffer_load_dword v2, v4, s[0:3], 0 offen offset:4
	buffer_load_dword v3, v4, s[0:3], 0 offen offset:8
	;; [unrolled: 1-line block ×3, first 2 shown]
	s_waitcnt vmcnt(0)
	ds_write_b128 v68, v[1:4]
	s_waitcnt lgkmcnt(0)
	s_waitcnt_vscnt null, 0x0
	s_barrier
	buffer_gl0_inv
	v_cmpx_gt_u32_e32 26, v0
	s_cbranch_execz .LBB30_447
; %bb.440:
	ds_read_b128 v[1:4], v68
	v_cmp_ne_u32_e32 vcc_lo, 1, v69
	s_cbranch_vccnz .LBB30_442
; %bb.441:
	s_clause 0x3
	buffer_load_dword v70, v67, s[0:3], 0 offen offset:8
	buffer_load_dword v71, v67, s[0:3], 0 offen offset:12
	buffer_load_dword v74, v67, s[0:3], 0 offen
	buffer_load_dword v75, v67, s[0:3], 0 offen offset:4
	s_waitcnt vmcnt(2) lgkmcnt(0)
	v_mul_f64 v[76:77], v[3:4], v[70:71]
	v_mul_f64 v[70:71], v[1:2], v[70:71]
	s_waitcnt vmcnt(0)
	v_fma_f64 v[1:2], v[1:2], v[74:75], -v[76:77]
	v_fma_f64 v[3:4], v[3:4], v[74:75], v[70:71]
.LBB30_442:
	s_mov_b32 s8, exec_lo
	v_cmpx_ne_u32_e32 25, v0
	s_cbranch_execz .LBB30_446
; %bb.443:
	v_add_nc_u32_e32 v70, 0x200, v73
	v_add3_u32 v71, 0, v73, 16
	v_mov_b32_e32 v72, v0
	s_mov_b32 s38, 0
	.p2align	6
.LBB30_444:                             ; =>This Inner Loop Header: Depth=1
	s_clause 0x3
	buffer_load_dword v78, v71, s[0:3], 0 offen offset:8
	buffer_load_dword v79, v71, s[0:3], 0 offen offset:12
	buffer_load_dword v80, v71, s[0:3], 0 offen
	buffer_load_dword v81, v71, s[0:3], 0 offen offset:4
	ds_read_b128 v[74:77], v70
	v_add_nc_u32_e32 v72, 1, v72
	v_add_nc_u32_e32 v70, 16, v70
	;; [unrolled: 1-line block ×3, first 2 shown]
	v_cmp_lt_u32_e32 vcc_lo, 24, v72
	s_or_b32 s38, vcc_lo, s38
	s_waitcnt vmcnt(2) lgkmcnt(0)
	v_mul_f64 v[82:83], v[76:77], v[78:79]
	v_mul_f64 v[78:79], v[74:75], v[78:79]
	s_waitcnt vmcnt(0)
	v_fma_f64 v[74:75], v[74:75], v[80:81], -v[82:83]
	v_fma_f64 v[76:77], v[76:77], v[80:81], v[78:79]
	v_add_f64 v[1:2], v[1:2], v[74:75]
	v_add_f64 v[3:4], v[3:4], v[76:77]
	s_andn2_b32 exec_lo, exec_lo, s38
	s_cbranch_execnz .LBB30_444
; %bb.445:
	s_or_b32 exec_lo, exec_lo, s38
.LBB30_446:
	s_or_b32 exec_lo, exec_lo, s8
	v_mov_b32_e32 v70, 0
	ds_read_b128 v[74:77], v70 offset:416
	s_waitcnt lgkmcnt(0)
	v_mul_f64 v[70:71], v[3:4], v[76:77]
	v_mul_f64 v[76:77], v[1:2], v[76:77]
	v_fma_f64 v[1:2], v[1:2], v[74:75], -v[70:71]
	v_fma_f64 v[3:4], v[3:4], v[74:75], v[76:77]
	buffer_store_dword v2, off, s[0:3], 0 offset:420
	buffer_store_dword v1, off, s[0:3], 0 offset:416
	;; [unrolled: 1-line block ×4, first 2 shown]
.LBB30_447:
	s_or_b32 exec_lo, exec_lo, s4
	v_mov_b32_e32 v4, s10
	s_mov_b32 s4, exec_lo
	s_clause 0x3
	buffer_load_dword v1, v4, s[0:3], 0 offen
	buffer_load_dword v2, v4, s[0:3], 0 offen offset:4
	buffer_load_dword v3, v4, s[0:3], 0 offen offset:8
	;; [unrolled: 1-line block ×3, first 2 shown]
	s_waitcnt vmcnt(0)
	ds_write_b128 v68, v[1:4]
	s_waitcnt lgkmcnt(0)
	s_waitcnt_vscnt null, 0x0
	s_barrier
	buffer_gl0_inv
	v_cmpx_gt_u32_e32 27, v0
	s_cbranch_execz .LBB30_455
; %bb.448:
	ds_read_b128 v[1:4], v68
	v_cmp_ne_u32_e32 vcc_lo, 1, v69
	s_cbranch_vccnz .LBB30_450
; %bb.449:
	s_clause 0x3
	buffer_load_dword v70, v67, s[0:3], 0 offen offset:8
	buffer_load_dword v71, v67, s[0:3], 0 offen offset:12
	buffer_load_dword v74, v67, s[0:3], 0 offen
	buffer_load_dword v75, v67, s[0:3], 0 offen offset:4
	s_waitcnt vmcnt(2) lgkmcnt(0)
	v_mul_f64 v[76:77], v[3:4], v[70:71]
	v_mul_f64 v[70:71], v[1:2], v[70:71]
	s_waitcnt vmcnt(0)
	v_fma_f64 v[1:2], v[1:2], v[74:75], -v[76:77]
	v_fma_f64 v[3:4], v[3:4], v[74:75], v[70:71]
.LBB30_450:
	s_mov_b32 s8, exec_lo
	v_cmpx_ne_u32_e32 26, v0
	s_cbranch_execz .LBB30_454
; %bb.451:
	v_add_nc_u32_e32 v70, 0x200, v73
	v_add3_u32 v71, 0, v73, 16
	v_mov_b32_e32 v72, v0
	s_mov_b32 s38, 0
	.p2align	6
.LBB30_452:                             ; =>This Inner Loop Header: Depth=1
	s_clause 0x3
	buffer_load_dword v78, v71, s[0:3], 0 offen offset:8
	buffer_load_dword v79, v71, s[0:3], 0 offen offset:12
	buffer_load_dword v80, v71, s[0:3], 0 offen
	buffer_load_dword v81, v71, s[0:3], 0 offen offset:4
	ds_read_b128 v[74:77], v70
	v_add_nc_u32_e32 v72, 1, v72
	v_add_nc_u32_e32 v70, 16, v70
	;; [unrolled: 1-line block ×3, first 2 shown]
	v_cmp_lt_u32_e32 vcc_lo, 25, v72
	s_or_b32 s38, vcc_lo, s38
	s_waitcnt vmcnt(2) lgkmcnt(0)
	v_mul_f64 v[82:83], v[76:77], v[78:79]
	v_mul_f64 v[78:79], v[74:75], v[78:79]
	s_waitcnt vmcnt(0)
	v_fma_f64 v[74:75], v[74:75], v[80:81], -v[82:83]
	v_fma_f64 v[76:77], v[76:77], v[80:81], v[78:79]
	v_add_f64 v[1:2], v[1:2], v[74:75]
	v_add_f64 v[3:4], v[3:4], v[76:77]
	s_andn2_b32 exec_lo, exec_lo, s38
	s_cbranch_execnz .LBB30_452
; %bb.453:
	s_or_b32 exec_lo, exec_lo, s38
.LBB30_454:
	s_or_b32 exec_lo, exec_lo, s8
	v_mov_b32_e32 v70, 0
	ds_read_b128 v[74:77], v70 offset:432
	s_waitcnt lgkmcnt(0)
	v_mul_f64 v[70:71], v[3:4], v[76:77]
	v_mul_f64 v[76:77], v[1:2], v[76:77]
	v_fma_f64 v[1:2], v[1:2], v[74:75], -v[70:71]
	v_fma_f64 v[3:4], v[3:4], v[74:75], v[76:77]
	buffer_store_dword v2, off, s[0:3], 0 offset:436
	buffer_store_dword v1, off, s[0:3], 0 offset:432
	;; [unrolled: 1-line block ×4, first 2 shown]
.LBB30_455:
	s_or_b32 exec_lo, exec_lo, s4
	v_mov_b32_e32 v4, s9
	s_mov_b32 s4, exec_lo
	s_clause 0x3
	buffer_load_dword v1, v4, s[0:3], 0 offen
	buffer_load_dword v2, v4, s[0:3], 0 offen offset:4
	buffer_load_dword v3, v4, s[0:3], 0 offen offset:8
	;; [unrolled: 1-line block ×3, first 2 shown]
	s_waitcnt vmcnt(0)
	ds_write_b128 v68, v[1:4]
	s_waitcnt lgkmcnt(0)
	s_waitcnt_vscnt null, 0x0
	s_barrier
	buffer_gl0_inv
	v_cmpx_gt_u32_e32 28, v0
	s_cbranch_execz .LBB30_463
; %bb.456:
	ds_read_b128 v[1:4], v68
	v_cmp_ne_u32_e32 vcc_lo, 1, v69
	s_cbranch_vccnz .LBB30_458
; %bb.457:
	s_clause 0x3
	buffer_load_dword v70, v67, s[0:3], 0 offen offset:8
	buffer_load_dword v71, v67, s[0:3], 0 offen offset:12
	buffer_load_dword v74, v67, s[0:3], 0 offen
	buffer_load_dword v75, v67, s[0:3], 0 offen offset:4
	s_waitcnt vmcnt(2) lgkmcnt(0)
	v_mul_f64 v[76:77], v[3:4], v[70:71]
	v_mul_f64 v[70:71], v[1:2], v[70:71]
	s_waitcnt vmcnt(0)
	v_fma_f64 v[1:2], v[1:2], v[74:75], -v[76:77]
	v_fma_f64 v[3:4], v[3:4], v[74:75], v[70:71]
.LBB30_458:
	s_mov_b32 s8, exec_lo
	v_cmpx_ne_u32_e32 27, v0
	s_cbranch_execz .LBB30_462
; %bb.459:
	v_add_nc_u32_e32 v70, 0x200, v73
	v_add3_u32 v71, 0, v73, 16
	v_mov_b32_e32 v72, v0
	s_mov_b32 s38, 0
	.p2align	6
.LBB30_460:                             ; =>This Inner Loop Header: Depth=1
	s_clause 0x3
	buffer_load_dword v78, v71, s[0:3], 0 offen offset:8
	buffer_load_dword v79, v71, s[0:3], 0 offen offset:12
	buffer_load_dword v80, v71, s[0:3], 0 offen
	buffer_load_dword v81, v71, s[0:3], 0 offen offset:4
	ds_read_b128 v[74:77], v70
	v_add_nc_u32_e32 v72, 1, v72
	v_add_nc_u32_e32 v70, 16, v70
	;; [unrolled: 1-line block ×3, first 2 shown]
	v_cmp_lt_u32_e32 vcc_lo, 26, v72
	s_or_b32 s38, vcc_lo, s38
	s_waitcnt vmcnt(2) lgkmcnt(0)
	v_mul_f64 v[82:83], v[76:77], v[78:79]
	v_mul_f64 v[78:79], v[74:75], v[78:79]
	s_waitcnt vmcnt(0)
	v_fma_f64 v[74:75], v[74:75], v[80:81], -v[82:83]
	v_fma_f64 v[76:77], v[76:77], v[80:81], v[78:79]
	v_add_f64 v[1:2], v[1:2], v[74:75]
	v_add_f64 v[3:4], v[3:4], v[76:77]
	s_andn2_b32 exec_lo, exec_lo, s38
	s_cbranch_execnz .LBB30_460
; %bb.461:
	s_or_b32 exec_lo, exec_lo, s38
.LBB30_462:
	s_or_b32 exec_lo, exec_lo, s8
	v_mov_b32_e32 v70, 0
	ds_read_b128 v[74:77], v70 offset:448
	s_waitcnt lgkmcnt(0)
	v_mul_f64 v[70:71], v[3:4], v[76:77]
	v_mul_f64 v[76:77], v[1:2], v[76:77]
	v_fma_f64 v[1:2], v[1:2], v[74:75], -v[70:71]
	v_fma_f64 v[3:4], v[3:4], v[74:75], v[76:77]
	buffer_store_dword v2, off, s[0:3], 0 offset:452
	buffer_store_dword v1, off, s[0:3], 0 offset:448
	;; [unrolled: 1-line block ×4, first 2 shown]
.LBB30_463:
	s_or_b32 exec_lo, exec_lo, s4
	v_mov_b32_e32 v4, s7
	v_cmp_gt_u32_e64 s4, 29, v0
	s_clause 0x3
	buffer_load_dword v1, v4, s[0:3], 0 offen
	buffer_load_dword v2, v4, s[0:3], 0 offen offset:4
	buffer_load_dword v3, v4, s[0:3], 0 offen offset:8
	;; [unrolled: 1-line block ×3, first 2 shown]
	s_waitcnt vmcnt(0)
	ds_write_b128 v68, v[1:4]
	s_waitcnt lgkmcnt(0)
	s_waitcnt_vscnt null, 0x0
	s_barrier
	buffer_gl0_inv
	s_and_saveexec_b32 s8, s4
	s_cbranch_execz .LBB30_471
; %bb.464:
	ds_read_b128 v[1:4], v68
	v_cmp_ne_u32_e32 vcc_lo, 1, v69
	s_cbranch_vccnz .LBB30_466
; %bb.465:
	s_clause 0x3
	buffer_load_dword v70, v67, s[0:3], 0 offen offset:8
	buffer_load_dword v71, v67, s[0:3], 0 offen offset:12
	buffer_load_dword v74, v67, s[0:3], 0 offen
	buffer_load_dword v75, v67, s[0:3], 0 offen offset:4
	s_waitcnt vmcnt(2) lgkmcnt(0)
	v_mul_f64 v[76:77], v[3:4], v[70:71]
	v_mul_f64 v[70:71], v[1:2], v[70:71]
	s_waitcnt vmcnt(0)
	v_fma_f64 v[1:2], v[1:2], v[74:75], -v[76:77]
	v_fma_f64 v[3:4], v[3:4], v[74:75], v[70:71]
.LBB30_466:
	s_mov_b32 s38, exec_lo
	v_cmpx_ne_u32_e32 28, v0
	s_cbranch_execz .LBB30_470
; %bb.467:
	v_add_nc_u32_e32 v70, 0x200, v73
	v_add3_u32 v71, 0, v73, 16
	v_mov_b32_e32 v72, v0
	s_mov_b32 s39, 0
	.p2align	6
.LBB30_468:                             ; =>This Inner Loop Header: Depth=1
	s_clause 0x3
	buffer_load_dword v78, v71, s[0:3], 0 offen offset:8
	buffer_load_dword v79, v71, s[0:3], 0 offen offset:12
	buffer_load_dword v80, v71, s[0:3], 0 offen
	buffer_load_dword v81, v71, s[0:3], 0 offen offset:4
	ds_read_b128 v[74:77], v70
	v_add_nc_u32_e32 v72, 1, v72
	v_add_nc_u32_e32 v70, 16, v70
	;; [unrolled: 1-line block ×3, first 2 shown]
	v_cmp_lt_u32_e32 vcc_lo, 27, v72
	s_or_b32 s39, vcc_lo, s39
	s_waitcnt vmcnt(2) lgkmcnt(0)
	v_mul_f64 v[82:83], v[76:77], v[78:79]
	v_mul_f64 v[78:79], v[74:75], v[78:79]
	s_waitcnt vmcnt(0)
	v_fma_f64 v[74:75], v[74:75], v[80:81], -v[82:83]
	v_fma_f64 v[76:77], v[76:77], v[80:81], v[78:79]
	v_add_f64 v[1:2], v[1:2], v[74:75]
	v_add_f64 v[3:4], v[3:4], v[76:77]
	s_andn2_b32 exec_lo, exec_lo, s39
	s_cbranch_execnz .LBB30_468
; %bb.469:
	s_or_b32 exec_lo, exec_lo, s39
.LBB30_470:
	s_or_b32 exec_lo, exec_lo, s38
	v_mov_b32_e32 v70, 0
	ds_read_b128 v[74:77], v70 offset:464
	s_waitcnt lgkmcnt(0)
	v_mul_f64 v[70:71], v[3:4], v[76:77]
	v_mul_f64 v[76:77], v[1:2], v[76:77]
	v_fma_f64 v[1:2], v[1:2], v[74:75], -v[70:71]
	v_fma_f64 v[3:4], v[3:4], v[74:75], v[76:77]
	buffer_store_dword v2, off, s[0:3], 0 offset:468
	buffer_store_dword v1, off, s[0:3], 0 offset:464
	buffer_store_dword v4, off, s[0:3], 0 offset:476
	buffer_store_dword v3, off, s[0:3], 0 offset:472
.LBB30_471:
	s_or_b32 exec_lo, exec_lo, s8
	v_mov_b32_e32 v4, s6
	s_mov_b32 s8, exec_lo
                                        ; implicit-def: $sgpr40
	s_clause 0x3
	buffer_load_dword v1, v4, s[0:3], 0 offen
	buffer_load_dword v2, v4, s[0:3], 0 offen offset:4
	buffer_load_dword v3, v4, s[0:3], 0 offen offset:8
	;; [unrolled: 1-line block ×3, first 2 shown]
	s_waitcnt vmcnt(0)
	ds_write_b128 v68, v[1:4]
	s_waitcnt lgkmcnt(0)
	s_waitcnt_vscnt null, 0x0
	s_barrier
	buffer_gl0_inv
                                        ; implicit-def: $vgpr1_vgpr2
	v_cmpx_ne_u32_e32 30, v0
	s_cbranch_execz .LBB30_479
; %bb.472:
	ds_read_b128 v[1:4], v68
	v_cmp_ne_u32_e32 vcc_lo, 1, v69
	s_cbranch_vccnz .LBB30_474
; %bb.473:
	s_clause 0x3
	buffer_load_dword v68, v67, s[0:3], 0 offen offset:8
	buffer_load_dword v69, v67, s[0:3], 0 offen offset:12
	buffer_load_dword v70, v67, s[0:3], 0 offen
	buffer_load_dword v71, v67, s[0:3], 0 offen offset:4
	s_waitcnt vmcnt(2) lgkmcnt(0)
	v_mul_f64 v[74:75], v[3:4], v[68:69]
	v_mul_f64 v[67:68], v[1:2], v[68:69]
	s_waitcnt vmcnt(0)
	v_fma_f64 v[1:2], v[1:2], v[70:71], -v[74:75]
	v_fma_f64 v[3:4], v[3:4], v[70:71], v[67:68]
.LBB30_474:
	s_and_saveexec_b32 s38, s4
	s_cbranch_execz .LBB30_478
; %bb.475:
	v_add_nc_u32_e32 v67, 0x200, v73
	v_add3_u32 v68, 0, v73, 16
	s_mov_b32 s4, 0
	.p2align	6
.LBB30_476:                             ; =>This Inner Loop Header: Depth=1
	s_clause 0x3
	buffer_load_dword v73, v68, s[0:3], 0 offen offset:8
	buffer_load_dword v74, v68, s[0:3], 0 offen offset:12
	buffer_load_dword v75, v68, s[0:3], 0 offen
	buffer_load_dword v76, v68, s[0:3], 0 offen offset:4
	ds_read_b128 v[69:72], v67
	v_add_nc_u32_e32 v0, 1, v0
	v_add_nc_u32_e32 v67, 16, v67
	;; [unrolled: 1-line block ×3, first 2 shown]
	v_cmp_lt_u32_e32 vcc_lo, 28, v0
	s_or_b32 s4, vcc_lo, s4
	s_waitcnt vmcnt(2) lgkmcnt(0)
	v_mul_f64 v[77:78], v[71:72], v[73:74]
	v_mul_f64 v[73:74], v[69:70], v[73:74]
	s_waitcnt vmcnt(0)
	v_fma_f64 v[69:70], v[69:70], v[75:76], -v[77:78]
	v_fma_f64 v[71:72], v[71:72], v[75:76], v[73:74]
	v_add_f64 v[1:2], v[1:2], v[69:70]
	v_add_f64 v[3:4], v[3:4], v[71:72]
	s_andn2_b32 exec_lo, exec_lo, s4
	s_cbranch_execnz .LBB30_476
; %bb.477:
	s_or_b32 exec_lo, exec_lo, s4
.LBB30_478:
	s_or_b32 exec_lo, exec_lo, s38
	v_mov_b32_e32 v0, 0
	s_movk_i32 s40, 0x1e8
	s_or_b32 s5, s5, exec_lo
	ds_read_b128 v[67:70], v0 offset:480
	s_waitcnt lgkmcnt(0)
	v_mul_f64 v[71:72], v[3:4], v[69:70]
	v_mul_f64 v[69:70], v[1:2], v[69:70]
	v_fma_f64 v[71:72], v[1:2], v[67:68], -v[71:72]
	v_fma_f64 v[1:2], v[3:4], v[67:68], v[69:70]
	buffer_store_dword v72, off, s[0:3], 0 offset:484
	buffer_store_dword v71, off, s[0:3], 0 offset:480
.LBB30_479:
	s_or_b32 exec_lo, exec_lo, s8
.LBB30_480:
	s_and_saveexec_b32 s4, s5
	s_cbranch_execz .LBB30_482
; %bb.481:
	v_mov_b32_e32 v0, s40
	buffer_store_dword v2, v0, s[0:3], 0 offen offset:4
	buffer_store_dword v1, v0, s[0:3], 0 offen
.LBB30_482:
	s_or_b32 exec_lo, exec_lo, s4
	v_mov_b32_e32 v4, s37
	s_clause 0x7
	buffer_load_dword v0, off, s[0:3], 0
	buffer_load_dword v1, off, s[0:3], 0 offset:4
	buffer_load_dword v2, off, s[0:3], 0 offset:8
	buffer_load_dword v3, off, s[0:3], 0 offset:12
	buffer_load_dword v67, v4, s[0:3], 0 offen
	buffer_load_dword v68, v4, s[0:3], 0 offen offset:4
	buffer_load_dword v69, v4, s[0:3], 0 offen offset:8
	;; [unrolled: 1-line block ×3, first 2 shown]
	v_mov_b32_e32 v4, s36
	v_mov_b32_e32 v91, s30
	;; [unrolled: 1-line block ×4, first 2 shown]
	s_clause 0x3
	buffer_load_dword v71, v4, s[0:3], 0 offen
	buffer_load_dword v72, v4, s[0:3], 0 offen offset:4
	buffer_load_dword v73, v4, s[0:3], 0 offen offset:8
	;; [unrolled: 1-line block ×3, first 2 shown]
	v_mov_b32_e32 v4, s35
	v_mov_b32_e32 v96, s11
	;; [unrolled: 1-line block ×3, first 2 shown]
	s_clause 0x3
	buffer_load_dword v75, v4, s[0:3], 0 offen
	buffer_load_dword v76, v4, s[0:3], 0 offen offset:4
	buffer_load_dword v77, v4, s[0:3], 0 offen offset:8
	;; [unrolled: 1-line block ×3, first 2 shown]
	v_mov_b32_e32 v4, s34
	v_mov_b32_e32 v95, s12
	s_clause 0x3
	buffer_load_dword v79, v4, s[0:3], 0 offen
	buffer_load_dword v80, v4, s[0:3], 0 offen offset:4
	buffer_load_dword v81, v4, s[0:3], 0 offen offset:8
	buffer_load_dword v82, v4, s[0:3], 0 offen offset:12
	v_mov_b32_e32 v4, s33
	s_clause 0x3
	buffer_load_dword v83, v4, s[0:3], 0 offen
	buffer_load_dword v84, v4, s[0:3], 0 offen offset:4
	buffer_load_dword v85, v4, s[0:3], 0 offen offset:8
	buffer_load_dword v86, v4, s[0:3], 0 offen offset:12
	;; [unrolled: 6-line block ×3, first 2 shown]
	v_mov_b32_e32 v4, s29
	v_mov_b32_e32 v97, s10
	;; [unrolled: 1-line block ×3, first 2 shown]
	s_waitcnt vmcnt(24)
	global_store_dwordx4 v[7:8], v[0:3], off
	s_clause 0x3
	buffer_load_dword v0, v91, s[0:3], 0 offen
	buffer_load_dword v1, v91, s[0:3], 0 offen offset:4
	buffer_load_dword v2, v91, s[0:3], 0 offen offset:8
	;; [unrolled: 1-line block ×3, first 2 shown]
	s_waitcnt vmcnt(24)
	global_store_dwordx4 v[9:10], v[67:70], off
	s_clause 0x7
	buffer_load_dword v7, v4, s[0:3], 0 offen
	buffer_load_dword v8, v4, s[0:3], 0 offen offset:4
	buffer_load_dword v9, v4, s[0:3], 0 offen offset:8
	;; [unrolled: 1-line block ×3, first 2 shown]
	buffer_load_dword v67, v92, s[0:3], 0 offen
	buffer_load_dword v68, v92, s[0:3], 0 offen offset:4
	buffer_load_dword v69, v92, s[0:3], 0 offen offset:8
	;; [unrolled: 1-line block ×3, first 2 shown]
	v_mov_b32_e32 v4, s27
	s_waitcnt vmcnt(28)
	global_store_dwordx4 v[5:6], v[71:74], off
	s_clause 0x7
	buffer_load_dword v71, v4, s[0:3], 0 offen
	buffer_load_dword v72, v4, s[0:3], 0 offen offset:4
	buffer_load_dword v73, v4, s[0:3], 0 offen offset:8
	;; [unrolled: 1-line block ×3, first 2 shown]
	buffer_load_dword v91, v94, s[0:3], 0 offen
	buffer_load_dword v92, v94, s[0:3], 0 offen offset:4
	buffer_load_dword v93, v94, s[0:3], 0 offen offset:8
	;; [unrolled: 1-line block ×3, first 2 shown]
	v_mov_b32_e32 v4, s25
	v_mov_b32_e32 v5, s23
	s_waitcnt vmcnt(32)
	global_store_dwordx4 v[51:52], v[75:78], off
	s_clause 0x3
	buffer_load_dword v75, v4, s[0:3], 0 offen
	buffer_load_dword v76, v4, s[0:3], 0 offen offset:4
	buffer_load_dword v77, v4, s[0:3], 0 offen offset:8
	;; [unrolled: 1-line block ×3, first 2 shown]
	v_mov_b32_e32 v4, s24
	s_waitcnt vmcnt(32)
	global_store_dwordx4 v[49:50], v[79:82], off
	s_clause 0x7
	buffer_load_dword v49, v4, s[0:3], 0 offen
	buffer_load_dword v50, v4, s[0:3], 0 offen offset:4
	buffer_load_dword v51, v4, s[0:3], 0 offen offset:8
	;; [unrolled: 1-line block ×3, first 2 shown]
	buffer_load_dword v79, v5, s[0:3], 0 offen
	buffer_load_dword v80, v5, s[0:3], 0 offen offset:4
	buffer_load_dword v81, v5, s[0:3], 0 offen offset:8
	;; [unrolled: 1-line block ×3, first 2 shown]
	v_mov_b32_e32 v4, s22
	s_waitcnt vmcnt(36)
	global_store_dwordx4 v[45:46], v[83:86], off
	s_clause 0x3
	buffer_load_dword v83, v4, s[0:3], 0 offen
	buffer_load_dword v84, v4, s[0:3], 0 offen offset:4
	buffer_load_dword v85, v4, s[0:3], 0 offen offset:8
	;; [unrolled: 1-line block ×3, first 2 shown]
	v_mov_b32_e32 v4, s21
	v_mov_b32_e32 v46, s17
	;; [unrolled: 1-line block ×3, first 2 shown]
	s_waitcnt vmcnt(36)
	global_store_dwordx4 v[43:44], v[87:90], off
	v_mov_b32_e32 v43, s19
	v_mov_b32_e32 v88, s15
	;; [unrolled: 1-line block ×6, first 2 shown]
	s_waitcnt vmcnt(32)
	global_store_dwordx4 v[37:38], v[0:3], off
	s_waitcnt vmcnt(28)
	global_store_dwordx4 v[35:36], v[7:10], off
	v_mov_b32_e32 v8, s6
	s_waitcnt vmcnt(24)
	global_store_dwordx4 v[33:34], v[67:70], off
	s_clause 0x7
	buffer_load_dword v0, v4, s[0:3], 0 offen
	buffer_load_dword v1, v4, s[0:3], 0 offen offset:4
	buffer_load_dword v2, v4, s[0:3], 0 offen offset:8
	buffer_load_dword v3, v4, s[0:3], 0 offen offset:12
	buffer_load_dword v4, v45, s[0:3], 0 offen
	buffer_load_dword v5, v45, s[0:3], 0 offen offset:4
	buffer_load_dword v6, v45, s[0:3], 0 offen offset:8
	buffer_load_dword v7, v45, s[0:3], 0 offen offset:12
	s_waitcnt vmcnt(28)
	global_store_dwordx4 v[31:32], v[71:74], off
	s_clause 0x7
	buffer_load_dword v31, v43, s[0:3], 0 offen
	buffer_load_dword v32, v43, s[0:3], 0 offen offset:4
	buffer_load_dword v33, v43, s[0:3], 0 offen offset:8
	buffer_load_dword v34, v43, s[0:3], 0 offen offset:12
	buffer_load_dword v35, v44, s[0:3], 0 offen
	buffer_load_dword v36, v44, s[0:3], 0 offen offset:4
	buffer_load_dword v37, v44, s[0:3], 0 offen offset:8
	buffer_load_dword v38, v44, s[0:3], 0 offen offset:12
	;; [unrolled: 11-line block ×7, first 2 shown]
	buffer_load_dword v95, v8, s[0:3], 0 offen
	buffer_load_dword v96, v8, s[0:3], 0 offen offset:4
	buffer_load_dword v97, v8, s[0:3], 0 offen offset:8
	;; [unrolled: 1-line block ×3, first 2 shown]
	s_waitcnt vmcnt(56)
	global_store_dwordx4 v[11:12], v[0:3], off
	s_waitcnt vmcnt(52)
	global_store_dwordx4 v[13:14], v[4:7], off
	;; [unrolled: 2-line block ×15, first 2 shown]
.LBB30_483:
	s_endpgm
	.section	.rodata,"a",@progbits
	.p2align	6, 0x0
	.amdhsa_kernel _ZN9rocsolver6v33100L18trti2_kernel_smallILi31E19rocblas_complex_numIdEPS3_EEv13rocblas_fill_17rocblas_diagonal_T1_iil
		.amdhsa_group_segment_fixed_size 992
		.amdhsa_private_segment_fixed_size 512
		.amdhsa_kernarg_size 32
		.amdhsa_user_sgpr_count 6
		.amdhsa_user_sgpr_private_segment_buffer 1
		.amdhsa_user_sgpr_dispatch_ptr 0
		.amdhsa_user_sgpr_queue_ptr 0
		.amdhsa_user_sgpr_kernarg_segment_ptr 1
		.amdhsa_user_sgpr_dispatch_id 0
		.amdhsa_user_sgpr_flat_scratch_init 0
		.amdhsa_user_sgpr_private_segment_size 0
		.amdhsa_wavefront_size32 1
		.amdhsa_uses_dynamic_stack 0
		.amdhsa_system_sgpr_private_segment_wavefront_offset 1
		.amdhsa_system_sgpr_workgroup_id_x 1
		.amdhsa_system_sgpr_workgroup_id_y 0
		.amdhsa_system_sgpr_workgroup_id_z 0
		.amdhsa_system_sgpr_workgroup_info 0
		.amdhsa_system_vgpr_workitem_id 0
		.amdhsa_next_free_vgpr 100
		.amdhsa_next_free_sgpr 51
		.amdhsa_reserve_vcc 1
		.amdhsa_reserve_flat_scratch 0
		.amdhsa_float_round_mode_32 0
		.amdhsa_float_round_mode_16_64 0
		.amdhsa_float_denorm_mode_32 3
		.amdhsa_float_denorm_mode_16_64 3
		.amdhsa_dx10_clamp 1
		.amdhsa_ieee_mode 1
		.amdhsa_fp16_overflow 0
		.amdhsa_workgroup_processor_mode 1
		.amdhsa_memory_ordered 1
		.amdhsa_forward_progress 1
		.amdhsa_shared_vgpr_count 0
		.amdhsa_exception_fp_ieee_invalid_op 0
		.amdhsa_exception_fp_denorm_src 0
		.amdhsa_exception_fp_ieee_div_zero 0
		.amdhsa_exception_fp_ieee_overflow 0
		.amdhsa_exception_fp_ieee_underflow 0
		.amdhsa_exception_fp_ieee_inexact 0
		.amdhsa_exception_int_div_zero 0
	.end_amdhsa_kernel
	.section	.text._ZN9rocsolver6v33100L18trti2_kernel_smallILi31E19rocblas_complex_numIdEPS3_EEv13rocblas_fill_17rocblas_diagonal_T1_iil,"axG",@progbits,_ZN9rocsolver6v33100L18trti2_kernel_smallILi31E19rocblas_complex_numIdEPS3_EEv13rocblas_fill_17rocblas_diagonal_T1_iil,comdat
.Lfunc_end30:
	.size	_ZN9rocsolver6v33100L18trti2_kernel_smallILi31E19rocblas_complex_numIdEPS3_EEv13rocblas_fill_17rocblas_diagonal_T1_iil, .Lfunc_end30-_ZN9rocsolver6v33100L18trti2_kernel_smallILi31E19rocblas_complex_numIdEPS3_EEv13rocblas_fill_17rocblas_diagonal_T1_iil
                                        ; -- End function
	.set _ZN9rocsolver6v33100L18trti2_kernel_smallILi31E19rocblas_complex_numIdEPS3_EEv13rocblas_fill_17rocblas_diagonal_T1_iil.num_vgpr, 100
	.set _ZN9rocsolver6v33100L18trti2_kernel_smallILi31E19rocblas_complex_numIdEPS3_EEv13rocblas_fill_17rocblas_diagonal_T1_iil.num_agpr, 0
	.set _ZN9rocsolver6v33100L18trti2_kernel_smallILi31E19rocblas_complex_numIdEPS3_EEv13rocblas_fill_17rocblas_diagonal_T1_iil.numbered_sgpr, 51
	.set _ZN9rocsolver6v33100L18trti2_kernel_smallILi31E19rocblas_complex_numIdEPS3_EEv13rocblas_fill_17rocblas_diagonal_T1_iil.num_named_barrier, 0
	.set _ZN9rocsolver6v33100L18trti2_kernel_smallILi31E19rocblas_complex_numIdEPS3_EEv13rocblas_fill_17rocblas_diagonal_T1_iil.private_seg_size, 512
	.set _ZN9rocsolver6v33100L18trti2_kernel_smallILi31E19rocblas_complex_numIdEPS3_EEv13rocblas_fill_17rocblas_diagonal_T1_iil.uses_vcc, 1
	.set _ZN9rocsolver6v33100L18trti2_kernel_smallILi31E19rocblas_complex_numIdEPS3_EEv13rocblas_fill_17rocblas_diagonal_T1_iil.uses_flat_scratch, 0
	.set _ZN9rocsolver6v33100L18trti2_kernel_smallILi31E19rocblas_complex_numIdEPS3_EEv13rocblas_fill_17rocblas_diagonal_T1_iil.has_dyn_sized_stack, 0
	.set _ZN9rocsolver6v33100L18trti2_kernel_smallILi31E19rocblas_complex_numIdEPS3_EEv13rocblas_fill_17rocblas_diagonal_T1_iil.has_recursion, 0
	.set _ZN9rocsolver6v33100L18trti2_kernel_smallILi31E19rocblas_complex_numIdEPS3_EEv13rocblas_fill_17rocblas_diagonal_T1_iil.has_indirect_call, 0
	.section	.AMDGPU.csdata,"",@progbits
; Kernel info:
; codeLenInByte = 31312
; TotalNumSgprs: 53
; NumVgprs: 100
; ScratchSize: 512
; MemoryBound: 0
; FloatMode: 240
; IeeeMode: 1
; LDSByteSize: 992 bytes/workgroup (compile time only)
; SGPRBlocks: 0
; VGPRBlocks: 12
; NumSGPRsForWavesPerEU: 53
; NumVGPRsForWavesPerEU: 100
; Occupancy: 9
; WaveLimiterHint : 0
; COMPUTE_PGM_RSRC2:SCRATCH_EN: 1
; COMPUTE_PGM_RSRC2:USER_SGPR: 6
; COMPUTE_PGM_RSRC2:TRAP_HANDLER: 0
; COMPUTE_PGM_RSRC2:TGID_X_EN: 1
; COMPUTE_PGM_RSRC2:TGID_Y_EN: 0
; COMPUTE_PGM_RSRC2:TGID_Z_EN: 0
; COMPUTE_PGM_RSRC2:TIDIG_COMP_CNT: 0
	.section	.text._ZN9rocsolver6v33100L18trti2_kernel_smallILi32E19rocblas_complex_numIdEPS3_EEv13rocblas_fill_17rocblas_diagonal_T1_iil,"axG",@progbits,_ZN9rocsolver6v33100L18trti2_kernel_smallILi32E19rocblas_complex_numIdEPS3_EEv13rocblas_fill_17rocblas_diagonal_T1_iil,comdat
	.globl	_ZN9rocsolver6v33100L18trti2_kernel_smallILi32E19rocblas_complex_numIdEPS3_EEv13rocblas_fill_17rocblas_diagonal_T1_iil ; -- Begin function _ZN9rocsolver6v33100L18trti2_kernel_smallILi32E19rocblas_complex_numIdEPS3_EEv13rocblas_fill_17rocblas_diagonal_T1_iil
	.p2align	8
	.type	_ZN9rocsolver6v33100L18trti2_kernel_smallILi32E19rocblas_complex_numIdEPS3_EEv13rocblas_fill_17rocblas_diagonal_T1_iil,@function
_ZN9rocsolver6v33100L18trti2_kernel_smallILi32E19rocblas_complex_numIdEPS3_EEv13rocblas_fill_17rocblas_diagonal_T1_iil: ; @_ZN9rocsolver6v33100L18trti2_kernel_smallILi32E19rocblas_complex_numIdEPS3_EEv13rocblas_fill_17rocblas_diagonal_T1_iil
; %bb.0:
	s_add_u32 s0, s0, s7
	s_addc_u32 s1, s1, 0
	s_mov_b32 s7, exec_lo
	v_cmpx_gt_u32_e32 32, v0
	s_cbranch_execz .LBB31_499
; %bb.1:
	s_load_dwordx8 s[8:15], s[4:5], 0x0
	s_ashr_i32 s4, s6, 31
	v_lshlrev_b32_e32 v75, 4, v0
	s_movk_i32 s16, 0xf0
	s_movk_i32 s17, 0x100
	;; [unrolled: 1-line block ×17, first 2 shown]
	s_waitcnt lgkmcnt(0)
	s_mul_hi_u32 s5, s14, s6
	s_mul_i32 s4, s14, s4
	s_mul_i32 s7, s15, s6
	s_add_i32 s5, s5, s4
	s_mul_i32 s4, s14, s6
	s_add_i32 s5, s5, s7
	s_ashr_i32 s7, s12, 31
	s_lshl_b64 s[4:5], s[4:5], 4
	s_mov_b32 s6, s12
	s_add_u32 s10, s10, s4
	s_addc_u32 s11, s11, s5
	s_lshl_b64 s[4:5], s[6:7], 4
	v_add3_u32 v5, s13, s13, v0
	s_add_u32 s4, s10, s4
	s_addc_u32 s5, s11, s5
	v_add_co_u32 v51, s10, s4, v75
	global_load_dwordx4 v[1:4], v75, s[4:5]
	v_add_nc_u32_e32 v11, s13, v5
	v_ashrrev_i32_e32 v6, 31, v5
	s_mov_b32 s6, s13
	s_ashr_i32 s7, s13, 31
	v_add_co_ci_u32_e64 v52, null, s5, 0, s10
	v_add_nc_u32_e32 v13, s13, v11
	v_lshlrev_b64 v[5:6], 4, v[5:6]
	s_lshl_b64 s[6:7], s[6:7], 4
	v_ashrrev_i32_e32 v12, 31, v11
	v_add_co_u32 v41, vcc_lo, v51, s6
	v_add_nc_u32_e32 v19, s13, v13
	v_add_co_ci_u32_e64 v42, null, s7, v52, vcc_lo
	v_add_co_u32 v45, vcc_lo, s4, v5
	v_add_nc_u32_e32 v23, s13, v19
	v_ashrrev_i32_e32 v14, 31, v13
	v_add_co_ci_u32_e64 v46, null, s5, v6, vcc_lo
	v_lshlrev_b64 v[5:6], 4, v[11:12]
	v_add_nc_u32_e32 v25, s13, v23
	global_load_dwordx4 v[7:10], v[41:42], off
	v_lshlrev_b64 v[15:16], 4, v[13:14]
	v_ashrrev_i32_e32 v20, 31, v19
	global_load_dwordx4 v[11:14], v[45:46], off
	v_add_nc_u32_e32 v27, s13, v25
	v_add_co_u32 v43, vcc_lo, s4, v5
	v_add_co_ci_u32_e64 v44, null, s5, v6, vcc_lo
	v_add_nc_u32_e32 v29, s13, v27
	v_add_co_u32 v37, vcc_lo, s4, v15
	v_lshlrev_b64 v[30:31], 4, v[19:20]
	v_add_co_ci_u32_e64 v38, null, s5, v16, vcc_lo
	v_add_nc_u32_e32 v47, s13, v29
	global_load_dwordx4 v[15:18], v[43:44], off
	v_ashrrev_i32_e32 v24, 31, v23
	v_ashrrev_i32_e32 v26, 31, v25
	;; [unrolled: 1-line block ×3, first 2 shown]
	v_add_nc_u32_e32 v53, s13, v47
	v_ashrrev_i32_e32 v48, 31, v47
	v_lshlrev_b64 v[23:24], 4, v[23:24]
	s_cmpk_lg_i32 s9, 0x84
	s_movk_i32 s6, 0x70
	v_add_nc_u32_e32 v55, s13, v53
	v_ashrrev_i32_e32 v54, 31, v53
	s_movk_i32 s7, 0x80
	s_movk_i32 s10, 0x90
	;; [unrolled: 1-line block ×3, first 2 shown]
	v_add_nc_u32_e32 v57, s13, v55
	v_ashrrev_i32_e32 v56, 31, v55
	s_movk_i32 s12, 0xb0
	s_movk_i32 s14, 0xd0
	;; [unrolled: 1-line block ×3, first 2 shown]
	v_add_nc_u32_e32 v59, s13, v57
	v_ashrrev_i32_e32 v58, 31, v57
	s_cselect_b32 s40, -1, 0
	s_cmpk_eq_i32 s9, 0x84
	v_add_nc_u32_e32 v61, s13, v59
	v_ashrrev_i32_e32 v60, 31, v59
	v_add_nc_u32_e32 v63, s13, v61
	v_ashrrev_i32_e32 v62, 31, v61
	;; [unrolled: 2-line block ×7, first 2 shown]
	v_lshlrev_b64 v[73:74], 4, v[73:74]
	v_add_nc_u32_e32 v82, s13, v80
	v_ashrrev_i32_e32 v81, 31, v80
	v_add_nc_u32_e32 v84, s13, v82
	v_ashrrev_i32_e32 v83, 31, v82
	;; [unrolled: 2-line block ×10, first 2 shown]
	s_movk_i32 s13, 0xc0
	v_ashrrev_i32_e32 v22, 31, v21
	v_lshlrev_b64 v[5:6], 4, v[21:22]
	global_load_dwordx4 v[19:22], v[37:38], off
	v_add_co_u32 v5, vcc_lo, s4, v5
	v_add_co_ci_u32_e64 v6, null, s5, v6, vcc_lo
	v_add_co_u32 v33, vcc_lo, s4, v30
	v_add_co_ci_u32_e64 v34, null, s5, v31, vcc_lo
	global_load_dwordx4 v[69:72], v[5:6], off
	v_lshlrev_b64 v[31:32], 4, v[25:26]
	v_add_co_u32 v39, vcc_lo, s4, v23
	v_add_co_ci_u32_e64 v40, null, s5, v24, vcc_lo
	v_lshlrev_b64 v[23:24], 4, v[27:28]
	v_add_co_u32 v35, vcc_lo, s4, v31
	v_ashrrev_i32_e32 v30, 31, v29
	v_add_co_ci_u32_e64 v36, null, s5, v32, vcc_lo
	v_add_co_u32 v23, vcc_lo, s4, v23
	v_add_co_ci_u32_e64 v24, null, s5, v24, vcc_lo
	s_waitcnt vmcnt(5)
	buffer_store_dword v4, off, s[0:3], 0 offset:12
	buffer_store_dword v3, off, s[0:3], 0 offset:8
	;; [unrolled: 1-line block ×3, first 2 shown]
	buffer_store_dword v1, off, s[0:3], 0
	global_load_dwordx4 v[1:4], v[33:34], off
	s_waitcnt vmcnt(5)
	buffer_store_dword v10, off, s[0:3], 0 offset:28
	buffer_store_dword v9, off, s[0:3], 0 offset:24
	;; [unrolled: 1-line block ×4, first 2 shown]
	global_load_dwordx4 v[25:28], v[39:40], off
	v_lshlrev_b64 v[7:8], 4, v[29:30]
	s_waitcnt vmcnt(5)
	buffer_store_dword v14, off, s[0:3], 0 offset:44
	buffer_store_dword v13, off, s[0:3], 0 offset:40
	;; [unrolled: 1-line block ×4, first 2 shown]
	global_load_dwordx4 v[29:32], v[35:36], off
	s_waitcnt vmcnt(5)
	buffer_store_dword v18, off, s[0:3], 0 offset:60
	buffer_store_dword v17, off, s[0:3], 0 offset:56
	buffer_store_dword v16, off, s[0:3], 0 offset:52
	buffer_store_dword v15, off, s[0:3], 0 offset:48
	v_lshlrev_b64 v[11:12], 4, v[47:48]
	global_load_dwordx4 v[15:18], v[23:24], off
	v_add_co_u32 v9, vcc_lo, s4, v7
	v_add_co_ci_u32_e64 v10, null, s5, v8, vcc_lo
	v_add_co_u32 v7, vcc_lo, s4, v11
	v_add_co_ci_u32_e64 v8, null, s5, v12, vcc_lo
	v_lshlrev_b64 v[11:12], 4, v[53:54]
	v_lshlrev_b64 v[13:14], 4, v[55:56]
	s_waitcnt vmcnt(5)
	buffer_store_dword v22, off, s[0:3], 0 offset:76
	buffer_store_dword v21, off, s[0:3], 0 offset:72
	;; [unrolled: 1-line block ×4, first 2 shown]
	global_load_dwordx4 v[47:50], v[9:10], off
	v_add_co_u32 v11, vcc_lo, s4, v11
	v_add_co_ci_u32_e64 v12, null, s5, v12, vcc_lo
	v_lshlrev_b64 v[19:20], 4, v[57:58]
	v_add_co_u32 v13, vcc_lo, s4, v13
	v_add_co_ci_u32_e64 v14, null, s5, v14, vcc_lo
	v_lshlrev_b64 v[21:22], 4, v[59:60]
	v_add_co_u32 v19, vcc_lo, s4, v19
	v_add_co_ci_u32_e64 v20, null, s5, v20, vcc_lo
	s_waitcnt vmcnt(4)
	buffer_store_dword v4, off, s[0:3], 0 offset:92
	buffer_store_dword v3, off, s[0:3], 0 offset:88
	buffer_store_dword v2, off, s[0:3], 0 offset:84
	buffer_store_dword v1, off, s[0:3], 0 offset:80
	global_load_dwordx4 v[1:4], v[7:8], off
	s_waitcnt vmcnt(4)
	buffer_store_dword v28, off, s[0:3], 0 offset:108
	buffer_store_dword v27, off, s[0:3], 0 offset:104
	buffer_store_dword v26, off, s[0:3], 0 offset:100
	buffer_store_dword v25, off, s[0:3], 0 offset:96
	global_load_dwordx4 v[25:28], v[11:12], off
	;; [unrolled: 6-line block ×3, first 2 shown]
	s_waitcnt vmcnt(4)
	buffer_store_dword v18, off, s[0:3], 0 offset:140
	buffer_store_dword v17, off, s[0:3], 0 offset:136
	;; [unrolled: 1-line block ×4, first 2 shown]
	v_lshlrev_b64 v[15:16], 4, v[61:62]
	global_load_dwordx4 v[53:56], v[19:20], off
	v_add_co_u32 v17, vcc_lo, s4, v21
	v_add_co_ci_u32_e64 v18, null, s5, v22, vcc_lo
	v_add_co_u32 v15, vcc_lo, s4, v15
	v_add_co_ci_u32_e64 v16, null, s5, v16, vcc_lo
	v_lshlrev_b64 v[21:22], 4, v[63:64]
	v_lshlrev_b64 v[61:62], 4, v[65:66]
	;; [unrolled: 1-line block ×3, first 2 shown]
	s_waitcnt vmcnt(4)
	buffer_store_dword v47, off, s[0:3], 0 offset:144
	buffer_store_dword v48, off, s[0:3], 0 offset:148
	;; [unrolled: 1-line block ×4, first 2 shown]
	global_load_dwordx4 v[47:50], v[17:18], off
	v_add_co_u32 v21, vcc_lo, s4, v21
	v_add_co_ci_u32_e64 v22, null, s5, v22, vcc_lo
	s_waitcnt vmcnt(4)
	buffer_store_dword v1, off, s[0:3], 0 offset:160
	buffer_store_dword v2, off, s[0:3], 0 offset:164
	;; [unrolled: 1-line block ×4, first 2 shown]
	global_load_dwordx4 v[1:4], v[15:16], off
	s_waitcnt vmcnt(4)
	buffer_store_dword v25, off, s[0:3], 0 offset:176
	buffer_store_dword v26, off, s[0:3], 0 offset:180
	;; [unrolled: 1-line block ×4, first 2 shown]
	v_add_co_u32 v25, vcc_lo, s4, v61
	v_add_co_ci_u32_e64 v26, null, s5, v62, vcc_lo
	v_add_co_u32 v27, vcc_lo, s4, v65
	global_load_dwordx4 v[57:60], v[21:22], off
	s_waitcnt vmcnt(4)
	buffer_store_dword v32, off, s[0:3], 0 offset:204
	buffer_store_dword v31, off, s[0:3], 0 offset:200
	;; [unrolled: 1-line block ×4, first 2 shown]
	v_add_co_ci_u32_e64 v28, null, s5, v66, vcc_lo
	global_load_dwordx4 v[61:64], v[25:26], off
	s_waitcnt vmcnt(4)
	buffer_store_dword v56, off, s[0:3], 0 offset:220
	buffer_store_dword v55, off, s[0:3], 0 offset:216
	;; [unrolled: 1-line block ×4, first 2 shown]
	v_lshlrev_b64 v[31:32], 4, v[76:77]
	global_load_dwordx4 v[65:68], v[27:28], off
	v_add_co_u32 v29, vcc_lo, s4, v73
	v_add_co_ci_u32_e64 v30, null, s5, v74, vcc_lo
	v_add_co_u32 v31, vcc_lo, s4, v31
	v_add_co_ci_u32_e64 v32, null, s5, v32, vcc_lo
	v_lshlrev_b64 v[53:54], 4, v[84:85]
	v_lshlrev_b64 v[55:56], 4, v[86:87]
	;; [unrolled: 1-line block ×3, first 2 shown]
	s_waitcnt vmcnt(4)
	buffer_store_dword v50, off, s[0:3], 0 offset:236
	buffer_store_dword v49, off, s[0:3], 0 offset:232
	;; [unrolled: 1-line block ×4, first 2 shown]
	global_load_dwordx4 v[76:79], v[29:30], off
	v_lshlrev_b64 v[47:48], 4, v[80:81]
	v_lshlrev_b64 v[49:50], 4, v[82:83]
	s_waitcnt vmcnt(4)
	buffer_store_dword v4, off, s[0:3], 0 offset:252
	buffer_store_dword v3, off, s[0:3], 0 offset:248
	;; [unrolled: 1-line block ×4, first 2 shown]
	global_load_dwordx4 v[1:4], v[31:32], off
	v_add_co_u32 v47, vcc_lo, s4, v47
	v_add_co_ci_u32_e64 v48, null, s5, v48, vcc_lo
	v_add_co_u32 v49, vcc_lo, s4, v49
	v_add_co_ci_u32_e64 v50, null, s5, v50, vcc_lo
	v_add_co_u32 v53, vcc_lo, s4, v53
	s_waitcnt vmcnt(4)
	buffer_store_dword v60, off, s[0:3], 0 offset:268
	buffer_store_dword v59, off, s[0:3], 0 offset:264
	;; [unrolled: 1-line block ×4, first 2 shown]
	global_load_dwordx4 v[80:83], v[47:48], off
	s_waitcnt vmcnt(4)
	buffer_store_dword v64, off, s[0:3], 0 offset:284
	buffer_store_dword v63, off, s[0:3], 0 offset:280
	;; [unrolled: 1-line block ×4, first 2 shown]
	v_add_co_ci_u32_e64 v54, null, s5, v54, vcc_lo
	global_load_dwordx4 v[84:87], v[49:50], off
	s_waitcnt vmcnt(4)
	buffer_store_dword v68, off, s[0:3], 0 offset:300
	buffer_store_dword v67, off, s[0:3], 0 offset:296
	;; [unrolled: 1-line block ×4, first 2 shown]
	v_lshlrev_b64 v[57:58], 4, v[88:89]
	global_load_dwordx4 v[65:68], v[53:54], off
	v_add_co_u32 v55, vcc_lo, s4, v55
	v_add_co_ci_u32_e64 v56, null, s5, v56, vcc_lo
	v_add_co_u32 v57, vcc_lo, s4, v57
	v_add_co_ci_u32_e64 v58, null, s5, v58, vcc_lo
	v_lshlrev_b64 v[59:60], 4, v[90:91]
	v_lshlrev_b64 v[61:62], 4, v[92:93]
	;; [unrolled: 1-line block ×4, first 2 shown]
	s_waitcnt vmcnt(4)
	buffer_store_dword v79, off, s[0:3], 0 offset:316
	buffer_store_dword v78, off, s[0:3], 0 offset:312
	;; [unrolled: 1-line block ×4, first 2 shown]
	global_load_dwordx4 v[76:79], v[55:56], off
	v_add_co_u32 v59, vcc_lo, s4, v59
	v_add_co_ci_u32_e64 v60, null, s5, v60, vcc_lo
	v_add_co_u32 v61, vcc_lo, s4, v61
	v_add_co_ci_u32_e64 v62, null, s5, v62, vcc_lo
	;; [unrolled: 2-line block ×3, first 2 shown]
	s_waitcnt vmcnt(4)
	buffer_store_dword v4, off, s[0:3], 0 offset:332
	buffer_store_dword v3, off, s[0:3], 0 offset:328
	;; [unrolled: 1-line block ×4, first 2 shown]
	global_load_dwordx4 v[1:4], v[57:58], off
	s_waitcnt vmcnt(4)
	buffer_store_dword v83, off, s[0:3], 0 offset:348
	buffer_store_dword v82, off, s[0:3], 0 offset:344
	;; [unrolled: 1-line block ×4, first 2 shown]
	global_load_dwordx4 v[80:83], v[59:60], off
	s_waitcnt vmcnt(4)
	buffer_store_dword v87, off, s[0:3], 0 offset:364
	buffer_store_dword v86, off, s[0:3], 0 offset:360
	;; [unrolled: 1-line block ×4, first 2 shown]
	s_waitcnt vmcnt(3)
	buffer_store_dword v68, off, s[0:3], 0 offset:380
	buffer_store_dword v67, off, s[0:3], 0 offset:376
	;; [unrolled: 1-line block ×4, first 2 shown]
	s_clause 0x1
	global_load_dwordx4 v[84:87], v[61:62], off
	global_load_dwordx4 v[88:91], v[63:64], off
	v_add_co_u32 v65, vcc_lo, s4, v73
	v_add_co_ci_u32_e64 v66, null, s5, v74, vcc_lo
	v_add_co_u32 v67, vcc_lo, s4, v92
	v_add_co_ci_u32_e64 v68, null, s5, v93, vcc_lo
	s_movk_i32 s4, 0x50
	s_movk_i32 s5, 0x60
	s_waitcnt vmcnt(4)
	buffer_store_dword v79, off, s[0:3], 0 offset:396
	buffer_store_dword v78, off, s[0:3], 0 offset:392
	;; [unrolled: 1-line block ×4, first 2 shown]
	global_load_dwordx4 v[76:79], v[65:66], off
	s_waitcnt vmcnt(4)
	buffer_store_dword v4, off, s[0:3], 0 offset:412
	buffer_store_dword v3, off, s[0:3], 0 offset:408
	;; [unrolled: 1-line block ×4, first 2 shown]
	global_load_dwordx4 v[1:4], v[67:68], off
	s_waitcnt vmcnt(4)
	buffer_store_dword v83, off, s[0:3], 0 offset:428
	buffer_store_dword v82, off, s[0:3], 0 offset:424
	buffer_store_dword v81, off, s[0:3], 0 offset:420
	buffer_store_dword v80, off, s[0:3], 0 offset:416
	s_waitcnt vmcnt(3)
	buffer_store_dword v87, off, s[0:3], 0 offset:444
	buffer_store_dword v86, off, s[0:3], 0 offset:440
	buffer_store_dword v85, off, s[0:3], 0 offset:436
	buffer_store_dword v84, off, s[0:3], 0 offset:432
	;; [unrolled: 5-line block ×5, first 2 shown]
	buffer_store_dword v72, off, s[0:3], 0 offset:508
	buffer_store_dword v71, off, s[0:3], 0 offset:504
	;; [unrolled: 1-line block ×4, first 2 shown]
	s_cbranch_scc1 .LBB31_7
; %bb.2:
	v_lshl_add_u32 v76, v0, 4, 0
                                        ; implicit-def: $vgpr71_vgpr72
                                        ; implicit-def: $vgpr3_vgpr4
	s_clause 0x3
	buffer_load_dword v69, v76, s[0:3], 0 offen
	buffer_load_dword v70, v76, s[0:3], 0 offen offset:4
	buffer_load_dword v73, v76, s[0:3], 0 offen offset:8
	;; [unrolled: 1-line block ×3, first 2 shown]
	s_waitcnt vmcnt(0)
	v_cmp_ngt_f64_e64 s9, |v[69:70]|, |v[73:74]|
	s_and_saveexec_b32 s21, s9
	s_xor_b32 s9, exec_lo, s21
	s_cbranch_execz .LBB31_4
; %bb.3:
	v_div_scale_f64 v[1:2], null, v[73:74], v[73:74], v[69:70]
	v_div_scale_f64 v[77:78], vcc_lo, v[69:70], v[73:74], v[69:70]
	v_rcp_f64_e32 v[3:4], v[1:2]
	v_fma_f64 v[71:72], -v[1:2], v[3:4], 1.0
	v_fma_f64 v[3:4], v[3:4], v[71:72], v[3:4]
	v_fma_f64 v[71:72], -v[1:2], v[3:4], 1.0
	v_fma_f64 v[3:4], v[3:4], v[71:72], v[3:4]
	v_mul_f64 v[71:72], v[77:78], v[3:4]
	v_fma_f64 v[1:2], -v[1:2], v[71:72], v[77:78]
	v_div_fmas_f64 v[1:2], v[1:2], v[3:4], v[71:72]
	v_div_fixup_f64 v[1:2], v[1:2], v[73:74], v[69:70]
	v_fma_f64 v[3:4], v[69:70], v[1:2], v[73:74]
	v_div_scale_f64 v[69:70], null, v[3:4], v[3:4], 1.0
	v_div_scale_f64 v[77:78], vcc_lo, 1.0, v[3:4], 1.0
	v_rcp_f64_e32 v[71:72], v[69:70]
	v_fma_f64 v[73:74], -v[69:70], v[71:72], 1.0
	v_fma_f64 v[71:72], v[71:72], v[73:74], v[71:72]
	v_fma_f64 v[73:74], -v[69:70], v[71:72], 1.0
	v_fma_f64 v[71:72], v[71:72], v[73:74], v[71:72]
	v_mul_f64 v[73:74], v[77:78], v[71:72]
	v_fma_f64 v[69:70], -v[69:70], v[73:74], v[77:78]
	v_div_fmas_f64 v[69:70], v[69:70], v[71:72], v[73:74]
                                        ; implicit-def: $vgpr73_vgpr74
	v_div_fixup_f64 v[3:4], v[69:70], v[3:4], 1.0
                                        ; implicit-def: $vgpr69_vgpr70
	v_mul_f64 v[71:72], v[1:2], v[3:4]
	v_xor_b32_e32 v4, 0x80000000, v4
	v_xor_b32_e32 v2, 0x80000000, v72
	v_mov_b32_e32 v1, v71
.LBB31_4:
	s_andn2_saveexec_b32 s9, s9
	s_cbranch_execz .LBB31_6
; %bb.5:
	v_div_scale_f64 v[1:2], null, v[69:70], v[69:70], v[73:74]
	v_div_scale_f64 v[77:78], vcc_lo, v[73:74], v[69:70], v[73:74]
	v_rcp_f64_e32 v[3:4], v[1:2]
	v_fma_f64 v[71:72], -v[1:2], v[3:4], 1.0
	v_fma_f64 v[3:4], v[3:4], v[71:72], v[3:4]
	v_fma_f64 v[71:72], -v[1:2], v[3:4], 1.0
	v_fma_f64 v[3:4], v[3:4], v[71:72], v[3:4]
	v_mul_f64 v[71:72], v[77:78], v[3:4]
	v_fma_f64 v[1:2], -v[1:2], v[71:72], v[77:78]
	v_div_fmas_f64 v[1:2], v[1:2], v[3:4], v[71:72]
	v_div_fixup_f64 v[1:2], v[1:2], v[69:70], v[73:74]
	v_fma_f64 v[3:4], v[73:74], v[1:2], v[69:70]
	v_div_scale_f64 v[69:70], null, v[3:4], v[3:4], 1.0
	v_rcp_f64_e32 v[71:72], v[69:70]
	v_fma_f64 v[73:74], -v[69:70], v[71:72], 1.0
	v_fma_f64 v[71:72], v[71:72], v[73:74], v[71:72]
	v_fma_f64 v[73:74], -v[69:70], v[71:72], 1.0
	v_fma_f64 v[71:72], v[71:72], v[73:74], v[71:72]
	v_div_scale_f64 v[73:74], vcc_lo, 1.0, v[3:4], 1.0
	v_mul_f64 v[77:78], v[73:74], v[71:72]
	v_fma_f64 v[69:70], -v[69:70], v[77:78], v[73:74]
	v_div_fmas_f64 v[69:70], v[69:70], v[71:72], v[77:78]
	v_div_fixup_f64 v[71:72], v[69:70], v[3:4], 1.0
	v_mul_f64 v[3:4], v[1:2], -v[71:72]
	v_xor_b32_e32 v2, 0x80000000, v72
	v_mov_b32_e32 v1, v71
.LBB31_6:
	s_or_b32 exec_lo, exec_lo, s9
	buffer_store_dword v4, v76, s[0:3], 0 offen offset:12
	v_xor_b32_e32 v4, 0x80000000, v4
	buffer_store_dword v72, v76, s[0:3], 0 offen offset:4
	buffer_store_dword v71, v76, s[0:3], 0 offen
	buffer_store_dword v3, v76, s[0:3], 0 offen offset:8
	s_branch .LBB31_8
.LBB31_7:
	v_mov_b32_e32 v1, 0
	v_mov_b32_e32 v3, 0
	;; [unrolled: 1-line block ×4, first 2 shown]
.LBB31_8:
	v_add_nc_u32_e32 v70, 0x200, v75
	v_mov_b32_e32 v69, v75
	s_mov_b32 s38, 16
	s_mov_b32 s39, 32
	;; [unrolled: 1-line block ×30, first 2 shown]
	s_cmpk_eq_i32 s8, 0x79
	ds_write_b128 v75, v[1:4]
	s_cbranch_scc1 .LBB31_252
; %bb.9:
	v_mov_b32_e32 v4, s9
	v_cmp_eq_u32_e64 s4, 31, v0
	s_clause 0x3
	buffer_load_dword v1, v4, s[0:3], 0 offen
	buffer_load_dword v2, v4, s[0:3], 0 offen offset:4
	buffer_load_dword v3, v4, s[0:3], 0 offen offset:8
	;; [unrolled: 1-line block ×3, first 2 shown]
	s_waitcnt vmcnt(0)
	ds_write_b128 v70, v[1:4]
	s_waitcnt lgkmcnt(0)
	s_waitcnt_vscnt null, 0x0
	s_barrier
	buffer_gl0_inv
	s_and_saveexec_b32 s5, s4
	s_cbranch_execz .LBB31_13
; %bb.10:
	ds_read_b128 v[1:4], v70
	s_andn2_b32 vcc_lo, exec_lo, s40
	s_cbranch_vccnz .LBB31_12
; %bb.11:
	s_clause 0x3
	buffer_load_dword v71, v69, s[0:3], 0 offen offset:8
	buffer_load_dword v72, v69, s[0:3], 0 offen offset:12
	buffer_load_dword v73, v69, s[0:3], 0 offen
	buffer_load_dword v74, v69, s[0:3], 0 offen offset:4
	s_waitcnt vmcnt(2) lgkmcnt(0)
	v_mul_f64 v[76:77], v[3:4], v[71:72]
	v_mul_f64 v[71:72], v[1:2], v[71:72]
	s_waitcnt vmcnt(0)
	v_fma_f64 v[1:2], v[1:2], v[73:74], -v[76:77]
	v_fma_f64 v[3:4], v[3:4], v[73:74], v[71:72]
.LBB31_12:
	v_mov_b32_e32 v71, 0
	ds_read_b128 v[71:74], v71 offset:480
	s_waitcnt lgkmcnt(0)
	v_mul_f64 v[76:77], v[3:4], v[73:74]
	v_mul_f64 v[73:74], v[1:2], v[73:74]
	v_fma_f64 v[1:2], v[1:2], v[71:72], -v[76:77]
	v_fma_f64 v[3:4], v[3:4], v[71:72], v[73:74]
	buffer_store_dword v2, off, s[0:3], 0 offset:484
	buffer_store_dword v1, off, s[0:3], 0 offset:480
	;; [unrolled: 1-line block ×4, first 2 shown]
.LBB31_13:
	s_or_b32 exec_lo, exec_lo, s5
	v_mov_b32_e32 v4, s10
	v_cmp_lt_u32_e64 s5, 29, v0
	s_clause 0x3
	buffer_load_dword v1, v4, s[0:3], 0 offen
	buffer_load_dword v2, v4, s[0:3], 0 offen offset:4
	buffer_load_dword v3, v4, s[0:3], 0 offen offset:8
	;; [unrolled: 1-line block ×3, first 2 shown]
	s_waitcnt vmcnt(0)
	ds_write_b128 v70, v[1:4]
	s_waitcnt lgkmcnt(0)
	s_waitcnt_vscnt null, 0x0
	s_barrier
	buffer_gl0_inv
	s_and_saveexec_b32 s6, s5
	s_cbranch_execz .LBB31_19
; %bb.14:
	ds_read_b128 v[1:4], v70
	s_andn2_b32 vcc_lo, exec_lo, s40
	s_cbranch_vccnz .LBB31_16
; %bb.15:
	s_clause 0x3
	buffer_load_dword v71, v69, s[0:3], 0 offen offset:8
	buffer_load_dword v72, v69, s[0:3], 0 offen offset:12
	buffer_load_dword v73, v69, s[0:3], 0 offen
	buffer_load_dword v74, v69, s[0:3], 0 offen offset:4
	s_waitcnt vmcnt(2) lgkmcnt(0)
	v_mul_f64 v[76:77], v[3:4], v[71:72]
	v_mul_f64 v[71:72], v[1:2], v[71:72]
	s_waitcnt vmcnt(0)
	v_fma_f64 v[1:2], v[1:2], v[73:74], -v[76:77]
	v_fma_f64 v[3:4], v[3:4], v[73:74], v[71:72]
.LBB31_16:
	s_and_saveexec_b32 s8, s4
	s_cbranch_execz .LBB31_18
; %bb.17:
	s_clause 0x3
	buffer_load_dword v76, off, s[0:3], 0 offset:488
	buffer_load_dword v77, off, s[0:3], 0 offset:492
	buffer_load_dword v78, off, s[0:3], 0 offset:480
	buffer_load_dword v79, off, s[0:3], 0 offset:484
	v_mov_b32_e32 v71, 0
	ds_read_b128 v[71:74], v71 offset:992
	s_waitcnt vmcnt(2) lgkmcnt(0)
	v_mul_f64 v[80:81], v[71:72], v[76:77]
	v_mul_f64 v[76:77], v[73:74], v[76:77]
	s_waitcnt vmcnt(0)
	v_fma_f64 v[73:74], v[73:74], v[78:79], v[80:81]
	v_fma_f64 v[71:72], v[71:72], v[78:79], -v[76:77]
	v_add_f64 v[3:4], v[3:4], v[73:74]
	v_add_f64 v[1:2], v[1:2], v[71:72]
.LBB31_18:
	s_or_b32 exec_lo, exec_lo, s8
	v_mov_b32_e32 v71, 0
	ds_read_b128 v[71:74], v71 offset:464
	s_waitcnt lgkmcnt(0)
	v_mul_f64 v[76:77], v[3:4], v[73:74]
	v_mul_f64 v[73:74], v[1:2], v[73:74]
	v_fma_f64 v[1:2], v[1:2], v[71:72], -v[76:77]
	v_fma_f64 v[3:4], v[3:4], v[71:72], v[73:74]
	buffer_store_dword v2, off, s[0:3], 0 offset:468
	buffer_store_dword v1, off, s[0:3], 0 offset:464
	;; [unrolled: 1-line block ×4, first 2 shown]
.LBB31_19:
	s_or_b32 exec_lo, exec_lo, s6
	v_mov_b32_e32 v4, s11
	v_cmp_lt_u32_e64 s4, 28, v0
	s_clause 0x3
	buffer_load_dword v1, v4, s[0:3], 0 offen
	buffer_load_dword v2, v4, s[0:3], 0 offen offset:4
	buffer_load_dword v3, v4, s[0:3], 0 offen offset:8
	buffer_load_dword v4, v4, s[0:3], 0 offen offset:12
	s_waitcnt vmcnt(0)
	ds_write_b128 v70, v[1:4]
	s_waitcnt lgkmcnt(0)
	s_waitcnt_vscnt null, 0x0
	s_barrier
	buffer_gl0_inv
	s_and_saveexec_b32 s6, s4
	s_cbranch_execz .LBB31_27
; %bb.20:
	ds_read_b128 v[1:4], v70
	s_andn2_b32 vcc_lo, exec_lo, s40
	s_cbranch_vccnz .LBB31_22
; %bb.21:
	s_clause 0x3
	buffer_load_dword v71, v69, s[0:3], 0 offen offset:8
	buffer_load_dword v72, v69, s[0:3], 0 offen offset:12
	buffer_load_dword v73, v69, s[0:3], 0 offen
	buffer_load_dword v74, v69, s[0:3], 0 offen offset:4
	s_waitcnt vmcnt(2) lgkmcnt(0)
	v_mul_f64 v[76:77], v[3:4], v[71:72]
	v_mul_f64 v[71:72], v[1:2], v[71:72]
	s_waitcnt vmcnt(0)
	v_fma_f64 v[1:2], v[1:2], v[73:74], -v[76:77]
	v_fma_f64 v[3:4], v[3:4], v[73:74], v[71:72]
.LBB31_22:
	s_and_saveexec_b32 s8, s5
	s_cbranch_execz .LBB31_26
; %bb.23:
	v_subrev_nc_u32_e32 v71, 29, v0
	s_movk_i32 s41, 0x3d0
	s_mov_b32 s5, 0
	s_mov_b32 s42, s10
	.p2align	6
.LBB31_24:                              ; =>This Inner Loop Header: Depth=1
	v_mov_b32_e32 v74, s42
	v_add_nc_u32_e32 v71, -1, v71
	s_add_i32 s42, s42, 16
	s_clause 0x3
	buffer_load_dword v72, v74, s[0:3], 0 offen offset:8
	buffer_load_dword v73, v74, s[0:3], 0 offen offset:12
	buffer_load_dword v80, v74, s[0:3], 0 offen
	buffer_load_dword v81, v74, s[0:3], 0 offen offset:4
	v_mov_b32_e32 v74, s41
	v_cmp_eq_u32_e32 vcc_lo, 0, v71
	s_add_i32 s41, s41, 16
	ds_read_b128 v[76:79], v74
	s_or_b32 s5, vcc_lo, s5
	s_waitcnt vmcnt(2) lgkmcnt(0)
	v_mul_f64 v[82:83], v[78:79], v[72:73]
	v_mul_f64 v[72:73], v[76:77], v[72:73]
	s_waitcnt vmcnt(0)
	v_fma_f64 v[76:77], v[76:77], v[80:81], -v[82:83]
	v_fma_f64 v[72:73], v[78:79], v[80:81], v[72:73]
	v_add_f64 v[1:2], v[1:2], v[76:77]
	v_add_f64 v[3:4], v[3:4], v[72:73]
	s_andn2_b32 exec_lo, exec_lo, s5
	s_cbranch_execnz .LBB31_24
; %bb.25:
	s_or_b32 exec_lo, exec_lo, s5
.LBB31_26:
	s_or_b32 exec_lo, exec_lo, s8
	v_mov_b32_e32 v71, 0
	ds_read_b128 v[71:74], v71 offset:448
	s_waitcnt lgkmcnt(0)
	v_mul_f64 v[76:77], v[3:4], v[73:74]
	v_mul_f64 v[73:74], v[1:2], v[73:74]
	v_fma_f64 v[1:2], v[1:2], v[71:72], -v[76:77]
	v_fma_f64 v[3:4], v[3:4], v[71:72], v[73:74]
	buffer_store_dword v2, off, s[0:3], 0 offset:452
	buffer_store_dword v1, off, s[0:3], 0 offset:448
	;; [unrolled: 1-line block ×4, first 2 shown]
.LBB31_27:
	s_or_b32 exec_lo, exec_lo, s6
	v_mov_b32_e32 v4, s12
	v_cmp_lt_u32_e64 s5, 27, v0
	s_clause 0x3
	buffer_load_dword v1, v4, s[0:3], 0 offen
	buffer_load_dword v2, v4, s[0:3], 0 offen offset:4
	buffer_load_dword v3, v4, s[0:3], 0 offen offset:8
	;; [unrolled: 1-line block ×3, first 2 shown]
	s_waitcnt vmcnt(0)
	ds_write_b128 v70, v[1:4]
	s_waitcnt lgkmcnt(0)
	s_waitcnt_vscnt null, 0x0
	s_barrier
	buffer_gl0_inv
	s_and_saveexec_b32 s6, s5
	s_cbranch_execz .LBB31_35
; %bb.28:
	ds_read_b128 v[1:4], v70
	s_andn2_b32 vcc_lo, exec_lo, s40
	s_cbranch_vccnz .LBB31_30
; %bb.29:
	s_clause 0x3
	buffer_load_dword v71, v69, s[0:3], 0 offen offset:8
	buffer_load_dword v72, v69, s[0:3], 0 offen offset:12
	buffer_load_dword v73, v69, s[0:3], 0 offen
	buffer_load_dword v74, v69, s[0:3], 0 offen offset:4
	s_waitcnt vmcnt(2) lgkmcnt(0)
	v_mul_f64 v[76:77], v[3:4], v[71:72]
	v_mul_f64 v[71:72], v[1:2], v[71:72]
	s_waitcnt vmcnt(0)
	v_fma_f64 v[1:2], v[1:2], v[73:74], -v[76:77]
	v_fma_f64 v[3:4], v[3:4], v[73:74], v[71:72]
.LBB31_30:
	s_and_saveexec_b32 s8, s4
	s_cbranch_execz .LBB31_34
; %bb.31:
	v_subrev_nc_u32_e32 v71, 28, v0
	s_movk_i32 s41, 0x3c0
	s_mov_b32 s4, 0
	s_mov_b32 s42, s11
	.p2align	6
.LBB31_32:                              ; =>This Inner Loop Header: Depth=1
	v_mov_b32_e32 v74, s42
	v_add_nc_u32_e32 v71, -1, v71
	s_add_i32 s42, s42, 16
	s_clause 0x3
	buffer_load_dword v72, v74, s[0:3], 0 offen offset:8
	buffer_load_dword v73, v74, s[0:3], 0 offen offset:12
	buffer_load_dword v80, v74, s[0:3], 0 offen
	buffer_load_dword v81, v74, s[0:3], 0 offen offset:4
	v_mov_b32_e32 v74, s41
	v_cmp_eq_u32_e32 vcc_lo, 0, v71
	s_add_i32 s41, s41, 16
	ds_read_b128 v[76:79], v74
	s_or_b32 s4, vcc_lo, s4
	s_waitcnt vmcnt(2) lgkmcnt(0)
	v_mul_f64 v[82:83], v[78:79], v[72:73]
	v_mul_f64 v[72:73], v[76:77], v[72:73]
	s_waitcnt vmcnt(0)
	v_fma_f64 v[76:77], v[76:77], v[80:81], -v[82:83]
	v_fma_f64 v[72:73], v[78:79], v[80:81], v[72:73]
	v_add_f64 v[1:2], v[1:2], v[76:77]
	v_add_f64 v[3:4], v[3:4], v[72:73]
	s_andn2_b32 exec_lo, exec_lo, s4
	s_cbranch_execnz .LBB31_32
; %bb.33:
	s_or_b32 exec_lo, exec_lo, s4
.LBB31_34:
	s_or_b32 exec_lo, exec_lo, s8
	v_mov_b32_e32 v71, 0
	ds_read_b128 v[71:74], v71 offset:432
	s_waitcnt lgkmcnt(0)
	v_mul_f64 v[76:77], v[3:4], v[73:74]
	v_mul_f64 v[73:74], v[1:2], v[73:74]
	v_fma_f64 v[1:2], v[1:2], v[71:72], -v[76:77]
	v_fma_f64 v[3:4], v[3:4], v[71:72], v[73:74]
	buffer_store_dword v2, off, s[0:3], 0 offset:436
	buffer_store_dword v1, off, s[0:3], 0 offset:432
	;; [unrolled: 1-line block ×4, first 2 shown]
.LBB31_35:
	s_or_b32 exec_lo, exec_lo, s6
	v_mov_b32_e32 v4, s13
	v_cmp_lt_u32_e64 s4, 26, v0
	s_clause 0x3
	buffer_load_dword v1, v4, s[0:3], 0 offen
	buffer_load_dword v2, v4, s[0:3], 0 offen offset:4
	buffer_load_dword v3, v4, s[0:3], 0 offen offset:8
	buffer_load_dword v4, v4, s[0:3], 0 offen offset:12
	s_waitcnt vmcnt(0)
	ds_write_b128 v70, v[1:4]
	s_waitcnt lgkmcnt(0)
	s_waitcnt_vscnt null, 0x0
	s_barrier
	buffer_gl0_inv
	s_and_saveexec_b32 s6, s4
	s_cbranch_execz .LBB31_43
; %bb.36:
	ds_read_b128 v[1:4], v70
	s_andn2_b32 vcc_lo, exec_lo, s40
	s_cbranch_vccnz .LBB31_38
; %bb.37:
	s_clause 0x3
	buffer_load_dword v71, v69, s[0:3], 0 offen offset:8
	buffer_load_dword v72, v69, s[0:3], 0 offen offset:12
	buffer_load_dword v73, v69, s[0:3], 0 offen
	buffer_load_dword v74, v69, s[0:3], 0 offen offset:4
	s_waitcnt vmcnt(2) lgkmcnt(0)
	v_mul_f64 v[76:77], v[3:4], v[71:72]
	v_mul_f64 v[71:72], v[1:2], v[71:72]
	s_waitcnt vmcnt(0)
	v_fma_f64 v[1:2], v[1:2], v[73:74], -v[76:77]
	v_fma_f64 v[3:4], v[3:4], v[73:74], v[71:72]
.LBB31_38:
	s_and_saveexec_b32 s8, s5
	s_cbranch_execz .LBB31_42
; %bb.39:
	v_subrev_nc_u32_e32 v71, 27, v0
	s_movk_i32 s41, 0x3b0
	s_mov_b32 s5, 0
	s_mov_b32 s42, s12
	.p2align	6
.LBB31_40:                              ; =>This Inner Loop Header: Depth=1
	v_mov_b32_e32 v74, s42
	v_add_nc_u32_e32 v71, -1, v71
	s_add_i32 s42, s42, 16
	s_clause 0x3
	buffer_load_dword v72, v74, s[0:3], 0 offen offset:8
	buffer_load_dword v73, v74, s[0:3], 0 offen offset:12
	buffer_load_dword v80, v74, s[0:3], 0 offen
	buffer_load_dword v81, v74, s[0:3], 0 offen offset:4
	v_mov_b32_e32 v74, s41
	v_cmp_eq_u32_e32 vcc_lo, 0, v71
	s_add_i32 s41, s41, 16
	ds_read_b128 v[76:79], v74
	s_or_b32 s5, vcc_lo, s5
	s_waitcnt vmcnt(2) lgkmcnt(0)
	v_mul_f64 v[82:83], v[78:79], v[72:73]
	v_mul_f64 v[72:73], v[76:77], v[72:73]
	s_waitcnt vmcnt(0)
	v_fma_f64 v[76:77], v[76:77], v[80:81], -v[82:83]
	v_fma_f64 v[72:73], v[78:79], v[80:81], v[72:73]
	v_add_f64 v[1:2], v[1:2], v[76:77]
	v_add_f64 v[3:4], v[3:4], v[72:73]
	s_andn2_b32 exec_lo, exec_lo, s5
	s_cbranch_execnz .LBB31_40
; %bb.41:
	s_or_b32 exec_lo, exec_lo, s5
.LBB31_42:
	s_or_b32 exec_lo, exec_lo, s8
	v_mov_b32_e32 v71, 0
	ds_read_b128 v[71:74], v71 offset:416
	s_waitcnt lgkmcnt(0)
	v_mul_f64 v[76:77], v[3:4], v[73:74]
	v_mul_f64 v[73:74], v[1:2], v[73:74]
	v_fma_f64 v[1:2], v[1:2], v[71:72], -v[76:77]
	v_fma_f64 v[3:4], v[3:4], v[71:72], v[73:74]
	buffer_store_dword v2, off, s[0:3], 0 offset:420
	buffer_store_dword v1, off, s[0:3], 0 offset:416
	;; [unrolled: 1-line block ×4, first 2 shown]
.LBB31_43:
	s_or_b32 exec_lo, exec_lo, s6
	v_mov_b32_e32 v4, s14
	v_cmp_lt_u32_e64 s5, 25, v0
	s_clause 0x3
	buffer_load_dword v1, v4, s[0:3], 0 offen
	buffer_load_dword v2, v4, s[0:3], 0 offen offset:4
	buffer_load_dword v3, v4, s[0:3], 0 offen offset:8
	;; [unrolled: 1-line block ×3, first 2 shown]
	s_waitcnt vmcnt(0)
	ds_write_b128 v70, v[1:4]
	s_waitcnt lgkmcnt(0)
	s_waitcnt_vscnt null, 0x0
	s_barrier
	buffer_gl0_inv
	s_and_saveexec_b32 s6, s5
	s_cbranch_execz .LBB31_51
; %bb.44:
	ds_read_b128 v[1:4], v70
	s_andn2_b32 vcc_lo, exec_lo, s40
	s_cbranch_vccnz .LBB31_46
; %bb.45:
	s_clause 0x3
	buffer_load_dword v71, v69, s[0:3], 0 offen offset:8
	buffer_load_dword v72, v69, s[0:3], 0 offen offset:12
	buffer_load_dword v73, v69, s[0:3], 0 offen
	buffer_load_dword v74, v69, s[0:3], 0 offen offset:4
	s_waitcnt vmcnt(2) lgkmcnt(0)
	v_mul_f64 v[76:77], v[3:4], v[71:72]
	v_mul_f64 v[71:72], v[1:2], v[71:72]
	s_waitcnt vmcnt(0)
	v_fma_f64 v[1:2], v[1:2], v[73:74], -v[76:77]
	v_fma_f64 v[3:4], v[3:4], v[73:74], v[71:72]
.LBB31_46:
	s_and_saveexec_b32 s8, s4
	s_cbranch_execz .LBB31_50
; %bb.47:
	v_subrev_nc_u32_e32 v71, 26, v0
	s_movk_i32 s41, 0x3a0
	s_mov_b32 s4, 0
	s_mov_b32 s42, s13
	.p2align	6
.LBB31_48:                              ; =>This Inner Loop Header: Depth=1
	v_mov_b32_e32 v74, s42
	v_add_nc_u32_e32 v71, -1, v71
	s_add_i32 s42, s42, 16
	s_clause 0x3
	buffer_load_dword v72, v74, s[0:3], 0 offen offset:8
	buffer_load_dword v73, v74, s[0:3], 0 offen offset:12
	buffer_load_dword v80, v74, s[0:3], 0 offen
	buffer_load_dword v81, v74, s[0:3], 0 offen offset:4
	v_mov_b32_e32 v74, s41
	v_cmp_eq_u32_e32 vcc_lo, 0, v71
	s_add_i32 s41, s41, 16
	ds_read_b128 v[76:79], v74
	s_or_b32 s4, vcc_lo, s4
	s_waitcnt vmcnt(2) lgkmcnt(0)
	v_mul_f64 v[82:83], v[78:79], v[72:73]
	v_mul_f64 v[72:73], v[76:77], v[72:73]
	s_waitcnt vmcnt(0)
	v_fma_f64 v[76:77], v[76:77], v[80:81], -v[82:83]
	v_fma_f64 v[72:73], v[78:79], v[80:81], v[72:73]
	v_add_f64 v[1:2], v[1:2], v[76:77]
	v_add_f64 v[3:4], v[3:4], v[72:73]
	s_andn2_b32 exec_lo, exec_lo, s4
	s_cbranch_execnz .LBB31_48
; %bb.49:
	s_or_b32 exec_lo, exec_lo, s4
.LBB31_50:
	s_or_b32 exec_lo, exec_lo, s8
	v_mov_b32_e32 v71, 0
	ds_read_b128 v[71:74], v71 offset:400
	s_waitcnt lgkmcnt(0)
	v_mul_f64 v[76:77], v[3:4], v[73:74]
	v_mul_f64 v[73:74], v[1:2], v[73:74]
	v_fma_f64 v[1:2], v[1:2], v[71:72], -v[76:77]
	v_fma_f64 v[3:4], v[3:4], v[71:72], v[73:74]
	buffer_store_dword v2, off, s[0:3], 0 offset:404
	buffer_store_dword v1, off, s[0:3], 0 offset:400
	buffer_store_dword v4, off, s[0:3], 0 offset:412
	buffer_store_dword v3, off, s[0:3], 0 offset:408
.LBB31_51:
	s_or_b32 exec_lo, exec_lo, s6
	v_mov_b32_e32 v4, s15
	v_cmp_lt_u32_e64 s4, 24, v0
	s_clause 0x3
	buffer_load_dword v1, v4, s[0:3], 0 offen
	buffer_load_dword v2, v4, s[0:3], 0 offen offset:4
	buffer_load_dword v3, v4, s[0:3], 0 offen offset:8
	;; [unrolled: 1-line block ×3, first 2 shown]
	s_waitcnt vmcnt(0)
	ds_write_b128 v70, v[1:4]
	s_waitcnt lgkmcnt(0)
	s_waitcnt_vscnt null, 0x0
	s_barrier
	buffer_gl0_inv
	s_and_saveexec_b32 s6, s4
	s_cbranch_execz .LBB31_59
; %bb.52:
	ds_read_b128 v[1:4], v70
	s_andn2_b32 vcc_lo, exec_lo, s40
	s_cbranch_vccnz .LBB31_54
; %bb.53:
	s_clause 0x3
	buffer_load_dword v71, v69, s[0:3], 0 offen offset:8
	buffer_load_dword v72, v69, s[0:3], 0 offen offset:12
	buffer_load_dword v73, v69, s[0:3], 0 offen
	buffer_load_dword v74, v69, s[0:3], 0 offen offset:4
	s_waitcnt vmcnt(2) lgkmcnt(0)
	v_mul_f64 v[76:77], v[3:4], v[71:72]
	v_mul_f64 v[71:72], v[1:2], v[71:72]
	s_waitcnt vmcnt(0)
	v_fma_f64 v[1:2], v[1:2], v[73:74], -v[76:77]
	v_fma_f64 v[3:4], v[3:4], v[73:74], v[71:72]
.LBB31_54:
	s_and_saveexec_b32 s8, s5
	s_cbranch_execz .LBB31_58
; %bb.55:
	v_subrev_nc_u32_e32 v71, 25, v0
	s_movk_i32 s41, 0x390
	s_mov_b32 s5, 0
	s_mov_b32 s42, s14
	.p2align	6
.LBB31_56:                              ; =>This Inner Loop Header: Depth=1
	v_mov_b32_e32 v74, s42
	v_add_nc_u32_e32 v71, -1, v71
	s_add_i32 s42, s42, 16
	s_clause 0x3
	buffer_load_dword v72, v74, s[0:3], 0 offen offset:8
	buffer_load_dword v73, v74, s[0:3], 0 offen offset:12
	buffer_load_dword v80, v74, s[0:3], 0 offen
	buffer_load_dword v81, v74, s[0:3], 0 offen offset:4
	v_mov_b32_e32 v74, s41
	v_cmp_eq_u32_e32 vcc_lo, 0, v71
	s_add_i32 s41, s41, 16
	ds_read_b128 v[76:79], v74
	s_or_b32 s5, vcc_lo, s5
	s_waitcnt vmcnt(2) lgkmcnt(0)
	v_mul_f64 v[82:83], v[78:79], v[72:73]
	v_mul_f64 v[72:73], v[76:77], v[72:73]
	s_waitcnt vmcnt(0)
	v_fma_f64 v[76:77], v[76:77], v[80:81], -v[82:83]
	v_fma_f64 v[72:73], v[78:79], v[80:81], v[72:73]
	v_add_f64 v[1:2], v[1:2], v[76:77]
	v_add_f64 v[3:4], v[3:4], v[72:73]
	s_andn2_b32 exec_lo, exec_lo, s5
	s_cbranch_execnz .LBB31_56
; %bb.57:
	s_or_b32 exec_lo, exec_lo, s5
.LBB31_58:
	s_or_b32 exec_lo, exec_lo, s8
	v_mov_b32_e32 v71, 0
	ds_read_b128 v[71:74], v71 offset:384
	s_waitcnt lgkmcnt(0)
	v_mul_f64 v[76:77], v[3:4], v[73:74]
	v_mul_f64 v[73:74], v[1:2], v[73:74]
	v_fma_f64 v[1:2], v[1:2], v[71:72], -v[76:77]
	v_fma_f64 v[3:4], v[3:4], v[71:72], v[73:74]
	buffer_store_dword v2, off, s[0:3], 0 offset:388
	buffer_store_dword v1, off, s[0:3], 0 offset:384
	;; [unrolled: 1-line block ×4, first 2 shown]
.LBB31_59:
	s_or_b32 exec_lo, exec_lo, s6
	v_mov_b32_e32 v4, s16
	v_cmp_lt_u32_e64 s5, 23, v0
	s_clause 0x3
	buffer_load_dword v1, v4, s[0:3], 0 offen
	buffer_load_dword v2, v4, s[0:3], 0 offen offset:4
	buffer_load_dword v3, v4, s[0:3], 0 offen offset:8
	;; [unrolled: 1-line block ×3, first 2 shown]
	s_waitcnt vmcnt(0)
	ds_write_b128 v70, v[1:4]
	s_waitcnt lgkmcnt(0)
	s_waitcnt_vscnt null, 0x0
	s_barrier
	buffer_gl0_inv
	s_and_saveexec_b32 s6, s5
	s_cbranch_execz .LBB31_67
; %bb.60:
	ds_read_b128 v[1:4], v70
	s_andn2_b32 vcc_lo, exec_lo, s40
	s_cbranch_vccnz .LBB31_62
; %bb.61:
	s_clause 0x3
	buffer_load_dword v71, v69, s[0:3], 0 offen offset:8
	buffer_load_dword v72, v69, s[0:3], 0 offen offset:12
	buffer_load_dword v73, v69, s[0:3], 0 offen
	buffer_load_dword v74, v69, s[0:3], 0 offen offset:4
	s_waitcnt vmcnt(2) lgkmcnt(0)
	v_mul_f64 v[76:77], v[3:4], v[71:72]
	v_mul_f64 v[71:72], v[1:2], v[71:72]
	s_waitcnt vmcnt(0)
	v_fma_f64 v[1:2], v[1:2], v[73:74], -v[76:77]
	v_fma_f64 v[3:4], v[3:4], v[73:74], v[71:72]
.LBB31_62:
	s_and_saveexec_b32 s8, s4
	s_cbranch_execz .LBB31_66
; %bb.63:
	v_subrev_nc_u32_e32 v71, 24, v0
	s_movk_i32 s41, 0x380
	s_mov_b32 s4, 0
	s_mov_b32 s42, s15
	.p2align	6
.LBB31_64:                              ; =>This Inner Loop Header: Depth=1
	v_mov_b32_e32 v74, s42
	v_add_nc_u32_e32 v71, -1, v71
	s_add_i32 s42, s42, 16
	s_clause 0x3
	buffer_load_dword v72, v74, s[0:3], 0 offen offset:8
	buffer_load_dword v73, v74, s[0:3], 0 offen offset:12
	buffer_load_dword v80, v74, s[0:3], 0 offen
	buffer_load_dword v81, v74, s[0:3], 0 offen offset:4
	v_mov_b32_e32 v74, s41
	v_cmp_eq_u32_e32 vcc_lo, 0, v71
	s_add_i32 s41, s41, 16
	ds_read_b128 v[76:79], v74
	s_or_b32 s4, vcc_lo, s4
	s_waitcnt vmcnt(2) lgkmcnt(0)
	v_mul_f64 v[82:83], v[78:79], v[72:73]
	v_mul_f64 v[72:73], v[76:77], v[72:73]
	s_waitcnt vmcnt(0)
	v_fma_f64 v[76:77], v[76:77], v[80:81], -v[82:83]
	v_fma_f64 v[72:73], v[78:79], v[80:81], v[72:73]
	v_add_f64 v[1:2], v[1:2], v[76:77]
	v_add_f64 v[3:4], v[3:4], v[72:73]
	s_andn2_b32 exec_lo, exec_lo, s4
	s_cbranch_execnz .LBB31_64
; %bb.65:
	s_or_b32 exec_lo, exec_lo, s4
.LBB31_66:
	s_or_b32 exec_lo, exec_lo, s8
	v_mov_b32_e32 v71, 0
	ds_read_b128 v[71:74], v71 offset:368
	s_waitcnt lgkmcnt(0)
	v_mul_f64 v[76:77], v[3:4], v[73:74]
	v_mul_f64 v[73:74], v[1:2], v[73:74]
	v_fma_f64 v[1:2], v[1:2], v[71:72], -v[76:77]
	v_fma_f64 v[3:4], v[3:4], v[71:72], v[73:74]
	buffer_store_dword v2, off, s[0:3], 0 offset:372
	buffer_store_dword v1, off, s[0:3], 0 offset:368
	;; [unrolled: 1-line block ×4, first 2 shown]
.LBB31_67:
	s_or_b32 exec_lo, exec_lo, s6
	v_mov_b32_e32 v4, s17
	v_cmp_lt_u32_e64 s4, 22, v0
	s_clause 0x3
	buffer_load_dword v1, v4, s[0:3], 0 offen
	buffer_load_dword v2, v4, s[0:3], 0 offen offset:4
	buffer_load_dword v3, v4, s[0:3], 0 offen offset:8
	;; [unrolled: 1-line block ×3, first 2 shown]
	s_waitcnt vmcnt(0)
	ds_write_b128 v70, v[1:4]
	s_waitcnt lgkmcnt(0)
	s_waitcnt_vscnt null, 0x0
	s_barrier
	buffer_gl0_inv
	s_and_saveexec_b32 s6, s4
	s_cbranch_execz .LBB31_75
; %bb.68:
	ds_read_b128 v[1:4], v70
	s_andn2_b32 vcc_lo, exec_lo, s40
	s_cbranch_vccnz .LBB31_70
; %bb.69:
	s_clause 0x3
	buffer_load_dword v71, v69, s[0:3], 0 offen offset:8
	buffer_load_dword v72, v69, s[0:3], 0 offen offset:12
	buffer_load_dword v73, v69, s[0:3], 0 offen
	buffer_load_dword v74, v69, s[0:3], 0 offen offset:4
	s_waitcnt vmcnt(2) lgkmcnt(0)
	v_mul_f64 v[76:77], v[3:4], v[71:72]
	v_mul_f64 v[71:72], v[1:2], v[71:72]
	s_waitcnt vmcnt(0)
	v_fma_f64 v[1:2], v[1:2], v[73:74], -v[76:77]
	v_fma_f64 v[3:4], v[3:4], v[73:74], v[71:72]
.LBB31_70:
	s_and_saveexec_b32 s8, s5
	s_cbranch_execz .LBB31_74
; %bb.71:
	v_subrev_nc_u32_e32 v71, 23, v0
	s_movk_i32 s41, 0x370
	s_mov_b32 s5, 0
	s_mov_b32 s42, s16
	.p2align	6
.LBB31_72:                              ; =>This Inner Loop Header: Depth=1
	v_mov_b32_e32 v74, s42
	v_add_nc_u32_e32 v71, -1, v71
	s_add_i32 s42, s42, 16
	s_clause 0x3
	buffer_load_dword v72, v74, s[0:3], 0 offen offset:8
	buffer_load_dword v73, v74, s[0:3], 0 offen offset:12
	buffer_load_dword v80, v74, s[0:3], 0 offen
	buffer_load_dword v81, v74, s[0:3], 0 offen offset:4
	v_mov_b32_e32 v74, s41
	v_cmp_eq_u32_e32 vcc_lo, 0, v71
	s_add_i32 s41, s41, 16
	ds_read_b128 v[76:79], v74
	s_or_b32 s5, vcc_lo, s5
	s_waitcnt vmcnt(2) lgkmcnt(0)
	v_mul_f64 v[82:83], v[78:79], v[72:73]
	v_mul_f64 v[72:73], v[76:77], v[72:73]
	s_waitcnt vmcnt(0)
	v_fma_f64 v[76:77], v[76:77], v[80:81], -v[82:83]
	v_fma_f64 v[72:73], v[78:79], v[80:81], v[72:73]
	v_add_f64 v[1:2], v[1:2], v[76:77]
	v_add_f64 v[3:4], v[3:4], v[72:73]
	s_andn2_b32 exec_lo, exec_lo, s5
	s_cbranch_execnz .LBB31_72
; %bb.73:
	s_or_b32 exec_lo, exec_lo, s5
.LBB31_74:
	s_or_b32 exec_lo, exec_lo, s8
	v_mov_b32_e32 v71, 0
	ds_read_b128 v[71:74], v71 offset:352
	s_waitcnt lgkmcnt(0)
	v_mul_f64 v[76:77], v[3:4], v[73:74]
	v_mul_f64 v[73:74], v[1:2], v[73:74]
	v_fma_f64 v[1:2], v[1:2], v[71:72], -v[76:77]
	v_fma_f64 v[3:4], v[3:4], v[71:72], v[73:74]
	buffer_store_dword v2, off, s[0:3], 0 offset:356
	buffer_store_dword v1, off, s[0:3], 0 offset:352
	;; [unrolled: 1-line block ×4, first 2 shown]
.LBB31_75:
	s_or_b32 exec_lo, exec_lo, s6
	v_mov_b32_e32 v4, s18
	v_cmp_lt_u32_e64 s5, 21, v0
	s_clause 0x3
	buffer_load_dword v1, v4, s[0:3], 0 offen
	buffer_load_dword v2, v4, s[0:3], 0 offen offset:4
	buffer_load_dword v3, v4, s[0:3], 0 offen offset:8
	;; [unrolled: 1-line block ×3, first 2 shown]
	s_waitcnt vmcnt(0)
	ds_write_b128 v70, v[1:4]
	s_waitcnt lgkmcnt(0)
	s_waitcnt_vscnt null, 0x0
	s_barrier
	buffer_gl0_inv
	s_and_saveexec_b32 s6, s5
	s_cbranch_execz .LBB31_83
; %bb.76:
	ds_read_b128 v[1:4], v70
	s_andn2_b32 vcc_lo, exec_lo, s40
	s_cbranch_vccnz .LBB31_78
; %bb.77:
	s_clause 0x3
	buffer_load_dword v71, v69, s[0:3], 0 offen offset:8
	buffer_load_dword v72, v69, s[0:3], 0 offen offset:12
	buffer_load_dword v73, v69, s[0:3], 0 offen
	buffer_load_dword v74, v69, s[0:3], 0 offen offset:4
	s_waitcnt vmcnt(2) lgkmcnt(0)
	v_mul_f64 v[76:77], v[3:4], v[71:72]
	v_mul_f64 v[71:72], v[1:2], v[71:72]
	s_waitcnt vmcnt(0)
	v_fma_f64 v[1:2], v[1:2], v[73:74], -v[76:77]
	v_fma_f64 v[3:4], v[3:4], v[73:74], v[71:72]
.LBB31_78:
	s_and_saveexec_b32 s8, s4
	s_cbranch_execz .LBB31_82
; %bb.79:
	v_subrev_nc_u32_e32 v71, 22, v0
	s_movk_i32 s41, 0x360
	s_mov_b32 s4, 0
	s_mov_b32 s42, s17
	.p2align	6
.LBB31_80:                              ; =>This Inner Loop Header: Depth=1
	v_mov_b32_e32 v74, s42
	v_add_nc_u32_e32 v71, -1, v71
	s_add_i32 s42, s42, 16
	s_clause 0x3
	buffer_load_dword v72, v74, s[0:3], 0 offen offset:8
	buffer_load_dword v73, v74, s[0:3], 0 offen offset:12
	buffer_load_dword v80, v74, s[0:3], 0 offen
	buffer_load_dword v81, v74, s[0:3], 0 offen offset:4
	v_mov_b32_e32 v74, s41
	v_cmp_eq_u32_e32 vcc_lo, 0, v71
	s_add_i32 s41, s41, 16
	ds_read_b128 v[76:79], v74
	s_or_b32 s4, vcc_lo, s4
	s_waitcnt vmcnt(2) lgkmcnt(0)
	v_mul_f64 v[82:83], v[78:79], v[72:73]
	v_mul_f64 v[72:73], v[76:77], v[72:73]
	s_waitcnt vmcnt(0)
	v_fma_f64 v[76:77], v[76:77], v[80:81], -v[82:83]
	v_fma_f64 v[72:73], v[78:79], v[80:81], v[72:73]
	v_add_f64 v[1:2], v[1:2], v[76:77]
	v_add_f64 v[3:4], v[3:4], v[72:73]
	s_andn2_b32 exec_lo, exec_lo, s4
	s_cbranch_execnz .LBB31_80
; %bb.81:
	s_or_b32 exec_lo, exec_lo, s4
.LBB31_82:
	s_or_b32 exec_lo, exec_lo, s8
	v_mov_b32_e32 v71, 0
	ds_read_b128 v[71:74], v71 offset:336
	s_waitcnt lgkmcnt(0)
	v_mul_f64 v[76:77], v[3:4], v[73:74]
	v_mul_f64 v[73:74], v[1:2], v[73:74]
	v_fma_f64 v[1:2], v[1:2], v[71:72], -v[76:77]
	v_fma_f64 v[3:4], v[3:4], v[71:72], v[73:74]
	buffer_store_dword v2, off, s[0:3], 0 offset:340
	buffer_store_dword v1, off, s[0:3], 0 offset:336
	buffer_store_dword v4, off, s[0:3], 0 offset:348
	buffer_store_dword v3, off, s[0:3], 0 offset:344
.LBB31_83:
	s_or_b32 exec_lo, exec_lo, s6
	v_mov_b32_e32 v4, s19
	v_cmp_lt_u32_e64 s4, 20, v0
	s_clause 0x3
	buffer_load_dword v1, v4, s[0:3], 0 offen
	buffer_load_dword v2, v4, s[0:3], 0 offen offset:4
	buffer_load_dword v3, v4, s[0:3], 0 offen offset:8
	;; [unrolled: 1-line block ×3, first 2 shown]
	s_waitcnt vmcnt(0)
	ds_write_b128 v70, v[1:4]
	s_waitcnt lgkmcnt(0)
	s_waitcnt_vscnt null, 0x0
	s_barrier
	buffer_gl0_inv
	s_and_saveexec_b32 s6, s4
	s_cbranch_execz .LBB31_91
; %bb.84:
	ds_read_b128 v[1:4], v70
	s_andn2_b32 vcc_lo, exec_lo, s40
	s_cbranch_vccnz .LBB31_86
; %bb.85:
	s_clause 0x3
	buffer_load_dword v71, v69, s[0:3], 0 offen offset:8
	buffer_load_dword v72, v69, s[0:3], 0 offen offset:12
	buffer_load_dword v73, v69, s[0:3], 0 offen
	buffer_load_dword v74, v69, s[0:3], 0 offen offset:4
	s_waitcnt vmcnt(2) lgkmcnt(0)
	v_mul_f64 v[76:77], v[3:4], v[71:72]
	v_mul_f64 v[71:72], v[1:2], v[71:72]
	s_waitcnt vmcnt(0)
	v_fma_f64 v[1:2], v[1:2], v[73:74], -v[76:77]
	v_fma_f64 v[3:4], v[3:4], v[73:74], v[71:72]
.LBB31_86:
	s_and_saveexec_b32 s8, s5
	s_cbranch_execz .LBB31_90
; %bb.87:
	v_subrev_nc_u32_e32 v71, 21, v0
	s_movk_i32 s41, 0x350
	s_mov_b32 s5, 0
	s_mov_b32 s42, s18
	.p2align	6
.LBB31_88:                              ; =>This Inner Loop Header: Depth=1
	v_mov_b32_e32 v74, s42
	v_add_nc_u32_e32 v71, -1, v71
	s_add_i32 s42, s42, 16
	s_clause 0x3
	buffer_load_dword v72, v74, s[0:3], 0 offen offset:8
	buffer_load_dword v73, v74, s[0:3], 0 offen offset:12
	buffer_load_dword v80, v74, s[0:3], 0 offen
	buffer_load_dword v81, v74, s[0:3], 0 offen offset:4
	v_mov_b32_e32 v74, s41
	v_cmp_eq_u32_e32 vcc_lo, 0, v71
	s_add_i32 s41, s41, 16
	ds_read_b128 v[76:79], v74
	s_or_b32 s5, vcc_lo, s5
	s_waitcnt vmcnt(2) lgkmcnt(0)
	v_mul_f64 v[82:83], v[78:79], v[72:73]
	v_mul_f64 v[72:73], v[76:77], v[72:73]
	s_waitcnt vmcnt(0)
	v_fma_f64 v[76:77], v[76:77], v[80:81], -v[82:83]
	v_fma_f64 v[72:73], v[78:79], v[80:81], v[72:73]
	v_add_f64 v[1:2], v[1:2], v[76:77]
	v_add_f64 v[3:4], v[3:4], v[72:73]
	s_andn2_b32 exec_lo, exec_lo, s5
	s_cbranch_execnz .LBB31_88
; %bb.89:
	s_or_b32 exec_lo, exec_lo, s5
.LBB31_90:
	s_or_b32 exec_lo, exec_lo, s8
	v_mov_b32_e32 v71, 0
	ds_read_b128 v[71:74], v71 offset:320
	s_waitcnt lgkmcnt(0)
	v_mul_f64 v[76:77], v[3:4], v[73:74]
	v_mul_f64 v[73:74], v[1:2], v[73:74]
	v_fma_f64 v[1:2], v[1:2], v[71:72], -v[76:77]
	v_fma_f64 v[3:4], v[3:4], v[71:72], v[73:74]
	buffer_store_dword v2, off, s[0:3], 0 offset:324
	buffer_store_dword v1, off, s[0:3], 0 offset:320
	;; [unrolled: 1-line block ×4, first 2 shown]
.LBB31_91:
	s_or_b32 exec_lo, exec_lo, s6
	v_mov_b32_e32 v4, s20
	v_cmp_lt_u32_e64 s5, 19, v0
	s_clause 0x3
	buffer_load_dword v1, v4, s[0:3], 0 offen
	buffer_load_dword v2, v4, s[0:3], 0 offen offset:4
	buffer_load_dword v3, v4, s[0:3], 0 offen offset:8
	;; [unrolled: 1-line block ×3, first 2 shown]
	s_waitcnt vmcnt(0)
	ds_write_b128 v70, v[1:4]
	s_waitcnt lgkmcnt(0)
	s_waitcnt_vscnt null, 0x0
	s_barrier
	buffer_gl0_inv
	s_and_saveexec_b32 s6, s5
	s_cbranch_execz .LBB31_99
; %bb.92:
	ds_read_b128 v[1:4], v70
	s_andn2_b32 vcc_lo, exec_lo, s40
	s_cbranch_vccnz .LBB31_94
; %bb.93:
	s_clause 0x3
	buffer_load_dword v71, v69, s[0:3], 0 offen offset:8
	buffer_load_dword v72, v69, s[0:3], 0 offen offset:12
	buffer_load_dword v73, v69, s[0:3], 0 offen
	buffer_load_dword v74, v69, s[0:3], 0 offen offset:4
	s_waitcnt vmcnt(2) lgkmcnt(0)
	v_mul_f64 v[76:77], v[3:4], v[71:72]
	v_mul_f64 v[71:72], v[1:2], v[71:72]
	s_waitcnt vmcnt(0)
	v_fma_f64 v[1:2], v[1:2], v[73:74], -v[76:77]
	v_fma_f64 v[3:4], v[3:4], v[73:74], v[71:72]
.LBB31_94:
	s_and_saveexec_b32 s8, s4
	s_cbranch_execz .LBB31_98
; %bb.95:
	v_subrev_nc_u32_e32 v71, 20, v0
	s_movk_i32 s41, 0x340
	s_mov_b32 s4, 0
	s_mov_b32 s42, s19
	.p2align	6
.LBB31_96:                              ; =>This Inner Loop Header: Depth=1
	v_mov_b32_e32 v74, s42
	v_add_nc_u32_e32 v71, -1, v71
	s_add_i32 s42, s42, 16
	s_clause 0x3
	buffer_load_dword v72, v74, s[0:3], 0 offen offset:8
	buffer_load_dword v73, v74, s[0:3], 0 offen offset:12
	buffer_load_dword v80, v74, s[0:3], 0 offen
	buffer_load_dword v81, v74, s[0:3], 0 offen offset:4
	v_mov_b32_e32 v74, s41
	v_cmp_eq_u32_e32 vcc_lo, 0, v71
	s_add_i32 s41, s41, 16
	ds_read_b128 v[76:79], v74
	s_or_b32 s4, vcc_lo, s4
	s_waitcnt vmcnt(2) lgkmcnt(0)
	v_mul_f64 v[82:83], v[78:79], v[72:73]
	v_mul_f64 v[72:73], v[76:77], v[72:73]
	s_waitcnt vmcnt(0)
	v_fma_f64 v[76:77], v[76:77], v[80:81], -v[82:83]
	v_fma_f64 v[72:73], v[78:79], v[80:81], v[72:73]
	v_add_f64 v[1:2], v[1:2], v[76:77]
	v_add_f64 v[3:4], v[3:4], v[72:73]
	s_andn2_b32 exec_lo, exec_lo, s4
	s_cbranch_execnz .LBB31_96
; %bb.97:
	s_or_b32 exec_lo, exec_lo, s4
.LBB31_98:
	s_or_b32 exec_lo, exec_lo, s8
	v_mov_b32_e32 v71, 0
	ds_read_b128 v[71:74], v71 offset:304
	s_waitcnt lgkmcnt(0)
	v_mul_f64 v[76:77], v[3:4], v[73:74]
	v_mul_f64 v[73:74], v[1:2], v[73:74]
	v_fma_f64 v[1:2], v[1:2], v[71:72], -v[76:77]
	v_fma_f64 v[3:4], v[3:4], v[71:72], v[73:74]
	buffer_store_dword v2, off, s[0:3], 0 offset:308
	buffer_store_dword v1, off, s[0:3], 0 offset:304
	;; [unrolled: 1-line block ×4, first 2 shown]
.LBB31_99:
	s_or_b32 exec_lo, exec_lo, s6
	v_mov_b32_e32 v4, s21
	v_cmp_lt_u32_e64 s4, 18, v0
	s_clause 0x3
	buffer_load_dword v1, v4, s[0:3], 0 offen
	buffer_load_dword v2, v4, s[0:3], 0 offen offset:4
	buffer_load_dword v3, v4, s[0:3], 0 offen offset:8
	;; [unrolled: 1-line block ×3, first 2 shown]
	s_waitcnt vmcnt(0)
	ds_write_b128 v70, v[1:4]
	s_waitcnt lgkmcnt(0)
	s_waitcnt_vscnt null, 0x0
	s_barrier
	buffer_gl0_inv
	s_and_saveexec_b32 s6, s4
	s_cbranch_execz .LBB31_107
; %bb.100:
	ds_read_b128 v[1:4], v70
	s_andn2_b32 vcc_lo, exec_lo, s40
	s_cbranch_vccnz .LBB31_102
; %bb.101:
	s_clause 0x3
	buffer_load_dword v71, v69, s[0:3], 0 offen offset:8
	buffer_load_dword v72, v69, s[0:3], 0 offen offset:12
	buffer_load_dword v73, v69, s[0:3], 0 offen
	buffer_load_dword v74, v69, s[0:3], 0 offen offset:4
	s_waitcnt vmcnt(2) lgkmcnt(0)
	v_mul_f64 v[76:77], v[3:4], v[71:72]
	v_mul_f64 v[71:72], v[1:2], v[71:72]
	s_waitcnt vmcnt(0)
	v_fma_f64 v[1:2], v[1:2], v[73:74], -v[76:77]
	v_fma_f64 v[3:4], v[3:4], v[73:74], v[71:72]
.LBB31_102:
	s_and_saveexec_b32 s8, s5
	s_cbranch_execz .LBB31_106
; %bb.103:
	v_subrev_nc_u32_e32 v71, 19, v0
	s_movk_i32 s41, 0x330
	s_mov_b32 s5, 0
	s_mov_b32 s42, s20
	.p2align	6
.LBB31_104:                             ; =>This Inner Loop Header: Depth=1
	v_mov_b32_e32 v74, s42
	v_add_nc_u32_e32 v71, -1, v71
	s_add_i32 s42, s42, 16
	s_clause 0x3
	buffer_load_dword v72, v74, s[0:3], 0 offen offset:8
	buffer_load_dword v73, v74, s[0:3], 0 offen offset:12
	buffer_load_dword v80, v74, s[0:3], 0 offen
	buffer_load_dword v81, v74, s[0:3], 0 offen offset:4
	v_mov_b32_e32 v74, s41
	v_cmp_eq_u32_e32 vcc_lo, 0, v71
	s_add_i32 s41, s41, 16
	ds_read_b128 v[76:79], v74
	s_or_b32 s5, vcc_lo, s5
	s_waitcnt vmcnt(2) lgkmcnt(0)
	v_mul_f64 v[82:83], v[78:79], v[72:73]
	v_mul_f64 v[72:73], v[76:77], v[72:73]
	s_waitcnt vmcnt(0)
	v_fma_f64 v[76:77], v[76:77], v[80:81], -v[82:83]
	v_fma_f64 v[72:73], v[78:79], v[80:81], v[72:73]
	v_add_f64 v[1:2], v[1:2], v[76:77]
	v_add_f64 v[3:4], v[3:4], v[72:73]
	s_andn2_b32 exec_lo, exec_lo, s5
	s_cbranch_execnz .LBB31_104
; %bb.105:
	s_or_b32 exec_lo, exec_lo, s5
.LBB31_106:
	s_or_b32 exec_lo, exec_lo, s8
	v_mov_b32_e32 v71, 0
	ds_read_b128 v[71:74], v71 offset:288
	s_waitcnt lgkmcnt(0)
	v_mul_f64 v[76:77], v[3:4], v[73:74]
	v_mul_f64 v[73:74], v[1:2], v[73:74]
	v_fma_f64 v[1:2], v[1:2], v[71:72], -v[76:77]
	v_fma_f64 v[3:4], v[3:4], v[71:72], v[73:74]
	buffer_store_dword v2, off, s[0:3], 0 offset:292
	buffer_store_dword v1, off, s[0:3], 0 offset:288
	;; [unrolled: 1-line block ×4, first 2 shown]
.LBB31_107:
	s_or_b32 exec_lo, exec_lo, s6
	v_mov_b32_e32 v4, s22
	v_cmp_lt_u32_e64 s5, 17, v0
	s_clause 0x3
	buffer_load_dword v1, v4, s[0:3], 0 offen
	buffer_load_dword v2, v4, s[0:3], 0 offen offset:4
	buffer_load_dword v3, v4, s[0:3], 0 offen offset:8
	;; [unrolled: 1-line block ×3, first 2 shown]
	s_waitcnt vmcnt(0)
	ds_write_b128 v70, v[1:4]
	s_waitcnt lgkmcnt(0)
	s_waitcnt_vscnt null, 0x0
	s_barrier
	buffer_gl0_inv
	s_and_saveexec_b32 s6, s5
	s_cbranch_execz .LBB31_115
; %bb.108:
	ds_read_b128 v[1:4], v70
	s_andn2_b32 vcc_lo, exec_lo, s40
	s_cbranch_vccnz .LBB31_110
; %bb.109:
	s_clause 0x3
	buffer_load_dword v71, v69, s[0:3], 0 offen offset:8
	buffer_load_dword v72, v69, s[0:3], 0 offen offset:12
	buffer_load_dword v73, v69, s[0:3], 0 offen
	buffer_load_dword v74, v69, s[0:3], 0 offen offset:4
	s_waitcnt vmcnt(2) lgkmcnt(0)
	v_mul_f64 v[76:77], v[3:4], v[71:72]
	v_mul_f64 v[71:72], v[1:2], v[71:72]
	s_waitcnt vmcnt(0)
	v_fma_f64 v[1:2], v[1:2], v[73:74], -v[76:77]
	v_fma_f64 v[3:4], v[3:4], v[73:74], v[71:72]
.LBB31_110:
	s_and_saveexec_b32 s8, s4
	s_cbranch_execz .LBB31_114
; %bb.111:
	v_subrev_nc_u32_e32 v71, 18, v0
	s_movk_i32 s41, 0x320
	s_mov_b32 s4, 0
	s_mov_b32 s42, s21
	.p2align	6
.LBB31_112:                             ; =>This Inner Loop Header: Depth=1
	v_mov_b32_e32 v74, s42
	v_add_nc_u32_e32 v71, -1, v71
	s_add_i32 s42, s42, 16
	s_clause 0x3
	buffer_load_dword v72, v74, s[0:3], 0 offen offset:8
	buffer_load_dword v73, v74, s[0:3], 0 offen offset:12
	buffer_load_dword v80, v74, s[0:3], 0 offen
	buffer_load_dword v81, v74, s[0:3], 0 offen offset:4
	v_mov_b32_e32 v74, s41
	v_cmp_eq_u32_e32 vcc_lo, 0, v71
	s_add_i32 s41, s41, 16
	ds_read_b128 v[76:79], v74
	s_or_b32 s4, vcc_lo, s4
	s_waitcnt vmcnt(2) lgkmcnt(0)
	v_mul_f64 v[82:83], v[78:79], v[72:73]
	v_mul_f64 v[72:73], v[76:77], v[72:73]
	s_waitcnt vmcnt(0)
	v_fma_f64 v[76:77], v[76:77], v[80:81], -v[82:83]
	v_fma_f64 v[72:73], v[78:79], v[80:81], v[72:73]
	v_add_f64 v[1:2], v[1:2], v[76:77]
	v_add_f64 v[3:4], v[3:4], v[72:73]
	s_andn2_b32 exec_lo, exec_lo, s4
	s_cbranch_execnz .LBB31_112
; %bb.113:
	s_or_b32 exec_lo, exec_lo, s4
.LBB31_114:
	s_or_b32 exec_lo, exec_lo, s8
	v_mov_b32_e32 v71, 0
	ds_read_b128 v[71:74], v71 offset:272
	s_waitcnt lgkmcnt(0)
	v_mul_f64 v[76:77], v[3:4], v[73:74]
	v_mul_f64 v[73:74], v[1:2], v[73:74]
	v_fma_f64 v[1:2], v[1:2], v[71:72], -v[76:77]
	v_fma_f64 v[3:4], v[3:4], v[71:72], v[73:74]
	buffer_store_dword v2, off, s[0:3], 0 offset:276
	buffer_store_dword v1, off, s[0:3], 0 offset:272
	;; [unrolled: 1-line block ×4, first 2 shown]
.LBB31_115:
	s_or_b32 exec_lo, exec_lo, s6
	v_mov_b32_e32 v4, s23
	v_cmp_lt_u32_e64 s4, 16, v0
	s_clause 0x3
	buffer_load_dword v1, v4, s[0:3], 0 offen
	buffer_load_dword v2, v4, s[0:3], 0 offen offset:4
	buffer_load_dword v3, v4, s[0:3], 0 offen offset:8
	;; [unrolled: 1-line block ×3, first 2 shown]
	s_waitcnt vmcnt(0)
	ds_write_b128 v70, v[1:4]
	s_waitcnt lgkmcnt(0)
	s_waitcnt_vscnt null, 0x0
	s_barrier
	buffer_gl0_inv
	s_and_saveexec_b32 s6, s4
	s_cbranch_execz .LBB31_123
; %bb.116:
	ds_read_b128 v[1:4], v70
	s_andn2_b32 vcc_lo, exec_lo, s40
	s_cbranch_vccnz .LBB31_118
; %bb.117:
	s_clause 0x3
	buffer_load_dword v71, v69, s[0:3], 0 offen offset:8
	buffer_load_dword v72, v69, s[0:3], 0 offen offset:12
	buffer_load_dword v73, v69, s[0:3], 0 offen
	buffer_load_dword v74, v69, s[0:3], 0 offen offset:4
	s_waitcnt vmcnt(2) lgkmcnt(0)
	v_mul_f64 v[76:77], v[3:4], v[71:72]
	v_mul_f64 v[71:72], v[1:2], v[71:72]
	s_waitcnt vmcnt(0)
	v_fma_f64 v[1:2], v[1:2], v[73:74], -v[76:77]
	v_fma_f64 v[3:4], v[3:4], v[73:74], v[71:72]
.LBB31_118:
	s_and_saveexec_b32 s8, s5
	s_cbranch_execz .LBB31_122
; %bb.119:
	v_subrev_nc_u32_e32 v71, 17, v0
	s_movk_i32 s41, 0x310
	s_mov_b32 s5, 0
	s_mov_b32 s42, s22
	.p2align	6
.LBB31_120:                             ; =>This Inner Loop Header: Depth=1
	v_mov_b32_e32 v74, s42
	v_add_nc_u32_e32 v71, -1, v71
	s_add_i32 s42, s42, 16
	s_clause 0x3
	buffer_load_dword v72, v74, s[0:3], 0 offen offset:8
	buffer_load_dword v73, v74, s[0:3], 0 offen offset:12
	buffer_load_dword v80, v74, s[0:3], 0 offen
	buffer_load_dword v81, v74, s[0:3], 0 offen offset:4
	v_mov_b32_e32 v74, s41
	v_cmp_eq_u32_e32 vcc_lo, 0, v71
	s_add_i32 s41, s41, 16
	ds_read_b128 v[76:79], v74
	s_or_b32 s5, vcc_lo, s5
	s_waitcnt vmcnt(2) lgkmcnt(0)
	v_mul_f64 v[82:83], v[78:79], v[72:73]
	v_mul_f64 v[72:73], v[76:77], v[72:73]
	s_waitcnt vmcnt(0)
	v_fma_f64 v[76:77], v[76:77], v[80:81], -v[82:83]
	v_fma_f64 v[72:73], v[78:79], v[80:81], v[72:73]
	v_add_f64 v[1:2], v[1:2], v[76:77]
	v_add_f64 v[3:4], v[3:4], v[72:73]
	s_andn2_b32 exec_lo, exec_lo, s5
	s_cbranch_execnz .LBB31_120
; %bb.121:
	s_or_b32 exec_lo, exec_lo, s5
.LBB31_122:
	s_or_b32 exec_lo, exec_lo, s8
	v_mov_b32_e32 v71, 0
	ds_read_b128 v[71:74], v71 offset:256
	s_waitcnt lgkmcnt(0)
	v_mul_f64 v[76:77], v[3:4], v[73:74]
	v_mul_f64 v[73:74], v[1:2], v[73:74]
	v_fma_f64 v[1:2], v[1:2], v[71:72], -v[76:77]
	v_fma_f64 v[3:4], v[3:4], v[71:72], v[73:74]
	buffer_store_dword v2, off, s[0:3], 0 offset:260
	buffer_store_dword v1, off, s[0:3], 0 offset:256
	;; [unrolled: 1-line block ×4, first 2 shown]
.LBB31_123:
	s_or_b32 exec_lo, exec_lo, s6
	v_mov_b32_e32 v4, s24
	v_cmp_lt_u32_e64 s5, 15, v0
	s_clause 0x3
	buffer_load_dword v1, v4, s[0:3], 0 offen
	buffer_load_dword v2, v4, s[0:3], 0 offen offset:4
	buffer_load_dword v3, v4, s[0:3], 0 offen offset:8
	buffer_load_dword v4, v4, s[0:3], 0 offen offset:12
	s_waitcnt vmcnt(0)
	ds_write_b128 v70, v[1:4]
	s_waitcnt lgkmcnt(0)
	s_waitcnt_vscnt null, 0x0
	s_barrier
	buffer_gl0_inv
	s_and_saveexec_b32 s6, s5
	s_cbranch_execz .LBB31_131
; %bb.124:
	ds_read_b128 v[1:4], v70
	s_andn2_b32 vcc_lo, exec_lo, s40
	s_cbranch_vccnz .LBB31_126
; %bb.125:
	s_clause 0x3
	buffer_load_dword v71, v69, s[0:3], 0 offen offset:8
	buffer_load_dword v72, v69, s[0:3], 0 offen offset:12
	buffer_load_dword v73, v69, s[0:3], 0 offen
	buffer_load_dword v74, v69, s[0:3], 0 offen offset:4
	s_waitcnt vmcnt(2) lgkmcnt(0)
	v_mul_f64 v[76:77], v[3:4], v[71:72]
	v_mul_f64 v[71:72], v[1:2], v[71:72]
	s_waitcnt vmcnt(0)
	v_fma_f64 v[1:2], v[1:2], v[73:74], -v[76:77]
	v_fma_f64 v[3:4], v[3:4], v[73:74], v[71:72]
.LBB31_126:
	s_and_saveexec_b32 s8, s4
	s_cbranch_execz .LBB31_130
; %bb.127:
	v_add_nc_u32_e32 v71, -16, v0
	s_movk_i32 s41, 0x300
	s_mov_b32 s4, 0
	s_mov_b32 s42, s23
	.p2align	6
.LBB31_128:                             ; =>This Inner Loop Header: Depth=1
	v_mov_b32_e32 v74, s42
	v_add_nc_u32_e32 v71, -1, v71
	s_add_i32 s42, s42, 16
	s_clause 0x3
	buffer_load_dword v72, v74, s[0:3], 0 offen offset:8
	buffer_load_dword v73, v74, s[0:3], 0 offen offset:12
	buffer_load_dword v80, v74, s[0:3], 0 offen
	buffer_load_dword v81, v74, s[0:3], 0 offen offset:4
	v_mov_b32_e32 v74, s41
	v_cmp_eq_u32_e32 vcc_lo, 0, v71
	s_add_i32 s41, s41, 16
	ds_read_b128 v[76:79], v74
	s_or_b32 s4, vcc_lo, s4
	s_waitcnt vmcnt(2) lgkmcnt(0)
	v_mul_f64 v[82:83], v[78:79], v[72:73]
	v_mul_f64 v[72:73], v[76:77], v[72:73]
	s_waitcnt vmcnt(0)
	v_fma_f64 v[76:77], v[76:77], v[80:81], -v[82:83]
	v_fma_f64 v[72:73], v[78:79], v[80:81], v[72:73]
	v_add_f64 v[1:2], v[1:2], v[76:77]
	v_add_f64 v[3:4], v[3:4], v[72:73]
	s_andn2_b32 exec_lo, exec_lo, s4
	s_cbranch_execnz .LBB31_128
; %bb.129:
	s_or_b32 exec_lo, exec_lo, s4
.LBB31_130:
	s_or_b32 exec_lo, exec_lo, s8
	v_mov_b32_e32 v71, 0
	ds_read_b128 v[71:74], v71 offset:240
	s_waitcnt lgkmcnt(0)
	v_mul_f64 v[76:77], v[3:4], v[73:74]
	v_mul_f64 v[73:74], v[1:2], v[73:74]
	v_fma_f64 v[1:2], v[1:2], v[71:72], -v[76:77]
	v_fma_f64 v[3:4], v[3:4], v[71:72], v[73:74]
	buffer_store_dword v2, off, s[0:3], 0 offset:244
	buffer_store_dword v1, off, s[0:3], 0 offset:240
	;; [unrolled: 1-line block ×4, first 2 shown]
.LBB31_131:
	s_or_b32 exec_lo, exec_lo, s6
	v_mov_b32_e32 v4, s25
	v_cmp_lt_u32_e64 s4, 14, v0
	s_clause 0x3
	buffer_load_dword v1, v4, s[0:3], 0 offen
	buffer_load_dword v2, v4, s[0:3], 0 offen offset:4
	buffer_load_dword v3, v4, s[0:3], 0 offen offset:8
	;; [unrolled: 1-line block ×3, first 2 shown]
	s_waitcnt vmcnt(0)
	ds_write_b128 v70, v[1:4]
	s_waitcnt lgkmcnt(0)
	s_waitcnt_vscnt null, 0x0
	s_barrier
	buffer_gl0_inv
	s_and_saveexec_b32 s6, s4
	s_cbranch_execz .LBB31_139
; %bb.132:
	ds_read_b128 v[1:4], v70
	s_andn2_b32 vcc_lo, exec_lo, s40
	s_cbranch_vccnz .LBB31_134
; %bb.133:
	s_clause 0x3
	buffer_load_dword v71, v69, s[0:3], 0 offen offset:8
	buffer_load_dword v72, v69, s[0:3], 0 offen offset:12
	buffer_load_dword v73, v69, s[0:3], 0 offen
	buffer_load_dword v74, v69, s[0:3], 0 offen offset:4
	s_waitcnt vmcnt(2) lgkmcnt(0)
	v_mul_f64 v[76:77], v[3:4], v[71:72]
	v_mul_f64 v[71:72], v[1:2], v[71:72]
	s_waitcnt vmcnt(0)
	v_fma_f64 v[1:2], v[1:2], v[73:74], -v[76:77]
	v_fma_f64 v[3:4], v[3:4], v[73:74], v[71:72]
.LBB31_134:
	s_and_saveexec_b32 s8, s5
	s_cbranch_execz .LBB31_138
; %bb.135:
	v_add_nc_u32_e32 v71, -15, v0
	s_movk_i32 s41, 0x2f0
	s_mov_b32 s5, 0
	s_mov_b32 s42, s24
	.p2align	6
.LBB31_136:                             ; =>This Inner Loop Header: Depth=1
	v_mov_b32_e32 v74, s42
	v_add_nc_u32_e32 v71, -1, v71
	s_add_i32 s42, s42, 16
	s_clause 0x3
	buffer_load_dword v72, v74, s[0:3], 0 offen offset:8
	buffer_load_dword v73, v74, s[0:3], 0 offen offset:12
	buffer_load_dword v80, v74, s[0:3], 0 offen
	buffer_load_dword v81, v74, s[0:3], 0 offen offset:4
	v_mov_b32_e32 v74, s41
	v_cmp_eq_u32_e32 vcc_lo, 0, v71
	s_add_i32 s41, s41, 16
	ds_read_b128 v[76:79], v74
	s_or_b32 s5, vcc_lo, s5
	s_waitcnt vmcnt(2) lgkmcnt(0)
	v_mul_f64 v[82:83], v[78:79], v[72:73]
	v_mul_f64 v[72:73], v[76:77], v[72:73]
	s_waitcnt vmcnt(0)
	v_fma_f64 v[76:77], v[76:77], v[80:81], -v[82:83]
	v_fma_f64 v[72:73], v[78:79], v[80:81], v[72:73]
	v_add_f64 v[1:2], v[1:2], v[76:77]
	v_add_f64 v[3:4], v[3:4], v[72:73]
	s_andn2_b32 exec_lo, exec_lo, s5
	s_cbranch_execnz .LBB31_136
; %bb.137:
	s_or_b32 exec_lo, exec_lo, s5
.LBB31_138:
	s_or_b32 exec_lo, exec_lo, s8
	v_mov_b32_e32 v71, 0
	ds_read_b128 v[71:74], v71 offset:224
	s_waitcnt lgkmcnt(0)
	v_mul_f64 v[76:77], v[3:4], v[73:74]
	v_mul_f64 v[73:74], v[1:2], v[73:74]
	v_fma_f64 v[1:2], v[1:2], v[71:72], -v[76:77]
	v_fma_f64 v[3:4], v[3:4], v[71:72], v[73:74]
	buffer_store_dword v2, off, s[0:3], 0 offset:228
	buffer_store_dword v1, off, s[0:3], 0 offset:224
	;; [unrolled: 1-line block ×4, first 2 shown]
.LBB31_139:
	s_or_b32 exec_lo, exec_lo, s6
	v_mov_b32_e32 v4, s26
	v_cmp_lt_u32_e64 s5, 13, v0
	s_clause 0x3
	buffer_load_dword v1, v4, s[0:3], 0 offen
	buffer_load_dword v2, v4, s[0:3], 0 offen offset:4
	buffer_load_dword v3, v4, s[0:3], 0 offen offset:8
	buffer_load_dword v4, v4, s[0:3], 0 offen offset:12
	s_waitcnt vmcnt(0)
	ds_write_b128 v70, v[1:4]
	s_waitcnt lgkmcnt(0)
	s_waitcnt_vscnt null, 0x0
	s_barrier
	buffer_gl0_inv
	s_and_saveexec_b32 s6, s5
	s_cbranch_execz .LBB31_147
; %bb.140:
	ds_read_b128 v[1:4], v70
	s_andn2_b32 vcc_lo, exec_lo, s40
	s_cbranch_vccnz .LBB31_142
; %bb.141:
	s_clause 0x3
	buffer_load_dword v71, v69, s[0:3], 0 offen offset:8
	buffer_load_dword v72, v69, s[0:3], 0 offen offset:12
	buffer_load_dword v73, v69, s[0:3], 0 offen
	buffer_load_dword v74, v69, s[0:3], 0 offen offset:4
	s_waitcnt vmcnt(2) lgkmcnt(0)
	v_mul_f64 v[76:77], v[3:4], v[71:72]
	v_mul_f64 v[71:72], v[1:2], v[71:72]
	s_waitcnt vmcnt(0)
	v_fma_f64 v[1:2], v[1:2], v[73:74], -v[76:77]
	v_fma_f64 v[3:4], v[3:4], v[73:74], v[71:72]
.LBB31_142:
	s_and_saveexec_b32 s8, s4
	s_cbranch_execz .LBB31_146
; %bb.143:
	v_add_nc_u32_e32 v71, -14, v0
	s_movk_i32 s41, 0x2e0
	s_mov_b32 s4, 0
	s_mov_b32 s42, s25
	.p2align	6
.LBB31_144:                             ; =>This Inner Loop Header: Depth=1
	v_mov_b32_e32 v74, s42
	v_add_nc_u32_e32 v71, -1, v71
	s_add_i32 s42, s42, 16
	s_clause 0x3
	buffer_load_dword v72, v74, s[0:3], 0 offen offset:8
	buffer_load_dword v73, v74, s[0:3], 0 offen offset:12
	buffer_load_dword v80, v74, s[0:3], 0 offen
	buffer_load_dword v81, v74, s[0:3], 0 offen offset:4
	v_mov_b32_e32 v74, s41
	v_cmp_eq_u32_e32 vcc_lo, 0, v71
	s_add_i32 s41, s41, 16
	ds_read_b128 v[76:79], v74
	s_or_b32 s4, vcc_lo, s4
	s_waitcnt vmcnt(2) lgkmcnt(0)
	v_mul_f64 v[82:83], v[78:79], v[72:73]
	v_mul_f64 v[72:73], v[76:77], v[72:73]
	s_waitcnt vmcnt(0)
	v_fma_f64 v[76:77], v[76:77], v[80:81], -v[82:83]
	v_fma_f64 v[72:73], v[78:79], v[80:81], v[72:73]
	v_add_f64 v[1:2], v[1:2], v[76:77]
	v_add_f64 v[3:4], v[3:4], v[72:73]
	s_andn2_b32 exec_lo, exec_lo, s4
	s_cbranch_execnz .LBB31_144
; %bb.145:
	s_or_b32 exec_lo, exec_lo, s4
.LBB31_146:
	s_or_b32 exec_lo, exec_lo, s8
	v_mov_b32_e32 v71, 0
	ds_read_b128 v[71:74], v71 offset:208
	s_waitcnt lgkmcnt(0)
	v_mul_f64 v[76:77], v[3:4], v[73:74]
	v_mul_f64 v[73:74], v[1:2], v[73:74]
	v_fma_f64 v[1:2], v[1:2], v[71:72], -v[76:77]
	v_fma_f64 v[3:4], v[3:4], v[71:72], v[73:74]
	buffer_store_dword v2, off, s[0:3], 0 offset:212
	buffer_store_dword v1, off, s[0:3], 0 offset:208
	;; [unrolled: 1-line block ×4, first 2 shown]
.LBB31_147:
	s_or_b32 exec_lo, exec_lo, s6
	v_mov_b32_e32 v4, s27
	v_cmp_lt_u32_e64 s4, 12, v0
	s_clause 0x3
	buffer_load_dword v1, v4, s[0:3], 0 offen
	buffer_load_dword v2, v4, s[0:3], 0 offen offset:4
	buffer_load_dword v3, v4, s[0:3], 0 offen offset:8
	;; [unrolled: 1-line block ×3, first 2 shown]
	s_waitcnt vmcnt(0)
	ds_write_b128 v70, v[1:4]
	s_waitcnt lgkmcnt(0)
	s_waitcnt_vscnt null, 0x0
	s_barrier
	buffer_gl0_inv
	s_and_saveexec_b32 s6, s4
	s_cbranch_execz .LBB31_155
; %bb.148:
	ds_read_b128 v[1:4], v70
	s_andn2_b32 vcc_lo, exec_lo, s40
	s_cbranch_vccnz .LBB31_150
; %bb.149:
	s_clause 0x3
	buffer_load_dword v71, v69, s[0:3], 0 offen offset:8
	buffer_load_dword v72, v69, s[0:3], 0 offen offset:12
	buffer_load_dword v73, v69, s[0:3], 0 offen
	buffer_load_dword v74, v69, s[0:3], 0 offen offset:4
	s_waitcnt vmcnt(2) lgkmcnt(0)
	v_mul_f64 v[76:77], v[3:4], v[71:72]
	v_mul_f64 v[71:72], v[1:2], v[71:72]
	s_waitcnt vmcnt(0)
	v_fma_f64 v[1:2], v[1:2], v[73:74], -v[76:77]
	v_fma_f64 v[3:4], v[3:4], v[73:74], v[71:72]
.LBB31_150:
	s_and_saveexec_b32 s8, s5
	s_cbranch_execz .LBB31_154
; %bb.151:
	v_add_nc_u32_e32 v71, -13, v0
	s_movk_i32 s41, 0x2d0
	s_mov_b32 s5, 0
	s_mov_b32 s42, s26
	.p2align	6
.LBB31_152:                             ; =>This Inner Loop Header: Depth=1
	v_mov_b32_e32 v74, s42
	v_add_nc_u32_e32 v71, -1, v71
	s_add_i32 s42, s42, 16
	s_clause 0x3
	buffer_load_dword v72, v74, s[0:3], 0 offen offset:8
	buffer_load_dword v73, v74, s[0:3], 0 offen offset:12
	buffer_load_dword v80, v74, s[0:3], 0 offen
	buffer_load_dword v81, v74, s[0:3], 0 offen offset:4
	v_mov_b32_e32 v74, s41
	v_cmp_eq_u32_e32 vcc_lo, 0, v71
	s_add_i32 s41, s41, 16
	ds_read_b128 v[76:79], v74
	s_or_b32 s5, vcc_lo, s5
	s_waitcnt vmcnt(2) lgkmcnt(0)
	v_mul_f64 v[82:83], v[78:79], v[72:73]
	v_mul_f64 v[72:73], v[76:77], v[72:73]
	s_waitcnt vmcnt(0)
	v_fma_f64 v[76:77], v[76:77], v[80:81], -v[82:83]
	v_fma_f64 v[72:73], v[78:79], v[80:81], v[72:73]
	v_add_f64 v[1:2], v[1:2], v[76:77]
	v_add_f64 v[3:4], v[3:4], v[72:73]
	s_andn2_b32 exec_lo, exec_lo, s5
	s_cbranch_execnz .LBB31_152
; %bb.153:
	s_or_b32 exec_lo, exec_lo, s5
.LBB31_154:
	s_or_b32 exec_lo, exec_lo, s8
	v_mov_b32_e32 v71, 0
	ds_read_b128 v[71:74], v71 offset:192
	s_waitcnt lgkmcnt(0)
	v_mul_f64 v[76:77], v[3:4], v[73:74]
	v_mul_f64 v[73:74], v[1:2], v[73:74]
	v_fma_f64 v[1:2], v[1:2], v[71:72], -v[76:77]
	v_fma_f64 v[3:4], v[3:4], v[71:72], v[73:74]
	buffer_store_dword v2, off, s[0:3], 0 offset:196
	buffer_store_dword v1, off, s[0:3], 0 offset:192
	;; [unrolled: 1-line block ×4, first 2 shown]
.LBB31_155:
	s_or_b32 exec_lo, exec_lo, s6
	v_mov_b32_e32 v4, s28
	v_cmp_lt_u32_e64 s5, 11, v0
	s_clause 0x3
	buffer_load_dword v1, v4, s[0:3], 0 offen
	buffer_load_dword v2, v4, s[0:3], 0 offen offset:4
	buffer_load_dword v3, v4, s[0:3], 0 offen offset:8
	;; [unrolled: 1-line block ×3, first 2 shown]
	s_waitcnt vmcnt(0)
	ds_write_b128 v70, v[1:4]
	s_waitcnt lgkmcnt(0)
	s_waitcnt_vscnt null, 0x0
	s_barrier
	buffer_gl0_inv
	s_and_saveexec_b32 s6, s5
	s_cbranch_execz .LBB31_163
; %bb.156:
	ds_read_b128 v[1:4], v70
	s_andn2_b32 vcc_lo, exec_lo, s40
	s_cbranch_vccnz .LBB31_158
; %bb.157:
	s_clause 0x3
	buffer_load_dword v71, v69, s[0:3], 0 offen offset:8
	buffer_load_dword v72, v69, s[0:3], 0 offen offset:12
	buffer_load_dword v73, v69, s[0:3], 0 offen
	buffer_load_dword v74, v69, s[0:3], 0 offen offset:4
	s_waitcnt vmcnt(2) lgkmcnt(0)
	v_mul_f64 v[76:77], v[3:4], v[71:72]
	v_mul_f64 v[71:72], v[1:2], v[71:72]
	s_waitcnt vmcnt(0)
	v_fma_f64 v[1:2], v[1:2], v[73:74], -v[76:77]
	v_fma_f64 v[3:4], v[3:4], v[73:74], v[71:72]
.LBB31_158:
	s_and_saveexec_b32 s8, s4
	s_cbranch_execz .LBB31_162
; %bb.159:
	v_add_nc_u32_e32 v71, -12, v0
	s_movk_i32 s41, 0x2c0
	s_mov_b32 s4, 0
	s_mov_b32 s42, s27
	.p2align	6
.LBB31_160:                             ; =>This Inner Loop Header: Depth=1
	v_mov_b32_e32 v74, s42
	v_add_nc_u32_e32 v71, -1, v71
	s_add_i32 s42, s42, 16
	s_clause 0x3
	buffer_load_dword v72, v74, s[0:3], 0 offen offset:8
	buffer_load_dword v73, v74, s[0:3], 0 offen offset:12
	buffer_load_dword v80, v74, s[0:3], 0 offen
	buffer_load_dword v81, v74, s[0:3], 0 offen offset:4
	v_mov_b32_e32 v74, s41
	v_cmp_eq_u32_e32 vcc_lo, 0, v71
	s_add_i32 s41, s41, 16
	ds_read_b128 v[76:79], v74
	s_or_b32 s4, vcc_lo, s4
	s_waitcnt vmcnt(2) lgkmcnt(0)
	v_mul_f64 v[82:83], v[78:79], v[72:73]
	v_mul_f64 v[72:73], v[76:77], v[72:73]
	s_waitcnt vmcnt(0)
	v_fma_f64 v[76:77], v[76:77], v[80:81], -v[82:83]
	v_fma_f64 v[72:73], v[78:79], v[80:81], v[72:73]
	v_add_f64 v[1:2], v[1:2], v[76:77]
	v_add_f64 v[3:4], v[3:4], v[72:73]
	s_andn2_b32 exec_lo, exec_lo, s4
	s_cbranch_execnz .LBB31_160
; %bb.161:
	s_or_b32 exec_lo, exec_lo, s4
.LBB31_162:
	s_or_b32 exec_lo, exec_lo, s8
	v_mov_b32_e32 v71, 0
	ds_read_b128 v[71:74], v71 offset:176
	s_waitcnt lgkmcnt(0)
	v_mul_f64 v[76:77], v[3:4], v[73:74]
	v_mul_f64 v[73:74], v[1:2], v[73:74]
	v_fma_f64 v[1:2], v[1:2], v[71:72], -v[76:77]
	v_fma_f64 v[3:4], v[3:4], v[71:72], v[73:74]
	buffer_store_dword v2, off, s[0:3], 0 offset:180
	buffer_store_dword v1, off, s[0:3], 0 offset:176
	;; [unrolled: 1-line block ×4, first 2 shown]
.LBB31_163:
	s_or_b32 exec_lo, exec_lo, s6
	v_mov_b32_e32 v4, s29
	v_cmp_lt_u32_e64 s4, 10, v0
	s_clause 0x3
	buffer_load_dword v1, v4, s[0:3], 0 offen
	buffer_load_dword v2, v4, s[0:3], 0 offen offset:4
	buffer_load_dword v3, v4, s[0:3], 0 offen offset:8
	;; [unrolled: 1-line block ×3, first 2 shown]
	s_waitcnt vmcnt(0)
	ds_write_b128 v70, v[1:4]
	s_waitcnt lgkmcnt(0)
	s_waitcnt_vscnt null, 0x0
	s_barrier
	buffer_gl0_inv
	s_and_saveexec_b32 s6, s4
	s_cbranch_execz .LBB31_171
; %bb.164:
	ds_read_b128 v[1:4], v70
	s_andn2_b32 vcc_lo, exec_lo, s40
	s_cbranch_vccnz .LBB31_166
; %bb.165:
	s_clause 0x3
	buffer_load_dword v71, v69, s[0:3], 0 offen offset:8
	buffer_load_dword v72, v69, s[0:3], 0 offen offset:12
	buffer_load_dword v73, v69, s[0:3], 0 offen
	buffer_load_dword v74, v69, s[0:3], 0 offen offset:4
	s_waitcnt vmcnt(2) lgkmcnt(0)
	v_mul_f64 v[76:77], v[3:4], v[71:72]
	v_mul_f64 v[71:72], v[1:2], v[71:72]
	s_waitcnt vmcnt(0)
	v_fma_f64 v[1:2], v[1:2], v[73:74], -v[76:77]
	v_fma_f64 v[3:4], v[3:4], v[73:74], v[71:72]
.LBB31_166:
	s_and_saveexec_b32 s8, s5
	s_cbranch_execz .LBB31_170
; %bb.167:
	v_add_nc_u32_e32 v71, -11, v0
	s_movk_i32 s41, 0x2b0
	s_mov_b32 s5, 0
	s_mov_b32 s42, s28
	.p2align	6
.LBB31_168:                             ; =>This Inner Loop Header: Depth=1
	v_mov_b32_e32 v74, s42
	v_add_nc_u32_e32 v71, -1, v71
	s_add_i32 s42, s42, 16
	s_clause 0x3
	buffer_load_dword v72, v74, s[0:3], 0 offen offset:8
	buffer_load_dword v73, v74, s[0:3], 0 offen offset:12
	buffer_load_dword v80, v74, s[0:3], 0 offen
	buffer_load_dword v81, v74, s[0:3], 0 offen offset:4
	v_mov_b32_e32 v74, s41
	v_cmp_eq_u32_e32 vcc_lo, 0, v71
	s_add_i32 s41, s41, 16
	ds_read_b128 v[76:79], v74
	s_or_b32 s5, vcc_lo, s5
	s_waitcnt vmcnt(2) lgkmcnt(0)
	v_mul_f64 v[82:83], v[78:79], v[72:73]
	v_mul_f64 v[72:73], v[76:77], v[72:73]
	s_waitcnt vmcnt(0)
	v_fma_f64 v[76:77], v[76:77], v[80:81], -v[82:83]
	v_fma_f64 v[72:73], v[78:79], v[80:81], v[72:73]
	v_add_f64 v[1:2], v[1:2], v[76:77]
	v_add_f64 v[3:4], v[3:4], v[72:73]
	s_andn2_b32 exec_lo, exec_lo, s5
	s_cbranch_execnz .LBB31_168
; %bb.169:
	s_or_b32 exec_lo, exec_lo, s5
.LBB31_170:
	s_or_b32 exec_lo, exec_lo, s8
	v_mov_b32_e32 v71, 0
	ds_read_b128 v[71:74], v71 offset:160
	s_waitcnt lgkmcnt(0)
	v_mul_f64 v[76:77], v[3:4], v[73:74]
	v_mul_f64 v[73:74], v[1:2], v[73:74]
	v_fma_f64 v[1:2], v[1:2], v[71:72], -v[76:77]
	v_fma_f64 v[3:4], v[3:4], v[71:72], v[73:74]
	buffer_store_dword v2, off, s[0:3], 0 offset:164
	buffer_store_dword v1, off, s[0:3], 0 offset:160
	;; [unrolled: 1-line block ×4, first 2 shown]
.LBB31_171:
	s_or_b32 exec_lo, exec_lo, s6
	v_mov_b32_e32 v4, s30
	v_cmp_lt_u32_e64 s5, 9, v0
	s_clause 0x3
	buffer_load_dword v1, v4, s[0:3], 0 offen
	buffer_load_dword v2, v4, s[0:3], 0 offen offset:4
	buffer_load_dword v3, v4, s[0:3], 0 offen offset:8
	;; [unrolled: 1-line block ×3, first 2 shown]
	s_waitcnt vmcnt(0)
	ds_write_b128 v70, v[1:4]
	s_waitcnt lgkmcnt(0)
	s_waitcnt_vscnt null, 0x0
	s_barrier
	buffer_gl0_inv
	s_and_saveexec_b32 s6, s5
	s_cbranch_execz .LBB31_179
; %bb.172:
	ds_read_b128 v[1:4], v70
	s_andn2_b32 vcc_lo, exec_lo, s40
	s_cbranch_vccnz .LBB31_174
; %bb.173:
	s_clause 0x3
	buffer_load_dword v71, v69, s[0:3], 0 offen offset:8
	buffer_load_dword v72, v69, s[0:3], 0 offen offset:12
	buffer_load_dword v73, v69, s[0:3], 0 offen
	buffer_load_dword v74, v69, s[0:3], 0 offen offset:4
	s_waitcnt vmcnt(2) lgkmcnt(0)
	v_mul_f64 v[76:77], v[3:4], v[71:72]
	v_mul_f64 v[71:72], v[1:2], v[71:72]
	s_waitcnt vmcnt(0)
	v_fma_f64 v[1:2], v[1:2], v[73:74], -v[76:77]
	v_fma_f64 v[3:4], v[3:4], v[73:74], v[71:72]
.LBB31_174:
	s_and_saveexec_b32 s8, s4
	s_cbranch_execz .LBB31_178
; %bb.175:
	v_add_nc_u32_e32 v71, -10, v0
	s_movk_i32 s41, 0x2a0
	s_mov_b32 s4, 0
	s_mov_b32 s42, s29
	.p2align	6
.LBB31_176:                             ; =>This Inner Loop Header: Depth=1
	v_mov_b32_e32 v74, s42
	v_add_nc_u32_e32 v71, -1, v71
	s_add_i32 s42, s42, 16
	s_clause 0x3
	buffer_load_dword v72, v74, s[0:3], 0 offen offset:8
	buffer_load_dword v73, v74, s[0:3], 0 offen offset:12
	buffer_load_dword v80, v74, s[0:3], 0 offen
	buffer_load_dword v81, v74, s[0:3], 0 offen offset:4
	v_mov_b32_e32 v74, s41
	v_cmp_eq_u32_e32 vcc_lo, 0, v71
	s_add_i32 s41, s41, 16
	ds_read_b128 v[76:79], v74
	s_or_b32 s4, vcc_lo, s4
	s_waitcnt vmcnt(2) lgkmcnt(0)
	v_mul_f64 v[82:83], v[78:79], v[72:73]
	v_mul_f64 v[72:73], v[76:77], v[72:73]
	s_waitcnt vmcnt(0)
	v_fma_f64 v[76:77], v[76:77], v[80:81], -v[82:83]
	v_fma_f64 v[72:73], v[78:79], v[80:81], v[72:73]
	v_add_f64 v[1:2], v[1:2], v[76:77]
	v_add_f64 v[3:4], v[3:4], v[72:73]
	s_andn2_b32 exec_lo, exec_lo, s4
	s_cbranch_execnz .LBB31_176
; %bb.177:
	s_or_b32 exec_lo, exec_lo, s4
.LBB31_178:
	s_or_b32 exec_lo, exec_lo, s8
	v_mov_b32_e32 v71, 0
	ds_read_b128 v[71:74], v71 offset:144
	s_waitcnt lgkmcnt(0)
	v_mul_f64 v[76:77], v[3:4], v[73:74]
	v_mul_f64 v[73:74], v[1:2], v[73:74]
	v_fma_f64 v[1:2], v[1:2], v[71:72], -v[76:77]
	v_fma_f64 v[3:4], v[3:4], v[71:72], v[73:74]
	buffer_store_dword v2, off, s[0:3], 0 offset:148
	buffer_store_dword v1, off, s[0:3], 0 offset:144
	;; [unrolled: 1-line block ×4, first 2 shown]
.LBB31_179:
	s_or_b32 exec_lo, exec_lo, s6
	v_mov_b32_e32 v4, s31
	v_cmp_lt_u32_e64 s4, 8, v0
	s_clause 0x3
	buffer_load_dword v1, v4, s[0:3], 0 offen
	buffer_load_dword v2, v4, s[0:3], 0 offen offset:4
	buffer_load_dword v3, v4, s[0:3], 0 offen offset:8
	;; [unrolled: 1-line block ×3, first 2 shown]
	s_waitcnt vmcnt(0)
	ds_write_b128 v70, v[1:4]
	s_waitcnt lgkmcnt(0)
	s_waitcnt_vscnt null, 0x0
	s_barrier
	buffer_gl0_inv
	s_and_saveexec_b32 s6, s4
	s_cbranch_execz .LBB31_187
; %bb.180:
	ds_read_b128 v[1:4], v70
	s_andn2_b32 vcc_lo, exec_lo, s40
	s_cbranch_vccnz .LBB31_182
; %bb.181:
	s_clause 0x3
	buffer_load_dword v71, v69, s[0:3], 0 offen offset:8
	buffer_load_dword v72, v69, s[0:3], 0 offen offset:12
	buffer_load_dword v73, v69, s[0:3], 0 offen
	buffer_load_dword v74, v69, s[0:3], 0 offen offset:4
	s_waitcnt vmcnt(2) lgkmcnt(0)
	v_mul_f64 v[76:77], v[3:4], v[71:72]
	v_mul_f64 v[71:72], v[1:2], v[71:72]
	s_waitcnt vmcnt(0)
	v_fma_f64 v[1:2], v[1:2], v[73:74], -v[76:77]
	v_fma_f64 v[3:4], v[3:4], v[73:74], v[71:72]
.LBB31_182:
	s_and_saveexec_b32 s8, s5
	s_cbranch_execz .LBB31_186
; %bb.183:
	v_add_nc_u32_e32 v71, -9, v0
	s_movk_i32 s41, 0x290
	s_mov_b32 s5, 0
	s_mov_b32 s42, s30
	.p2align	6
.LBB31_184:                             ; =>This Inner Loop Header: Depth=1
	v_mov_b32_e32 v74, s42
	v_add_nc_u32_e32 v71, -1, v71
	s_add_i32 s42, s42, 16
	s_clause 0x3
	buffer_load_dword v72, v74, s[0:3], 0 offen offset:8
	buffer_load_dword v73, v74, s[0:3], 0 offen offset:12
	buffer_load_dword v80, v74, s[0:3], 0 offen
	buffer_load_dword v81, v74, s[0:3], 0 offen offset:4
	v_mov_b32_e32 v74, s41
	v_cmp_eq_u32_e32 vcc_lo, 0, v71
	s_add_i32 s41, s41, 16
	ds_read_b128 v[76:79], v74
	s_or_b32 s5, vcc_lo, s5
	s_waitcnt vmcnt(2) lgkmcnt(0)
	v_mul_f64 v[82:83], v[78:79], v[72:73]
	v_mul_f64 v[72:73], v[76:77], v[72:73]
	s_waitcnt vmcnt(0)
	v_fma_f64 v[76:77], v[76:77], v[80:81], -v[82:83]
	v_fma_f64 v[72:73], v[78:79], v[80:81], v[72:73]
	v_add_f64 v[1:2], v[1:2], v[76:77]
	v_add_f64 v[3:4], v[3:4], v[72:73]
	s_andn2_b32 exec_lo, exec_lo, s5
	s_cbranch_execnz .LBB31_184
; %bb.185:
	s_or_b32 exec_lo, exec_lo, s5
.LBB31_186:
	s_or_b32 exec_lo, exec_lo, s8
	v_mov_b32_e32 v71, 0
	ds_read_b128 v[71:74], v71 offset:128
	s_waitcnt lgkmcnt(0)
	v_mul_f64 v[76:77], v[3:4], v[73:74]
	v_mul_f64 v[73:74], v[1:2], v[73:74]
	v_fma_f64 v[1:2], v[1:2], v[71:72], -v[76:77]
	v_fma_f64 v[3:4], v[3:4], v[71:72], v[73:74]
	buffer_store_dword v2, off, s[0:3], 0 offset:132
	buffer_store_dword v1, off, s[0:3], 0 offset:128
	;; [unrolled: 1-line block ×4, first 2 shown]
.LBB31_187:
	s_or_b32 exec_lo, exec_lo, s6
	v_mov_b32_e32 v4, s33
	v_cmp_lt_u32_e64 s5, 7, v0
	s_clause 0x3
	buffer_load_dword v1, v4, s[0:3], 0 offen
	buffer_load_dword v2, v4, s[0:3], 0 offen offset:4
	buffer_load_dword v3, v4, s[0:3], 0 offen offset:8
	;; [unrolled: 1-line block ×3, first 2 shown]
	s_waitcnt vmcnt(0)
	ds_write_b128 v70, v[1:4]
	s_waitcnt lgkmcnt(0)
	s_waitcnt_vscnt null, 0x0
	s_barrier
	buffer_gl0_inv
	s_and_saveexec_b32 s6, s5
	s_cbranch_execz .LBB31_195
; %bb.188:
	ds_read_b128 v[1:4], v70
	s_andn2_b32 vcc_lo, exec_lo, s40
	s_cbranch_vccnz .LBB31_190
; %bb.189:
	s_clause 0x3
	buffer_load_dword v71, v69, s[0:3], 0 offen offset:8
	buffer_load_dword v72, v69, s[0:3], 0 offen offset:12
	buffer_load_dword v73, v69, s[0:3], 0 offen
	buffer_load_dword v74, v69, s[0:3], 0 offen offset:4
	s_waitcnt vmcnt(2) lgkmcnt(0)
	v_mul_f64 v[76:77], v[3:4], v[71:72]
	v_mul_f64 v[71:72], v[1:2], v[71:72]
	s_waitcnt vmcnt(0)
	v_fma_f64 v[1:2], v[1:2], v[73:74], -v[76:77]
	v_fma_f64 v[3:4], v[3:4], v[73:74], v[71:72]
.LBB31_190:
	s_and_saveexec_b32 s8, s4
	s_cbranch_execz .LBB31_194
; %bb.191:
	v_add_nc_u32_e32 v71, -8, v0
	s_movk_i32 s41, 0x280
	s_mov_b32 s4, 0
	s_mov_b32 s42, s31
	.p2align	6
.LBB31_192:                             ; =>This Inner Loop Header: Depth=1
	v_mov_b32_e32 v74, s42
	v_add_nc_u32_e32 v71, -1, v71
	s_add_i32 s42, s42, 16
	s_clause 0x3
	buffer_load_dword v72, v74, s[0:3], 0 offen offset:8
	buffer_load_dword v73, v74, s[0:3], 0 offen offset:12
	buffer_load_dword v80, v74, s[0:3], 0 offen
	buffer_load_dword v81, v74, s[0:3], 0 offen offset:4
	v_mov_b32_e32 v74, s41
	v_cmp_eq_u32_e32 vcc_lo, 0, v71
	s_add_i32 s41, s41, 16
	ds_read_b128 v[76:79], v74
	s_or_b32 s4, vcc_lo, s4
	s_waitcnt vmcnt(2) lgkmcnt(0)
	v_mul_f64 v[82:83], v[78:79], v[72:73]
	v_mul_f64 v[72:73], v[76:77], v[72:73]
	s_waitcnt vmcnt(0)
	v_fma_f64 v[76:77], v[76:77], v[80:81], -v[82:83]
	v_fma_f64 v[72:73], v[78:79], v[80:81], v[72:73]
	v_add_f64 v[1:2], v[1:2], v[76:77]
	v_add_f64 v[3:4], v[3:4], v[72:73]
	s_andn2_b32 exec_lo, exec_lo, s4
	s_cbranch_execnz .LBB31_192
; %bb.193:
	s_or_b32 exec_lo, exec_lo, s4
.LBB31_194:
	s_or_b32 exec_lo, exec_lo, s8
	v_mov_b32_e32 v71, 0
	ds_read_b128 v[71:74], v71 offset:112
	s_waitcnt lgkmcnt(0)
	v_mul_f64 v[76:77], v[3:4], v[73:74]
	v_mul_f64 v[73:74], v[1:2], v[73:74]
	v_fma_f64 v[1:2], v[1:2], v[71:72], -v[76:77]
	v_fma_f64 v[3:4], v[3:4], v[71:72], v[73:74]
	buffer_store_dword v2, off, s[0:3], 0 offset:116
	buffer_store_dword v1, off, s[0:3], 0 offset:112
	;; [unrolled: 1-line block ×4, first 2 shown]
.LBB31_195:
	s_or_b32 exec_lo, exec_lo, s6
	v_mov_b32_e32 v4, s34
	v_cmp_lt_u32_e64 s4, 6, v0
	s_clause 0x3
	buffer_load_dword v1, v4, s[0:3], 0 offen
	buffer_load_dword v2, v4, s[0:3], 0 offen offset:4
	buffer_load_dword v3, v4, s[0:3], 0 offen offset:8
	;; [unrolled: 1-line block ×3, first 2 shown]
	s_waitcnt vmcnt(0)
	ds_write_b128 v70, v[1:4]
	s_waitcnt lgkmcnt(0)
	s_waitcnt_vscnt null, 0x0
	s_barrier
	buffer_gl0_inv
	s_and_saveexec_b32 s6, s4
	s_cbranch_execz .LBB31_203
; %bb.196:
	ds_read_b128 v[1:4], v70
	s_andn2_b32 vcc_lo, exec_lo, s40
	s_cbranch_vccnz .LBB31_198
; %bb.197:
	s_clause 0x3
	buffer_load_dword v71, v69, s[0:3], 0 offen offset:8
	buffer_load_dword v72, v69, s[0:3], 0 offen offset:12
	buffer_load_dword v73, v69, s[0:3], 0 offen
	buffer_load_dword v74, v69, s[0:3], 0 offen offset:4
	s_waitcnt vmcnt(2) lgkmcnt(0)
	v_mul_f64 v[76:77], v[3:4], v[71:72]
	v_mul_f64 v[71:72], v[1:2], v[71:72]
	s_waitcnt vmcnt(0)
	v_fma_f64 v[1:2], v[1:2], v[73:74], -v[76:77]
	v_fma_f64 v[3:4], v[3:4], v[73:74], v[71:72]
.LBB31_198:
	s_and_saveexec_b32 s8, s5
	s_cbranch_execz .LBB31_202
; %bb.199:
	v_add_nc_u32_e32 v71, -7, v0
	s_movk_i32 s41, 0x270
	s_mov_b32 s5, 0
	s_mov_b32 s42, s33
	.p2align	6
.LBB31_200:                             ; =>This Inner Loop Header: Depth=1
	v_mov_b32_e32 v74, s42
	v_add_nc_u32_e32 v71, -1, v71
	s_add_i32 s42, s42, 16
	s_clause 0x3
	buffer_load_dword v72, v74, s[0:3], 0 offen offset:8
	buffer_load_dword v73, v74, s[0:3], 0 offen offset:12
	buffer_load_dword v80, v74, s[0:3], 0 offen
	buffer_load_dword v81, v74, s[0:3], 0 offen offset:4
	v_mov_b32_e32 v74, s41
	v_cmp_eq_u32_e32 vcc_lo, 0, v71
	s_add_i32 s41, s41, 16
	ds_read_b128 v[76:79], v74
	s_or_b32 s5, vcc_lo, s5
	s_waitcnt vmcnt(2) lgkmcnt(0)
	v_mul_f64 v[82:83], v[78:79], v[72:73]
	v_mul_f64 v[72:73], v[76:77], v[72:73]
	s_waitcnt vmcnt(0)
	v_fma_f64 v[76:77], v[76:77], v[80:81], -v[82:83]
	v_fma_f64 v[72:73], v[78:79], v[80:81], v[72:73]
	v_add_f64 v[1:2], v[1:2], v[76:77]
	v_add_f64 v[3:4], v[3:4], v[72:73]
	s_andn2_b32 exec_lo, exec_lo, s5
	s_cbranch_execnz .LBB31_200
; %bb.201:
	s_or_b32 exec_lo, exec_lo, s5
.LBB31_202:
	s_or_b32 exec_lo, exec_lo, s8
	v_mov_b32_e32 v71, 0
	ds_read_b128 v[71:74], v71 offset:96
	s_waitcnt lgkmcnt(0)
	v_mul_f64 v[76:77], v[3:4], v[73:74]
	v_mul_f64 v[73:74], v[1:2], v[73:74]
	v_fma_f64 v[1:2], v[1:2], v[71:72], -v[76:77]
	v_fma_f64 v[3:4], v[3:4], v[71:72], v[73:74]
	buffer_store_dword v2, off, s[0:3], 0 offset:100
	buffer_store_dword v1, off, s[0:3], 0 offset:96
	;; [unrolled: 1-line block ×4, first 2 shown]
.LBB31_203:
	s_or_b32 exec_lo, exec_lo, s6
	v_mov_b32_e32 v4, s35
	v_cmp_lt_u32_e64 s5, 5, v0
	s_clause 0x3
	buffer_load_dword v1, v4, s[0:3], 0 offen
	buffer_load_dword v2, v4, s[0:3], 0 offen offset:4
	buffer_load_dword v3, v4, s[0:3], 0 offen offset:8
	buffer_load_dword v4, v4, s[0:3], 0 offen offset:12
	s_waitcnt vmcnt(0)
	ds_write_b128 v70, v[1:4]
	s_waitcnt lgkmcnt(0)
	s_waitcnt_vscnt null, 0x0
	s_barrier
	buffer_gl0_inv
	s_and_saveexec_b32 s6, s5
	s_cbranch_execz .LBB31_211
; %bb.204:
	ds_read_b128 v[1:4], v70
	s_andn2_b32 vcc_lo, exec_lo, s40
	s_cbranch_vccnz .LBB31_206
; %bb.205:
	s_clause 0x3
	buffer_load_dword v71, v69, s[0:3], 0 offen offset:8
	buffer_load_dword v72, v69, s[0:3], 0 offen offset:12
	buffer_load_dword v73, v69, s[0:3], 0 offen
	buffer_load_dword v74, v69, s[0:3], 0 offen offset:4
	s_waitcnt vmcnt(2) lgkmcnt(0)
	v_mul_f64 v[76:77], v[3:4], v[71:72]
	v_mul_f64 v[71:72], v[1:2], v[71:72]
	s_waitcnt vmcnt(0)
	v_fma_f64 v[1:2], v[1:2], v[73:74], -v[76:77]
	v_fma_f64 v[3:4], v[3:4], v[73:74], v[71:72]
.LBB31_206:
	s_and_saveexec_b32 s8, s4
	s_cbranch_execz .LBB31_210
; %bb.207:
	v_add_nc_u32_e32 v71, -6, v0
	s_movk_i32 s41, 0x260
	s_mov_b32 s4, 0
	s_mov_b32 s42, s34
	.p2align	6
.LBB31_208:                             ; =>This Inner Loop Header: Depth=1
	v_mov_b32_e32 v74, s42
	v_add_nc_u32_e32 v71, -1, v71
	s_add_i32 s42, s42, 16
	s_clause 0x3
	buffer_load_dword v72, v74, s[0:3], 0 offen offset:8
	buffer_load_dword v73, v74, s[0:3], 0 offen offset:12
	buffer_load_dword v80, v74, s[0:3], 0 offen
	buffer_load_dword v81, v74, s[0:3], 0 offen offset:4
	v_mov_b32_e32 v74, s41
	v_cmp_eq_u32_e32 vcc_lo, 0, v71
	s_add_i32 s41, s41, 16
	ds_read_b128 v[76:79], v74
	s_or_b32 s4, vcc_lo, s4
	s_waitcnt vmcnt(2) lgkmcnt(0)
	v_mul_f64 v[82:83], v[78:79], v[72:73]
	v_mul_f64 v[72:73], v[76:77], v[72:73]
	s_waitcnt vmcnt(0)
	v_fma_f64 v[76:77], v[76:77], v[80:81], -v[82:83]
	v_fma_f64 v[72:73], v[78:79], v[80:81], v[72:73]
	v_add_f64 v[1:2], v[1:2], v[76:77]
	v_add_f64 v[3:4], v[3:4], v[72:73]
	s_andn2_b32 exec_lo, exec_lo, s4
	s_cbranch_execnz .LBB31_208
; %bb.209:
	s_or_b32 exec_lo, exec_lo, s4
.LBB31_210:
	s_or_b32 exec_lo, exec_lo, s8
	v_mov_b32_e32 v71, 0
	ds_read_b128 v[71:74], v71 offset:80
	s_waitcnt lgkmcnt(0)
	v_mul_f64 v[76:77], v[3:4], v[73:74]
	v_mul_f64 v[73:74], v[1:2], v[73:74]
	v_fma_f64 v[1:2], v[1:2], v[71:72], -v[76:77]
	v_fma_f64 v[3:4], v[3:4], v[71:72], v[73:74]
	buffer_store_dword v2, off, s[0:3], 0 offset:84
	buffer_store_dword v1, off, s[0:3], 0 offset:80
	;; [unrolled: 1-line block ×4, first 2 shown]
.LBB31_211:
	s_or_b32 exec_lo, exec_lo, s6
	v_mov_b32_e32 v4, s36
	v_cmp_lt_u32_e64 s4, 4, v0
	s_clause 0x3
	buffer_load_dword v1, v4, s[0:3], 0 offen
	buffer_load_dword v2, v4, s[0:3], 0 offen offset:4
	buffer_load_dword v3, v4, s[0:3], 0 offen offset:8
	buffer_load_dword v4, v4, s[0:3], 0 offen offset:12
	s_waitcnt vmcnt(0)
	ds_write_b128 v70, v[1:4]
	s_waitcnt lgkmcnt(0)
	s_waitcnt_vscnt null, 0x0
	s_barrier
	buffer_gl0_inv
	s_and_saveexec_b32 s6, s4
	s_cbranch_execz .LBB31_219
; %bb.212:
	ds_read_b128 v[1:4], v70
	s_andn2_b32 vcc_lo, exec_lo, s40
	s_cbranch_vccnz .LBB31_214
; %bb.213:
	s_clause 0x3
	buffer_load_dword v71, v69, s[0:3], 0 offen offset:8
	buffer_load_dword v72, v69, s[0:3], 0 offen offset:12
	buffer_load_dword v73, v69, s[0:3], 0 offen
	buffer_load_dword v74, v69, s[0:3], 0 offen offset:4
	s_waitcnt vmcnt(2) lgkmcnt(0)
	v_mul_f64 v[76:77], v[3:4], v[71:72]
	v_mul_f64 v[71:72], v[1:2], v[71:72]
	s_waitcnt vmcnt(0)
	v_fma_f64 v[1:2], v[1:2], v[73:74], -v[76:77]
	v_fma_f64 v[3:4], v[3:4], v[73:74], v[71:72]
.LBB31_214:
	s_and_saveexec_b32 s8, s5
	s_cbranch_execz .LBB31_218
; %bb.215:
	v_add_nc_u32_e32 v71, -5, v0
	s_movk_i32 s41, 0x250
	s_mov_b32 s5, 0
	s_mov_b32 s42, s35
	.p2align	6
.LBB31_216:                             ; =>This Inner Loop Header: Depth=1
	v_mov_b32_e32 v74, s42
	v_add_nc_u32_e32 v71, -1, v71
	s_add_i32 s42, s42, 16
	s_clause 0x3
	buffer_load_dword v72, v74, s[0:3], 0 offen offset:8
	buffer_load_dword v73, v74, s[0:3], 0 offen offset:12
	buffer_load_dword v80, v74, s[0:3], 0 offen
	buffer_load_dword v81, v74, s[0:3], 0 offen offset:4
	v_mov_b32_e32 v74, s41
	v_cmp_eq_u32_e32 vcc_lo, 0, v71
	s_add_i32 s41, s41, 16
	ds_read_b128 v[76:79], v74
	s_or_b32 s5, vcc_lo, s5
	s_waitcnt vmcnt(2) lgkmcnt(0)
	v_mul_f64 v[82:83], v[78:79], v[72:73]
	v_mul_f64 v[72:73], v[76:77], v[72:73]
	s_waitcnt vmcnt(0)
	v_fma_f64 v[76:77], v[76:77], v[80:81], -v[82:83]
	v_fma_f64 v[72:73], v[78:79], v[80:81], v[72:73]
	v_add_f64 v[1:2], v[1:2], v[76:77]
	v_add_f64 v[3:4], v[3:4], v[72:73]
	s_andn2_b32 exec_lo, exec_lo, s5
	s_cbranch_execnz .LBB31_216
; %bb.217:
	s_or_b32 exec_lo, exec_lo, s5
.LBB31_218:
	s_or_b32 exec_lo, exec_lo, s8
	v_mov_b32_e32 v71, 0
	ds_read_b128 v[71:74], v71 offset:64
	s_waitcnt lgkmcnt(0)
	v_mul_f64 v[76:77], v[3:4], v[73:74]
	v_mul_f64 v[73:74], v[1:2], v[73:74]
	v_fma_f64 v[1:2], v[1:2], v[71:72], -v[76:77]
	v_fma_f64 v[3:4], v[3:4], v[71:72], v[73:74]
	buffer_store_dword v2, off, s[0:3], 0 offset:68
	buffer_store_dword v1, off, s[0:3], 0 offset:64
	;; [unrolled: 1-line block ×4, first 2 shown]
.LBB31_219:
	s_or_b32 exec_lo, exec_lo, s6
	v_mov_b32_e32 v4, s37
	v_cmp_lt_u32_e64 s5, 3, v0
	s_clause 0x3
	buffer_load_dword v1, v4, s[0:3], 0 offen
	buffer_load_dword v2, v4, s[0:3], 0 offen offset:4
	buffer_load_dword v3, v4, s[0:3], 0 offen offset:8
	buffer_load_dword v4, v4, s[0:3], 0 offen offset:12
	s_waitcnt vmcnt(0)
	ds_write_b128 v70, v[1:4]
	s_waitcnt lgkmcnt(0)
	s_waitcnt_vscnt null, 0x0
	s_barrier
	buffer_gl0_inv
	s_and_saveexec_b32 s6, s5
	s_cbranch_execz .LBB31_227
; %bb.220:
	ds_read_b128 v[1:4], v70
	s_andn2_b32 vcc_lo, exec_lo, s40
	s_cbranch_vccnz .LBB31_222
; %bb.221:
	s_clause 0x3
	buffer_load_dword v71, v69, s[0:3], 0 offen offset:8
	buffer_load_dword v72, v69, s[0:3], 0 offen offset:12
	buffer_load_dword v73, v69, s[0:3], 0 offen
	buffer_load_dword v74, v69, s[0:3], 0 offen offset:4
	s_waitcnt vmcnt(2) lgkmcnt(0)
	v_mul_f64 v[76:77], v[3:4], v[71:72]
	v_mul_f64 v[71:72], v[1:2], v[71:72]
	s_waitcnt vmcnt(0)
	v_fma_f64 v[1:2], v[1:2], v[73:74], -v[76:77]
	v_fma_f64 v[3:4], v[3:4], v[73:74], v[71:72]
.LBB31_222:
	s_and_saveexec_b32 s8, s4
	s_cbranch_execz .LBB31_226
; %bb.223:
	v_add_nc_u32_e32 v71, -4, v0
	s_movk_i32 s41, 0x240
	s_mov_b32 s4, 0
	s_mov_b32 s42, s36
	.p2align	6
.LBB31_224:                             ; =>This Inner Loop Header: Depth=1
	v_mov_b32_e32 v74, s42
	v_add_nc_u32_e32 v71, -1, v71
	s_add_i32 s42, s42, 16
	s_clause 0x3
	buffer_load_dword v72, v74, s[0:3], 0 offen offset:8
	buffer_load_dword v73, v74, s[0:3], 0 offen offset:12
	buffer_load_dword v80, v74, s[0:3], 0 offen
	buffer_load_dword v81, v74, s[0:3], 0 offen offset:4
	v_mov_b32_e32 v74, s41
	v_cmp_eq_u32_e32 vcc_lo, 0, v71
	s_add_i32 s41, s41, 16
	ds_read_b128 v[76:79], v74
	s_or_b32 s4, vcc_lo, s4
	s_waitcnt vmcnt(2) lgkmcnt(0)
	v_mul_f64 v[82:83], v[78:79], v[72:73]
	v_mul_f64 v[72:73], v[76:77], v[72:73]
	s_waitcnt vmcnt(0)
	v_fma_f64 v[76:77], v[76:77], v[80:81], -v[82:83]
	v_fma_f64 v[72:73], v[78:79], v[80:81], v[72:73]
	v_add_f64 v[1:2], v[1:2], v[76:77]
	v_add_f64 v[3:4], v[3:4], v[72:73]
	s_andn2_b32 exec_lo, exec_lo, s4
	s_cbranch_execnz .LBB31_224
; %bb.225:
	s_or_b32 exec_lo, exec_lo, s4
.LBB31_226:
	s_or_b32 exec_lo, exec_lo, s8
	v_mov_b32_e32 v71, 0
	ds_read_b128 v[71:74], v71 offset:48
	s_waitcnt lgkmcnt(0)
	v_mul_f64 v[76:77], v[3:4], v[73:74]
	v_mul_f64 v[73:74], v[1:2], v[73:74]
	v_fma_f64 v[1:2], v[1:2], v[71:72], -v[76:77]
	v_fma_f64 v[3:4], v[3:4], v[71:72], v[73:74]
	buffer_store_dword v2, off, s[0:3], 0 offset:52
	buffer_store_dword v1, off, s[0:3], 0 offset:48
	buffer_store_dword v4, off, s[0:3], 0 offset:60
	buffer_store_dword v3, off, s[0:3], 0 offset:56
.LBB31_227:
	s_or_b32 exec_lo, exec_lo, s6
	v_mov_b32_e32 v4, s39
	v_cmp_lt_u32_e64 s6, 2, v0
	s_clause 0x3
	buffer_load_dword v1, v4, s[0:3], 0 offen
	buffer_load_dword v2, v4, s[0:3], 0 offen offset:4
	buffer_load_dword v3, v4, s[0:3], 0 offen offset:8
	;; [unrolled: 1-line block ×3, first 2 shown]
	s_waitcnt vmcnt(0)
	ds_write_b128 v70, v[1:4]
	s_waitcnt lgkmcnt(0)
	s_waitcnt_vscnt null, 0x0
	s_barrier
	buffer_gl0_inv
	s_and_saveexec_b32 s4, s6
	s_cbranch_execz .LBB31_235
; %bb.228:
	ds_read_b128 v[1:4], v70
	s_andn2_b32 vcc_lo, exec_lo, s40
	s_cbranch_vccnz .LBB31_230
; %bb.229:
	s_clause 0x3
	buffer_load_dword v71, v69, s[0:3], 0 offen offset:8
	buffer_load_dword v72, v69, s[0:3], 0 offen offset:12
	buffer_load_dword v73, v69, s[0:3], 0 offen
	buffer_load_dword v74, v69, s[0:3], 0 offen offset:4
	s_waitcnt vmcnt(2) lgkmcnt(0)
	v_mul_f64 v[76:77], v[3:4], v[71:72]
	v_mul_f64 v[71:72], v[1:2], v[71:72]
	s_waitcnt vmcnt(0)
	v_fma_f64 v[1:2], v[1:2], v[73:74], -v[76:77]
	v_fma_f64 v[3:4], v[3:4], v[73:74], v[71:72]
.LBB31_230:
	s_and_saveexec_b32 s8, s5
	s_cbranch_execz .LBB31_234
; %bb.231:
	v_add_nc_u32_e32 v71, -3, v0
	s_movk_i32 s41, 0x230
	s_mov_b32 s5, 0
	s_mov_b32 s42, s37
	.p2align	6
.LBB31_232:                             ; =>This Inner Loop Header: Depth=1
	v_mov_b32_e32 v74, s42
	v_add_nc_u32_e32 v71, -1, v71
	s_add_i32 s42, s42, 16
	s_clause 0x3
	buffer_load_dword v72, v74, s[0:3], 0 offen offset:8
	buffer_load_dword v73, v74, s[0:3], 0 offen offset:12
	buffer_load_dword v80, v74, s[0:3], 0 offen
	buffer_load_dword v81, v74, s[0:3], 0 offen offset:4
	v_mov_b32_e32 v74, s41
	v_cmp_eq_u32_e32 vcc_lo, 0, v71
	s_add_i32 s41, s41, 16
	ds_read_b128 v[76:79], v74
	s_or_b32 s5, vcc_lo, s5
	s_waitcnt vmcnt(2) lgkmcnt(0)
	v_mul_f64 v[82:83], v[78:79], v[72:73]
	v_mul_f64 v[72:73], v[76:77], v[72:73]
	s_waitcnt vmcnt(0)
	v_fma_f64 v[76:77], v[76:77], v[80:81], -v[82:83]
	v_fma_f64 v[72:73], v[78:79], v[80:81], v[72:73]
	v_add_f64 v[1:2], v[1:2], v[76:77]
	v_add_f64 v[3:4], v[3:4], v[72:73]
	s_andn2_b32 exec_lo, exec_lo, s5
	s_cbranch_execnz .LBB31_232
; %bb.233:
	s_or_b32 exec_lo, exec_lo, s5
.LBB31_234:
	s_or_b32 exec_lo, exec_lo, s8
	v_mov_b32_e32 v71, 0
	ds_read_b128 v[71:74], v71 offset:32
	s_waitcnt lgkmcnt(0)
	v_mul_f64 v[76:77], v[3:4], v[73:74]
	v_mul_f64 v[73:74], v[1:2], v[73:74]
	v_fma_f64 v[1:2], v[1:2], v[71:72], -v[76:77]
	v_fma_f64 v[3:4], v[3:4], v[71:72], v[73:74]
	buffer_store_dword v2, off, s[0:3], 0 offset:36
	buffer_store_dword v1, off, s[0:3], 0 offset:32
	;; [unrolled: 1-line block ×4, first 2 shown]
.LBB31_235:
	s_or_b32 exec_lo, exec_lo, s4
	v_mov_b32_e32 v4, s38
	v_cmp_lt_u32_e64 s4, 1, v0
	s_clause 0x3
	buffer_load_dword v1, v4, s[0:3], 0 offen
	buffer_load_dword v2, v4, s[0:3], 0 offen offset:4
	buffer_load_dword v3, v4, s[0:3], 0 offen offset:8
	;; [unrolled: 1-line block ×3, first 2 shown]
	s_waitcnt vmcnt(0)
	ds_write_b128 v70, v[1:4]
	s_waitcnt lgkmcnt(0)
	s_waitcnt_vscnt null, 0x0
	s_barrier
	buffer_gl0_inv
	s_and_saveexec_b32 s5, s4
	s_cbranch_execz .LBB31_243
; %bb.236:
	ds_read_b128 v[1:4], v70
	s_andn2_b32 vcc_lo, exec_lo, s40
	s_cbranch_vccnz .LBB31_238
; %bb.237:
	s_clause 0x3
	buffer_load_dword v71, v69, s[0:3], 0 offen offset:8
	buffer_load_dword v72, v69, s[0:3], 0 offen offset:12
	buffer_load_dword v73, v69, s[0:3], 0 offen
	buffer_load_dword v74, v69, s[0:3], 0 offen offset:4
	s_waitcnt vmcnt(2) lgkmcnt(0)
	v_mul_f64 v[76:77], v[3:4], v[71:72]
	v_mul_f64 v[71:72], v[1:2], v[71:72]
	s_waitcnt vmcnt(0)
	v_fma_f64 v[1:2], v[1:2], v[73:74], -v[76:77]
	v_fma_f64 v[3:4], v[3:4], v[73:74], v[71:72]
.LBB31_238:
	s_and_saveexec_b32 s8, s6
	s_cbranch_execz .LBB31_242
; %bb.239:
	v_add_nc_u32_e32 v71, -2, v0
	s_movk_i32 s41, 0x220
	s_mov_b32 s6, 0
	s_mov_b32 s42, s39
	.p2align	6
.LBB31_240:                             ; =>This Inner Loop Header: Depth=1
	v_mov_b32_e32 v74, s42
	v_add_nc_u32_e32 v71, -1, v71
	s_add_i32 s42, s42, 16
	s_clause 0x3
	buffer_load_dword v72, v74, s[0:3], 0 offen offset:8
	buffer_load_dword v73, v74, s[0:3], 0 offen offset:12
	buffer_load_dword v80, v74, s[0:3], 0 offen
	buffer_load_dword v81, v74, s[0:3], 0 offen offset:4
	v_mov_b32_e32 v74, s41
	v_cmp_eq_u32_e32 vcc_lo, 0, v71
	s_add_i32 s41, s41, 16
	ds_read_b128 v[76:79], v74
	s_or_b32 s6, vcc_lo, s6
	s_waitcnt vmcnt(2) lgkmcnt(0)
	v_mul_f64 v[82:83], v[78:79], v[72:73]
	v_mul_f64 v[72:73], v[76:77], v[72:73]
	s_waitcnt vmcnt(0)
	v_fma_f64 v[76:77], v[76:77], v[80:81], -v[82:83]
	v_fma_f64 v[72:73], v[78:79], v[80:81], v[72:73]
	v_add_f64 v[1:2], v[1:2], v[76:77]
	v_add_f64 v[3:4], v[3:4], v[72:73]
	s_andn2_b32 exec_lo, exec_lo, s6
	s_cbranch_execnz .LBB31_240
; %bb.241:
	s_or_b32 exec_lo, exec_lo, s6
.LBB31_242:
	s_or_b32 exec_lo, exec_lo, s8
	v_mov_b32_e32 v71, 0
	ds_read_b128 v[71:74], v71 offset:16
	s_waitcnt lgkmcnt(0)
	v_mul_f64 v[76:77], v[3:4], v[73:74]
	v_mul_f64 v[73:74], v[1:2], v[73:74]
	v_fma_f64 v[1:2], v[1:2], v[71:72], -v[76:77]
	v_fma_f64 v[3:4], v[3:4], v[71:72], v[73:74]
	buffer_store_dword v2, off, s[0:3], 0 offset:20
	buffer_store_dword v1, off, s[0:3], 0 offset:16
	;; [unrolled: 1-line block ×4, first 2 shown]
.LBB31_243:
	s_or_b32 exec_lo, exec_lo, s5
	s_clause 0x3
	buffer_load_dword v1, off, s[0:3], 0
	buffer_load_dword v2, off, s[0:3], 0 offset:4
	buffer_load_dword v3, off, s[0:3], 0 offset:8
	;; [unrolled: 1-line block ×3, first 2 shown]
	s_mov_b32 s6, 0
	s_mov_b32 s5, 0
	s_mov_b32 s8, exec_lo
                                        ; implicit-def: $sgpr41
	s_waitcnt vmcnt(0)
	ds_write_b128 v70, v[1:4]
	s_waitcnt lgkmcnt(0)
	s_waitcnt_vscnt null, 0x0
	s_barrier
	buffer_gl0_inv
                                        ; implicit-def: $vgpr1_vgpr2
	v_cmpx_ne_u32_e32 0, v0
	s_cbranch_execz .LBB31_251
; %bb.244:
	ds_read_b128 v[1:4], v70
	s_andn2_b32 vcc_lo, exec_lo, s40
	s_cbranch_vccnz .LBB31_246
; %bb.245:
	s_clause 0x3
	buffer_load_dword v71, v69, s[0:3], 0 offen offset:8
	buffer_load_dword v72, v69, s[0:3], 0 offen offset:12
	buffer_load_dword v73, v69, s[0:3], 0 offen
	buffer_load_dword v74, v69, s[0:3], 0 offen offset:4
	s_waitcnt vmcnt(2) lgkmcnt(0)
	v_mul_f64 v[76:77], v[3:4], v[71:72]
	v_mul_f64 v[71:72], v[1:2], v[71:72]
	s_waitcnt vmcnt(0)
	v_fma_f64 v[1:2], v[1:2], v[73:74], -v[76:77]
	v_fma_f64 v[3:4], v[3:4], v[73:74], v[71:72]
.LBB31_246:
	s_and_saveexec_b32 s5, s4
	s_cbranch_execz .LBB31_250
; %bb.247:
	v_add_nc_u32_e32 v71, -1, v0
	s_movk_i32 s41, 0x210
	s_mov_b32 s4, 0
	s_mov_b32 s42, s38
	.p2align	6
.LBB31_248:                             ; =>This Inner Loop Header: Depth=1
	v_mov_b32_e32 v74, s42
	v_add_nc_u32_e32 v71, -1, v71
	s_add_i32 s42, s42, 16
	s_clause 0x3
	buffer_load_dword v72, v74, s[0:3], 0 offen offset:8
	buffer_load_dword v73, v74, s[0:3], 0 offen offset:12
	buffer_load_dword v80, v74, s[0:3], 0 offen
	buffer_load_dword v81, v74, s[0:3], 0 offen offset:4
	v_mov_b32_e32 v74, s41
	v_cmp_eq_u32_e32 vcc_lo, 0, v71
	s_add_i32 s41, s41, 16
	ds_read_b128 v[76:79], v74
	s_or_b32 s4, vcc_lo, s4
	s_waitcnt vmcnt(2) lgkmcnt(0)
	v_mul_f64 v[82:83], v[78:79], v[72:73]
	v_mul_f64 v[72:73], v[76:77], v[72:73]
	s_waitcnt vmcnt(0)
	v_fma_f64 v[76:77], v[76:77], v[80:81], -v[82:83]
	v_fma_f64 v[72:73], v[78:79], v[80:81], v[72:73]
	v_add_f64 v[1:2], v[1:2], v[76:77]
	v_add_f64 v[3:4], v[3:4], v[72:73]
	s_andn2_b32 exec_lo, exec_lo, s4
	s_cbranch_execnz .LBB31_248
; %bb.249:
	s_or_b32 exec_lo, exec_lo, s4
.LBB31_250:
	s_or_b32 exec_lo, exec_lo, s5
	v_mov_b32_e32 v71, 0
	s_mov_b32 s5, exec_lo
	s_or_b32 s41, 0, 8
	ds_read_b128 v[71:74], v71
	s_waitcnt lgkmcnt(0)
	v_mul_f64 v[76:77], v[3:4], v[73:74]
	v_mul_f64 v[73:74], v[1:2], v[73:74]
	v_fma_f64 v[76:77], v[1:2], v[71:72], -v[76:77]
	v_fma_f64 v[1:2], v[3:4], v[71:72], v[73:74]
	buffer_store_dword v77, off, s[0:3], 0 offset:4
	buffer_store_dword v76, off, s[0:3], 0
.LBB31_251:
	s_or_b32 exec_lo, exec_lo, s8
	s_and_b32 vcc_lo, exec_lo, s6
	s_cbranch_vccnz .LBB31_253
	s_branch .LBB31_496
.LBB31_252:
	s_mov_b32 s5, 0
                                        ; implicit-def: $vgpr1_vgpr2
                                        ; implicit-def: $sgpr41
	s_cbranch_execz .LBB31_496
.LBB31_253:
	v_mov_b32_e32 v4, s38
	v_cmp_eq_u32_e64 s4, 0, v0
	v_cndmask_b32_e64 v71, 0, 1, s40
	s_clause 0x3
	buffer_load_dword v1, v4, s[0:3], 0 offen
	buffer_load_dword v2, v4, s[0:3], 0 offen offset:4
	buffer_load_dword v3, v4, s[0:3], 0 offen offset:8
	;; [unrolled: 1-line block ×3, first 2 shown]
	s_waitcnt vmcnt(0)
	ds_write_b128 v70, v[1:4]
	s_waitcnt lgkmcnt(0)
	s_waitcnt_vscnt null, 0x0
	s_barrier
	buffer_gl0_inv
	s_and_saveexec_b32 s6, s4
	s_cbranch_execz .LBB31_257
; %bb.254:
	ds_read_b128 v[1:4], v70
	s_andn2_b32 vcc_lo, exec_lo, s40
	s_cbranch_vccnz .LBB31_256
; %bb.255:
	s_clause 0x3
	buffer_load_dword v72, v69, s[0:3], 0 offen offset:8
	buffer_load_dword v73, v69, s[0:3], 0 offen offset:12
	buffer_load_dword v76, v69, s[0:3], 0 offen
	buffer_load_dword v77, v69, s[0:3], 0 offen offset:4
	s_waitcnt vmcnt(2) lgkmcnt(0)
	v_mul_f64 v[78:79], v[3:4], v[72:73]
	v_mul_f64 v[72:73], v[1:2], v[72:73]
	s_waitcnt vmcnt(0)
	v_fma_f64 v[1:2], v[1:2], v[76:77], -v[78:79]
	v_fma_f64 v[3:4], v[3:4], v[76:77], v[72:73]
.LBB31_256:
	v_mov_b32_e32 v72, 0
	ds_read_b128 v[76:79], v72 offset:16
	s_waitcnt lgkmcnt(0)
	v_mul_f64 v[72:73], v[3:4], v[78:79]
	v_mul_f64 v[78:79], v[1:2], v[78:79]
	v_fma_f64 v[1:2], v[1:2], v[76:77], -v[72:73]
	v_fma_f64 v[3:4], v[3:4], v[76:77], v[78:79]
	buffer_store_dword v2, off, s[0:3], 0 offset:20
	buffer_store_dword v1, off, s[0:3], 0 offset:16
	;; [unrolled: 1-line block ×4, first 2 shown]
.LBB31_257:
	s_or_b32 exec_lo, exec_lo, s6
	v_mov_b32_e32 v4, s39
	s_mov_b32 s6, exec_lo
	s_clause 0x3
	buffer_load_dword v1, v4, s[0:3], 0 offen
	buffer_load_dword v2, v4, s[0:3], 0 offen offset:4
	buffer_load_dword v3, v4, s[0:3], 0 offen offset:8
	;; [unrolled: 1-line block ×3, first 2 shown]
	s_waitcnt vmcnt(0)
	ds_write_b128 v70, v[1:4]
	s_waitcnt lgkmcnt(0)
	s_waitcnt_vscnt null, 0x0
	s_barrier
	buffer_gl0_inv
	v_cmpx_gt_u32_e32 2, v0
	s_cbranch_execz .LBB31_263
; %bb.258:
	ds_read_b128 v[1:4], v70
	v_cmp_ne_u32_e32 vcc_lo, 1, v71
	s_cbranch_vccnz .LBB31_260
; %bb.259:
	s_clause 0x3
	buffer_load_dword v72, v69, s[0:3], 0 offen offset:8
	buffer_load_dword v73, v69, s[0:3], 0 offen offset:12
	buffer_load_dword v76, v69, s[0:3], 0 offen
	buffer_load_dword v77, v69, s[0:3], 0 offen offset:4
	s_waitcnt vmcnt(2) lgkmcnt(0)
	v_mul_f64 v[78:79], v[3:4], v[72:73]
	v_mul_f64 v[72:73], v[1:2], v[72:73]
	s_waitcnt vmcnt(0)
	v_fma_f64 v[1:2], v[1:2], v[76:77], -v[78:79]
	v_fma_f64 v[3:4], v[3:4], v[76:77], v[72:73]
.LBB31_260:
	s_and_saveexec_b32 s8, s4
	s_cbranch_execz .LBB31_262
; %bb.261:
	s_clause 0x3
	buffer_load_dword v72, off, s[0:3], 0 offset:24
	buffer_load_dword v73, off, s[0:3], 0 offset:28
	buffer_load_dword v80, off, s[0:3], 0 offset:16
	buffer_load_dword v81, off, s[0:3], 0 offset:20
	v_mov_b32_e32 v74, 0
	ds_read_b128 v[76:79], v74 offset:528
	s_waitcnt vmcnt(2) lgkmcnt(0)
	v_mul_f64 v[82:83], v[78:79], v[72:73]
	v_mul_f64 v[72:73], v[76:77], v[72:73]
	s_waitcnt vmcnt(0)
	v_fma_f64 v[76:77], v[76:77], v[80:81], -v[82:83]
	v_fma_f64 v[72:73], v[78:79], v[80:81], v[72:73]
	v_add_f64 v[1:2], v[1:2], v[76:77]
	v_add_f64 v[3:4], v[3:4], v[72:73]
.LBB31_262:
	s_or_b32 exec_lo, exec_lo, s8
	v_mov_b32_e32 v72, 0
	ds_read_b128 v[76:79], v72 offset:32
	s_waitcnt lgkmcnt(0)
	v_mul_f64 v[72:73], v[3:4], v[78:79]
	v_mul_f64 v[78:79], v[1:2], v[78:79]
	v_fma_f64 v[1:2], v[1:2], v[76:77], -v[72:73]
	v_fma_f64 v[3:4], v[3:4], v[76:77], v[78:79]
	buffer_store_dword v2, off, s[0:3], 0 offset:36
	buffer_store_dword v1, off, s[0:3], 0 offset:32
	;; [unrolled: 1-line block ×4, first 2 shown]
.LBB31_263:
	s_or_b32 exec_lo, exec_lo, s6
	v_mov_b32_e32 v4, s37
	s_mov_b32 s6, exec_lo
	s_clause 0x3
	buffer_load_dword v1, v4, s[0:3], 0 offen
	buffer_load_dword v2, v4, s[0:3], 0 offen offset:4
	buffer_load_dword v3, v4, s[0:3], 0 offen offset:8
	;; [unrolled: 1-line block ×3, first 2 shown]
	s_waitcnt vmcnt(0)
	ds_write_b128 v70, v[1:4]
	s_waitcnt lgkmcnt(0)
	s_waitcnt_vscnt null, 0x0
	s_barrier
	buffer_gl0_inv
	v_cmpx_gt_u32_e32 3, v0
	s_cbranch_execz .LBB31_271
; %bb.264:
	ds_read_b128 v[1:4], v70
	v_cmp_ne_u32_e32 vcc_lo, 1, v71
	s_cbranch_vccnz .LBB31_266
; %bb.265:
	s_clause 0x3
	buffer_load_dword v72, v69, s[0:3], 0 offen offset:8
	buffer_load_dword v73, v69, s[0:3], 0 offen offset:12
	buffer_load_dword v76, v69, s[0:3], 0 offen
	buffer_load_dword v77, v69, s[0:3], 0 offen offset:4
	s_waitcnt vmcnt(2) lgkmcnt(0)
	v_mul_f64 v[78:79], v[3:4], v[72:73]
	v_mul_f64 v[72:73], v[1:2], v[72:73]
	s_waitcnt vmcnt(0)
	v_fma_f64 v[1:2], v[1:2], v[76:77], -v[78:79]
	v_fma_f64 v[3:4], v[3:4], v[76:77], v[72:73]
.LBB31_266:
	s_mov_b32 s8, exec_lo
	v_cmpx_ne_u32_e32 2, v0
	s_cbranch_execz .LBB31_270
; %bb.267:
	s_clause 0x3
	buffer_load_dword v72, v69, s[0:3], 0 offen offset:24
	buffer_load_dword v73, v69, s[0:3], 0 offen offset:28
	;; [unrolled: 1-line block ×4, first 2 shown]
	ds_read_b128 v[76:79], v70 offset:16
	s_waitcnt vmcnt(2) lgkmcnt(0)
	v_mul_f64 v[82:83], v[78:79], v[72:73]
	v_mul_f64 v[72:73], v[76:77], v[72:73]
	s_waitcnt vmcnt(0)
	v_fma_f64 v[76:77], v[76:77], v[80:81], -v[82:83]
	v_fma_f64 v[72:73], v[78:79], v[80:81], v[72:73]
	v_add_f64 v[1:2], v[1:2], v[76:77]
	v_add_f64 v[3:4], v[3:4], v[72:73]
	s_and_saveexec_b32 s40, s4
	s_cbranch_execz .LBB31_269
; %bb.268:
	s_clause 0x3
	buffer_load_dword v72, off, s[0:3], 0 offset:40
	buffer_load_dword v73, off, s[0:3], 0 offset:44
	;; [unrolled: 1-line block ×4, first 2 shown]
	v_mov_b32_e32 v74, 0
	ds_read_b128 v[76:79], v74 offset:544
	s_waitcnt vmcnt(2) lgkmcnt(0)
	v_mul_f64 v[82:83], v[76:77], v[72:73]
	v_mul_f64 v[72:73], v[78:79], v[72:73]
	s_waitcnt vmcnt(0)
	v_fma_f64 v[78:79], v[78:79], v[80:81], v[82:83]
	v_fma_f64 v[72:73], v[76:77], v[80:81], -v[72:73]
	v_add_f64 v[3:4], v[3:4], v[78:79]
	v_add_f64 v[1:2], v[1:2], v[72:73]
.LBB31_269:
	s_or_b32 exec_lo, exec_lo, s40
.LBB31_270:
	s_or_b32 exec_lo, exec_lo, s8
	v_mov_b32_e32 v72, 0
	ds_read_b128 v[76:79], v72 offset:48
	s_waitcnt lgkmcnt(0)
	v_mul_f64 v[72:73], v[3:4], v[78:79]
	v_mul_f64 v[78:79], v[1:2], v[78:79]
	v_fma_f64 v[1:2], v[1:2], v[76:77], -v[72:73]
	v_fma_f64 v[3:4], v[3:4], v[76:77], v[78:79]
	buffer_store_dword v2, off, s[0:3], 0 offset:52
	buffer_store_dword v1, off, s[0:3], 0 offset:48
	;; [unrolled: 1-line block ×4, first 2 shown]
.LBB31_271:
	s_or_b32 exec_lo, exec_lo, s6
	v_mov_b32_e32 v4, s36
	s_mov_b32 s4, exec_lo
	s_clause 0x3
	buffer_load_dword v1, v4, s[0:3], 0 offen
	buffer_load_dword v2, v4, s[0:3], 0 offen offset:4
	buffer_load_dword v3, v4, s[0:3], 0 offen offset:8
	;; [unrolled: 1-line block ×3, first 2 shown]
	s_waitcnt vmcnt(0)
	ds_write_b128 v70, v[1:4]
	s_waitcnt lgkmcnt(0)
	s_waitcnt_vscnt null, 0x0
	s_barrier
	buffer_gl0_inv
	v_cmpx_gt_u32_e32 4, v0
	s_cbranch_execz .LBB31_279
; %bb.272:
	ds_read_b128 v[1:4], v70
	v_cmp_ne_u32_e32 vcc_lo, 1, v71
	s_cbranch_vccnz .LBB31_274
; %bb.273:
	s_clause 0x3
	buffer_load_dword v72, v69, s[0:3], 0 offen offset:8
	buffer_load_dword v73, v69, s[0:3], 0 offen offset:12
	buffer_load_dword v76, v69, s[0:3], 0 offen
	buffer_load_dword v77, v69, s[0:3], 0 offen offset:4
	s_waitcnt vmcnt(2) lgkmcnt(0)
	v_mul_f64 v[78:79], v[3:4], v[72:73]
	v_mul_f64 v[72:73], v[1:2], v[72:73]
	s_waitcnt vmcnt(0)
	v_fma_f64 v[1:2], v[1:2], v[76:77], -v[78:79]
	v_fma_f64 v[3:4], v[3:4], v[76:77], v[72:73]
.LBB31_274:
	s_mov_b32 s6, exec_lo
	v_cmpx_ne_u32_e32 3, v0
	s_cbranch_execz .LBB31_278
; %bb.275:
	v_add_nc_u32_e32 v72, 0x210, v75
	v_add3_u32 v73, 0, v75, 16
	v_mov_b32_e32 v74, v0
	s_mov_b32 s8, 0
	.p2align	6
.LBB31_276:                             ; =>This Inner Loop Header: Depth=1
	s_clause 0x3
	buffer_load_dword v80, v73, s[0:3], 0 offen offset:8
	buffer_load_dword v81, v73, s[0:3], 0 offen offset:12
	buffer_load_dword v82, v73, s[0:3], 0 offen
	buffer_load_dword v83, v73, s[0:3], 0 offen offset:4
	ds_read_b128 v[76:79], v72
	v_add_nc_u32_e32 v74, 1, v74
	v_add_nc_u32_e32 v72, 16, v72
	;; [unrolled: 1-line block ×3, first 2 shown]
	v_cmp_lt_u32_e32 vcc_lo, 2, v74
	s_or_b32 s8, vcc_lo, s8
	s_waitcnt vmcnt(2) lgkmcnt(0)
	v_mul_f64 v[84:85], v[78:79], v[80:81]
	v_mul_f64 v[80:81], v[76:77], v[80:81]
	s_waitcnt vmcnt(0)
	v_fma_f64 v[76:77], v[76:77], v[82:83], -v[84:85]
	v_fma_f64 v[78:79], v[78:79], v[82:83], v[80:81]
	v_add_f64 v[1:2], v[1:2], v[76:77]
	v_add_f64 v[3:4], v[3:4], v[78:79]
	s_andn2_b32 exec_lo, exec_lo, s8
	s_cbranch_execnz .LBB31_276
; %bb.277:
	s_or_b32 exec_lo, exec_lo, s8
.LBB31_278:
	s_or_b32 exec_lo, exec_lo, s6
	v_mov_b32_e32 v72, 0
	ds_read_b128 v[76:79], v72 offset:64
	s_waitcnt lgkmcnt(0)
	v_mul_f64 v[72:73], v[3:4], v[78:79]
	v_mul_f64 v[78:79], v[1:2], v[78:79]
	v_fma_f64 v[1:2], v[1:2], v[76:77], -v[72:73]
	v_fma_f64 v[3:4], v[3:4], v[76:77], v[78:79]
	buffer_store_dword v2, off, s[0:3], 0 offset:68
	buffer_store_dword v1, off, s[0:3], 0 offset:64
	;; [unrolled: 1-line block ×4, first 2 shown]
.LBB31_279:
	s_or_b32 exec_lo, exec_lo, s4
	v_mov_b32_e32 v4, s35
	s_mov_b32 s4, exec_lo
	s_clause 0x3
	buffer_load_dword v1, v4, s[0:3], 0 offen
	buffer_load_dword v2, v4, s[0:3], 0 offen offset:4
	buffer_load_dword v3, v4, s[0:3], 0 offen offset:8
	;; [unrolled: 1-line block ×3, first 2 shown]
	s_waitcnt vmcnt(0)
	ds_write_b128 v70, v[1:4]
	s_waitcnt lgkmcnt(0)
	s_waitcnt_vscnt null, 0x0
	s_barrier
	buffer_gl0_inv
	v_cmpx_gt_u32_e32 5, v0
	s_cbranch_execz .LBB31_287
; %bb.280:
	ds_read_b128 v[1:4], v70
	v_cmp_ne_u32_e32 vcc_lo, 1, v71
	s_cbranch_vccnz .LBB31_282
; %bb.281:
	s_clause 0x3
	buffer_load_dword v72, v69, s[0:3], 0 offen offset:8
	buffer_load_dword v73, v69, s[0:3], 0 offen offset:12
	buffer_load_dword v76, v69, s[0:3], 0 offen
	buffer_load_dword v77, v69, s[0:3], 0 offen offset:4
	s_waitcnt vmcnt(2) lgkmcnt(0)
	v_mul_f64 v[78:79], v[3:4], v[72:73]
	v_mul_f64 v[72:73], v[1:2], v[72:73]
	s_waitcnt vmcnt(0)
	v_fma_f64 v[1:2], v[1:2], v[76:77], -v[78:79]
	v_fma_f64 v[3:4], v[3:4], v[76:77], v[72:73]
.LBB31_282:
	s_mov_b32 s6, exec_lo
	v_cmpx_ne_u32_e32 4, v0
	s_cbranch_execz .LBB31_286
; %bb.283:
	v_add_nc_u32_e32 v72, 0x210, v75
	v_add3_u32 v73, 0, v75, 16
	v_mov_b32_e32 v74, v0
	s_mov_b32 s8, 0
	.p2align	6
.LBB31_284:                             ; =>This Inner Loop Header: Depth=1
	s_clause 0x3
	buffer_load_dword v80, v73, s[0:3], 0 offen offset:8
	buffer_load_dword v81, v73, s[0:3], 0 offen offset:12
	buffer_load_dword v82, v73, s[0:3], 0 offen
	buffer_load_dword v83, v73, s[0:3], 0 offen offset:4
	ds_read_b128 v[76:79], v72
	v_add_nc_u32_e32 v74, 1, v74
	v_add_nc_u32_e32 v72, 16, v72
	v_add_nc_u32_e32 v73, 16, v73
	v_cmp_lt_u32_e32 vcc_lo, 3, v74
	s_or_b32 s8, vcc_lo, s8
	s_waitcnt vmcnt(2) lgkmcnt(0)
	v_mul_f64 v[84:85], v[78:79], v[80:81]
	v_mul_f64 v[80:81], v[76:77], v[80:81]
	s_waitcnt vmcnt(0)
	v_fma_f64 v[76:77], v[76:77], v[82:83], -v[84:85]
	v_fma_f64 v[78:79], v[78:79], v[82:83], v[80:81]
	v_add_f64 v[1:2], v[1:2], v[76:77]
	v_add_f64 v[3:4], v[3:4], v[78:79]
	s_andn2_b32 exec_lo, exec_lo, s8
	s_cbranch_execnz .LBB31_284
; %bb.285:
	s_or_b32 exec_lo, exec_lo, s8
.LBB31_286:
	s_or_b32 exec_lo, exec_lo, s6
	v_mov_b32_e32 v72, 0
	ds_read_b128 v[76:79], v72 offset:80
	s_waitcnt lgkmcnt(0)
	v_mul_f64 v[72:73], v[3:4], v[78:79]
	v_mul_f64 v[78:79], v[1:2], v[78:79]
	v_fma_f64 v[1:2], v[1:2], v[76:77], -v[72:73]
	v_fma_f64 v[3:4], v[3:4], v[76:77], v[78:79]
	buffer_store_dword v2, off, s[0:3], 0 offset:84
	buffer_store_dword v1, off, s[0:3], 0 offset:80
	;; [unrolled: 1-line block ×4, first 2 shown]
.LBB31_287:
	s_or_b32 exec_lo, exec_lo, s4
	v_mov_b32_e32 v4, s34
	s_mov_b32 s4, exec_lo
	s_clause 0x3
	buffer_load_dword v1, v4, s[0:3], 0 offen
	buffer_load_dword v2, v4, s[0:3], 0 offen offset:4
	buffer_load_dword v3, v4, s[0:3], 0 offen offset:8
	;; [unrolled: 1-line block ×3, first 2 shown]
	s_waitcnt vmcnt(0)
	ds_write_b128 v70, v[1:4]
	s_waitcnt lgkmcnt(0)
	s_waitcnt_vscnt null, 0x0
	s_barrier
	buffer_gl0_inv
	v_cmpx_gt_u32_e32 6, v0
	s_cbranch_execz .LBB31_295
; %bb.288:
	ds_read_b128 v[1:4], v70
	v_cmp_ne_u32_e32 vcc_lo, 1, v71
	s_cbranch_vccnz .LBB31_290
; %bb.289:
	s_clause 0x3
	buffer_load_dword v72, v69, s[0:3], 0 offen offset:8
	buffer_load_dword v73, v69, s[0:3], 0 offen offset:12
	buffer_load_dword v76, v69, s[0:3], 0 offen
	buffer_load_dword v77, v69, s[0:3], 0 offen offset:4
	s_waitcnt vmcnt(2) lgkmcnt(0)
	v_mul_f64 v[78:79], v[3:4], v[72:73]
	v_mul_f64 v[72:73], v[1:2], v[72:73]
	s_waitcnt vmcnt(0)
	v_fma_f64 v[1:2], v[1:2], v[76:77], -v[78:79]
	v_fma_f64 v[3:4], v[3:4], v[76:77], v[72:73]
.LBB31_290:
	s_mov_b32 s6, exec_lo
	v_cmpx_ne_u32_e32 5, v0
	s_cbranch_execz .LBB31_294
; %bb.291:
	v_add_nc_u32_e32 v72, 0x210, v75
	v_add3_u32 v73, 0, v75, 16
	v_mov_b32_e32 v74, v0
	s_mov_b32 s8, 0
	.p2align	6
.LBB31_292:                             ; =>This Inner Loop Header: Depth=1
	s_clause 0x3
	buffer_load_dword v80, v73, s[0:3], 0 offen offset:8
	buffer_load_dword v81, v73, s[0:3], 0 offen offset:12
	buffer_load_dword v82, v73, s[0:3], 0 offen
	buffer_load_dword v83, v73, s[0:3], 0 offen offset:4
	ds_read_b128 v[76:79], v72
	v_add_nc_u32_e32 v74, 1, v74
	v_add_nc_u32_e32 v72, 16, v72
	;; [unrolled: 1-line block ×3, first 2 shown]
	v_cmp_lt_u32_e32 vcc_lo, 4, v74
	s_or_b32 s8, vcc_lo, s8
	s_waitcnt vmcnt(2) lgkmcnt(0)
	v_mul_f64 v[84:85], v[78:79], v[80:81]
	v_mul_f64 v[80:81], v[76:77], v[80:81]
	s_waitcnt vmcnt(0)
	v_fma_f64 v[76:77], v[76:77], v[82:83], -v[84:85]
	v_fma_f64 v[78:79], v[78:79], v[82:83], v[80:81]
	v_add_f64 v[1:2], v[1:2], v[76:77]
	v_add_f64 v[3:4], v[3:4], v[78:79]
	s_andn2_b32 exec_lo, exec_lo, s8
	s_cbranch_execnz .LBB31_292
; %bb.293:
	s_or_b32 exec_lo, exec_lo, s8
.LBB31_294:
	s_or_b32 exec_lo, exec_lo, s6
	v_mov_b32_e32 v72, 0
	ds_read_b128 v[76:79], v72 offset:96
	s_waitcnt lgkmcnt(0)
	v_mul_f64 v[72:73], v[3:4], v[78:79]
	v_mul_f64 v[78:79], v[1:2], v[78:79]
	v_fma_f64 v[1:2], v[1:2], v[76:77], -v[72:73]
	v_fma_f64 v[3:4], v[3:4], v[76:77], v[78:79]
	buffer_store_dword v2, off, s[0:3], 0 offset:100
	buffer_store_dword v1, off, s[0:3], 0 offset:96
	;; [unrolled: 1-line block ×4, first 2 shown]
.LBB31_295:
	s_or_b32 exec_lo, exec_lo, s4
	v_mov_b32_e32 v4, s33
	s_mov_b32 s4, exec_lo
	s_clause 0x3
	buffer_load_dword v1, v4, s[0:3], 0 offen
	buffer_load_dword v2, v4, s[0:3], 0 offen offset:4
	buffer_load_dword v3, v4, s[0:3], 0 offen offset:8
	;; [unrolled: 1-line block ×3, first 2 shown]
	s_waitcnt vmcnt(0)
	ds_write_b128 v70, v[1:4]
	s_waitcnt lgkmcnt(0)
	s_waitcnt_vscnt null, 0x0
	s_barrier
	buffer_gl0_inv
	v_cmpx_gt_u32_e32 7, v0
	s_cbranch_execz .LBB31_303
; %bb.296:
	ds_read_b128 v[1:4], v70
	v_cmp_ne_u32_e32 vcc_lo, 1, v71
	s_cbranch_vccnz .LBB31_298
; %bb.297:
	s_clause 0x3
	buffer_load_dword v72, v69, s[0:3], 0 offen offset:8
	buffer_load_dword v73, v69, s[0:3], 0 offen offset:12
	buffer_load_dword v76, v69, s[0:3], 0 offen
	buffer_load_dword v77, v69, s[0:3], 0 offen offset:4
	s_waitcnt vmcnt(2) lgkmcnt(0)
	v_mul_f64 v[78:79], v[3:4], v[72:73]
	v_mul_f64 v[72:73], v[1:2], v[72:73]
	s_waitcnt vmcnt(0)
	v_fma_f64 v[1:2], v[1:2], v[76:77], -v[78:79]
	v_fma_f64 v[3:4], v[3:4], v[76:77], v[72:73]
.LBB31_298:
	s_mov_b32 s6, exec_lo
	v_cmpx_ne_u32_e32 6, v0
	s_cbranch_execz .LBB31_302
; %bb.299:
	v_add_nc_u32_e32 v72, 0x210, v75
	v_add3_u32 v73, 0, v75, 16
	v_mov_b32_e32 v74, v0
	s_mov_b32 s8, 0
	.p2align	6
.LBB31_300:                             ; =>This Inner Loop Header: Depth=1
	s_clause 0x3
	buffer_load_dword v80, v73, s[0:3], 0 offen offset:8
	buffer_load_dword v81, v73, s[0:3], 0 offen offset:12
	buffer_load_dword v82, v73, s[0:3], 0 offen
	buffer_load_dword v83, v73, s[0:3], 0 offen offset:4
	ds_read_b128 v[76:79], v72
	v_add_nc_u32_e32 v74, 1, v74
	v_add_nc_u32_e32 v72, 16, v72
	v_add_nc_u32_e32 v73, 16, v73
	v_cmp_lt_u32_e32 vcc_lo, 5, v74
	s_or_b32 s8, vcc_lo, s8
	s_waitcnt vmcnt(2) lgkmcnt(0)
	v_mul_f64 v[84:85], v[78:79], v[80:81]
	v_mul_f64 v[80:81], v[76:77], v[80:81]
	s_waitcnt vmcnt(0)
	v_fma_f64 v[76:77], v[76:77], v[82:83], -v[84:85]
	v_fma_f64 v[78:79], v[78:79], v[82:83], v[80:81]
	v_add_f64 v[1:2], v[1:2], v[76:77]
	v_add_f64 v[3:4], v[3:4], v[78:79]
	s_andn2_b32 exec_lo, exec_lo, s8
	s_cbranch_execnz .LBB31_300
; %bb.301:
	s_or_b32 exec_lo, exec_lo, s8
.LBB31_302:
	s_or_b32 exec_lo, exec_lo, s6
	v_mov_b32_e32 v72, 0
	ds_read_b128 v[76:79], v72 offset:112
	s_waitcnt lgkmcnt(0)
	v_mul_f64 v[72:73], v[3:4], v[78:79]
	v_mul_f64 v[78:79], v[1:2], v[78:79]
	v_fma_f64 v[1:2], v[1:2], v[76:77], -v[72:73]
	v_fma_f64 v[3:4], v[3:4], v[76:77], v[78:79]
	buffer_store_dword v2, off, s[0:3], 0 offset:116
	buffer_store_dword v1, off, s[0:3], 0 offset:112
	;; [unrolled: 1-line block ×4, first 2 shown]
.LBB31_303:
	s_or_b32 exec_lo, exec_lo, s4
	v_mov_b32_e32 v4, s31
	s_mov_b32 s4, exec_lo
	s_clause 0x3
	buffer_load_dword v1, v4, s[0:3], 0 offen
	buffer_load_dword v2, v4, s[0:3], 0 offen offset:4
	buffer_load_dword v3, v4, s[0:3], 0 offen offset:8
	;; [unrolled: 1-line block ×3, first 2 shown]
	s_waitcnt vmcnt(0)
	ds_write_b128 v70, v[1:4]
	s_waitcnt lgkmcnt(0)
	s_waitcnt_vscnt null, 0x0
	s_barrier
	buffer_gl0_inv
	v_cmpx_gt_u32_e32 8, v0
	s_cbranch_execz .LBB31_311
; %bb.304:
	ds_read_b128 v[1:4], v70
	v_cmp_ne_u32_e32 vcc_lo, 1, v71
	s_cbranch_vccnz .LBB31_306
; %bb.305:
	s_clause 0x3
	buffer_load_dword v72, v69, s[0:3], 0 offen offset:8
	buffer_load_dword v73, v69, s[0:3], 0 offen offset:12
	buffer_load_dword v76, v69, s[0:3], 0 offen
	buffer_load_dword v77, v69, s[0:3], 0 offen offset:4
	s_waitcnt vmcnt(2) lgkmcnt(0)
	v_mul_f64 v[78:79], v[3:4], v[72:73]
	v_mul_f64 v[72:73], v[1:2], v[72:73]
	s_waitcnt vmcnt(0)
	v_fma_f64 v[1:2], v[1:2], v[76:77], -v[78:79]
	v_fma_f64 v[3:4], v[3:4], v[76:77], v[72:73]
.LBB31_306:
	s_mov_b32 s6, exec_lo
	v_cmpx_ne_u32_e32 7, v0
	s_cbranch_execz .LBB31_310
; %bb.307:
	v_add_nc_u32_e32 v72, 0x210, v75
	v_add3_u32 v73, 0, v75, 16
	v_mov_b32_e32 v74, v0
	s_mov_b32 s8, 0
	.p2align	6
.LBB31_308:                             ; =>This Inner Loop Header: Depth=1
	s_clause 0x3
	buffer_load_dword v80, v73, s[0:3], 0 offen offset:8
	buffer_load_dword v81, v73, s[0:3], 0 offen offset:12
	buffer_load_dword v82, v73, s[0:3], 0 offen
	buffer_load_dword v83, v73, s[0:3], 0 offen offset:4
	ds_read_b128 v[76:79], v72
	v_add_nc_u32_e32 v74, 1, v74
	v_add_nc_u32_e32 v72, 16, v72
	;; [unrolled: 1-line block ×3, first 2 shown]
	v_cmp_lt_u32_e32 vcc_lo, 6, v74
	s_or_b32 s8, vcc_lo, s8
	s_waitcnt vmcnt(2) lgkmcnt(0)
	v_mul_f64 v[84:85], v[78:79], v[80:81]
	v_mul_f64 v[80:81], v[76:77], v[80:81]
	s_waitcnt vmcnt(0)
	v_fma_f64 v[76:77], v[76:77], v[82:83], -v[84:85]
	v_fma_f64 v[78:79], v[78:79], v[82:83], v[80:81]
	v_add_f64 v[1:2], v[1:2], v[76:77]
	v_add_f64 v[3:4], v[3:4], v[78:79]
	s_andn2_b32 exec_lo, exec_lo, s8
	s_cbranch_execnz .LBB31_308
; %bb.309:
	s_or_b32 exec_lo, exec_lo, s8
.LBB31_310:
	s_or_b32 exec_lo, exec_lo, s6
	v_mov_b32_e32 v72, 0
	ds_read_b128 v[76:79], v72 offset:128
	s_waitcnt lgkmcnt(0)
	v_mul_f64 v[72:73], v[3:4], v[78:79]
	v_mul_f64 v[78:79], v[1:2], v[78:79]
	v_fma_f64 v[1:2], v[1:2], v[76:77], -v[72:73]
	v_fma_f64 v[3:4], v[3:4], v[76:77], v[78:79]
	buffer_store_dword v2, off, s[0:3], 0 offset:132
	buffer_store_dword v1, off, s[0:3], 0 offset:128
	;; [unrolled: 1-line block ×4, first 2 shown]
.LBB31_311:
	s_or_b32 exec_lo, exec_lo, s4
	v_mov_b32_e32 v4, s30
	s_mov_b32 s4, exec_lo
	s_clause 0x3
	buffer_load_dword v1, v4, s[0:3], 0 offen
	buffer_load_dword v2, v4, s[0:3], 0 offen offset:4
	buffer_load_dword v3, v4, s[0:3], 0 offen offset:8
	;; [unrolled: 1-line block ×3, first 2 shown]
	s_waitcnt vmcnt(0)
	ds_write_b128 v70, v[1:4]
	s_waitcnt lgkmcnt(0)
	s_waitcnt_vscnt null, 0x0
	s_barrier
	buffer_gl0_inv
	v_cmpx_gt_u32_e32 9, v0
	s_cbranch_execz .LBB31_319
; %bb.312:
	ds_read_b128 v[1:4], v70
	v_cmp_ne_u32_e32 vcc_lo, 1, v71
	s_cbranch_vccnz .LBB31_314
; %bb.313:
	s_clause 0x3
	buffer_load_dword v72, v69, s[0:3], 0 offen offset:8
	buffer_load_dword v73, v69, s[0:3], 0 offen offset:12
	buffer_load_dword v76, v69, s[0:3], 0 offen
	buffer_load_dword v77, v69, s[0:3], 0 offen offset:4
	s_waitcnt vmcnt(2) lgkmcnt(0)
	v_mul_f64 v[78:79], v[3:4], v[72:73]
	v_mul_f64 v[72:73], v[1:2], v[72:73]
	s_waitcnt vmcnt(0)
	v_fma_f64 v[1:2], v[1:2], v[76:77], -v[78:79]
	v_fma_f64 v[3:4], v[3:4], v[76:77], v[72:73]
.LBB31_314:
	s_mov_b32 s6, exec_lo
	v_cmpx_ne_u32_e32 8, v0
	s_cbranch_execz .LBB31_318
; %bb.315:
	v_add_nc_u32_e32 v72, 0x210, v75
	v_add3_u32 v73, 0, v75, 16
	v_mov_b32_e32 v74, v0
	s_mov_b32 s8, 0
	.p2align	6
.LBB31_316:                             ; =>This Inner Loop Header: Depth=1
	s_clause 0x3
	buffer_load_dword v80, v73, s[0:3], 0 offen offset:8
	buffer_load_dword v81, v73, s[0:3], 0 offen offset:12
	buffer_load_dword v82, v73, s[0:3], 0 offen
	buffer_load_dword v83, v73, s[0:3], 0 offen offset:4
	ds_read_b128 v[76:79], v72
	v_add_nc_u32_e32 v74, 1, v74
	v_add_nc_u32_e32 v72, 16, v72
	v_add_nc_u32_e32 v73, 16, v73
	v_cmp_lt_u32_e32 vcc_lo, 7, v74
	s_or_b32 s8, vcc_lo, s8
	s_waitcnt vmcnt(2) lgkmcnt(0)
	v_mul_f64 v[84:85], v[78:79], v[80:81]
	v_mul_f64 v[80:81], v[76:77], v[80:81]
	s_waitcnt vmcnt(0)
	v_fma_f64 v[76:77], v[76:77], v[82:83], -v[84:85]
	v_fma_f64 v[78:79], v[78:79], v[82:83], v[80:81]
	v_add_f64 v[1:2], v[1:2], v[76:77]
	v_add_f64 v[3:4], v[3:4], v[78:79]
	s_andn2_b32 exec_lo, exec_lo, s8
	s_cbranch_execnz .LBB31_316
; %bb.317:
	s_or_b32 exec_lo, exec_lo, s8
.LBB31_318:
	s_or_b32 exec_lo, exec_lo, s6
	v_mov_b32_e32 v72, 0
	ds_read_b128 v[76:79], v72 offset:144
	s_waitcnt lgkmcnt(0)
	v_mul_f64 v[72:73], v[3:4], v[78:79]
	v_mul_f64 v[78:79], v[1:2], v[78:79]
	v_fma_f64 v[1:2], v[1:2], v[76:77], -v[72:73]
	v_fma_f64 v[3:4], v[3:4], v[76:77], v[78:79]
	buffer_store_dword v2, off, s[0:3], 0 offset:148
	buffer_store_dword v1, off, s[0:3], 0 offset:144
	;; [unrolled: 1-line block ×4, first 2 shown]
.LBB31_319:
	s_or_b32 exec_lo, exec_lo, s4
	v_mov_b32_e32 v4, s29
	s_mov_b32 s4, exec_lo
	s_clause 0x3
	buffer_load_dword v1, v4, s[0:3], 0 offen
	buffer_load_dword v2, v4, s[0:3], 0 offen offset:4
	buffer_load_dword v3, v4, s[0:3], 0 offen offset:8
	;; [unrolled: 1-line block ×3, first 2 shown]
	s_waitcnt vmcnt(0)
	ds_write_b128 v70, v[1:4]
	s_waitcnt lgkmcnt(0)
	s_waitcnt_vscnt null, 0x0
	s_barrier
	buffer_gl0_inv
	v_cmpx_gt_u32_e32 10, v0
	s_cbranch_execz .LBB31_327
; %bb.320:
	ds_read_b128 v[1:4], v70
	v_cmp_ne_u32_e32 vcc_lo, 1, v71
	s_cbranch_vccnz .LBB31_322
; %bb.321:
	s_clause 0x3
	buffer_load_dword v72, v69, s[0:3], 0 offen offset:8
	buffer_load_dword v73, v69, s[0:3], 0 offen offset:12
	buffer_load_dword v76, v69, s[0:3], 0 offen
	buffer_load_dword v77, v69, s[0:3], 0 offen offset:4
	s_waitcnt vmcnt(2) lgkmcnt(0)
	v_mul_f64 v[78:79], v[3:4], v[72:73]
	v_mul_f64 v[72:73], v[1:2], v[72:73]
	s_waitcnt vmcnt(0)
	v_fma_f64 v[1:2], v[1:2], v[76:77], -v[78:79]
	v_fma_f64 v[3:4], v[3:4], v[76:77], v[72:73]
.LBB31_322:
	s_mov_b32 s6, exec_lo
	v_cmpx_ne_u32_e32 9, v0
	s_cbranch_execz .LBB31_326
; %bb.323:
	v_add_nc_u32_e32 v72, 0x210, v75
	v_add3_u32 v73, 0, v75, 16
	v_mov_b32_e32 v74, v0
	s_mov_b32 s8, 0
	.p2align	6
.LBB31_324:                             ; =>This Inner Loop Header: Depth=1
	s_clause 0x3
	buffer_load_dword v80, v73, s[0:3], 0 offen offset:8
	buffer_load_dword v81, v73, s[0:3], 0 offen offset:12
	buffer_load_dword v82, v73, s[0:3], 0 offen
	buffer_load_dword v83, v73, s[0:3], 0 offen offset:4
	ds_read_b128 v[76:79], v72
	v_add_nc_u32_e32 v74, 1, v74
	v_add_nc_u32_e32 v72, 16, v72
	;; [unrolled: 1-line block ×3, first 2 shown]
	v_cmp_lt_u32_e32 vcc_lo, 8, v74
	s_or_b32 s8, vcc_lo, s8
	s_waitcnt vmcnt(2) lgkmcnt(0)
	v_mul_f64 v[84:85], v[78:79], v[80:81]
	v_mul_f64 v[80:81], v[76:77], v[80:81]
	s_waitcnt vmcnt(0)
	v_fma_f64 v[76:77], v[76:77], v[82:83], -v[84:85]
	v_fma_f64 v[78:79], v[78:79], v[82:83], v[80:81]
	v_add_f64 v[1:2], v[1:2], v[76:77]
	v_add_f64 v[3:4], v[3:4], v[78:79]
	s_andn2_b32 exec_lo, exec_lo, s8
	s_cbranch_execnz .LBB31_324
; %bb.325:
	s_or_b32 exec_lo, exec_lo, s8
.LBB31_326:
	s_or_b32 exec_lo, exec_lo, s6
	v_mov_b32_e32 v72, 0
	ds_read_b128 v[76:79], v72 offset:160
	s_waitcnt lgkmcnt(0)
	v_mul_f64 v[72:73], v[3:4], v[78:79]
	v_mul_f64 v[78:79], v[1:2], v[78:79]
	v_fma_f64 v[1:2], v[1:2], v[76:77], -v[72:73]
	v_fma_f64 v[3:4], v[3:4], v[76:77], v[78:79]
	buffer_store_dword v2, off, s[0:3], 0 offset:164
	buffer_store_dword v1, off, s[0:3], 0 offset:160
	;; [unrolled: 1-line block ×4, first 2 shown]
.LBB31_327:
	s_or_b32 exec_lo, exec_lo, s4
	v_mov_b32_e32 v4, s28
	s_mov_b32 s4, exec_lo
	s_clause 0x3
	buffer_load_dword v1, v4, s[0:3], 0 offen
	buffer_load_dword v2, v4, s[0:3], 0 offen offset:4
	buffer_load_dword v3, v4, s[0:3], 0 offen offset:8
	;; [unrolled: 1-line block ×3, first 2 shown]
	s_waitcnt vmcnt(0)
	ds_write_b128 v70, v[1:4]
	s_waitcnt lgkmcnt(0)
	s_waitcnt_vscnt null, 0x0
	s_barrier
	buffer_gl0_inv
	v_cmpx_gt_u32_e32 11, v0
	s_cbranch_execz .LBB31_335
; %bb.328:
	ds_read_b128 v[1:4], v70
	v_cmp_ne_u32_e32 vcc_lo, 1, v71
	s_cbranch_vccnz .LBB31_330
; %bb.329:
	s_clause 0x3
	buffer_load_dword v72, v69, s[0:3], 0 offen offset:8
	buffer_load_dword v73, v69, s[0:3], 0 offen offset:12
	buffer_load_dword v76, v69, s[0:3], 0 offen
	buffer_load_dword v77, v69, s[0:3], 0 offen offset:4
	s_waitcnt vmcnt(2) lgkmcnt(0)
	v_mul_f64 v[78:79], v[3:4], v[72:73]
	v_mul_f64 v[72:73], v[1:2], v[72:73]
	s_waitcnt vmcnt(0)
	v_fma_f64 v[1:2], v[1:2], v[76:77], -v[78:79]
	v_fma_f64 v[3:4], v[3:4], v[76:77], v[72:73]
.LBB31_330:
	s_mov_b32 s6, exec_lo
	v_cmpx_ne_u32_e32 10, v0
	s_cbranch_execz .LBB31_334
; %bb.331:
	v_add_nc_u32_e32 v72, 0x210, v75
	v_add3_u32 v73, 0, v75, 16
	v_mov_b32_e32 v74, v0
	s_mov_b32 s8, 0
	.p2align	6
.LBB31_332:                             ; =>This Inner Loop Header: Depth=1
	s_clause 0x3
	buffer_load_dword v80, v73, s[0:3], 0 offen offset:8
	buffer_load_dword v81, v73, s[0:3], 0 offen offset:12
	buffer_load_dword v82, v73, s[0:3], 0 offen
	buffer_load_dword v83, v73, s[0:3], 0 offen offset:4
	ds_read_b128 v[76:79], v72
	v_add_nc_u32_e32 v74, 1, v74
	v_add_nc_u32_e32 v72, 16, v72
	;; [unrolled: 1-line block ×3, first 2 shown]
	v_cmp_lt_u32_e32 vcc_lo, 9, v74
	s_or_b32 s8, vcc_lo, s8
	s_waitcnt vmcnt(2) lgkmcnt(0)
	v_mul_f64 v[84:85], v[78:79], v[80:81]
	v_mul_f64 v[80:81], v[76:77], v[80:81]
	s_waitcnt vmcnt(0)
	v_fma_f64 v[76:77], v[76:77], v[82:83], -v[84:85]
	v_fma_f64 v[78:79], v[78:79], v[82:83], v[80:81]
	v_add_f64 v[1:2], v[1:2], v[76:77]
	v_add_f64 v[3:4], v[3:4], v[78:79]
	s_andn2_b32 exec_lo, exec_lo, s8
	s_cbranch_execnz .LBB31_332
; %bb.333:
	s_or_b32 exec_lo, exec_lo, s8
.LBB31_334:
	s_or_b32 exec_lo, exec_lo, s6
	v_mov_b32_e32 v72, 0
	ds_read_b128 v[76:79], v72 offset:176
	s_waitcnt lgkmcnt(0)
	v_mul_f64 v[72:73], v[3:4], v[78:79]
	v_mul_f64 v[78:79], v[1:2], v[78:79]
	v_fma_f64 v[1:2], v[1:2], v[76:77], -v[72:73]
	v_fma_f64 v[3:4], v[3:4], v[76:77], v[78:79]
	buffer_store_dword v2, off, s[0:3], 0 offset:180
	buffer_store_dword v1, off, s[0:3], 0 offset:176
	;; [unrolled: 1-line block ×4, first 2 shown]
.LBB31_335:
	s_or_b32 exec_lo, exec_lo, s4
	v_mov_b32_e32 v4, s27
	s_mov_b32 s4, exec_lo
	s_clause 0x3
	buffer_load_dword v1, v4, s[0:3], 0 offen
	buffer_load_dword v2, v4, s[0:3], 0 offen offset:4
	buffer_load_dword v3, v4, s[0:3], 0 offen offset:8
	buffer_load_dword v4, v4, s[0:3], 0 offen offset:12
	s_waitcnt vmcnt(0)
	ds_write_b128 v70, v[1:4]
	s_waitcnt lgkmcnt(0)
	s_waitcnt_vscnt null, 0x0
	s_barrier
	buffer_gl0_inv
	v_cmpx_gt_u32_e32 12, v0
	s_cbranch_execz .LBB31_343
; %bb.336:
	ds_read_b128 v[1:4], v70
	v_cmp_ne_u32_e32 vcc_lo, 1, v71
	s_cbranch_vccnz .LBB31_338
; %bb.337:
	s_clause 0x3
	buffer_load_dword v72, v69, s[0:3], 0 offen offset:8
	buffer_load_dword v73, v69, s[0:3], 0 offen offset:12
	buffer_load_dword v76, v69, s[0:3], 0 offen
	buffer_load_dword v77, v69, s[0:3], 0 offen offset:4
	s_waitcnt vmcnt(2) lgkmcnt(0)
	v_mul_f64 v[78:79], v[3:4], v[72:73]
	v_mul_f64 v[72:73], v[1:2], v[72:73]
	s_waitcnt vmcnt(0)
	v_fma_f64 v[1:2], v[1:2], v[76:77], -v[78:79]
	v_fma_f64 v[3:4], v[3:4], v[76:77], v[72:73]
.LBB31_338:
	s_mov_b32 s6, exec_lo
	v_cmpx_ne_u32_e32 11, v0
	s_cbranch_execz .LBB31_342
; %bb.339:
	v_add_nc_u32_e32 v72, 0x210, v75
	v_add3_u32 v73, 0, v75, 16
	v_mov_b32_e32 v74, v0
	s_mov_b32 s8, 0
	.p2align	6
.LBB31_340:                             ; =>This Inner Loop Header: Depth=1
	s_clause 0x3
	buffer_load_dword v80, v73, s[0:3], 0 offen offset:8
	buffer_load_dword v81, v73, s[0:3], 0 offen offset:12
	buffer_load_dword v82, v73, s[0:3], 0 offen
	buffer_load_dword v83, v73, s[0:3], 0 offen offset:4
	ds_read_b128 v[76:79], v72
	v_add_nc_u32_e32 v74, 1, v74
	v_add_nc_u32_e32 v72, 16, v72
	;; [unrolled: 1-line block ×3, first 2 shown]
	v_cmp_lt_u32_e32 vcc_lo, 10, v74
	s_or_b32 s8, vcc_lo, s8
	s_waitcnt vmcnt(2) lgkmcnt(0)
	v_mul_f64 v[84:85], v[78:79], v[80:81]
	v_mul_f64 v[80:81], v[76:77], v[80:81]
	s_waitcnt vmcnt(0)
	v_fma_f64 v[76:77], v[76:77], v[82:83], -v[84:85]
	v_fma_f64 v[78:79], v[78:79], v[82:83], v[80:81]
	v_add_f64 v[1:2], v[1:2], v[76:77]
	v_add_f64 v[3:4], v[3:4], v[78:79]
	s_andn2_b32 exec_lo, exec_lo, s8
	s_cbranch_execnz .LBB31_340
; %bb.341:
	s_or_b32 exec_lo, exec_lo, s8
.LBB31_342:
	s_or_b32 exec_lo, exec_lo, s6
	v_mov_b32_e32 v72, 0
	ds_read_b128 v[76:79], v72 offset:192
	s_waitcnt lgkmcnt(0)
	v_mul_f64 v[72:73], v[3:4], v[78:79]
	v_mul_f64 v[78:79], v[1:2], v[78:79]
	v_fma_f64 v[1:2], v[1:2], v[76:77], -v[72:73]
	v_fma_f64 v[3:4], v[3:4], v[76:77], v[78:79]
	buffer_store_dword v2, off, s[0:3], 0 offset:196
	buffer_store_dword v1, off, s[0:3], 0 offset:192
	buffer_store_dword v4, off, s[0:3], 0 offset:204
	buffer_store_dword v3, off, s[0:3], 0 offset:200
.LBB31_343:
	s_or_b32 exec_lo, exec_lo, s4
	v_mov_b32_e32 v4, s26
	s_mov_b32 s4, exec_lo
	s_clause 0x3
	buffer_load_dword v1, v4, s[0:3], 0 offen
	buffer_load_dword v2, v4, s[0:3], 0 offen offset:4
	buffer_load_dword v3, v4, s[0:3], 0 offen offset:8
	;; [unrolled: 1-line block ×3, first 2 shown]
	s_waitcnt vmcnt(0)
	ds_write_b128 v70, v[1:4]
	s_waitcnt lgkmcnt(0)
	s_waitcnt_vscnt null, 0x0
	s_barrier
	buffer_gl0_inv
	v_cmpx_gt_u32_e32 13, v0
	s_cbranch_execz .LBB31_351
; %bb.344:
	ds_read_b128 v[1:4], v70
	v_cmp_ne_u32_e32 vcc_lo, 1, v71
	s_cbranch_vccnz .LBB31_346
; %bb.345:
	s_clause 0x3
	buffer_load_dword v72, v69, s[0:3], 0 offen offset:8
	buffer_load_dword v73, v69, s[0:3], 0 offen offset:12
	buffer_load_dword v76, v69, s[0:3], 0 offen
	buffer_load_dword v77, v69, s[0:3], 0 offen offset:4
	s_waitcnt vmcnt(2) lgkmcnt(0)
	v_mul_f64 v[78:79], v[3:4], v[72:73]
	v_mul_f64 v[72:73], v[1:2], v[72:73]
	s_waitcnt vmcnt(0)
	v_fma_f64 v[1:2], v[1:2], v[76:77], -v[78:79]
	v_fma_f64 v[3:4], v[3:4], v[76:77], v[72:73]
.LBB31_346:
	s_mov_b32 s6, exec_lo
	v_cmpx_ne_u32_e32 12, v0
	s_cbranch_execz .LBB31_350
; %bb.347:
	v_add_nc_u32_e32 v72, 0x210, v75
	v_add3_u32 v73, 0, v75, 16
	v_mov_b32_e32 v74, v0
	s_mov_b32 s8, 0
	.p2align	6
.LBB31_348:                             ; =>This Inner Loop Header: Depth=1
	s_clause 0x3
	buffer_load_dword v80, v73, s[0:3], 0 offen offset:8
	buffer_load_dword v81, v73, s[0:3], 0 offen offset:12
	buffer_load_dword v82, v73, s[0:3], 0 offen
	buffer_load_dword v83, v73, s[0:3], 0 offen offset:4
	ds_read_b128 v[76:79], v72
	v_add_nc_u32_e32 v74, 1, v74
	v_add_nc_u32_e32 v72, 16, v72
	;; [unrolled: 1-line block ×3, first 2 shown]
	v_cmp_lt_u32_e32 vcc_lo, 11, v74
	s_or_b32 s8, vcc_lo, s8
	s_waitcnt vmcnt(2) lgkmcnt(0)
	v_mul_f64 v[84:85], v[78:79], v[80:81]
	v_mul_f64 v[80:81], v[76:77], v[80:81]
	s_waitcnt vmcnt(0)
	v_fma_f64 v[76:77], v[76:77], v[82:83], -v[84:85]
	v_fma_f64 v[78:79], v[78:79], v[82:83], v[80:81]
	v_add_f64 v[1:2], v[1:2], v[76:77]
	v_add_f64 v[3:4], v[3:4], v[78:79]
	s_andn2_b32 exec_lo, exec_lo, s8
	s_cbranch_execnz .LBB31_348
; %bb.349:
	s_or_b32 exec_lo, exec_lo, s8
.LBB31_350:
	s_or_b32 exec_lo, exec_lo, s6
	v_mov_b32_e32 v72, 0
	ds_read_b128 v[76:79], v72 offset:208
	s_waitcnt lgkmcnt(0)
	v_mul_f64 v[72:73], v[3:4], v[78:79]
	v_mul_f64 v[78:79], v[1:2], v[78:79]
	v_fma_f64 v[1:2], v[1:2], v[76:77], -v[72:73]
	v_fma_f64 v[3:4], v[3:4], v[76:77], v[78:79]
	buffer_store_dword v2, off, s[0:3], 0 offset:212
	buffer_store_dword v1, off, s[0:3], 0 offset:208
	;; [unrolled: 1-line block ×4, first 2 shown]
.LBB31_351:
	s_or_b32 exec_lo, exec_lo, s4
	v_mov_b32_e32 v4, s25
	s_mov_b32 s4, exec_lo
	s_clause 0x3
	buffer_load_dword v1, v4, s[0:3], 0 offen
	buffer_load_dword v2, v4, s[0:3], 0 offen offset:4
	buffer_load_dword v3, v4, s[0:3], 0 offen offset:8
	;; [unrolled: 1-line block ×3, first 2 shown]
	s_waitcnt vmcnt(0)
	ds_write_b128 v70, v[1:4]
	s_waitcnt lgkmcnt(0)
	s_waitcnt_vscnt null, 0x0
	s_barrier
	buffer_gl0_inv
	v_cmpx_gt_u32_e32 14, v0
	s_cbranch_execz .LBB31_359
; %bb.352:
	ds_read_b128 v[1:4], v70
	v_cmp_ne_u32_e32 vcc_lo, 1, v71
	s_cbranch_vccnz .LBB31_354
; %bb.353:
	s_clause 0x3
	buffer_load_dword v72, v69, s[0:3], 0 offen offset:8
	buffer_load_dword v73, v69, s[0:3], 0 offen offset:12
	buffer_load_dword v76, v69, s[0:3], 0 offen
	buffer_load_dword v77, v69, s[0:3], 0 offen offset:4
	s_waitcnt vmcnt(2) lgkmcnt(0)
	v_mul_f64 v[78:79], v[3:4], v[72:73]
	v_mul_f64 v[72:73], v[1:2], v[72:73]
	s_waitcnt vmcnt(0)
	v_fma_f64 v[1:2], v[1:2], v[76:77], -v[78:79]
	v_fma_f64 v[3:4], v[3:4], v[76:77], v[72:73]
.LBB31_354:
	s_mov_b32 s6, exec_lo
	v_cmpx_ne_u32_e32 13, v0
	s_cbranch_execz .LBB31_358
; %bb.355:
	v_add_nc_u32_e32 v72, 0x210, v75
	v_add3_u32 v73, 0, v75, 16
	v_mov_b32_e32 v74, v0
	s_mov_b32 s8, 0
	.p2align	6
.LBB31_356:                             ; =>This Inner Loop Header: Depth=1
	s_clause 0x3
	buffer_load_dword v80, v73, s[0:3], 0 offen offset:8
	buffer_load_dword v81, v73, s[0:3], 0 offen offset:12
	buffer_load_dword v82, v73, s[0:3], 0 offen
	buffer_load_dword v83, v73, s[0:3], 0 offen offset:4
	ds_read_b128 v[76:79], v72
	v_add_nc_u32_e32 v74, 1, v74
	v_add_nc_u32_e32 v72, 16, v72
	v_add_nc_u32_e32 v73, 16, v73
	v_cmp_lt_u32_e32 vcc_lo, 12, v74
	s_or_b32 s8, vcc_lo, s8
	s_waitcnt vmcnt(2) lgkmcnt(0)
	v_mul_f64 v[84:85], v[78:79], v[80:81]
	v_mul_f64 v[80:81], v[76:77], v[80:81]
	s_waitcnt vmcnt(0)
	v_fma_f64 v[76:77], v[76:77], v[82:83], -v[84:85]
	v_fma_f64 v[78:79], v[78:79], v[82:83], v[80:81]
	v_add_f64 v[1:2], v[1:2], v[76:77]
	v_add_f64 v[3:4], v[3:4], v[78:79]
	s_andn2_b32 exec_lo, exec_lo, s8
	s_cbranch_execnz .LBB31_356
; %bb.357:
	s_or_b32 exec_lo, exec_lo, s8
.LBB31_358:
	s_or_b32 exec_lo, exec_lo, s6
	v_mov_b32_e32 v72, 0
	ds_read_b128 v[76:79], v72 offset:224
	s_waitcnt lgkmcnt(0)
	v_mul_f64 v[72:73], v[3:4], v[78:79]
	v_mul_f64 v[78:79], v[1:2], v[78:79]
	v_fma_f64 v[1:2], v[1:2], v[76:77], -v[72:73]
	v_fma_f64 v[3:4], v[3:4], v[76:77], v[78:79]
	buffer_store_dword v2, off, s[0:3], 0 offset:228
	buffer_store_dword v1, off, s[0:3], 0 offset:224
	;; [unrolled: 1-line block ×4, first 2 shown]
.LBB31_359:
	s_or_b32 exec_lo, exec_lo, s4
	v_mov_b32_e32 v4, s24
	s_mov_b32 s4, exec_lo
	s_clause 0x3
	buffer_load_dword v1, v4, s[0:3], 0 offen
	buffer_load_dword v2, v4, s[0:3], 0 offen offset:4
	buffer_load_dword v3, v4, s[0:3], 0 offen offset:8
	;; [unrolled: 1-line block ×3, first 2 shown]
	s_waitcnt vmcnt(0)
	ds_write_b128 v70, v[1:4]
	s_waitcnt lgkmcnt(0)
	s_waitcnt_vscnt null, 0x0
	s_barrier
	buffer_gl0_inv
	v_cmpx_gt_u32_e32 15, v0
	s_cbranch_execz .LBB31_367
; %bb.360:
	ds_read_b128 v[1:4], v70
	v_cmp_ne_u32_e32 vcc_lo, 1, v71
	s_cbranch_vccnz .LBB31_362
; %bb.361:
	s_clause 0x3
	buffer_load_dword v72, v69, s[0:3], 0 offen offset:8
	buffer_load_dword v73, v69, s[0:3], 0 offen offset:12
	buffer_load_dword v76, v69, s[0:3], 0 offen
	buffer_load_dword v77, v69, s[0:3], 0 offen offset:4
	s_waitcnt vmcnt(2) lgkmcnt(0)
	v_mul_f64 v[78:79], v[3:4], v[72:73]
	v_mul_f64 v[72:73], v[1:2], v[72:73]
	s_waitcnt vmcnt(0)
	v_fma_f64 v[1:2], v[1:2], v[76:77], -v[78:79]
	v_fma_f64 v[3:4], v[3:4], v[76:77], v[72:73]
.LBB31_362:
	s_mov_b32 s6, exec_lo
	v_cmpx_ne_u32_e32 14, v0
	s_cbranch_execz .LBB31_366
; %bb.363:
	v_add_nc_u32_e32 v72, 0x210, v75
	v_add3_u32 v73, 0, v75, 16
	v_mov_b32_e32 v74, v0
	s_mov_b32 s8, 0
	.p2align	6
.LBB31_364:                             ; =>This Inner Loop Header: Depth=1
	s_clause 0x3
	buffer_load_dword v80, v73, s[0:3], 0 offen offset:8
	buffer_load_dword v81, v73, s[0:3], 0 offen offset:12
	buffer_load_dword v82, v73, s[0:3], 0 offen
	buffer_load_dword v83, v73, s[0:3], 0 offen offset:4
	ds_read_b128 v[76:79], v72
	v_add_nc_u32_e32 v74, 1, v74
	v_add_nc_u32_e32 v72, 16, v72
	;; [unrolled: 1-line block ×3, first 2 shown]
	v_cmp_lt_u32_e32 vcc_lo, 13, v74
	s_or_b32 s8, vcc_lo, s8
	s_waitcnt vmcnt(2) lgkmcnt(0)
	v_mul_f64 v[84:85], v[78:79], v[80:81]
	v_mul_f64 v[80:81], v[76:77], v[80:81]
	s_waitcnt vmcnt(0)
	v_fma_f64 v[76:77], v[76:77], v[82:83], -v[84:85]
	v_fma_f64 v[78:79], v[78:79], v[82:83], v[80:81]
	v_add_f64 v[1:2], v[1:2], v[76:77]
	v_add_f64 v[3:4], v[3:4], v[78:79]
	s_andn2_b32 exec_lo, exec_lo, s8
	s_cbranch_execnz .LBB31_364
; %bb.365:
	s_or_b32 exec_lo, exec_lo, s8
.LBB31_366:
	s_or_b32 exec_lo, exec_lo, s6
	v_mov_b32_e32 v72, 0
	ds_read_b128 v[76:79], v72 offset:240
	s_waitcnt lgkmcnt(0)
	v_mul_f64 v[72:73], v[3:4], v[78:79]
	v_mul_f64 v[78:79], v[1:2], v[78:79]
	v_fma_f64 v[1:2], v[1:2], v[76:77], -v[72:73]
	v_fma_f64 v[3:4], v[3:4], v[76:77], v[78:79]
	buffer_store_dword v2, off, s[0:3], 0 offset:244
	buffer_store_dword v1, off, s[0:3], 0 offset:240
	;; [unrolled: 1-line block ×4, first 2 shown]
.LBB31_367:
	s_or_b32 exec_lo, exec_lo, s4
	v_mov_b32_e32 v4, s23
	s_mov_b32 s4, exec_lo
	s_clause 0x3
	buffer_load_dword v1, v4, s[0:3], 0 offen
	buffer_load_dword v2, v4, s[0:3], 0 offen offset:4
	buffer_load_dword v3, v4, s[0:3], 0 offen offset:8
	buffer_load_dword v4, v4, s[0:3], 0 offen offset:12
	s_waitcnt vmcnt(0)
	ds_write_b128 v70, v[1:4]
	s_waitcnt lgkmcnt(0)
	s_waitcnt_vscnt null, 0x0
	s_barrier
	buffer_gl0_inv
	v_cmpx_gt_u32_e32 16, v0
	s_cbranch_execz .LBB31_375
; %bb.368:
	ds_read_b128 v[1:4], v70
	v_cmp_ne_u32_e32 vcc_lo, 1, v71
	s_cbranch_vccnz .LBB31_370
; %bb.369:
	s_clause 0x3
	buffer_load_dword v72, v69, s[0:3], 0 offen offset:8
	buffer_load_dword v73, v69, s[0:3], 0 offen offset:12
	buffer_load_dword v76, v69, s[0:3], 0 offen
	buffer_load_dword v77, v69, s[0:3], 0 offen offset:4
	s_waitcnt vmcnt(2) lgkmcnt(0)
	v_mul_f64 v[78:79], v[3:4], v[72:73]
	v_mul_f64 v[72:73], v[1:2], v[72:73]
	s_waitcnt vmcnt(0)
	v_fma_f64 v[1:2], v[1:2], v[76:77], -v[78:79]
	v_fma_f64 v[3:4], v[3:4], v[76:77], v[72:73]
.LBB31_370:
	s_mov_b32 s6, exec_lo
	v_cmpx_ne_u32_e32 15, v0
	s_cbranch_execz .LBB31_374
; %bb.371:
	v_add_nc_u32_e32 v72, 0x210, v75
	v_add3_u32 v73, 0, v75, 16
	v_mov_b32_e32 v74, v0
	s_mov_b32 s8, 0
	.p2align	6
.LBB31_372:                             ; =>This Inner Loop Header: Depth=1
	s_clause 0x3
	buffer_load_dword v80, v73, s[0:3], 0 offen offset:8
	buffer_load_dword v81, v73, s[0:3], 0 offen offset:12
	buffer_load_dword v82, v73, s[0:3], 0 offen
	buffer_load_dword v83, v73, s[0:3], 0 offen offset:4
	ds_read_b128 v[76:79], v72
	v_add_nc_u32_e32 v74, 1, v74
	v_add_nc_u32_e32 v72, 16, v72
	;; [unrolled: 1-line block ×3, first 2 shown]
	v_cmp_lt_u32_e32 vcc_lo, 14, v74
	s_or_b32 s8, vcc_lo, s8
	s_waitcnt vmcnt(2) lgkmcnt(0)
	v_mul_f64 v[84:85], v[78:79], v[80:81]
	v_mul_f64 v[80:81], v[76:77], v[80:81]
	s_waitcnt vmcnt(0)
	v_fma_f64 v[76:77], v[76:77], v[82:83], -v[84:85]
	v_fma_f64 v[78:79], v[78:79], v[82:83], v[80:81]
	v_add_f64 v[1:2], v[1:2], v[76:77]
	v_add_f64 v[3:4], v[3:4], v[78:79]
	s_andn2_b32 exec_lo, exec_lo, s8
	s_cbranch_execnz .LBB31_372
; %bb.373:
	s_or_b32 exec_lo, exec_lo, s8
.LBB31_374:
	s_or_b32 exec_lo, exec_lo, s6
	v_mov_b32_e32 v72, 0
	ds_read_b128 v[76:79], v72 offset:256
	s_waitcnt lgkmcnt(0)
	v_mul_f64 v[72:73], v[3:4], v[78:79]
	v_mul_f64 v[78:79], v[1:2], v[78:79]
	v_fma_f64 v[1:2], v[1:2], v[76:77], -v[72:73]
	v_fma_f64 v[3:4], v[3:4], v[76:77], v[78:79]
	buffer_store_dword v2, off, s[0:3], 0 offset:260
	buffer_store_dword v1, off, s[0:3], 0 offset:256
	;; [unrolled: 1-line block ×4, first 2 shown]
.LBB31_375:
	s_or_b32 exec_lo, exec_lo, s4
	v_mov_b32_e32 v4, s22
	s_mov_b32 s4, exec_lo
	s_clause 0x3
	buffer_load_dword v1, v4, s[0:3], 0 offen
	buffer_load_dword v2, v4, s[0:3], 0 offen offset:4
	buffer_load_dword v3, v4, s[0:3], 0 offen offset:8
	;; [unrolled: 1-line block ×3, first 2 shown]
	s_waitcnt vmcnt(0)
	ds_write_b128 v70, v[1:4]
	s_waitcnt lgkmcnt(0)
	s_waitcnt_vscnt null, 0x0
	s_barrier
	buffer_gl0_inv
	v_cmpx_gt_u32_e32 17, v0
	s_cbranch_execz .LBB31_383
; %bb.376:
	ds_read_b128 v[1:4], v70
	v_cmp_ne_u32_e32 vcc_lo, 1, v71
	s_cbranch_vccnz .LBB31_378
; %bb.377:
	s_clause 0x3
	buffer_load_dword v72, v69, s[0:3], 0 offen offset:8
	buffer_load_dword v73, v69, s[0:3], 0 offen offset:12
	buffer_load_dword v76, v69, s[0:3], 0 offen
	buffer_load_dword v77, v69, s[0:3], 0 offen offset:4
	s_waitcnt vmcnt(2) lgkmcnt(0)
	v_mul_f64 v[78:79], v[3:4], v[72:73]
	v_mul_f64 v[72:73], v[1:2], v[72:73]
	s_waitcnt vmcnt(0)
	v_fma_f64 v[1:2], v[1:2], v[76:77], -v[78:79]
	v_fma_f64 v[3:4], v[3:4], v[76:77], v[72:73]
.LBB31_378:
	s_mov_b32 s6, exec_lo
	v_cmpx_ne_u32_e32 16, v0
	s_cbranch_execz .LBB31_382
; %bb.379:
	v_add_nc_u32_e32 v72, 0x210, v75
	v_add3_u32 v73, 0, v75, 16
	v_mov_b32_e32 v74, v0
	s_mov_b32 s8, 0
	.p2align	6
.LBB31_380:                             ; =>This Inner Loop Header: Depth=1
	s_clause 0x3
	buffer_load_dword v80, v73, s[0:3], 0 offen offset:8
	buffer_load_dword v81, v73, s[0:3], 0 offen offset:12
	buffer_load_dword v82, v73, s[0:3], 0 offen
	buffer_load_dword v83, v73, s[0:3], 0 offen offset:4
	ds_read_b128 v[76:79], v72
	v_add_nc_u32_e32 v74, 1, v74
	v_add_nc_u32_e32 v72, 16, v72
	;; [unrolled: 1-line block ×3, first 2 shown]
	v_cmp_lt_u32_e32 vcc_lo, 15, v74
	s_or_b32 s8, vcc_lo, s8
	s_waitcnt vmcnt(2) lgkmcnt(0)
	v_mul_f64 v[84:85], v[78:79], v[80:81]
	v_mul_f64 v[80:81], v[76:77], v[80:81]
	s_waitcnt vmcnt(0)
	v_fma_f64 v[76:77], v[76:77], v[82:83], -v[84:85]
	v_fma_f64 v[78:79], v[78:79], v[82:83], v[80:81]
	v_add_f64 v[1:2], v[1:2], v[76:77]
	v_add_f64 v[3:4], v[3:4], v[78:79]
	s_andn2_b32 exec_lo, exec_lo, s8
	s_cbranch_execnz .LBB31_380
; %bb.381:
	s_or_b32 exec_lo, exec_lo, s8
.LBB31_382:
	s_or_b32 exec_lo, exec_lo, s6
	v_mov_b32_e32 v72, 0
	ds_read_b128 v[76:79], v72 offset:272
	s_waitcnt lgkmcnt(0)
	v_mul_f64 v[72:73], v[3:4], v[78:79]
	v_mul_f64 v[78:79], v[1:2], v[78:79]
	v_fma_f64 v[1:2], v[1:2], v[76:77], -v[72:73]
	v_fma_f64 v[3:4], v[3:4], v[76:77], v[78:79]
	buffer_store_dword v2, off, s[0:3], 0 offset:276
	buffer_store_dword v1, off, s[0:3], 0 offset:272
	;; [unrolled: 1-line block ×4, first 2 shown]
.LBB31_383:
	s_or_b32 exec_lo, exec_lo, s4
	v_mov_b32_e32 v4, s21
	s_mov_b32 s4, exec_lo
	s_clause 0x3
	buffer_load_dword v1, v4, s[0:3], 0 offen
	buffer_load_dword v2, v4, s[0:3], 0 offen offset:4
	buffer_load_dword v3, v4, s[0:3], 0 offen offset:8
	;; [unrolled: 1-line block ×3, first 2 shown]
	s_waitcnt vmcnt(0)
	ds_write_b128 v70, v[1:4]
	s_waitcnt lgkmcnt(0)
	s_waitcnt_vscnt null, 0x0
	s_barrier
	buffer_gl0_inv
	v_cmpx_gt_u32_e32 18, v0
	s_cbranch_execz .LBB31_391
; %bb.384:
	ds_read_b128 v[1:4], v70
	v_cmp_ne_u32_e32 vcc_lo, 1, v71
	s_cbranch_vccnz .LBB31_386
; %bb.385:
	s_clause 0x3
	buffer_load_dword v72, v69, s[0:3], 0 offen offset:8
	buffer_load_dword v73, v69, s[0:3], 0 offen offset:12
	buffer_load_dword v76, v69, s[0:3], 0 offen
	buffer_load_dword v77, v69, s[0:3], 0 offen offset:4
	s_waitcnt vmcnt(2) lgkmcnt(0)
	v_mul_f64 v[78:79], v[3:4], v[72:73]
	v_mul_f64 v[72:73], v[1:2], v[72:73]
	s_waitcnt vmcnt(0)
	v_fma_f64 v[1:2], v[1:2], v[76:77], -v[78:79]
	v_fma_f64 v[3:4], v[3:4], v[76:77], v[72:73]
.LBB31_386:
	s_mov_b32 s6, exec_lo
	v_cmpx_ne_u32_e32 17, v0
	s_cbranch_execz .LBB31_390
; %bb.387:
	v_add_nc_u32_e32 v72, 0x210, v75
	v_add3_u32 v73, 0, v75, 16
	v_mov_b32_e32 v74, v0
	s_mov_b32 s8, 0
	.p2align	6
.LBB31_388:                             ; =>This Inner Loop Header: Depth=1
	s_clause 0x3
	buffer_load_dword v80, v73, s[0:3], 0 offen offset:8
	buffer_load_dword v81, v73, s[0:3], 0 offen offset:12
	buffer_load_dword v82, v73, s[0:3], 0 offen
	buffer_load_dword v83, v73, s[0:3], 0 offen offset:4
	ds_read_b128 v[76:79], v72
	v_add_nc_u32_e32 v74, 1, v74
	v_add_nc_u32_e32 v72, 16, v72
	;; [unrolled: 1-line block ×3, first 2 shown]
	v_cmp_lt_u32_e32 vcc_lo, 16, v74
	s_or_b32 s8, vcc_lo, s8
	s_waitcnt vmcnt(2) lgkmcnt(0)
	v_mul_f64 v[84:85], v[78:79], v[80:81]
	v_mul_f64 v[80:81], v[76:77], v[80:81]
	s_waitcnt vmcnt(0)
	v_fma_f64 v[76:77], v[76:77], v[82:83], -v[84:85]
	v_fma_f64 v[78:79], v[78:79], v[82:83], v[80:81]
	v_add_f64 v[1:2], v[1:2], v[76:77]
	v_add_f64 v[3:4], v[3:4], v[78:79]
	s_andn2_b32 exec_lo, exec_lo, s8
	s_cbranch_execnz .LBB31_388
; %bb.389:
	s_or_b32 exec_lo, exec_lo, s8
.LBB31_390:
	s_or_b32 exec_lo, exec_lo, s6
	v_mov_b32_e32 v72, 0
	ds_read_b128 v[76:79], v72 offset:288
	s_waitcnt lgkmcnt(0)
	v_mul_f64 v[72:73], v[3:4], v[78:79]
	v_mul_f64 v[78:79], v[1:2], v[78:79]
	v_fma_f64 v[1:2], v[1:2], v[76:77], -v[72:73]
	v_fma_f64 v[3:4], v[3:4], v[76:77], v[78:79]
	buffer_store_dword v2, off, s[0:3], 0 offset:292
	buffer_store_dword v1, off, s[0:3], 0 offset:288
	;; [unrolled: 1-line block ×4, first 2 shown]
.LBB31_391:
	s_or_b32 exec_lo, exec_lo, s4
	v_mov_b32_e32 v4, s20
	s_mov_b32 s4, exec_lo
	s_clause 0x3
	buffer_load_dword v1, v4, s[0:3], 0 offen
	buffer_load_dword v2, v4, s[0:3], 0 offen offset:4
	buffer_load_dword v3, v4, s[0:3], 0 offen offset:8
	;; [unrolled: 1-line block ×3, first 2 shown]
	s_waitcnt vmcnt(0)
	ds_write_b128 v70, v[1:4]
	s_waitcnt lgkmcnt(0)
	s_waitcnt_vscnt null, 0x0
	s_barrier
	buffer_gl0_inv
	v_cmpx_gt_u32_e32 19, v0
	s_cbranch_execz .LBB31_399
; %bb.392:
	ds_read_b128 v[1:4], v70
	v_cmp_ne_u32_e32 vcc_lo, 1, v71
	s_cbranch_vccnz .LBB31_394
; %bb.393:
	s_clause 0x3
	buffer_load_dword v72, v69, s[0:3], 0 offen offset:8
	buffer_load_dword v73, v69, s[0:3], 0 offen offset:12
	buffer_load_dword v76, v69, s[0:3], 0 offen
	buffer_load_dword v77, v69, s[0:3], 0 offen offset:4
	s_waitcnt vmcnt(2) lgkmcnt(0)
	v_mul_f64 v[78:79], v[3:4], v[72:73]
	v_mul_f64 v[72:73], v[1:2], v[72:73]
	s_waitcnt vmcnt(0)
	v_fma_f64 v[1:2], v[1:2], v[76:77], -v[78:79]
	v_fma_f64 v[3:4], v[3:4], v[76:77], v[72:73]
.LBB31_394:
	s_mov_b32 s6, exec_lo
	v_cmpx_ne_u32_e32 18, v0
	s_cbranch_execz .LBB31_398
; %bb.395:
	v_add_nc_u32_e32 v72, 0x210, v75
	v_add3_u32 v73, 0, v75, 16
	v_mov_b32_e32 v74, v0
	s_mov_b32 s8, 0
	.p2align	6
.LBB31_396:                             ; =>This Inner Loop Header: Depth=1
	s_clause 0x3
	buffer_load_dword v80, v73, s[0:3], 0 offen offset:8
	buffer_load_dword v81, v73, s[0:3], 0 offen offset:12
	buffer_load_dword v82, v73, s[0:3], 0 offen
	buffer_load_dword v83, v73, s[0:3], 0 offen offset:4
	ds_read_b128 v[76:79], v72
	v_add_nc_u32_e32 v74, 1, v74
	v_add_nc_u32_e32 v72, 16, v72
	;; [unrolled: 1-line block ×3, first 2 shown]
	v_cmp_lt_u32_e32 vcc_lo, 17, v74
	s_or_b32 s8, vcc_lo, s8
	s_waitcnt vmcnt(2) lgkmcnt(0)
	v_mul_f64 v[84:85], v[78:79], v[80:81]
	v_mul_f64 v[80:81], v[76:77], v[80:81]
	s_waitcnt vmcnt(0)
	v_fma_f64 v[76:77], v[76:77], v[82:83], -v[84:85]
	v_fma_f64 v[78:79], v[78:79], v[82:83], v[80:81]
	v_add_f64 v[1:2], v[1:2], v[76:77]
	v_add_f64 v[3:4], v[3:4], v[78:79]
	s_andn2_b32 exec_lo, exec_lo, s8
	s_cbranch_execnz .LBB31_396
; %bb.397:
	s_or_b32 exec_lo, exec_lo, s8
.LBB31_398:
	s_or_b32 exec_lo, exec_lo, s6
	v_mov_b32_e32 v72, 0
	ds_read_b128 v[76:79], v72 offset:304
	s_waitcnt lgkmcnt(0)
	v_mul_f64 v[72:73], v[3:4], v[78:79]
	v_mul_f64 v[78:79], v[1:2], v[78:79]
	v_fma_f64 v[1:2], v[1:2], v[76:77], -v[72:73]
	v_fma_f64 v[3:4], v[3:4], v[76:77], v[78:79]
	buffer_store_dword v2, off, s[0:3], 0 offset:308
	buffer_store_dword v1, off, s[0:3], 0 offset:304
	;; [unrolled: 1-line block ×4, first 2 shown]
.LBB31_399:
	s_or_b32 exec_lo, exec_lo, s4
	v_mov_b32_e32 v4, s19
	s_mov_b32 s4, exec_lo
	s_clause 0x3
	buffer_load_dword v1, v4, s[0:3], 0 offen
	buffer_load_dword v2, v4, s[0:3], 0 offen offset:4
	buffer_load_dword v3, v4, s[0:3], 0 offen offset:8
	;; [unrolled: 1-line block ×3, first 2 shown]
	s_waitcnt vmcnt(0)
	ds_write_b128 v70, v[1:4]
	s_waitcnt lgkmcnt(0)
	s_waitcnt_vscnt null, 0x0
	s_barrier
	buffer_gl0_inv
	v_cmpx_gt_u32_e32 20, v0
	s_cbranch_execz .LBB31_407
; %bb.400:
	ds_read_b128 v[1:4], v70
	v_cmp_ne_u32_e32 vcc_lo, 1, v71
	s_cbranch_vccnz .LBB31_402
; %bb.401:
	s_clause 0x3
	buffer_load_dword v72, v69, s[0:3], 0 offen offset:8
	buffer_load_dword v73, v69, s[0:3], 0 offen offset:12
	buffer_load_dword v76, v69, s[0:3], 0 offen
	buffer_load_dword v77, v69, s[0:3], 0 offen offset:4
	s_waitcnt vmcnt(2) lgkmcnt(0)
	v_mul_f64 v[78:79], v[3:4], v[72:73]
	v_mul_f64 v[72:73], v[1:2], v[72:73]
	s_waitcnt vmcnt(0)
	v_fma_f64 v[1:2], v[1:2], v[76:77], -v[78:79]
	v_fma_f64 v[3:4], v[3:4], v[76:77], v[72:73]
.LBB31_402:
	s_mov_b32 s6, exec_lo
	v_cmpx_ne_u32_e32 19, v0
	s_cbranch_execz .LBB31_406
; %bb.403:
	v_add_nc_u32_e32 v72, 0x210, v75
	v_add3_u32 v73, 0, v75, 16
	v_mov_b32_e32 v74, v0
	s_mov_b32 s8, 0
	.p2align	6
.LBB31_404:                             ; =>This Inner Loop Header: Depth=1
	s_clause 0x3
	buffer_load_dword v80, v73, s[0:3], 0 offen offset:8
	buffer_load_dword v81, v73, s[0:3], 0 offen offset:12
	buffer_load_dword v82, v73, s[0:3], 0 offen
	buffer_load_dword v83, v73, s[0:3], 0 offen offset:4
	ds_read_b128 v[76:79], v72
	v_add_nc_u32_e32 v74, 1, v74
	v_add_nc_u32_e32 v72, 16, v72
	;; [unrolled: 1-line block ×3, first 2 shown]
	v_cmp_lt_u32_e32 vcc_lo, 18, v74
	s_or_b32 s8, vcc_lo, s8
	s_waitcnt vmcnt(2) lgkmcnt(0)
	v_mul_f64 v[84:85], v[78:79], v[80:81]
	v_mul_f64 v[80:81], v[76:77], v[80:81]
	s_waitcnt vmcnt(0)
	v_fma_f64 v[76:77], v[76:77], v[82:83], -v[84:85]
	v_fma_f64 v[78:79], v[78:79], v[82:83], v[80:81]
	v_add_f64 v[1:2], v[1:2], v[76:77]
	v_add_f64 v[3:4], v[3:4], v[78:79]
	s_andn2_b32 exec_lo, exec_lo, s8
	s_cbranch_execnz .LBB31_404
; %bb.405:
	s_or_b32 exec_lo, exec_lo, s8
.LBB31_406:
	s_or_b32 exec_lo, exec_lo, s6
	v_mov_b32_e32 v72, 0
	ds_read_b128 v[76:79], v72 offset:320
	s_waitcnt lgkmcnt(0)
	v_mul_f64 v[72:73], v[3:4], v[78:79]
	v_mul_f64 v[78:79], v[1:2], v[78:79]
	v_fma_f64 v[1:2], v[1:2], v[76:77], -v[72:73]
	v_fma_f64 v[3:4], v[3:4], v[76:77], v[78:79]
	buffer_store_dword v2, off, s[0:3], 0 offset:324
	buffer_store_dword v1, off, s[0:3], 0 offset:320
	;; [unrolled: 1-line block ×4, first 2 shown]
.LBB31_407:
	s_or_b32 exec_lo, exec_lo, s4
	v_mov_b32_e32 v4, s18
	s_mov_b32 s4, exec_lo
	s_clause 0x3
	buffer_load_dword v1, v4, s[0:3], 0 offen
	buffer_load_dword v2, v4, s[0:3], 0 offen offset:4
	buffer_load_dword v3, v4, s[0:3], 0 offen offset:8
	;; [unrolled: 1-line block ×3, first 2 shown]
	s_waitcnt vmcnt(0)
	ds_write_b128 v70, v[1:4]
	s_waitcnt lgkmcnt(0)
	s_waitcnt_vscnt null, 0x0
	s_barrier
	buffer_gl0_inv
	v_cmpx_gt_u32_e32 21, v0
	s_cbranch_execz .LBB31_415
; %bb.408:
	ds_read_b128 v[1:4], v70
	v_cmp_ne_u32_e32 vcc_lo, 1, v71
	s_cbranch_vccnz .LBB31_410
; %bb.409:
	s_clause 0x3
	buffer_load_dword v72, v69, s[0:3], 0 offen offset:8
	buffer_load_dword v73, v69, s[0:3], 0 offen offset:12
	buffer_load_dword v76, v69, s[0:3], 0 offen
	buffer_load_dword v77, v69, s[0:3], 0 offen offset:4
	s_waitcnt vmcnt(2) lgkmcnt(0)
	v_mul_f64 v[78:79], v[3:4], v[72:73]
	v_mul_f64 v[72:73], v[1:2], v[72:73]
	s_waitcnt vmcnt(0)
	v_fma_f64 v[1:2], v[1:2], v[76:77], -v[78:79]
	v_fma_f64 v[3:4], v[3:4], v[76:77], v[72:73]
.LBB31_410:
	s_mov_b32 s6, exec_lo
	v_cmpx_ne_u32_e32 20, v0
	s_cbranch_execz .LBB31_414
; %bb.411:
	v_add_nc_u32_e32 v72, 0x210, v75
	v_add3_u32 v73, 0, v75, 16
	v_mov_b32_e32 v74, v0
	s_mov_b32 s8, 0
	.p2align	6
.LBB31_412:                             ; =>This Inner Loop Header: Depth=1
	s_clause 0x3
	buffer_load_dword v80, v73, s[0:3], 0 offen offset:8
	buffer_load_dword v81, v73, s[0:3], 0 offen offset:12
	buffer_load_dword v82, v73, s[0:3], 0 offen
	buffer_load_dword v83, v73, s[0:3], 0 offen offset:4
	ds_read_b128 v[76:79], v72
	v_add_nc_u32_e32 v74, 1, v74
	v_add_nc_u32_e32 v72, 16, v72
	;; [unrolled: 1-line block ×3, first 2 shown]
	v_cmp_lt_u32_e32 vcc_lo, 19, v74
	s_or_b32 s8, vcc_lo, s8
	s_waitcnt vmcnt(2) lgkmcnt(0)
	v_mul_f64 v[84:85], v[78:79], v[80:81]
	v_mul_f64 v[80:81], v[76:77], v[80:81]
	s_waitcnt vmcnt(0)
	v_fma_f64 v[76:77], v[76:77], v[82:83], -v[84:85]
	v_fma_f64 v[78:79], v[78:79], v[82:83], v[80:81]
	v_add_f64 v[1:2], v[1:2], v[76:77]
	v_add_f64 v[3:4], v[3:4], v[78:79]
	s_andn2_b32 exec_lo, exec_lo, s8
	s_cbranch_execnz .LBB31_412
; %bb.413:
	s_or_b32 exec_lo, exec_lo, s8
.LBB31_414:
	s_or_b32 exec_lo, exec_lo, s6
	v_mov_b32_e32 v72, 0
	ds_read_b128 v[76:79], v72 offset:336
	s_waitcnt lgkmcnt(0)
	v_mul_f64 v[72:73], v[3:4], v[78:79]
	v_mul_f64 v[78:79], v[1:2], v[78:79]
	v_fma_f64 v[1:2], v[1:2], v[76:77], -v[72:73]
	v_fma_f64 v[3:4], v[3:4], v[76:77], v[78:79]
	buffer_store_dword v2, off, s[0:3], 0 offset:340
	buffer_store_dword v1, off, s[0:3], 0 offset:336
	;; [unrolled: 1-line block ×4, first 2 shown]
.LBB31_415:
	s_or_b32 exec_lo, exec_lo, s4
	v_mov_b32_e32 v4, s17
	s_mov_b32 s4, exec_lo
	s_clause 0x3
	buffer_load_dword v1, v4, s[0:3], 0 offen
	buffer_load_dword v2, v4, s[0:3], 0 offen offset:4
	buffer_load_dword v3, v4, s[0:3], 0 offen offset:8
	;; [unrolled: 1-line block ×3, first 2 shown]
	s_waitcnt vmcnt(0)
	ds_write_b128 v70, v[1:4]
	s_waitcnt lgkmcnt(0)
	s_waitcnt_vscnt null, 0x0
	s_barrier
	buffer_gl0_inv
	v_cmpx_gt_u32_e32 22, v0
	s_cbranch_execz .LBB31_423
; %bb.416:
	ds_read_b128 v[1:4], v70
	v_cmp_ne_u32_e32 vcc_lo, 1, v71
	s_cbranch_vccnz .LBB31_418
; %bb.417:
	s_clause 0x3
	buffer_load_dword v72, v69, s[0:3], 0 offen offset:8
	buffer_load_dword v73, v69, s[0:3], 0 offen offset:12
	buffer_load_dword v76, v69, s[0:3], 0 offen
	buffer_load_dword v77, v69, s[0:3], 0 offen offset:4
	s_waitcnt vmcnt(2) lgkmcnt(0)
	v_mul_f64 v[78:79], v[3:4], v[72:73]
	v_mul_f64 v[72:73], v[1:2], v[72:73]
	s_waitcnt vmcnt(0)
	v_fma_f64 v[1:2], v[1:2], v[76:77], -v[78:79]
	v_fma_f64 v[3:4], v[3:4], v[76:77], v[72:73]
.LBB31_418:
	s_mov_b32 s6, exec_lo
	v_cmpx_ne_u32_e32 21, v0
	s_cbranch_execz .LBB31_422
; %bb.419:
	v_add_nc_u32_e32 v72, 0x210, v75
	v_add3_u32 v73, 0, v75, 16
	v_mov_b32_e32 v74, v0
	s_mov_b32 s8, 0
	.p2align	6
.LBB31_420:                             ; =>This Inner Loop Header: Depth=1
	s_clause 0x3
	buffer_load_dword v80, v73, s[0:3], 0 offen offset:8
	buffer_load_dword v81, v73, s[0:3], 0 offen offset:12
	buffer_load_dword v82, v73, s[0:3], 0 offen
	buffer_load_dword v83, v73, s[0:3], 0 offen offset:4
	ds_read_b128 v[76:79], v72
	v_add_nc_u32_e32 v74, 1, v74
	v_add_nc_u32_e32 v72, 16, v72
	;; [unrolled: 1-line block ×3, first 2 shown]
	v_cmp_lt_u32_e32 vcc_lo, 20, v74
	s_or_b32 s8, vcc_lo, s8
	s_waitcnt vmcnt(2) lgkmcnt(0)
	v_mul_f64 v[84:85], v[78:79], v[80:81]
	v_mul_f64 v[80:81], v[76:77], v[80:81]
	s_waitcnt vmcnt(0)
	v_fma_f64 v[76:77], v[76:77], v[82:83], -v[84:85]
	v_fma_f64 v[78:79], v[78:79], v[82:83], v[80:81]
	v_add_f64 v[1:2], v[1:2], v[76:77]
	v_add_f64 v[3:4], v[3:4], v[78:79]
	s_andn2_b32 exec_lo, exec_lo, s8
	s_cbranch_execnz .LBB31_420
; %bb.421:
	s_or_b32 exec_lo, exec_lo, s8
.LBB31_422:
	s_or_b32 exec_lo, exec_lo, s6
	v_mov_b32_e32 v72, 0
	ds_read_b128 v[76:79], v72 offset:352
	s_waitcnt lgkmcnt(0)
	v_mul_f64 v[72:73], v[3:4], v[78:79]
	v_mul_f64 v[78:79], v[1:2], v[78:79]
	v_fma_f64 v[1:2], v[1:2], v[76:77], -v[72:73]
	v_fma_f64 v[3:4], v[3:4], v[76:77], v[78:79]
	buffer_store_dword v2, off, s[0:3], 0 offset:356
	buffer_store_dword v1, off, s[0:3], 0 offset:352
	;; [unrolled: 1-line block ×4, first 2 shown]
.LBB31_423:
	s_or_b32 exec_lo, exec_lo, s4
	v_mov_b32_e32 v4, s16
	s_mov_b32 s4, exec_lo
	s_clause 0x3
	buffer_load_dword v1, v4, s[0:3], 0 offen
	buffer_load_dword v2, v4, s[0:3], 0 offen offset:4
	buffer_load_dword v3, v4, s[0:3], 0 offen offset:8
	;; [unrolled: 1-line block ×3, first 2 shown]
	s_waitcnt vmcnt(0)
	ds_write_b128 v70, v[1:4]
	s_waitcnt lgkmcnt(0)
	s_waitcnt_vscnt null, 0x0
	s_barrier
	buffer_gl0_inv
	v_cmpx_gt_u32_e32 23, v0
	s_cbranch_execz .LBB31_431
; %bb.424:
	ds_read_b128 v[1:4], v70
	v_cmp_ne_u32_e32 vcc_lo, 1, v71
	s_cbranch_vccnz .LBB31_426
; %bb.425:
	s_clause 0x3
	buffer_load_dword v72, v69, s[0:3], 0 offen offset:8
	buffer_load_dword v73, v69, s[0:3], 0 offen offset:12
	buffer_load_dword v76, v69, s[0:3], 0 offen
	buffer_load_dword v77, v69, s[0:3], 0 offen offset:4
	s_waitcnt vmcnt(2) lgkmcnt(0)
	v_mul_f64 v[78:79], v[3:4], v[72:73]
	v_mul_f64 v[72:73], v[1:2], v[72:73]
	s_waitcnt vmcnt(0)
	v_fma_f64 v[1:2], v[1:2], v[76:77], -v[78:79]
	v_fma_f64 v[3:4], v[3:4], v[76:77], v[72:73]
.LBB31_426:
	s_mov_b32 s6, exec_lo
	v_cmpx_ne_u32_e32 22, v0
	s_cbranch_execz .LBB31_430
; %bb.427:
	v_add_nc_u32_e32 v72, 0x210, v75
	v_add3_u32 v73, 0, v75, 16
	v_mov_b32_e32 v74, v0
	s_mov_b32 s8, 0
	.p2align	6
.LBB31_428:                             ; =>This Inner Loop Header: Depth=1
	s_clause 0x3
	buffer_load_dword v80, v73, s[0:3], 0 offen offset:8
	buffer_load_dword v81, v73, s[0:3], 0 offen offset:12
	buffer_load_dword v82, v73, s[0:3], 0 offen
	buffer_load_dword v83, v73, s[0:3], 0 offen offset:4
	ds_read_b128 v[76:79], v72
	v_add_nc_u32_e32 v74, 1, v74
	v_add_nc_u32_e32 v72, 16, v72
	v_add_nc_u32_e32 v73, 16, v73
	v_cmp_lt_u32_e32 vcc_lo, 21, v74
	s_or_b32 s8, vcc_lo, s8
	s_waitcnt vmcnt(2) lgkmcnt(0)
	v_mul_f64 v[84:85], v[78:79], v[80:81]
	v_mul_f64 v[80:81], v[76:77], v[80:81]
	s_waitcnt vmcnt(0)
	v_fma_f64 v[76:77], v[76:77], v[82:83], -v[84:85]
	v_fma_f64 v[78:79], v[78:79], v[82:83], v[80:81]
	v_add_f64 v[1:2], v[1:2], v[76:77]
	v_add_f64 v[3:4], v[3:4], v[78:79]
	s_andn2_b32 exec_lo, exec_lo, s8
	s_cbranch_execnz .LBB31_428
; %bb.429:
	s_or_b32 exec_lo, exec_lo, s8
.LBB31_430:
	s_or_b32 exec_lo, exec_lo, s6
	v_mov_b32_e32 v72, 0
	ds_read_b128 v[76:79], v72 offset:368
	s_waitcnt lgkmcnt(0)
	v_mul_f64 v[72:73], v[3:4], v[78:79]
	v_mul_f64 v[78:79], v[1:2], v[78:79]
	v_fma_f64 v[1:2], v[1:2], v[76:77], -v[72:73]
	v_fma_f64 v[3:4], v[3:4], v[76:77], v[78:79]
	buffer_store_dword v2, off, s[0:3], 0 offset:372
	buffer_store_dword v1, off, s[0:3], 0 offset:368
	;; [unrolled: 1-line block ×4, first 2 shown]
.LBB31_431:
	s_or_b32 exec_lo, exec_lo, s4
	v_mov_b32_e32 v4, s15
	s_mov_b32 s4, exec_lo
	s_clause 0x3
	buffer_load_dword v1, v4, s[0:3], 0 offen
	buffer_load_dword v2, v4, s[0:3], 0 offen offset:4
	buffer_load_dword v3, v4, s[0:3], 0 offen offset:8
	;; [unrolled: 1-line block ×3, first 2 shown]
	s_waitcnt vmcnt(0)
	ds_write_b128 v70, v[1:4]
	s_waitcnt lgkmcnt(0)
	s_waitcnt_vscnt null, 0x0
	s_barrier
	buffer_gl0_inv
	v_cmpx_gt_u32_e32 24, v0
	s_cbranch_execz .LBB31_439
; %bb.432:
	ds_read_b128 v[1:4], v70
	v_cmp_ne_u32_e32 vcc_lo, 1, v71
	s_cbranch_vccnz .LBB31_434
; %bb.433:
	s_clause 0x3
	buffer_load_dword v72, v69, s[0:3], 0 offen offset:8
	buffer_load_dword v73, v69, s[0:3], 0 offen offset:12
	buffer_load_dword v76, v69, s[0:3], 0 offen
	buffer_load_dword v77, v69, s[0:3], 0 offen offset:4
	s_waitcnt vmcnt(2) lgkmcnt(0)
	v_mul_f64 v[78:79], v[3:4], v[72:73]
	v_mul_f64 v[72:73], v[1:2], v[72:73]
	s_waitcnt vmcnt(0)
	v_fma_f64 v[1:2], v[1:2], v[76:77], -v[78:79]
	v_fma_f64 v[3:4], v[3:4], v[76:77], v[72:73]
.LBB31_434:
	s_mov_b32 s6, exec_lo
	v_cmpx_ne_u32_e32 23, v0
	s_cbranch_execz .LBB31_438
; %bb.435:
	v_add_nc_u32_e32 v72, 0x210, v75
	v_add3_u32 v73, 0, v75, 16
	v_mov_b32_e32 v74, v0
	s_mov_b32 s8, 0
	.p2align	6
.LBB31_436:                             ; =>This Inner Loop Header: Depth=1
	s_clause 0x3
	buffer_load_dword v80, v73, s[0:3], 0 offen offset:8
	buffer_load_dword v81, v73, s[0:3], 0 offen offset:12
	buffer_load_dword v82, v73, s[0:3], 0 offen
	buffer_load_dword v83, v73, s[0:3], 0 offen offset:4
	ds_read_b128 v[76:79], v72
	v_add_nc_u32_e32 v74, 1, v74
	v_add_nc_u32_e32 v72, 16, v72
	;; [unrolled: 1-line block ×3, first 2 shown]
	v_cmp_lt_u32_e32 vcc_lo, 22, v74
	s_or_b32 s8, vcc_lo, s8
	s_waitcnt vmcnt(2) lgkmcnt(0)
	v_mul_f64 v[84:85], v[78:79], v[80:81]
	v_mul_f64 v[80:81], v[76:77], v[80:81]
	s_waitcnt vmcnt(0)
	v_fma_f64 v[76:77], v[76:77], v[82:83], -v[84:85]
	v_fma_f64 v[78:79], v[78:79], v[82:83], v[80:81]
	v_add_f64 v[1:2], v[1:2], v[76:77]
	v_add_f64 v[3:4], v[3:4], v[78:79]
	s_andn2_b32 exec_lo, exec_lo, s8
	s_cbranch_execnz .LBB31_436
; %bb.437:
	s_or_b32 exec_lo, exec_lo, s8
.LBB31_438:
	s_or_b32 exec_lo, exec_lo, s6
	v_mov_b32_e32 v72, 0
	ds_read_b128 v[76:79], v72 offset:384
	s_waitcnt lgkmcnt(0)
	v_mul_f64 v[72:73], v[3:4], v[78:79]
	v_mul_f64 v[78:79], v[1:2], v[78:79]
	v_fma_f64 v[1:2], v[1:2], v[76:77], -v[72:73]
	v_fma_f64 v[3:4], v[3:4], v[76:77], v[78:79]
	buffer_store_dword v2, off, s[0:3], 0 offset:388
	buffer_store_dword v1, off, s[0:3], 0 offset:384
	;; [unrolled: 1-line block ×4, first 2 shown]
.LBB31_439:
	s_or_b32 exec_lo, exec_lo, s4
	v_mov_b32_e32 v4, s14
	s_mov_b32 s4, exec_lo
	s_clause 0x3
	buffer_load_dword v1, v4, s[0:3], 0 offen
	buffer_load_dword v2, v4, s[0:3], 0 offen offset:4
	buffer_load_dword v3, v4, s[0:3], 0 offen offset:8
	;; [unrolled: 1-line block ×3, first 2 shown]
	s_waitcnt vmcnt(0)
	ds_write_b128 v70, v[1:4]
	s_waitcnt lgkmcnt(0)
	s_waitcnt_vscnt null, 0x0
	s_barrier
	buffer_gl0_inv
	v_cmpx_gt_u32_e32 25, v0
	s_cbranch_execz .LBB31_447
; %bb.440:
	ds_read_b128 v[1:4], v70
	v_cmp_ne_u32_e32 vcc_lo, 1, v71
	s_cbranch_vccnz .LBB31_442
; %bb.441:
	s_clause 0x3
	buffer_load_dword v72, v69, s[0:3], 0 offen offset:8
	buffer_load_dword v73, v69, s[0:3], 0 offen offset:12
	buffer_load_dword v76, v69, s[0:3], 0 offen
	buffer_load_dword v77, v69, s[0:3], 0 offen offset:4
	s_waitcnt vmcnt(2) lgkmcnt(0)
	v_mul_f64 v[78:79], v[3:4], v[72:73]
	v_mul_f64 v[72:73], v[1:2], v[72:73]
	s_waitcnt vmcnt(0)
	v_fma_f64 v[1:2], v[1:2], v[76:77], -v[78:79]
	v_fma_f64 v[3:4], v[3:4], v[76:77], v[72:73]
.LBB31_442:
	s_mov_b32 s6, exec_lo
	v_cmpx_ne_u32_e32 24, v0
	s_cbranch_execz .LBB31_446
; %bb.443:
	v_add_nc_u32_e32 v72, 0x210, v75
	v_add3_u32 v73, 0, v75, 16
	v_mov_b32_e32 v74, v0
	s_mov_b32 s8, 0
	.p2align	6
.LBB31_444:                             ; =>This Inner Loop Header: Depth=1
	s_clause 0x3
	buffer_load_dword v80, v73, s[0:3], 0 offen offset:8
	buffer_load_dword v81, v73, s[0:3], 0 offen offset:12
	buffer_load_dword v82, v73, s[0:3], 0 offen
	buffer_load_dword v83, v73, s[0:3], 0 offen offset:4
	ds_read_b128 v[76:79], v72
	v_add_nc_u32_e32 v74, 1, v74
	v_add_nc_u32_e32 v72, 16, v72
	;; [unrolled: 1-line block ×3, first 2 shown]
	v_cmp_lt_u32_e32 vcc_lo, 23, v74
	s_or_b32 s8, vcc_lo, s8
	s_waitcnt vmcnt(2) lgkmcnt(0)
	v_mul_f64 v[84:85], v[78:79], v[80:81]
	v_mul_f64 v[80:81], v[76:77], v[80:81]
	s_waitcnt vmcnt(0)
	v_fma_f64 v[76:77], v[76:77], v[82:83], -v[84:85]
	v_fma_f64 v[78:79], v[78:79], v[82:83], v[80:81]
	v_add_f64 v[1:2], v[1:2], v[76:77]
	v_add_f64 v[3:4], v[3:4], v[78:79]
	s_andn2_b32 exec_lo, exec_lo, s8
	s_cbranch_execnz .LBB31_444
; %bb.445:
	s_or_b32 exec_lo, exec_lo, s8
.LBB31_446:
	s_or_b32 exec_lo, exec_lo, s6
	v_mov_b32_e32 v72, 0
	ds_read_b128 v[76:79], v72 offset:400
	s_waitcnt lgkmcnt(0)
	v_mul_f64 v[72:73], v[3:4], v[78:79]
	v_mul_f64 v[78:79], v[1:2], v[78:79]
	v_fma_f64 v[1:2], v[1:2], v[76:77], -v[72:73]
	v_fma_f64 v[3:4], v[3:4], v[76:77], v[78:79]
	buffer_store_dword v2, off, s[0:3], 0 offset:404
	buffer_store_dword v1, off, s[0:3], 0 offset:400
	;; [unrolled: 1-line block ×4, first 2 shown]
.LBB31_447:
	s_or_b32 exec_lo, exec_lo, s4
	v_mov_b32_e32 v4, s13
	s_mov_b32 s4, exec_lo
	s_clause 0x3
	buffer_load_dword v1, v4, s[0:3], 0 offen
	buffer_load_dword v2, v4, s[0:3], 0 offen offset:4
	buffer_load_dword v3, v4, s[0:3], 0 offen offset:8
	;; [unrolled: 1-line block ×3, first 2 shown]
	s_waitcnt vmcnt(0)
	ds_write_b128 v70, v[1:4]
	s_waitcnt lgkmcnt(0)
	s_waitcnt_vscnt null, 0x0
	s_barrier
	buffer_gl0_inv
	v_cmpx_gt_u32_e32 26, v0
	s_cbranch_execz .LBB31_455
; %bb.448:
	ds_read_b128 v[1:4], v70
	v_cmp_ne_u32_e32 vcc_lo, 1, v71
	s_cbranch_vccnz .LBB31_450
; %bb.449:
	s_clause 0x3
	buffer_load_dword v72, v69, s[0:3], 0 offen offset:8
	buffer_load_dword v73, v69, s[0:3], 0 offen offset:12
	buffer_load_dword v76, v69, s[0:3], 0 offen
	buffer_load_dword v77, v69, s[0:3], 0 offen offset:4
	s_waitcnt vmcnt(2) lgkmcnt(0)
	v_mul_f64 v[78:79], v[3:4], v[72:73]
	v_mul_f64 v[72:73], v[1:2], v[72:73]
	s_waitcnt vmcnt(0)
	v_fma_f64 v[1:2], v[1:2], v[76:77], -v[78:79]
	v_fma_f64 v[3:4], v[3:4], v[76:77], v[72:73]
.LBB31_450:
	s_mov_b32 s6, exec_lo
	v_cmpx_ne_u32_e32 25, v0
	s_cbranch_execz .LBB31_454
; %bb.451:
	v_add_nc_u32_e32 v72, 0x210, v75
	v_add3_u32 v73, 0, v75, 16
	v_mov_b32_e32 v74, v0
	s_mov_b32 s8, 0
	.p2align	6
.LBB31_452:                             ; =>This Inner Loop Header: Depth=1
	s_clause 0x3
	buffer_load_dword v80, v73, s[0:3], 0 offen offset:8
	buffer_load_dword v81, v73, s[0:3], 0 offen offset:12
	buffer_load_dword v82, v73, s[0:3], 0 offen
	buffer_load_dword v83, v73, s[0:3], 0 offen offset:4
	ds_read_b128 v[76:79], v72
	v_add_nc_u32_e32 v74, 1, v74
	v_add_nc_u32_e32 v72, 16, v72
	;; [unrolled: 1-line block ×3, first 2 shown]
	v_cmp_lt_u32_e32 vcc_lo, 24, v74
	s_or_b32 s8, vcc_lo, s8
	s_waitcnt vmcnt(2) lgkmcnt(0)
	v_mul_f64 v[84:85], v[78:79], v[80:81]
	v_mul_f64 v[80:81], v[76:77], v[80:81]
	s_waitcnt vmcnt(0)
	v_fma_f64 v[76:77], v[76:77], v[82:83], -v[84:85]
	v_fma_f64 v[78:79], v[78:79], v[82:83], v[80:81]
	v_add_f64 v[1:2], v[1:2], v[76:77]
	v_add_f64 v[3:4], v[3:4], v[78:79]
	s_andn2_b32 exec_lo, exec_lo, s8
	s_cbranch_execnz .LBB31_452
; %bb.453:
	s_or_b32 exec_lo, exec_lo, s8
.LBB31_454:
	s_or_b32 exec_lo, exec_lo, s6
	v_mov_b32_e32 v72, 0
	ds_read_b128 v[76:79], v72 offset:416
	s_waitcnt lgkmcnt(0)
	v_mul_f64 v[72:73], v[3:4], v[78:79]
	v_mul_f64 v[78:79], v[1:2], v[78:79]
	v_fma_f64 v[1:2], v[1:2], v[76:77], -v[72:73]
	v_fma_f64 v[3:4], v[3:4], v[76:77], v[78:79]
	buffer_store_dword v2, off, s[0:3], 0 offset:420
	buffer_store_dword v1, off, s[0:3], 0 offset:416
	;; [unrolled: 1-line block ×4, first 2 shown]
.LBB31_455:
	s_or_b32 exec_lo, exec_lo, s4
	v_mov_b32_e32 v4, s12
	s_mov_b32 s4, exec_lo
	s_clause 0x3
	buffer_load_dword v1, v4, s[0:3], 0 offen
	buffer_load_dword v2, v4, s[0:3], 0 offen offset:4
	buffer_load_dword v3, v4, s[0:3], 0 offen offset:8
	;; [unrolled: 1-line block ×3, first 2 shown]
	s_waitcnt vmcnt(0)
	ds_write_b128 v70, v[1:4]
	s_waitcnt lgkmcnt(0)
	s_waitcnt_vscnt null, 0x0
	s_barrier
	buffer_gl0_inv
	v_cmpx_gt_u32_e32 27, v0
	s_cbranch_execz .LBB31_463
; %bb.456:
	ds_read_b128 v[1:4], v70
	v_cmp_ne_u32_e32 vcc_lo, 1, v71
	s_cbranch_vccnz .LBB31_458
; %bb.457:
	s_clause 0x3
	buffer_load_dword v72, v69, s[0:3], 0 offen offset:8
	buffer_load_dword v73, v69, s[0:3], 0 offen offset:12
	buffer_load_dword v76, v69, s[0:3], 0 offen
	buffer_load_dword v77, v69, s[0:3], 0 offen offset:4
	s_waitcnt vmcnt(2) lgkmcnt(0)
	v_mul_f64 v[78:79], v[3:4], v[72:73]
	v_mul_f64 v[72:73], v[1:2], v[72:73]
	s_waitcnt vmcnt(0)
	v_fma_f64 v[1:2], v[1:2], v[76:77], -v[78:79]
	v_fma_f64 v[3:4], v[3:4], v[76:77], v[72:73]
.LBB31_458:
	s_mov_b32 s6, exec_lo
	v_cmpx_ne_u32_e32 26, v0
	s_cbranch_execz .LBB31_462
; %bb.459:
	v_add_nc_u32_e32 v72, 0x210, v75
	v_add3_u32 v73, 0, v75, 16
	v_mov_b32_e32 v74, v0
	s_mov_b32 s8, 0
	.p2align	6
.LBB31_460:                             ; =>This Inner Loop Header: Depth=1
	s_clause 0x3
	buffer_load_dword v80, v73, s[0:3], 0 offen offset:8
	buffer_load_dword v81, v73, s[0:3], 0 offen offset:12
	buffer_load_dword v82, v73, s[0:3], 0 offen
	buffer_load_dword v83, v73, s[0:3], 0 offen offset:4
	ds_read_b128 v[76:79], v72
	v_add_nc_u32_e32 v74, 1, v74
	v_add_nc_u32_e32 v72, 16, v72
	v_add_nc_u32_e32 v73, 16, v73
	v_cmp_lt_u32_e32 vcc_lo, 25, v74
	s_or_b32 s8, vcc_lo, s8
	s_waitcnt vmcnt(2) lgkmcnt(0)
	v_mul_f64 v[84:85], v[78:79], v[80:81]
	v_mul_f64 v[80:81], v[76:77], v[80:81]
	s_waitcnt vmcnt(0)
	v_fma_f64 v[76:77], v[76:77], v[82:83], -v[84:85]
	v_fma_f64 v[78:79], v[78:79], v[82:83], v[80:81]
	v_add_f64 v[1:2], v[1:2], v[76:77]
	v_add_f64 v[3:4], v[3:4], v[78:79]
	s_andn2_b32 exec_lo, exec_lo, s8
	s_cbranch_execnz .LBB31_460
; %bb.461:
	s_or_b32 exec_lo, exec_lo, s8
.LBB31_462:
	s_or_b32 exec_lo, exec_lo, s6
	v_mov_b32_e32 v72, 0
	ds_read_b128 v[76:79], v72 offset:432
	s_waitcnt lgkmcnt(0)
	v_mul_f64 v[72:73], v[3:4], v[78:79]
	v_mul_f64 v[78:79], v[1:2], v[78:79]
	v_fma_f64 v[1:2], v[1:2], v[76:77], -v[72:73]
	v_fma_f64 v[3:4], v[3:4], v[76:77], v[78:79]
	buffer_store_dword v2, off, s[0:3], 0 offset:436
	buffer_store_dword v1, off, s[0:3], 0 offset:432
	;; [unrolled: 1-line block ×4, first 2 shown]
.LBB31_463:
	s_or_b32 exec_lo, exec_lo, s4
	v_mov_b32_e32 v4, s11
	s_mov_b32 s4, exec_lo
	s_clause 0x3
	buffer_load_dword v1, v4, s[0:3], 0 offen
	buffer_load_dword v2, v4, s[0:3], 0 offen offset:4
	buffer_load_dword v3, v4, s[0:3], 0 offen offset:8
	;; [unrolled: 1-line block ×3, first 2 shown]
	s_waitcnt vmcnt(0)
	ds_write_b128 v70, v[1:4]
	s_waitcnt lgkmcnt(0)
	s_waitcnt_vscnt null, 0x0
	s_barrier
	buffer_gl0_inv
	v_cmpx_gt_u32_e32 28, v0
	s_cbranch_execz .LBB31_471
; %bb.464:
	ds_read_b128 v[1:4], v70
	v_cmp_ne_u32_e32 vcc_lo, 1, v71
	s_cbranch_vccnz .LBB31_466
; %bb.465:
	s_clause 0x3
	buffer_load_dword v72, v69, s[0:3], 0 offen offset:8
	buffer_load_dword v73, v69, s[0:3], 0 offen offset:12
	buffer_load_dword v76, v69, s[0:3], 0 offen
	buffer_load_dword v77, v69, s[0:3], 0 offen offset:4
	s_waitcnt vmcnt(2) lgkmcnt(0)
	v_mul_f64 v[78:79], v[3:4], v[72:73]
	v_mul_f64 v[72:73], v[1:2], v[72:73]
	s_waitcnt vmcnt(0)
	v_fma_f64 v[1:2], v[1:2], v[76:77], -v[78:79]
	v_fma_f64 v[3:4], v[3:4], v[76:77], v[72:73]
.LBB31_466:
	s_mov_b32 s6, exec_lo
	v_cmpx_ne_u32_e32 27, v0
	s_cbranch_execz .LBB31_470
; %bb.467:
	v_add_nc_u32_e32 v72, 0x210, v75
	v_add3_u32 v73, 0, v75, 16
	v_mov_b32_e32 v74, v0
	s_mov_b32 s8, 0
	.p2align	6
.LBB31_468:                             ; =>This Inner Loop Header: Depth=1
	s_clause 0x3
	buffer_load_dword v80, v73, s[0:3], 0 offen offset:8
	buffer_load_dword v81, v73, s[0:3], 0 offen offset:12
	buffer_load_dword v82, v73, s[0:3], 0 offen
	buffer_load_dword v83, v73, s[0:3], 0 offen offset:4
	ds_read_b128 v[76:79], v72
	v_add_nc_u32_e32 v74, 1, v74
	v_add_nc_u32_e32 v72, 16, v72
	;; [unrolled: 1-line block ×3, first 2 shown]
	v_cmp_lt_u32_e32 vcc_lo, 26, v74
	s_or_b32 s8, vcc_lo, s8
	s_waitcnt vmcnt(2) lgkmcnt(0)
	v_mul_f64 v[84:85], v[78:79], v[80:81]
	v_mul_f64 v[80:81], v[76:77], v[80:81]
	s_waitcnt vmcnt(0)
	v_fma_f64 v[76:77], v[76:77], v[82:83], -v[84:85]
	v_fma_f64 v[78:79], v[78:79], v[82:83], v[80:81]
	v_add_f64 v[1:2], v[1:2], v[76:77]
	v_add_f64 v[3:4], v[3:4], v[78:79]
	s_andn2_b32 exec_lo, exec_lo, s8
	s_cbranch_execnz .LBB31_468
; %bb.469:
	s_or_b32 exec_lo, exec_lo, s8
.LBB31_470:
	s_or_b32 exec_lo, exec_lo, s6
	v_mov_b32_e32 v72, 0
	ds_read_b128 v[76:79], v72 offset:448
	s_waitcnt lgkmcnt(0)
	v_mul_f64 v[72:73], v[3:4], v[78:79]
	v_mul_f64 v[78:79], v[1:2], v[78:79]
	v_fma_f64 v[1:2], v[1:2], v[76:77], -v[72:73]
	v_fma_f64 v[3:4], v[3:4], v[76:77], v[78:79]
	buffer_store_dword v2, off, s[0:3], 0 offset:452
	buffer_store_dword v1, off, s[0:3], 0 offset:448
	;; [unrolled: 1-line block ×4, first 2 shown]
.LBB31_471:
	s_or_b32 exec_lo, exec_lo, s4
	v_mov_b32_e32 v4, s10
	s_mov_b32 s4, exec_lo
	s_clause 0x3
	buffer_load_dword v1, v4, s[0:3], 0 offen
	buffer_load_dword v2, v4, s[0:3], 0 offen offset:4
	buffer_load_dword v3, v4, s[0:3], 0 offen offset:8
	;; [unrolled: 1-line block ×3, first 2 shown]
	s_waitcnt vmcnt(0)
	ds_write_b128 v70, v[1:4]
	s_waitcnt lgkmcnt(0)
	s_waitcnt_vscnt null, 0x0
	s_barrier
	buffer_gl0_inv
	v_cmpx_gt_u32_e32 29, v0
	s_cbranch_execz .LBB31_479
; %bb.472:
	ds_read_b128 v[1:4], v70
	v_cmp_ne_u32_e32 vcc_lo, 1, v71
	s_cbranch_vccnz .LBB31_474
; %bb.473:
	s_clause 0x3
	buffer_load_dword v72, v69, s[0:3], 0 offen offset:8
	buffer_load_dword v73, v69, s[0:3], 0 offen offset:12
	buffer_load_dword v76, v69, s[0:3], 0 offen
	buffer_load_dword v77, v69, s[0:3], 0 offen offset:4
	s_waitcnt vmcnt(2) lgkmcnt(0)
	v_mul_f64 v[78:79], v[3:4], v[72:73]
	v_mul_f64 v[72:73], v[1:2], v[72:73]
	s_waitcnt vmcnt(0)
	v_fma_f64 v[1:2], v[1:2], v[76:77], -v[78:79]
	v_fma_f64 v[3:4], v[3:4], v[76:77], v[72:73]
.LBB31_474:
	s_mov_b32 s6, exec_lo
	v_cmpx_ne_u32_e32 28, v0
	s_cbranch_execz .LBB31_478
; %bb.475:
	v_add_nc_u32_e32 v72, 0x210, v75
	v_add3_u32 v73, 0, v75, 16
	v_mov_b32_e32 v74, v0
	s_mov_b32 s8, 0
	.p2align	6
.LBB31_476:                             ; =>This Inner Loop Header: Depth=1
	s_clause 0x3
	buffer_load_dword v80, v73, s[0:3], 0 offen offset:8
	buffer_load_dword v81, v73, s[0:3], 0 offen offset:12
	buffer_load_dword v82, v73, s[0:3], 0 offen
	buffer_load_dword v83, v73, s[0:3], 0 offen offset:4
	ds_read_b128 v[76:79], v72
	v_add_nc_u32_e32 v74, 1, v74
	v_add_nc_u32_e32 v72, 16, v72
	;; [unrolled: 1-line block ×3, first 2 shown]
	v_cmp_lt_u32_e32 vcc_lo, 27, v74
	s_or_b32 s8, vcc_lo, s8
	s_waitcnt vmcnt(2) lgkmcnt(0)
	v_mul_f64 v[84:85], v[78:79], v[80:81]
	v_mul_f64 v[80:81], v[76:77], v[80:81]
	s_waitcnt vmcnt(0)
	v_fma_f64 v[76:77], v[76:77], v[82:83], -v[84:85]
	v_fma_f64 v[78:79], v[78:79], v[82:83], v[80:81]
	v_add_f64 v[1:2], v[1:2], v[76:77]
	v_add_f64 v[3:4], v[3:4], v[78:79]
	s_andn2_b32 exec_lo, exec_lo, s8
	s_cbranch_execnz .LBB31_476
; %bb.477:
	s_or_b32 exec_lo, exec_lo, s8
.LBB31_478:
	s_or_b32 exec_lo, exec_lo, s6
	v_mov_b32_e32 v72, 0
	ds_read_b128 v[76:79], v72 offset:464
	s_waitcnt lgkmcnt(0)
	v_mul_f64 v[72:73], v[3:4], v[78:79]
	v_mul_f64 v[78:79], v[1:2], v[78:79]
	v_fma_f64 v[1:2], v[1:2], v[76:77], -v[72:73]
	v_fma_f64 v[3:4], v[3:4], v[76:77], v[78:79]
	buffer_store_dword v2, off, s[0:3], 0 offset:468
	buffer_store_dword v1, off, s[0:3], 0 offset:464
	;; [unrolled: 1-line block ×4, first 2 shown]
.LBB31_479:
	s_or_b32 exec_lo, exec_lo, s4
	v_mov_b32_e32 v4, s9
	v_cmp_gt_u32_e64 s4, 30, v0
	s_clause 0x3
	buffer_load_dword v1, v4, s[0:3], 0 offen
	buffer_load_dword v2, v4, s[0:3], 0 offen offset:4
	buffer_load_dword v3, v4, s[0:3], 0 offen offset:8
	;; [unrolled: 1-line block ×3, first 2 shown]
	s_waitcnt vmcnt(0)
	ds_write_b128 v70, v[1:4]
	s_waitcnt lgkmcnt(0)
	s_waitcnt_vscnt null, 0x0
	s_barrier
	buffer_gl0_inv
	s_and_saveexec_b32 s6, s4
	s_cbranch_execz .LBB31_487
; %bb.480:
	ds_read_b128 v[1:4], v70
	v_cmp_ne_u32_e32 vcc_lo, 1, v71
	s_cbranch_vccnz .LBB31_482
; %bb.481:
	s_clause 0x3
	buffer_load_dword v72, v69, s[0:3], 0 offen offset:8
	buffer_load_dword v73, v69, s[0:3], 0 offen offset:12
	buffer_load_dword v76, v69, s[0:3], 0 offen
	buffer_load_dword v77, v69, s[0:3], 0 offen offset:4
	s_waitcnt vmcnt(2) lgkmcnt(0)
	v_mul_f64 v[78:79], v[3:4], v[72:73]
	v_mul_f64 v[72:73], v[1:2], v[72:73]
	s_waitcnt vmcnt(0)
	v_fma_f64 v[1:2], v[1:2], v[76:77], -v[78:79]
	v_fma_f64 v[3:4], v[3:4], v[76:77], v[72:73]
.LBB31_482:
	s_mov_b32 s8, exec_lo
	v_cmpx_ne_u32_e32 29, v0
	s_cbranch_execz .LBB31_486
; %bb.483:
	v_add_nc_u32_e32 v72, 0x210, v75
	v_add3_u32 v73, 0, v75, 16
	v_mov_b32_e32 v74, v0
	s_mov_b32 s40, 0
	.p2align	6
.LBB31_484:                             ; =>This Inner Loop Header: Depth=1
	s_clause 0x3
	buffer_load_dword v80, v73, s[0:3], 0 offen offset:8
	buffer_load_dword v81, v73, s[0:3], 0 offen offset:12
	buffer_load_dword v82, v73, s[0:3], 0 offen
	buffer_load_dword v83, v73, s[0:3], 0 offen offset:4
	ds_read_b128 v[76:79], v72
	v_add_nc_u32_e32 v74, 1, v74
	v_add_nc_u32_e32 v72, 16, v72
	;; [unrolled: 1-line block ×3, first 2 shown]
	v_cmp_lt_u32_e32 vcc_lo, 28, v74
	s_or_b32 s40, vcc_lo, s40
	s_waitcnt vmcnt(2) lgkmcnt(0)
	v_mul_f64 v[84:85], v[78:79], v[80:81]
	v_mul_f64 v[80:81], v[76:77], v[80:81]
	s_waitcnt vmcnt(0)
	v_fma_f64 v[76:77], v[76:77], v[82:83], -v[84:85]
	v_fma_f64 v[78:79], v[78:79], v[82:83], v[80:81]
	v_add_f64 v[1:2], v[1:2], v[76:77]
	v_add_f64 v[3:4], v[3:4], v[78:79]
	s_andn2_b32 exec_lo, exec_lo, s40
	s_cbranch_execnz .LBB31_484
; %bb.485:
	s_or_b32 exec_lo, exec_lo, s40
.LBB31_486:
	s_or_b32 exec_lo, exec_lo, s8
	v_mov_b32_e32 v72, 0
	ds_read_b128 v[76:79], v72 offset:480
	s_waitcnt lgkmcnt(0)
	v_mul_f64 v[72:73], v[3:4], v[78:79]
	v_mul_f64 v[78:79], v[1:2], v[78:79]
	v_fma_f64 v[1:2], v[1:2], v[76:77], -v[72:73]
	v_fma_f64 v[3:4], v[3:4], v[76:77], v[78:79]
	buffer_store_dword v2, off, s[0:3], 0 offset:484
	buffer_store_dword v1, off, s[0:3], 0 offset:480
	;; [unrolled: 1-line block ×4, first 2 shown]
.LBB31_487:
	s_or_b32 exec_lo, exec_lo, s6
	v_mov_b32_e32 v4, s7
	s_mov_b32 s6, exec_lo
                                        ; implicit-def: $sgpr41
	s_clause 0x3
	buffer_load_dword v1, v4, s[0:3], 0 offen
	buffer_load_dword v2, v4, s[0:3], 0 offen offset:4
	buffer_load_dword v3, v4, s[0:3], 0 offen offset:8
	;; [unrolled: 1-line block ×3, first 2 shown]
	s_waitcnt vmcnt(0)
	ds_write_b128 v70, v[1:4]
	s_waitcnt lgkmcnt(0)
	s_waitcnt_vscnt null, 0x0
	s_barrier
	buffer_gl0_inv
                                        ; implicit-def: $vgpr1_vgpr2
	v_cmpx_ne_u32_e32 31, v0
	s_cbranch_execz .LBB31_495
; %bb.488:
	ds_read_b128 v[1:4], v70
	v_cmp_ne_u32_e32 vcc_lo, 1, v71
	s_cbranch_vccnz .LBB31_490
; %bb.489:
	s_clause 0x3
	buffer_load_dword v70, v69, s[0:3], 0 offen offset:8
	buffer_load_dword v71, v69, s[0:3], 0 offen offset:12
	buffer_load_dword v72, v69, s[0:3], 0 offen
	buffer_load_dword v73, v69, s[0:3], 0 offen offset:4
	s_waitcnt vmcnt(2) lgkmcnt(0)
	v_mul_f64 v[76:77], v[3:4], v[70:71]
	v_mul_f64 v[69:70], v[1:2], v[70:71]
	s_waitcnt vmcnt(0)
	v_fma_f64 v[1:2], v[1:2], v[72:73], -v[76:77]
	v_fma_f64 v[3:4], v[3:4], v[72:73], v[69:70]
.LBB31_490:
	s_and_saveexec_b32 s8, s4
	s_cbranch_execz .LBB31_494
; %bb.491:
	v_add_nc_u32_e32 v69, 0x210, v75
	v_add3_u32 v70, 0, v75, 16
	s_mov_b32 s4, 0
	.p2align	6
.LBB31_492:                             ; =>This Inner Loop Header: Depth=1
	s_clause 0x3
	buffer_load_dword v75, v70, s[0:3], 0 offen offset:8
	buffer_load_dword v76, v70, s[0:3], 0 offen offset:12
	buffer_load_dword v77, v70, s[0:3], 0 offen
	buffer_load_dword v78, v70, s[0:3], 0 offen offset:4
	ds_read_b128 v[71:74], v69
	v_add_nc_u32_e32 v0, 1, v0
	v_add_nc_u32_e32 v69, 16, v69
	;; [unrolled: 1-line block ×3, first 2 shown]
	v_cmp_lt_u32_e32 vcc_lo, 29, v0
	s_or_b32 s4, vcc_lo, s4
	s_waitcnt vmcnt(2) lgkmcnt(0)
	v_mul_f64 v[79:80], v[73:74], v[75:76]
	v_mul_f64 v[75:76], v[71:72], v[75:76]
	s_waitcnt vmcnt(0)
	v_fma_f64 v[71:72], v[71:72], v[77:78], -v[79:80]
	v_fma_f64 v[73:74], v[73:74], v[77:78], v[75:76]
	v_add_f64 v[1:2], v[1:2], v[71:72]
	v_add_f64 v[3:4], v[3:4], v[73:74]
	s_andn2_b32 exec_lo, exec_lo, s4
	s_cbranch_execnz .LBB31_492
; %bb.493:
	s_or_b32 exec_lo, exec_lo, s4
.LBB31_494:
	s_or_b32 exec_lo, exec_lo, s8
	v_mov_b32_e32 v0, 0
	s_movk_i32 s41, 0x1f8
	s_or_b32 s5, s5, exec_lo
	ds_read_b128 v[69:72], v0 offset:496
	s_waitcnt lgkmcnt(0)
	v_mul_f64 v[73:74], v[3:4], v[71:72]
	v_mul_f64 v[71:72], v[1:2], v[71:72]
	v_fma_f64 v[73:74], v[1:2], v[69:70], -v[73:74]
	v_fma_f64 v[1:2], v[3:4], v[69:70], v[71:72]
	buffer_store_dword v74, off, s[0:3], 0 offset:500
	buffer_store_dword v73, off, s[0:3], 0 offset:496
.LBB31_495:
	s_or_b32 exec_lo, exec_lo, s6
.LBB31_496:
	s_and_saveexec_b32 s4, s5
	s_cbranch_execz .LBB31_498
; %bb.497:
	v_mov_b32_e32 v0, s41
	buffer_store_dword v2, v0, s[0:3], 0 offen offset:4
	buffer_store_dword v1, v0, s[0:3], 0 offen
.LBB31_498:
	s_or_b32 exec_lo, exec_lo, s4
	v_mov_b32_e32 v3, s39
	v_mov_b32_e32 v76, s36
	;; [unrolled: 1-line block ×6, first 2 shown]
	s_clause 0x1b
	buffer_load_dword v0, v3, s[0:3], 0 offen
	buffer_load_dword v1, v3, s[0:3], 0 offen offset:4
	buffer_load_dword v2, v3, s[0:3], 0 offen offset:8
	buffer_load_dword v3, v3, s[0:3], 0 offen offset:12
	buffer_load_dword v69, v72, s[0:3], 0 offen
	buffer_load_dword v70, v72, s[0:3], 0 offen offset:4
	buffer_load_dword v71, v72, s[0:3], 0 offen offset:8
	buffer_load_dword v72, v72, s[0:3], 0 offen offset:12
	;; [unrolled: 4-line block ×6, first 2 shown]
	buffer_load_dword v89, off, s[0:3], 0
	buffer_load_dword v90, off, s[0:3], 0 offset:4
	buffer_load_dword v91, off, s[0:3], 0 offset:8
	;; [unrolled: 1-line block ×3, first 2 shown]
	v_mov_b32_e32 v4, s33
	v_mov_b32_e32 v102, s9
	;; [unrolled: 1-line block ×4, first 2 shown]
	s_waitcnt vmcnt(0)
	global_store_dwordx4 v[51:52], v[89:92], off
	v_mov_b32_e32 v51, s31
	s_clause 0x3
	buffer_load_dword v89, v4, s[0:3], 0 offen
	buffer_load_dword v90, v4, s[0:3], 0 offen offset:4
	buffer_load_dword v91, v4, s[0:3], 0 offen offset:8
	;; [unrolled: 1-line block ×3, first 2 shown]
	v_mov_b32_e32 v4, s30
	global_store_dwordx4 v[41:42], v[85:88], off
	s_clause 0x3
	buffer_load_dword v85, v51, s[0:3], 0 offen
	buffer_load_dword v86, v51, s[0:3], 0 offen offset:4
	buffer_load_dword v87, v51, s[0:3], 0 offen offset:8
	;; [unrolled: 1-line block ×3, first 2 shown]
	v_mov_b32_e32 v41, s29
	global_store_dwordx4 v[45:46], v[0:3], off
	s_clause 0x7
	buffer_load_dword v0, v4, s[0:3], 0 offen
	buffer_load_dword v1, v4, s[0:3], 0 offen offset:4
	buffer_load_dword v2, v4, s[0:3], 0 offen offset:8
	;; [unrolled: 1-line block ×3, first 2 shown]
	buffer_load_dword v93, v41, s[0:3], 0 offen
	buffer_load_dword v94, v41, s[0:3], 0 offen offset:4
	buffer_load_dword v95, v41, s[0:3], 0 offen offset:8
	;; [unrolled: 1-line block ×3, first 2 shown]
	v_mov_b32_e32 v4, s28
	v_mov_b32_e32 v45, s27
	global_store_dwordx4 v[43:44], v[69:72], off
	s_clause 0x7
	buffer_load_dword v41, v4, s[0:3], 0 offen
	buffer_load_dword v42, v4, s[0:3], 0 offen offset:4
	buffer_load_dword v43, v4, s[0:3], 0 offen offset:8
	;; [unrolled: 1-line block ×3, first 2 shown]
	buffer_load_dword v69, v45, s[0:3], 0 offen
	buffer_load_dword v70, v45, s[0:3], 0 offen offset:4
	buffer_load_dword v71, v45, s[0:3], 0 offen offset:8
	;; [unrolled: 1-line block ×3, first 2 shown]
	v_mov_b32_e32 v4, s26
	global_store_dwordx4 v[37:38], v[73:76], off
	s_clause 0x3
	buffer_load_dword v73, v4, s[0:3], 0 offen
	buffer_load_dword v74, v4, s[0:3], 0 offen offset:4
	buffer_load_dword v75, v4, s[0:3], 0 offen offset:8
	;; [unrolled: 1-line block ×3, first 2 shown]
	v_mov_b32_e32 v4, s25
	v_mov_b32_e32 v37, s24
	global_store_dwordx4 v[33:34], v[77:80], off
	s_clause 0x7
	buffer_load_dword v77, v4, s[0:3], 0 offen
	buffer_load_dword v78, v4, s[0:3], 0 offen offset:4
	buffer_load_dword v79, v4, s[0:3], 0 offen offset:8
	buffer_load_dword v80, v4, s[0:3], 0 offen offset:12
	buffer_load_dword v97, v37, s[0:3], 0 offen
	buffer_load_dword v98, v37, s[0:3], 0 offen offset:4
	buffer_load_dword v99, v37, s[0:3], 0 offen offset:8
	;; [unrolled: 1-line block ×3, first 2 shown]
	v_mov_b32_e32 v4, s23
	global_store_dwordx4 v[39:40], v[81:84], off
	s_clause 0x3
	buffer_load_dword v37, v4, s[0:3], 0 offen
	buffer_load_dword v38, v4, s[0:3], 0 offen offset:4
	buffer_load_dword v39, v4, s[0:3], 0 offen offset:8
	;; [unrolled: 1-line block ×3, first 2 shown]
	v_mov_b32_e32 v4, s22
	v_mov_b32_e32 v33, s21
	;; [unrolled: 1-line block ×6, first 2 shown]
	s_waitcnt vmcnt(36)
	global_store_dwordx4 v[35:36], v[89:92], off
	v_mov_b32_e32 v89, s15
	v_mov_b32_e32 v36, s20
	;; [unrolled: 1-line block ×3, first 2 shown]
	s_waitcnt vmcnt(32)
	global_store_dwordx4 v[23:24], v[85:88], off
	s_waitcnt vmcnt(28)
	global_store_dwordx4 v[9:10], v[0:3], off
	v_mov_b32_e32 v24, s13
	s_clause 0x3
	buffer_load_dword v0, v4, s[0:3], 0 offen
	buffer_load_dword v1, v4, s[0:3], 0 offen offset:4
	buffer_load_dword v2, v4, s[0:3], 0 offen offset:8
	;; [unrolled: 1-line block ×3, first 2 shown]
	s_waitcnt vmcnt(28)
	global_store_dwordx4 v[7:8], v[93:96], off
	s_clause 0x7
	buffer_load_dword v7, v33, s[0:3], 0 offen
	buffer_load_dword v8, v33, s[0:3], 0 offen offset:4
	buffer_load_dword v9, v33, s[0:3], 0 offen offset:8
	;; [unrolled: 1-line block ×3, first 2 shown]
	buffer_load_dword v33, v36, s[0:3], 0 offen
	buffer_load_dword v34, v36, s[0:3], 0 offen offset:4
	buffer_load_dword v35, v36, s[0:3], 0 offen offset:8
	;; [unrolled: 1-line block ×3, first 2 shown]
	s_waitcnt vmcnt(32)
	global_store_dwordx4 v[11:12], v[41:44], off
	s_clause 0x7
	buffer_load_dword v41, v45, s[0:3], 0 offen
	buffer_load_dword v42, v45, s[0:3], 0 offen offset:4
	buffer_load_dword v43, v45, s[0:3], 0 offen offset:8
	;; [unrolled: 1-line block ×3, first 2 shown]
	buffer_load_dword v81, v46, s[0:3], 0 offen
	buffer_load_dword v82, v46, s[0:3], 0 offen offset:4
	buffer_load_dword v83, v46, s[0:3], 0 offen offset:8
	;; [unrolled: 1-line block ×3, first 2 shown]
	v_mov_b32_e32 v23, s14
	s_waitcnt vmcnt(36)
	global_store_dwordx4 v[13:14], v[69:72], off
	s_clause 0x7
	buffer_load_dword v11, v51, s[0:3], 0 offen
	buffer_load_dword v12, v51, s[0:3], 0 offen offset:4
	buffer_load_dword v13, v51, s[0:3], 0 offen offset:8
	;; [unrolled: 1-line block ×3, first 2 shown]
	buffer_load_dword v69, v52, s[0:3], 0 offen
	buffer_load_dword v70, v52, s[0:3], 0 offen offset:4
	buffer_load_dword v71, v52, s[0:3], 0 offen offset:8
	;; [unrolled: 1-line block ×3, first 2 shown]
	v_mov_b32_e32 v90, s12
	s_waitcnt vmcnt(40)
	global_store_dwordx4 v[19:20], v[73:76], off
	s_clause 0x7
	buffer_load_dword v73, v89, s[0:3], 0 offen
	buffer_load_dword v74, v89, s[0:3], 0 offen offset:4
	buffer_load_dword v75, v89, s[0:3], 0 offen offset:8
	buffer_load_dword v76, v89, s[0:3], 0 offen offset:12
	buffer_load_dword v85, v23, s[0:3], 0 offen
	buffer_load_dword v86, v23, s[0:3], 0 offen offset:4
	buffer_load_dword v87, v23, s[0:3], 0 offen offset:8
	buffer_load_dword v88, v23, s[0:3], 0 offen offset:12
	s_waitcnt vmcnt(44)
	global_store_dwordx4 v[17:18], v[77:80], off
	s_clause 0x7
	buffer_load_dword v17, v24, s[0:3], 0 offen
	buffer_load_dword v18, v24, s[0:3], 0 offen offset:4
	buffer_load_dword v19, v24, s[0:3], 0 offen offset:8
	buffer_load_dword v20, v24, s[0:3], 0 offen offset:12
	buffer_load_dword v77, v90, s[0:3], 0 offen
	buffer_load_dword v78, v90, s[0:3], 0 offen offset:4
	buffer_load_dword v79, v90, s[0:3], 0 offen offset:8
	buffer_load_dword v80, v90, s[0:3], 0 offen offset:12
	;; [unrolled: 11-line block ×4, first 2 shown]
	s_waitcnt vmcnt(56)
	global_store_dwordx4 v[25:26], v[0:3], off
	s_waitcnt vmcnt(52)
	global_store_dwordx4 v[27:28], v[7:10], off
	;; [unrolled: 2-line block ×15, first 2 shown]
.LBB31_499:
	s_endpgm
	.section	.rodata,"a",@progbits
	.p2align	6, 0x0
	.amdhsa_kernel _ZN9rocsolver6v33100L18trti2_kernel_smallILi32E19rocblas_complex_numIdEPS3_EEv13rocblas_fill_17rocblas_diagonal_T1_iil
		.amdhsa_group_segment_fixed_size 1024
		.amdhsa_private_segment_fixed_size 528
		.amdhsa_kernarg_size 32
		.amdhsa_user_sgpr_count 6
		.amdhsa_user_sgpr_private_segment_buffer 1
		.amdhsa_user_sgpr_dispatch_ptr 0
		.amdhsa_user_sgpr_queue_ptr 0
		.amdhsa_user_sgpr_kernarg_segment_ptr 1
		.amdhsa_user_sgpr_dispatch_id 0
		.amdhsa_user_sgpr_flat_scratch_init 0
		.amdhsa_user_sgpr_private_segment_size 0
		.amdhsa_wavefront_size32 1
		.amdhsa_uses_dynamic_stack 0
		.amdhsa_system_sgpr_private_segment_wavefront_offset 1
		.amdhsa_system_sgpr_workgroup_id_x 1
		.amdhsa_system_sgpr_workgroup_id_y 0
		.amdhsa_system_sgpr_workgroup_id_z 0
		.amdhsa_system_sgpr_workgroup_info 0
		.amdhsa_system_vgpr_workitem_id 0
		.amdhsa_next_free_vgpr 104
		.amdhsa_next_free_sgpr 53
		.amdhsa_reserve_vcc 1
		.amdhsa_reserve_flat_scratch 0
		.amdhsa_float_round_mode_32 0
		.amdhsa_float_round_mode_16_64 0
		.amdhsa_float_denorm_mode_32 3
		.amdhsa_float_denorm_mode_16_64 3
		.amdhsa_dx10_clamp 1
		.amdhsa_ieee_mode 1
		.amdhsa_fp16_overflow 0
		.amdhsa_workgroup_processor_mode 1
		.amdhsa_memory_ordered 1
		.amdhsa_forward_progress 1
		.amdhsa_shared_vgpr_count 0
		.amdhsa_exception_fp_ieee_invalid_op 0
		.amdhsa_exception_fp_denorm_src 0
		.amdhsa_exception_fp_ieee_div_zero 0
		.amdhsa_exception_fp_ieee_overflow 0
		.amdhsa_exception_fp_ieee_underflow 0
		.amdhsa_exception_fp_ieee_inexact 0
		.amdhsa_exception_int_div_zero 0
	.end_amdhsa_kernel
	.section	.text._ZN9rocsolver6v33100L18trti2_kernel_smallILi32E19rocblas_complex_numIdEPS3_EEv13rocblas_fill_17rocblas_diagonal_T1_iil,"axG",@progbits,_ZN9rocsolver6v33100L18trti2_kernel_smallILi32E19rocblas_complex_numIdEPS3_EEv13rocblas_fill_17rocblas_diagonal_T1_iil,comdat
.Lfunc_end31:
	.size	_ZN9rocsolver6v33100L18trti2_kernel_smallILi32E19rocblas_complex_numIdEPS3_EEv13rocblas_fill_17rocblas_diagonal_T1_iil, .Lfunc_end31-_ZN9rocsolver6v33100L18trti2_kernel_smallILi32E19rocblas_complex_numIdEPS3_EEv13rocblas_fill_17rocblas_diagonal_T1_iil
                                        ; -- End function
	.set _ZN9rocsolver6v33100L18trti2_kernel_smallILi32E19rocblas_complex_numIdEPS3_EEv13rocblas_fill_17rocblas_diagonal_T1_iil.num_vgpr, 104
	.set _ZN9rocsolver6v33100L18trti2_kernel_smallILi32E19rocblas_complex_numIdEPS3_EEv13rocblas_fill_17rocblas_diagonal_T1_iil.num_agpr, 0
	.set _ZN9rocsolver6v33100L18trti2_kernel_smallILi32E19rocblas_complex_numIdEPS3_EEv13rocblas_fill_17rocblas_diagonal_T1_iil.numbered_sgpr, 53
	.set _ZN9rocsolver6v33100L18trti2_kernel_smallILi32E19rocblas_complex_numIdEPS3_EEv13rocblas_fill_17rocblas_diagonal_T1_iil.num_named_barrier, 0
	.set _ZN9rocsolver6v33100L18trti2_kernel_smallILi32E19rocblas_complex_numIdEPS3_EEv13rocblas_fill_17rocblas_diagonal_T1_iil.private_seg_size, 528
	.set _ZN9rocsolver6v33100L18trti2_kernel_smallILi32E19rocblas_complex_numIdEPS3_EEv13rocblas_fill_17rocblas_diagonal_T1_iil.uses_vcc, 1
	.set _ZN9rocsolver6v33100L18trti2_kernel_smallILi32E19rocblas_complex_numIdEPS3_EEv13rocblas_fill_17rocblas_diagonal_T1_iil.uses_flat_scratch, 0
	.set _ZN9rocsolver6v33100L18trti2_kernel_smallILi32E19rocblas_complex_numIdEPS3_EEv13rocblas_fill_17rocblas_diagonal_T1_iil.has_dyn_sized_stack, 0
	.set _ZN9rocsolver6v33100L18trti2_kernel_smallILi32E19rocblas_complex_numIdEPS3_EEv13rocblas_fill_17rocblas_diagonal_T1_iil.has_recursion, 0
	.set _ZN9rocsolver6v33100L18trti2_kernel_smallILi32E19rocblas_complex_numIdEPS3_EEv13rocblas_fill_17rocblas_diagonal_T1_iil.has_indirect_call, 0
	.section	.AMDGPU.csdata,"",@progbits
; Kernel info:
; codeLenInByte = 32284
; TotalNumSgprs: 55
; NumVgprs: 104
; ScratchSize: 528
; MemoryBound: 0
; FloatMode: 240
; IeeeMode: 1
; LDSByteSize: 1024 bytes/workgroup (compile time only)
; SGPRBlocks: 0
; VGPRBlocks: 12
; NumSGPRsForWavesPerEU: 55
; NumVGPRsForWavesPerEU: 104
; Occupancy: 9
; WaveLimiterHint : 0
; COMPUTE_PGM_RSRC2:SCRATCH_EN: 1
; COMPUTE_PGM_RSRC2:USER_SGPR: 6
; COMPUTE_PGM_RSRC2:TRAP_HANDLER: 0
; COMPUTE_PGM_RSRC2:TGID_X_EN: 1
; COMPUTE_PGM_RSRC2:TGID_Y_EN: 0
; COMPUTE_PGM_RSRC2:TGID_Z_EN: 0
; COMPUTE_PGM_RSRC2:TIDIG_COMP_CNT: 0
	.section	.text._ZN9rocsolver6v33100L18trti2_kernel_smallILi33E19rocblas_complex_numIdEPS3_EEv13rocblas_fill_17rocblas_diagonal_T1_iil,"axG",@progbits,_ZN9rocsolver6v33100L18trti2_kernel_smallILi33E19rocblas_complex_numIdEPS3_EEv13rocblas_fill_17rocblas_diagonal_T1_iil,comdat
	.globl	_ZN9rocsolver6v33100L18trti2_kernel_smallILi33E19rocblas_complex_numIdEPS3_EEv13rocblas_fill_17rocblas_diagonal_T1_iil ; -- Begin function _ZN9rocsolver6v33100L18trti2_kernel_smallILi33E19rocblas_complex_numIdEPS3_EEv13rocblas_fill_17rocblas_diagonal_T1_iil
	.p2align	8
	.type	_ZN9rocsolver6v33100L18trti2_kernel_smallILi33E19rocblas_complex_numIdEPS3_EEv13rocblas_fill_17rocblas_diagonal_T1_iil,@function
_ZN9rocsolver6v33100L18trti2_kernel_smallILi33E19rocblas_complex_numIdEPS3_EEv13rocblas_fill_17rocblas_diagonal_T1_iil: ; @_ZN9rocsolver6v33100L18trti2_kernel_smallILi33E19rocblas_complex_numIdEPS3_EEv13rocblas_fill_17rocblas_diagonal_T1_iil
; %bb.0:
	s_add_u32 s0, s0, s7
	s_addc_u32 s1, s1, 0
	s_mov_b32 s7, exec_lo
	v_cmpx_gt_u32_e32 33, v0
	s_cbranch_execz .LBB32_515
; %bb.1:
	s_load_dwordx8 s[8:15], s[4:5], 0x0
	s_ashr_i32 s4, s6, 31
	v_lshlrev_b32_e32 v77, 4, v0
	s_movk_i32 s17, 0x100
	s_movk_i32 s18, 0x110
	;; [unrolled: 1-line block ×17, first 2 shown]
	s_waitcnt lgkmcnt(0)
	s_mul_hi_u32 s5, s14, s6
	s_mul_i32 s16, s14, s4
	s_mul_i32 s15, s15, s6
	s_add_i32 s5, s5, s16
	s_mul_i32 s4, s14, s6
	v_add3_u32 v11, s13, s13, v0
	s_add_i32 s5, s5, s15
	s_ashr_i32 s7, s12, 31
	s_lshl_b64 s[4:5], s[4:5], 4
	s_mov_b32 s6, s12
	s_add_u32 s10, s10, s4
	v_ashrrev_i32_e32 v12, 31, v11
	s_addc_u32 s11, s11, s5
	s_lshl_b64 s[4:5], s[6:7], 4
	s_mov_b32 s14, s13
	s_add_u32 s4, s10, s4
	s_addc_u32 s5, s11, s5
	v_add_co_u32 v7, s6, s4, v77
	v_lshlrev_b64 v[5:6], 4, v[11:12]
	s_ashr_i32 s15, s13, 31
	v_add_co_ci_u32_e64 v8, null, s5, 0, s6
	s_lshl_b64 s[6:7], s[14:15], 4
	global_load_dwordx4 v[1:4], v77, s[4:5]
	v_add_co_u32 v9, vcc_lo, v7, s6
	v_add_co_ci_u32_e64 v10, null, s7, v8, vcc_lo
	v_add_co_u32 v5, vcc_lo, s4, v5
	v_add_co_ci_u32_e64 v6, null, s5, v6, vcc_lo
	s_clause 0x1
	global_load_dwordx4 v[71:74], v[9:10], off
	global_load_dwordx4 v[78:81], v[5:6], off
	v_add_nc_u32_e32 v11, s13, v11
	s_cmpk_lg_i32 s9, 0x84
	s_movk_i32 s6, 0x70
	s_movk_i32 s7, 0x80
	;; [unrolled: 1-line block ×3, first 2 shown]
	v_add_nc_u32_e32 v13, s13, v11
	v_ashrrev_i32_e32 v12, 31, v11
	s_movk_i32 s11, 0xa0
	s_movk_i32 s12, 0xb0
	;; [unrolled: 1-line block ×3, first 2 shown]
	v_add_nc_u32_e32 v15, s13, v13
	v_ashrrev_i32_e32 v14, 31, v13
	v_lshlrev_b64 v[11:12], 4, v[11:12]
	s_movk_i32 s15, 0xe0
	s_movk_i32 s16, 0xf0
	v_ashrrev_i32_e32 v16, 31, v15
	v_add_nc_u32_e32 v17, s13, v15
	v_lshlrev_b64 v[13:14], 4, v[13:14]
	v_add_co_u32 v55, vcc_lo, s4, v11
	v_add_co_ci_u32_e64 v56, null, s5, v12, vcc_lo
	v_lshlrev_b64 v[11:12], 4, v[15:16]
	v_ashrrev_i32_e32 v18, 31, v17
	v_add_nc_u32_e32 v15, s13, v17
	v_add_co_u32 v51, vcc_lo, s4, v13
	v_add_co_ci_u32_e64 v52, null, s5, v14, vcc_lo
	v_lshlrev_b64 v[13:14], 4, v[17:18]
	v_add_nc_u32_e32 v17, s13, v15
	v_ashrrev_i32_e32 v16, 31, v15
	v_add_co_u32 v49, vcc_lo, s4, v11
	s_clause 0x1
	global_load_dwordx4 v[82:85], v[55:56], off
	global_load_dwordx4 v[86:89], v[51:52], off
	v_ashrrev_i32_e32 v18, 31, v17
	v_add_co_ci_u32_e64 v50, null, s5, v12, vcc_lo
	v_lshlrev_b64 v[11:12], 4, v[15:16]
	v_add_co_u32 v45, vcc_lo, s4, v13
	v_add_co_ci_u32_e64 v46, null, s5, v14, vcc_lo
	v_lshlrev_b64 v[13:14], 4, v[17:18]
	global_load_dwordx4 v[90:93], v[49:50], off
	v_add_co_u32 v43, vcc_lo, s4, v11
	v_add_co_ci_u32_e64 v44, null, s5, v12, vcc_lo
	v_add_co_u32 v39, vcc_lo, s4, v13
	v_add_co_ci_u32_e64 v40, null, s5, v14, vcc_lo
	v_add_nc_u32_e32 v15, s13, v17
	s_cselect_b32 s40, -1, 0
	s_cmpk_eq_i32 s9, 0x84
	s_waitcnt vmcnt(5)
	buffer_store_dword v4, off, s[0:3], 0 offset:12
	buffer_store_dword v3, off, s[0:3], 0 offset:8
	;; [unrolled: 1-line block ×3, first 2 shown]
	buffer_store_dword v1, off, s[0:3], 0
	global_load_dwordx4 v[1:4], v[45:46], off
	s_waitcnt vmcnt(5)
	buffer_store_dword v74, off, s[0:3], 0 offset:28
	buffer_store_dword v73, off, s[0:3], 0 offset:24
	;; [unrolled: 1-line block ×4, first 2 shown]
	global_load_dwordx4 v[71:74], v[43:44], off
	s_waitcnt vmcnt(5)
	buffer_store_dword v81, off, s[0:3], 0 offset:44
	buffer_store_dword v80, off, s[0:3], 0 offset:40
	;; [unrolled: 1-line block ×4, first 2 shown]
	global_load_dwordx4 v[78:81], v[39:40], off
	v_ashrrev_i32_e32 v16, 31, v15
	v_add_nc_u32_e32 v17, s13, v15
	s_waitcnt vmcnt(5)
	buffer_store_dword v85, off, s[0:3], 0 offset:60
	buffer_store_dword v84, off, s[0:3], 0 offset:56
	;; [unrolled: 1-line block ×4, first 2 shown]
	v_lshlrev_b64 v[11:12], 4, v[15:16]
	v_ashrrev_i32_e32 v18, 31, v17
	v_add_nc_u32_e32 v15, s13, v17
	v_lshlrev_b64 v[13:14], 4, v[17:18]
	v_ashrrev_i32_e32 v16, 31, v15
	v_add_nc_u32_e32 v17, s13, v15
	v_add_co_u32 v33, vcc_lo, s4, v11
	v_add_co_ci_u32_e64 v34, null, s5, v12, vcc_lo
	v_lshlrev_b64 v[11:12], 4, v[15:16]
	v_ashrrev_i32_e32 v18, 31, v17
	v_add_nc_u32_e32 v15, s13, v17
	v_add_co_u32 v31, vcc_lo, s4, v13
	v_add_co_ci_u32_e64 v32, null, s5, v14, vcc_lo
	v_lshlrev_b64 v[13:14], 4, v[17:18]
	v_add_nc_u32_e32 v17, s13, v15
	v_ashrrev_i32_e32 v16, 31, v15
	global_load_dwordx4 v[82:85], v[33:34], off
	v_add_co_u32 v29, vcc_lo, s4, v11
	v_ashrrev_i32_e32 v18, 31, v17
	v_add_co_ci_u32_e64 v30, null, s5, v12, vcc_lo
	v_lshlrev_b64 v[11:12], 4, v[15:16]
	s_waitcnt vmcnt(5)
	buffer_store_dword v89, off, s[0:3], 0 offset:76
	buffer_store_dword v88, off, s[0:3], 0 offset:72
	;; [unrolled: 1-line block ×4, first 2 shown]
	global_load_dwordx4 v[86:89], v[31:32], off
	v_add_co_u32 v27, vcc_lo, s4, v13
	v_add_co_ci_u32_e64 v28, null, s5, v14, vcc_lo
	v_lshlrev_b64 v[13:14], 4, v[17:18]
	s_waitcnt vmcnt(5)
	buffer_store_dword v93, off, s[0:3], 0 offset:92
	buffer_store_dword v92, off, s[0:3], 0 offset:88
	;; [unrolled: 1-line block ×4, first 2 shown]
	global_load_dwordx4 v[90:93], v[29:30], off
	v_add_co_u32 v25, vcc_lo, s4, v11
	v_add_co_ci_u32_e64 v26, null, s5, v12, vcc_lo
	v_add_co_u32 v23, vcc_lo, s4, v13
	v_add_co_ci_u32_e64 v24, null, s5, v14, vcc_lo
	v_add_nc_u32_e32 v15, s13, v17
	s_waitcnt vmcnt(5)
	buffer_store_dword v4, off, s[0:3], 0 offset:108
	buffer_store_dword v3, off, s[0:3], 0 offset:104
	buffer_store_dword v2, off, s[0:3], 0 offset:100
	buffer_store_dword v1, off, s[0:3], 0 offset:96
	global_load_dwordx4 v[1:4], v[27:28], off
	s_waitcnt vmcnt(5)
	buffer_store_dword v74, off, s[0:3], 0 offset:124
	buffer_store_dword v73, off, s[0:3], 0 offset:120
	buffer_store_dword v72, off, s[0:3], 0 offset:116
	buffer_store_dword v71, off, s[0:3], 0 offset:112
	global_load_dwordx4 v[71:74], v[25:26], off
	;; [unrolled: 6-line block ×3, first 2 shown]
	v_ashrrev_i32_e32 v16, 31, v15
	v_add_nc_u32_e32 v17, s13, v15
	s_waitcnt vmcnt(5)
	buffer_store_dword v82, off, s[0:3], 0 offset:144
	buffer_store_dword v83, off, s[0:3], 0 offset:148
	buffer_store_dword v84, off, s[0:3], 0 offset:152
	buffer_store_dword v85, off, s[0:3], 0 offset:156
	v_lshlrev_b64 v[11:12], 4, v[15:16]
	v_ashrrev_i32_e32 v18, 31, v17
	v_add_nc_u32_e32 v15, s13, v17
	v_lshlrev_b64 v[13:14], 4, v[17:18]
	v_add_nc_u32_e32 v17, s13, v15
	v_ashrrev_i32_e32 v16, 31, v15
	v_add_co_u32 v21, vcc_lo, s4, v11
	v_add_co_ci_u32_e64 v22, null, s5, v12, vcc_lo
	v_ashrrev_i32_e32 v18, 31, v17
	v_add_nc_u32_e32 v35, s13, v17
	v_lshlrev_b64 v[11:12], 4, v[15:16]
	v_add_co_u32 v19, vcc_lo, s4, v13
	v_add_co_ci_u32_e64 v20, null, s5, v14, vcc_lo
	v_lshlrev_b64 v[13:14], 4, v[17:18]
	v_add_nc_u32_e32 v17, s13, v35
	v_ashrrev_i32_e32 v36, 31, v35
	global_load_dwordx4 v[82:85], v[21:22], off
	v_add_co_u32 v15, vcc_lo, s4, v11
	v_ashrrev_i32_e32 v18, 31, v17
	v_add_co_ci_u32_e64 v16, null, s5, v12, vcc_lo
	v_lshlrev_b64 v[35:36], 4, v[35:36]
	s_waitcnt vmcnt(5)
	buffer_store_dword v86, off, s[0:3], 0 offset:160
	buffer_store_dword v87, off, s[0:3], 0 offset:164
	;; [unrolled: 1-line block ×4, first 2 shown]
	global_load_dwordx4 v[86:89], v[19:20], off
	v_add_co_u32 v11, vcc_lo, s4, v13
	v_add_nc_u32_e32 v37, s13, v17
	v_add_co_ci_u32_e64 v12, null, s5, v14, vcc_lo
	v_lshlrev_b64 v[17:18], 4, v[17:18]
	s_waitcnt vmcnt(5)
	buffer_store_dword v90, off, s[0:3], 0 offset:176
	buffer_store_dword v91, off, s[0:3], 0 offset:180
	;; [unrolled: 1-line block ×4, first 2 shown]
	global_load_dwordx4 v[90:93], v[15:16], off
	v_add_co_u32 v13, vcc_lo, s4, v35
	v_add_co_ci_u32_e64 v14, null, s5, v36, vcc_lo
	v_add_co_u32 v17, vcc_lo, s4, v17
	v_add_co_ci_u32_e64 v18, null, s5, v18, vcc_lo
	v_ashrrev_i32_e32 v38, 31, v37
	v_add_nc_u32_e32 v41, s13, v37
	s_waitcnt vmcnt(5)
	buffer_store_dword v4, off, s[0:3], 0 offset:204
	buffer_store_dword v3, off, s[0:3], 0 offset:200
	buffer_store_dword v2, off, s[0:3], 0 offset:196
	buffer_store_dword v1, off, s[0:3], 0 offset:192
	global_load_dwordx4 v[1:4], v[11:12], off
	s_waitcnt vmcnt(5)
	buffer_store_dword v74, off, s[0:3], 0 offset:220
	buffer_store_dword v73, off, s[0:3], 0 offset:216
	buffer_store_dword v72, off, s[0:3], 0 offset:212
	buffer_store_dword v71, off, s[0:3], 0 offset:208
	global_load_dwordx4 v[71:74], v[13:14], off
	;; [unrolled: 6-line block ×3, first 2 shown]
	v_lshlrev_b64 v[35:36], 4, v[37:38]
	v_add_nc_u32_e32 v37, s13, v41
	v_ashrrev_i32_e32 v42, 31, v41
	s_waitcnt vmcnt(5)
	buffer_store_dword v85, off, s[0:3], 0 offset:252
	buffer_store_dword v84, off, s[0:3], 0 offset:248
	;; [unrolled: 1-line block ×4, first 2 shown]
	v_add_nc_u32_e32 v47, s13, v37
	v_ashrrev_i32_e32 v38, 31, v37
	v_lshlrev_b64 v[41:42], 4, v[41:42]
	v_add_co_u32 v35, vcc_lo, s4, v35
	v_add_nc_u32_e32 v57, s13, v47
	v_ashrrev_i32_e32 v48, 31, v47
	v_add_co_ci_u32_e64 v36, null, s5, v36, vcc_lo
	v_lshlrev_b64 v[53:54], 4, v[37:38]
	v_add_co_u32 v37, vcc_lo, s4, v41
	v_add_nc_u32_e32 v59, s13, v57
	v_ashrrev_i32_e32 v58, 31, v57
	v_add_co_ci_u32_e64 v38, null, s5, v42, vcc_lo
	v_lshlrev_b64 v[47:48], 4, v[47:48]
	global_load_dwordx4 v[82:85], v[35:36], off
	v_add_co_u32 v41, vcc_lo, s4, v53
	v_ashrrev_i32_e32 v60, 31, v59
	v_add_co_ci_u32_e64 v42, null, s5, v54, vcc_lo
	v_lshlrev_b64 v[53:54], 4, v[57:58]
	v_add_nc_u32_e32 v57, s13, v59
	s_waitcnt vmcnt(5)
	buffer_store_dword v89, off, s[0:3], 0 offset:268
	buffer_store_dword v88, off, s[0:3], 0 offset:264
	buffer_store_dword v87, off, s[0:3], 0 offset:260
	buffer_store_dword v86, off, s[0:3], 0 offset:256
	global_load_dwordx4 v[86:89], v[37:38], off
	v_add_co_u32 v47, vcc_lo, s4, v47
	v_add_co_ci_u32_e64 v48, null, s5, v48, vcc_lo
	v_lshlrev_b64 v[59:60], 4, v[59:60]
	s_waitcnt vmcnt(5)
	buffer_store_dword v93, off, s[0:3], 0 offset:284
	buffer_store_dword v92, off, s[0:3], 0 offset:280
	;; [unrolled: 1-line block ×4, first 2 shown]
	v_ashrrev_i32_e32 v58, 31, v57
	global_load_dwordx4 v[90:93], v[41:42], off
	v_add_co_u32 v53, vcc_lo, s4, v53
	v_add_co_ci_u32_e64 v54, null, s5, v54, vcc_lo
	v_add_nc_u32_e32 v61, s13, v57
	v_lshlrev_b64 v[63:64], 4, v[57:58]
	v_add_co_u32 v57, vcc_lo, s4, v59
	v_add_co_ci_u32_e64 v58, null, s5, v60, vcc_lo
	v_add_nc_u32_e32 v65, s13, v61
	v_ashrrev_i32_e32 v62, 31, v61
	v_add_co_u32 v59, vcc_lo, s4, v63
	v_add_co_ci_u32_e64 v60, null, s5, v64, vcc_lo
	v_ashrrev_i32_e32 v66, 31, v65
	v_add_nc_u32_e32 v67, s13, v65
	v_lshlrev_b64 v[61:62], 4, v[61:62]
	s_waitcnt vmcnt(5)
	buffer_store_dword v4, off, s[0:3], 0 offset:300
	buffer_store_dword v3, off, s[0:3], 0 offset:296
	buffer_store_dword v2, off, s[0:3], 0 offset:292
	buffer_store_dword v1, off, s[0:3], 0 offset:288
	global_load_dwordx4 v[1:4], v[47:48], off
	s_waitcnt vmcnt(5)
	buffer_store_dword v74, off, s[0:3], 0 offset:316
	buffer_store_dword v73, off, s[0:3], 0 offset:312
	buffer_store_dword v72, off, s[0:3], 0 offset:308
	buffer_store_dword v71, off, s[0:3], 0 offset:304
	global_load_dwordx4 v[71:74], v[53:54], off
	;; [unrolled: 6-line block ×3, first 2 shown]
	v_lshlrev_b64 v[63:64], 4, v[65:66]
	v_add_nc_u32_e32 v65, s13, v67
	v_ashrrev_i32_e32 v68, 31, v67
	v_add_co_u32 v61, vcc_lo, s4, v61
	v_add_co_ci_u32_e64 v62, null, s5, v62, vcc_lo
	v_add_nc_u32_e32 v69, s13, v65
	v_ashrrev_i32_e32 v66, 31, v65
	v_lshlrev_b64 v[67:68], 4, v[67:68]
	s_waitcnt vmcnt(5)
	buffer_store_dword v85, off, s[0:3], 0 offset:348
	buffer_store_dword v84, off, s[0:3], 0 offset:344
	;; [unrolled: 1-line block ×4, first 2 shown]
	s_waitcnt vmcnt(4)
	buffer_store_dword v89, off, s[0:3], 0 offset:364
	buffer_store_dword v88, off, s[0:3], 0 offset:360
	;; [unrolled: 1-line block ×4, first 2 shown]
	s_clause 0x1
	global_load_dwordx4 v[82:85], v[59:60], off
	global_load_dwordx4 v[86:89], v[61:62], off
	v_add_co_u32 v63, vcc_lo, s4, v63
	v_ashrrev_i32_e32 v70, 31, v69
	v_add_co_ci_u32_e64 v64, null, s5, v64, vcc_lo
	v_lshlrev_b64 v[75:76], 4, v[65:66]
	v_add_co_u32 v65, vcc_lo, s4, v67
	v_add_co_ci_u32_e64 v66, null, s5, v68, vcc_lo
	v_lshlrev_b64 v[67:68], 4, v[69:70]
	s_waitcnt vmcnt(5)
	buffer_store_dword v93, off, s[0:3], 0 offset:380
	buffer_store_dword v92, off, s[0:3], 0 offset:376
	;; [unrolled: 1-line block ×4, first 2 shown]
	global_load_dwordx4 v[90:93], v[63:64], off
	v_add_co_u32 v69, vcc_lo, s4, v75
	v_add_co_ci_u32_e64 v70, null, s5, v76, vcc_lo
	v_add_co_u32 v67, vcc_lo, s4, v67
	v_add_co_ci_u32_e64 v68, null, s5, v68, vcc_lo
	s_movk_i32 s4, 0x50
	s_movk_i32 s5, 0x60
	;; [unrolled: 1-line block ×3, first 2 shown]
	s_waitcnt vmcnt(5)
	buffer_store_dword v4, off, s[0:3], 0 offset:396
	buffer_store_dword v3, off, s[0:3], 0 offset:392
	buffer_store_dword v2, off, s[0:3], 0 offset:388
	buffer_store_dword v1, off, s[0:3], 0 offset:384
	global_load_dwordx4 v[1:4], v[65:66], off
	s_waitcnt vmcnt(5)
	buffer_store_dword v74, off, s[0:3], 0 offset:412
	buffer_store_dword v73, off, s[0:3], 0 offset:408
	buffer_store_dword v72, off, s[0:3], 0 offset:404
	buffer_store_dword v71, off, s[0:3], 0 offset:400
	global_load_dwordx4 v[71:74], v[69:70], off
	;; [unrolled: 6-line block ×3, first 2 shown]
	s_waitcnt vmcnt(5)
	buffer_store_dword v85, off, s[0:3], 0 offset:444
	buffer_store_dword v84, off, s[0:3], 0 offset:440
	buffer_store_dword v83, off, s[0:3], 0 offset:436
	buffer_store_dword v82, off, s[0:3], 0 offset:432
	s_waitcnt vmcnt(4)
	buffer_store_dword v89, off, s[0:3], 0 offset:460
	buffer_store_dword v88, off, s[0:3], 0 offset:456
	buffer_store_dword v87, off, s[0:3], 0 offset:452
	buffer_store_dword v86, off, s[0:3], 0 offset:448
	;; [unrolled: 5-line block ×6, first 2 shown]
	s_cbranch_scc1 .LBB32_7
; %bb.2:
	v_lshl_add_u32 v78, v0, 4, 0
                                        ; implicit-def: $vgpr73_vgpr74
                                        ; implicit-def: $vgpr3_vgpr4
	s_clause 0x3
	buffer_load_dword v71, v78, s[0:3], 0 offen
	buffer_load_dword v72, v78, s[0:3], 0 offen offset:4
	buffer_load_dword v75, v78, s[0:3], 0 offen offset:8
	;; [unrolled: 1-line block ×3, first 2 shown]
	s_waitcnt vmcnt(0)
	v_cmp_ngt_f64_e64 s9, |v[71:72]|, |v[75:76]|
	s_and_saveexec_b32 s21, s9
	s_xor_b32 s9, exec_lo, s21
	s_cbranch_execz .LBB32_4
; %bb.3:
	v_div_scale_f64 v[1:2], null, v[75:76], v[75:76], v[71:72]
	v_div_scale_f64 v[79:80], vcc_lo, v[71:72], v[75:76], v[71:72]
	v_rcp_f64_e32 v[3:4], v[1:2]
	v_fma_f64 v[73:74], -v[1:2], v[3:4], 1.0
	v_fma_f64 v[3:4], v[3:4], v[73:74], v[3:4]
	v_fma_f64 v[73:74], -v[1:2], v[3:4], 1.0
	v_fma_f64 v[3:4], v[3:4], v[73:74], v[3:4]
	v_mul_f64 v[73:74], v[79:80], v[3:4]
	v_fma_f64 v[1:2], -v[1:2], v[73:74], v[79:80]
	v_div_fmas_f64 v[1:2], v[1:2], v[3:4], v[73:74]
	v_div_fixup_f64 v[1:2], v[1:2], v[75:76], v[71:72]
	v_fma_f64 v[3:4], v[71:72], v[1:2], v[75:76]
	v_div_scale_f64 v[71:72], null, v[3:4], v[3:4], 1.0
	v_div_scale_f64 v[79:80], vcc_lo, 1.0, v[3:4], 1.0
	v_rcp_f64_e32 v[73:74], v[71:72]
	v_fma_f64 v[75:76], -v[71:72], v[73:74], 1.0
	v_fma_f64 v[73:74], v[73:74], v[75:76], v[73:74]
	v_fma_f64 v[75:76], -v[71:72], v[73:74], 1.0
	v_fma_f64 v[73:74], v[73:74], v[75:76], v[73:74]
	v_mul_f64 v[75:76], v[79:80], v[73:74]
	v_fma_f64 v[71:72], -v[71:72], v[75:76], v[79:80]
	v_div_fmas_f64 v[71:72], v[71:72], v[73:74], v[75:76]
                                        ; implicit-def: $vgpr75_vgpr76
	v_div_fixup_f64 v[3:4], v[71:72], v[3:4], 1.0
                                        ; implicit-def: $vgpr71_vgpr72
	v_mul_f64 v[73:74], v[1:2], v[3:4]
	v_xor_b32_e32 v4, 0x80000000, v4
	v_xor_b32_e32 v2, 0x80000000, v74
	v_mov_b32_e32 v1, v73
.LBB32_4:
	s_andn2_saveexec_b32 s9, s9
	s_cbranch_execz .LBB32_6
; %bb.5:
	v_div_scale_f64 v[1:2], null, v[71:72], v[71:72], v[75:76]
	v_div_scale_f64 v[79:80], vcc_lo, v[75:76], v[71:72], v[75:76]
	v_rcp_f64_e32 v[3:4], v[1:2]
	v_fma_f64 v[73:74], -v[1:2], v[3:4], 1.0
	v_fma_f64 v[3:4], v[3:4], v[73:74], v[3:4]
	v_fma_f64 v[73:74], -v[1:2], v[3:4], 1.0
	v_fma_f64 v[3:4], v[3:4], v[73:74], v[3:4]
	v_mul_f64 v[73:74], v[79:80], v[3:4]
	v_fma_f64 v[1:2], -v[1:2], v[73:74], v[79:80]
	v_div_fmas_f64 v[1:2], v[1:2], v[3:4], v[73:74]
	v_div_fixup_f64 v[1:2], v[1:2], v[71:72], v[75:76]
	v_fma_f64 v[3:4], v[75:76], v[1:2], v[71:72]
	v_div_scale_f64 v[71:72], null, v[3:4], v[3:4], 1.0
	v_rcp_f64_e32 v[73:74], v[71:72]
	v_fma_f64 v[75:76], -v[71:72], v[73:74], 1.0
	v_fma_f64 v[73:74], v[73:74], v[75:76], v[73:74]
	v_fma_f64 v[75:76], -v[71:72], v[73:74], 1.0
	v_fma_f64 v[73:74], v[73:74], v[75:76], v[73:74]
	v_div_scale_f64 v[75:76], vcc_lo, 1.0, v[3:4], 1.0
	v_mul_f64 v[79:80], v[75:76], v[73:74]
	v_fma_f64 v[71:72], -v[71:72], v[79:80], v[75:76]
	v_div_fmas_f64 v[71:72], v[71:72], v[73:74], v[79:80]
	v_div_fixup_f64 v[73:74], v[71:72], v[3:4], 1.0
	v_mul_f64 v[3:4], v[1:2], -v[73:74]
	v_xor_b32_e32 v2, 0x80000000, v74
	v_mov_b32_e32 v1, v73
.LBB32_6:
	s_or_b32 exec_lo, exec_lo, s9
	buffer_store_dword v4, v78, s[0:3], 0 offen offset:12
	v_xor_b32_e32 v4, 0x80000000, v4
	buffer_store_dword v74, v78, s[0:3], 0 offen offset:4
	buffer_store_dword v73, v78, s[0:3], 0 offen
	buffer_store_dword v3, v78, s[0:3], 0 offen offset:8
	s_branch .LBB32_8
.LBB32_7:
	v_mov_b32_e32 v1, 0
	v_mov_b32_e32 v3, 0
	;; [unrolled: 1-line block ×4, first 2 shown]
.LBB32_8:
	v_add_nc_u32_e32 v72, 0x210, v77
	v_mov_b32_e32 v71, v77
	s_mov_b32 s39, 16
	s_mov_b32 s38, 32
	;; [unrolled: 1-line block ×31, first 2 shown]
	s_cmpk_eq_i32 s8, 0x79
	ds_write_b128 v77, v[1:4]
	s_cbranch_scc1 .LBB32_260
; %bb.9:
	v_mov_b32_e32 v4, s7
	v_cmp_eq_u32_e64 s4, 32, v0
	s_clause 0x3
	buffer_load_dword v1, v4, s[0:3], 0 offen
	buffer_load_dword v2, v4, s[0:3], 0 offen offset:4
	buffer_load_dword v3, v4, s[0:3], 0 offen offset:8
	;; [unrolled: 1-line block ×3, first 2 shown]
	s_waitcnt vmcnt(0)
	ds_write_b128 v72, v[1:4]
	s_waitcnt lgkmcnt(0)
	s_waitcnt_vscnt null, 0x0
	s_barrier
	buffer_gl0_inv
	s_and_saveexec_b32 s5, s4
	s_cbranch_execz .LBB32_13
; %bb.10:
	ds_read_b128 v[1:4], v72
	s_andn2_b32 vcc_lo, exec_lo, s40
	s_cbranch_vccnz .LBB32_12
; %bb.11:
	s_clause 0x3
	buffer_load_dword v73, v71, s[0:3], 0 offen offset:8
	buffer_load_dword v74, v71, s[0:3], 0 offen offset:12
	buffer_load_dword v75, v71, s[0:3], 0 offen
	buffer_load_dword v76, v71, s[0:3], 0 offen offset:4
	s_waitcnt vmcnt(2) lgkmcnt(0)
	v_mul_f64 v[78:79], v[3:4], v[73:74]
	v_mul_f64 v[73:74], v[1:2], v[73:74]
	s_waitcnt vmcnt(0)
	v_fma_f64 v[1:2], v[1:2], v[75:76], -v[78:79]
	v_fma_f64 v[3:4], v[3:4], v[75:76], v[73:74]
.LBB32_12:
	v_mov_b32_e32 v73, 0
	ds_read_b128 v[73:76], v73 offset:496
	s_waitcnt lgkmcnt(0)
	v_mul_f64 v[78:79], v[3:4], v[75:76]
	v_mul_f64 v[75:76], v[1:2], v[75:76]
	v_fma_f64 v[1:2], v[1:2], v[73:74], -v[78:79]
	v_fma_f64 v[3:4], v[3:4], v[73:74], v[75:76]
	buffer_store_dword v2, off, s[0:3], 0 offset:500
	buffer_store_dword v1, off, s[0:3], 0 offset:496
	;; [unrolled: 1-line block ×4, first 2 shown]
.LBB32_13:
	s_or_b32 exec_lo, exec_lo, s5
	v_mov_b32_e32 v4, s9
	v_cmp_lt_u32_e64 s5, 30, v0
	s_clause 0x3
	buffer_load_dword v1, v4, s[0:3], 0 offen
	buffer_load_dword v2, v4, s[0:3], 0 offen offset:4
	buffer_load_dword v3, v4, s[0:3], 0 offen offset:8
	buffer_load_dword v4, v4, s[0:3], 0 offen offset:12
	s_waitcnt vmcnt(0)
	ds_write_b128 v72, v[1:4]
	s_waitcnt lgkmcnt(0)
	s_waitcnt_vscnt null, 0x0
	s_barrier
	buffer_gl0_inv
	s_and_saveexec_b32 s8, s5
	s_cbranch_execz .LBB32_19
; %bb.14:
	ds_read_b128 v[1:4], v72
	s_andn2_b32 vcc_lo, exec_lo, s40
	s_cbranch_vccnz .LBB32_16
; %bb.15:
	s_clause 0x3
	buffer_load_dword v73, v71, s[0:3], 0 offen offset:8
	buffer_load_dword v74, v71, s[0:3], 0 offen offset:12
	buffer_load_dword v75, v71, s[0:3], 0 offen
	buffer_load_dword v76, v71, s[0:3], 0 offen offset:4
	s_waitcnt vmcnt(2) lgkmcnt(0)
	v_mul_f64 v[78:79], v[3:4], v[73:74]
	v_mul_f64 v[73:74], v[1:2], v[73:74]
	s_waitcnt vmcnt(0)
	v_fma_f64 v[1:2], v[1:2], v[75:76], -v[78:79]
	v_fma_f64 v[3:4], v[3:4], v[75:76], v[73:74]
.LBB32_16:
	s_and_saveexec_b32 s41, s4
	s_cbranch_execz .LBB32_18
; %bb.17:
	s_clause 0x3
	buffer_load_dword v78, off, s[0:3], 0 offset:504
	buffer_load_dword v79, off, s[0:3], 0 offset:508
	;; [unrolled: 1-line block ×4, first 2 shown]
	v_mov_b32_e32 v73, 0
	ds_read_b128 v[73:76], v73 offset:1024
	s_waitcnt vmcnt(2) lgkmcnt(0)
	v_mul_f64 v[82:83], v[73:74], v[78:79]
	v_mul_f64 v[78:79], v[75:76], v[78:79]
	s_waitcnt vmcnt(0)
	v_fma_f64 v[75:76], v[75:76], v[80:81], v[82:83]
	v_fma_f64 v[73:74], v[73:74], v[80:81], -v[78:79]
	v_add_f64 v[3:4], v[3:4], v[75:76]
	v_add_f64 v[1:2], v[1:2], v[73:74]
.LBB32_18:
	s_or_b32 exec_lo, exec_lo, s41
	v_mov_b32_e32 v73, 0
	ds_read_b128 v[73:76], v73 offset:480
	s_waitcnt lgkmcnt(0)
	v_mul_f64 v[78:79], v[3:4], v[75:76]
	v_mul_f64 v[75:76], v[1:2], v[75:76]
	v_fma_f64 v[1:2], v[1:2], v[73:74], -v[78:79]
	v_fma_f64 v[3:4], v[3:4], v[73:74], v[75:76]
	buffer_store_dword v2, off, s[0:3], 0 offset:484
	buffer_store_dword v1, off, s[0:3], 0 offset:480
	;; [unrolled: 1-line block ×4, first 2 shown]
.LBB32_19:
	s_or_b32 exec_lo, exec_lo, s8
	v_mov_b32_e32 v4, s10
	v_cmp_lt_u32_e64 s4, 29, v0
	s_clause 0x3
	buffer_load_dword v1, v4, s[0:3], 0 offen
	buffer_load_dword v2, v4, s[0:3], 0 offen offset:4
	buffer_load_dword v3, v4, s[0:3], 0 offen offset:8
	;; [unrolled: 1-line block ×3, first 2 shown]
	s_waitcnt vmcnt(0)
	ds_write_b128 v72, v[1:4]
	s_waitcnt lgkmcnt(0)
	s_waitcnt_vscnt null, 0x0
	s_barrier
	buffer_gl0_inv
	s_and_saveexec_b32 s8, s4
	s_cbranch_execz .LBB32_27
; %bb.20:
	ds_read_b128 v[1:4], v72
	s_andn2_b32 vcc_lo, exec_lo, s40
	s_cbranch_vccnz .LBB32_22
; %bb.21:
	s_clause 0x3
	buffer_load_dword v73, v71, s[0:3], 0 offen offset:8
	buffer_load_dword v74, v71, s[0:3], 0 offen offset:12
	buffer_load_dword v75, v71, s[0:3], 0 offen
	buffer_load_dword v76, v71, s[0:3], 0 offen offset:4
	s_waitcnt vmcnt(2) lgkmcnt(0)
	v_mul_f64 v[78:79], v[3:4], v[73:74]
	v_mul_f64 v[73:74], v[1:2], v[73:74]
	s_waitcnt vmcnt(0)
	v_fma_f64 v[1:2], v[1:2], v[75:76], -v[78:79]
	v_fma_f64 v[3:4], v[3:4], v[75:76], v[73:74]
.LBB32_22:
	s_and_saveexec_b32 s41, s5
	s_cbranch_execz .LBB32_26
; %bb.23:
	v_subrev_nc_u32_e32 v73, 30, v0
	s_movk_i32 s42, 0x3f0
	s_mov_b32 s5, 0
	s_mov_b32 s43, s9
	.p2align	6
.LBB32_24:                              ; =>This Inner Loop Header: Depth=1
	v_mov_b32_e32 v76, s43
	v_add_nc_u32_e32 v73, -1, v73
	s_add_i32 s43, s43, 16
	s_clause 0x3
	buffer_load_dword v74, v76, s[0:3], 0 offen offset:8
	buffer_load_dword v75, v76, s[0:3], 0 offen offset:12
	buffer_load_dword v82, v76, s[0:3], 0 offen
	buffer_load_dword v83, v76, s[0:3], 0 offen offset:4
	v_mov_b32_e32 v76, s42
	v_cmp_eq_u32_e32 vcc_lo, 0, v73
	s_add_i32 s42, s42, 16
	ds_read_b128 v[78:81], v76
	s_or_b32 s5, vcc_lo, s5
	s_waitcnt vmcnt(2) lgkmcnt(0)
	v_mul_f64 v[84:85], v[80:81], v[74:75]
	v_mul_f64 v[74:75], v[78:79], v[74:75]
	s_waitcnt vmcnt(0)
	v_fma_f64 v[78:79], v[78:79], v[82:83], -v[84:85]
	v_fma_f64 v[74:75], v[80:81], v[82:83], v[74:75]
	v_add_f64 v[1:2], v[1:2], v[78:79]
	v_add_f64 v[3:4], v[3:4], v[74:75]
	s_andn2_b32 exec_lo, exec_lo, s5
	s_cbranch_execnz .LBB32_24
; %bb.25:
	s_or_b32 exec_lo, exec_lo, s5
.LBB32_26:
	s_or_b32 exec_lo, exec_lo, s41
	v_mov_b32_e32 v73, 0
	ds_read_b128 v[73:76], v73 offset:464
	s_waitcnt lgkmcnt(0)
	v_mul_f64 v[78:79], v[3:4], v[75:76]
	v_mul_f64 v[75:76], v[1:2], v[75:76]
	v_fma_f64 v[1:2], v[1:2], v[73:74], -v[78:79]
	v_fma_f64 v[3:4], v[3:4], v[73:74], v[75:76]
	buffer_store_dword v2, off, s[0:3], 0 offset:468
	buffer_store_dword v1, off, s[0:3], 0 offset:464
	buffer_store_dword v4, off, s[0:3], 0 offset:476
	buffer_store_dword v3, off, s[0:3], 0 offset:472
.LBB32_27:
	s_or_b32 exec_lo, exec_lo, s8
	v_mov_b32_e32 v4, s11
	v_cmp_lt_u32_e64 s5, 28, v0
	s_clause 0x3
	buffer_load_dword v1, v4, s[0:3], 0 offen
	buffer_load_dword v2, v4, s[0:3], 0 offen offset:4
	buffer_load_dword v3, v4, s[0:3], 0 offen offset:8
	;; [unrolled: 1-line block ×3, first 2 shown]
	s_waitcnt vmcnt(0)
	ds_write_b128 v72, v[1:4]
	s_waitcnt lgkmcnt(0)
	s_waitcnt_vscnt null, 0x0
	s_barrier
	buffer_gl0_inv
	s_and_saveexec_b32 s8, s5
	s_cbranch_execz .LBB32_35
; %bb.28:
	ds_read_b128 v[1:4], v72
	s_andn2_b32 vcc_lo, exec_lo, s40
	s_cbranch_vccnz .LBB32_30
; %bb.29:
	s_clause 0x3
	buffer_load_dword v73, v71, s[0:3], 0 offen offset:8
	buffer_load_dword v74, v71, s[0:3], 0 offen offset:12
	buffer_load_dword v75, v71, s[0:3], 0 offen
	buffer_load_dword v76, v71, s[0:3], 0 offen offset:4
	s_waitcnt vmcnt(2) lgkmcnt(0)
	v_mul_f64 v[78:79], v[3:4], v[73:74]
	v_mul_f64 v[73:74], v[1:2], v[73:74]
	s_waitcnt vmcnt(0)
	v_fma_f64 v[1:2], v[1:2], v[75:76], -v[78:79]
	v_fma_f64 v[3:4], v[3:4], v[75:76], v[73:74]
.LBB32_30:
	s_and_saveexec_b32 s41, s4
	s_cbranch_execz .LBB32_34
; %bb.31:
	v_subrev_nc_u32_e32 v73, 29, v0
	s_movk_i32 s42, 0x3e0
	s_mov_b32 s4, 0
	s_mov_b32 s43, s10
	.p2align	6
.LBB32_32:                              ; =>This Inner Loop Header: Depth=1
	v_mov_b32_e32 v76, s43
	v_add_nc_u32_e32 v73, -1, v73
	s_add_i32 s43, s43, 16
	s_clause 0x3
	buffer_load_dword v74, v76, s[0:3], 0 offen offset:8
	buffer_load_dword v75, v76, s[0:3], 0 offen offset:12
	buffer_load_dword v82, v76, s[0:3], 0 offen
	buffer_load_dword v83, v76, s[0:3], 0 offen offset:4
	v_mov_b32_e32 v76, s42
	v_cmp_eq_u32_e32 vcc_lo, 0, v73
	s_add_i32 s42, s42, 16
	ds_read_b128 v[78:81], v76
	s_or_b32 s4, vcc_lo, s4
	s_waitcnt vmcnt(2) lgkmcnt(0)
	v_mul_f64 v[84:85], v[80:81], v[74:75]
	v_mul_f64 v[74:75], v[78:79], v[74:75]
	s_waitcnt vmcnt(0)
	v_fma_f64 v[78:79], v[78:79], v[82:83], -v[84:85]
	v_fma_f64 v[74:75], v[80:81], v[82:83], v[74:75]
	v_add_f64 v[1:2], v[1:2], v[78:79]
	v_add_f64 v[3:4], v[3:4], v[74:75]
	s_andn2_b32 exec_lo, exec_lo, s4
	s_cbranch_execnz .LBB32_32
; %bb.33:
	s_or_b32 exec_lo, exec_lo, s4
.LBB32_34:
	s_or_b32 exec_lo, exec_lo, s41
	v_mov_b32_e32 v73, 0
	ds_read_b128 v[73:76], v73 offset:448
	s_waitcnt lgkmcnt(0)
	v_mul_f64 v[78:79], v[3:4], v[75:76]
	v_mul_f64 v[75:76], v[1:2], v[75:76]
	v_fma_f64 v[1:2], v[1:2], v[73:74], -v[78:79]
	v_fma_f64 v[3:4], v[3:4], v[73:74], v[75:76]
	buffer_store_dword v2, off, s[0:3], 0 offset:452
	buffer_store_dword v1, off, s[0:3], 0 offset:448
	;; [unrolled: 1-line block ×4, first 2 shown]
.LBB32_35:
	s_or_b32 exec_lo, exec_lo, s8
	v_mov_b32_e32 v4, s12
	v_cmp_lt_u32_e64 s4, 27, v0
	s_clause 0x3
	buffer_load_dword v1, v4, s[0:3], 0 offen
	buffer_load_dword v2, v4, s[0:3], 0 offen offset:4
	buffer_load_dword v3, v4, s[0:3], 0 offen offset:8
	;; [unrolled: 1-line block ×3, first 2 shown]
	s_waitcnt vmcnt(0)
	ds_write_b128 v72, v[1:4]
	s_waitcnt lgkmcnt(0)
	s_waitcnt_vscnt null, 0x0
	s_barrier
	buffer_gl0_inv
	s_and_saveexec_b32 s8, s4
	s_cbranch_execz .LBB32_43
; %bb.36:
	ds_read_b128 v[1:4], v72
	s_andn2_b32 vcc_lo, exec_lo, s40
	s_cbranch_vccnz .LBB32_38
; %bb.37:
	s_clause 0x3
	buffer_load_dword v73, v71, s[0:3], 0 offen offset:8
	buffer_load_dword v74, v71, s[0:3], 0 offen offset:12
	buffer_load_dword v75, v71, s[0:3], 0 offen
	buffer_load_dword v76, v71, s[0:3], 0 offen offset:4
	s_waitcnt vmcnt(2) lgkmcnt(0)
	v_mul_f64 v[78:79], v[3:4], v[73:74]
	v_mul_f64 v[73:74], v[1:2], v[73:74]
	s_waitcnt vmcnt(0)
	v_fma_f64 v[1:2], v[1:2], v[75:76], -v[78:79]
	v_fma_f64 v[3:4], v[3:4], v[75:76], v[73:74]
.LBB32_38:
	s_and_saveexec_b32 s41, s5
	s_cbranch_execz .LBB32_42
; %bb.39:
	v_subrev_nc_u32_e32 v73, 28, v0
	s_movk_i32 s42, 0x3d0
	s_mov_b32 s5, 0
	s_mov_b32 s43, s11
	.p2align	6
.LBB32_40:                              ; =>This Inner Loop Header: Depth=1
	v_mov_b32_e32 v76, s43
	v_add_nc_u32_e32 v73, -1, v73
	s_add_i32 s43, s43, 16
	s_clause 0x3
	buffer_load_dword v74, v76, s[0:3], 0 offen offset:8
	buffer_load_dword v75, v76, s[0:3], 0 offen offset:12
	buffer_load_dword v82, v76, s[0:3], 0 offen
	buffer_load_dword v83, v76, s[0:3], 0 offen offset:4
	v_mov_b32_e32 v76, s42
	v_cmp_eq_u32_e32 vcc_lo, 0, v73
	s_add_i32 s42, s42, 16
	ds_read_b128 v[78:81], v76
	s_or_b32 s5, vcc_lo, s5
	s_waitcnt vmcnt(2) lgkmcnt(0)
	v_mul_f64 v[84:85], v[80:81], v[74:75]
	v_mul_f64 v[74:75], v[78:79], v[74:75]
	s_waitcnt vmcnt(0)
	v_fma_f64 v[78:79], v[78:79], v[82:83], -v[84:85]
	v_fma_f64 v[74:75], v[80:81], v[82:83], v[74:75]
	v_add_f64 v[1:2], v[1:2], v[78:79]
	v_add_f64 v[3:4], v[3:4], v[74:75]
	s_andn2_b32 exec_lo, exec_lo, s5
	s_cbranch_execnz .LBB32_40
; %bb.41:
	s_or_b32 exec_lo, exec_lo, s5
.LBB32_42:
	s_or_b32 exec_lo, exec_lo, s41
	v_mov_b32_e32 v73, 0
	ds_read_b128 v[73:76], v73 offset:432
	s_waitcnt lgkmcnt(0)
	v_mul_f64 v[78:79], v[3:4], v[75:76]
	v_mul_f64 v[75:76], v[1:2], v[75:76]
	v_fma_f64 v[1:2], v[1:2], v[73:74], -v[78:79]
	v_fma_f64 v[3:4], v[3:4], v[73:74], v[75:76]
	buffer_store_dword v2, off, s[0:3], 0 offset:436
	buffer_store_dword v1, off, s[0:3], 0 offset:432
	buffer_store_dword v4, off, s[0:3], 0 offset:444
	buffer_store_dword v3, off, s[0:3], 0 offset:440
.LBB32_43:
	s_or_b32 exec_lo, exec_lo, s8
	v_mov_b32_e32 v4, s13
	v_cmp_lt_u32_e64 s5, 26, v0
	s_clause 0x3
	buffer_load_dword v1, v4, s[0:3], 0 offen
	buffer_load_dword v2, v4, s[0:3], 0 offen offset:4
	buffer_load_dword v3, v4, s[0:3], 0 offen offset:8
	;; [unrolled: 1-line block ×3, first 2 shown]
	s_waitcnt vmcnt(0)
	ds_write_b128 v72, v[1:4]
	s_waitcnt lgkmcnt(0)
	s_waitcnt_vscnt null, 0x0
	s_barrier
	buffer_gl0_inv
	s_and_saveexec_b32 s8, s5
	s_cbranch_execz .LBB32_51
; %bb.44:
	ds_read_b128 v[1:4], v72
	s_andn2_b32 vcc_lo, exec_lo, s40
	s_cbranch_vccnz .LBB32_46
; %bb.45:
	s_clause 0x3
	buffer_load_dword v73, v71, s[0:3], 0 offen offset:8
	buffer_load_dword v74, v71, s[0:3], 0 offen offset:12
	buffer_load_dword v75, v71, s[0:3], 0 offen
	buffer_load_dword v76, v71, s[0:3], 0 offen offset:4
	s_waitcnt vmcnt(2) lgkmcnt(0)
	v_mul_f64 v[78:79], v[3:4], v[73:74]
	v_mul_f64 v[73:74], v[1:2], v[73:74]
	s_waitcnt vmcnt(0)
	v_fma_f64 v[1:2], v[1:2], v[75:76], -v[78:79]
	v_fma_f64 v[3:4], v[3:4], v[75:76], v[73:74]
.LBB32_46:
	s_and_saveexec_b32 s41, s4
	s_cbranch_execz .LBB32_50
; %bb.47:
	v_subrev_nc_u32_e32 v73, 27, v0
	s_movk_i32 s42, 0x3c0
	s_mov_b32 s4, 0
	s_mov_b32 s43, s12
	.p2align	6
.LBB32_48:                              ; =>This Inner Loop Header: Depth=1
	v_mov_b32_e32 v76, s43
	v_add_nc_u32_e32 v73, -1, v73
	s_add_i32 s43, s43, 16
	s_clause 0x3
	buffer_load_dword v74, v76, s[0:3], 0 offen offset:8
	buffer_load_dword v75, v76, s[0:3], 0 offen offset:12
	buffer_load_dword v82, v76, s[0:3], 0 offen
	buffer_load_dword v83, v76, s[0:3], 0 offen offset:4
	v_mov_b32_e32 v76, s42
	v_cmp_eq_u32_e32 vcc_lo, 0, v73
	s_add_i32 s42, s42, 16
	ds_read_b128 v[78:81], v76
	s_or_b32 s4, vcc_lo, s4
	s_waitcnt vmcnt(2) lgkmcnt(0)
	v_mul_f64 v[84:85], v[80:81], v[74:75]
	v_mul_f64 v[74:75], v[78:79], v[74:75]
	s_waitcnt vmcnt(0)
	v_fma_f64 v[78:79], v[78:79], v[82:83], -v[84:85]
	v_fma_f64 v[74:75], v[80:81], v[82:83], v[74:75]
	v_add_f64 v[1:2], v[1:2], v[78:79]
	v_add_f64 v[3:4], v[3:4], v[74:75]
	s_andn2_b32 exec_lo, exec_lo, s4
	s_cbranch_execnz .LBB32_48
; %bb.49:
	s_or_b32 exec_lo, exec_lo, s4
.LBB32_50:
	s_or_b32 exec_lo, exec_lo, s41
	v_mov_b32_e32 v73, 0
	ds_read_b128 v[73:76], v73 offset:416
	s_waitcnt lgkmcnt(0)
	v_mul_f64 v[78:79], v[3:4], v[75:76]
	v_mul_f64 v[75:76], v[1:2], v[75:76]
	v_fma_f64 v[1:2], v[1:2], v[73:74], -v[78:79]
	v_fma_f64 v[3:4], v[3:4], v[73:74], v[75:76]
	buffer_store_dword v2, off, s[0:3], 0 offset:420
	buffer_store_dword v1, off, s[0:3], 0 offset:416
	;; [unrolled: 1-line block ×4, first 2 shown]
.LBB32_51:
	s_or_b32 exec_lo, exec_lo, s8
	v_mov_b32_e32 v4, s14
	v_cmp_lt_u32_e64 s4, 25, v0
	s_clause 0x3
	buffer_load_dword v1, v4, s[0:3], 0 offen
	buffer_load_dword v2, v4, s[0:3], 0 offen offset:4
	buffer_load_dword v3, v4, s[0:3], 0 offen offset:8
	;; [unrolled: 1-line block ×3, first 2 shown]
	s_waitcnt vmcnt(0)
	ds_write_b128 v72, v[1:4]
	s_waitcnt lgkmcnt(0)
	s_waitcnt_vscnt null, 0x0
	s_barrier
	buffer_gl0_inv
	s_and_saveexec_b32 s8, s4
	s_cbranch_execz .LBB32_59
; %bb.52:
	ds_read_b128 v[1:4], v72
	s_andn2_b32 vcc_lo, exec_lo, s40
	s_cbranch_vccnz .LBB32_54
; %bb.53:
	s_clause 0x3
	buffer_load_dword v73, v71, s[0:3], 0 offen offset:8
	buffer_load_dword v74, v71, s[0:3], 0 offen offset:12
	buffer_load_dword v75, v71, s[0:3], 0 offen
	buffer_load_dword v76, v71, s[0:3], 0 offen offset:4
	s_waitcnt vmcnt(2) lgkmcnt(0)
	v_mul_f64 v[78:79], v[3:4], v[73:74]
	v_mul_f64 v[73:74], v[1:2], v[73:74]
	s_waitcnt vmcnt(0)
	v_fma_f64 v[1:2], v[1:2], v[75:76], -v[78:79]
	v_fma_f64 v[3:4], v[3:4], v[75:76], v[73:74]
.LBB32_54:
	s_and_saveexec_b32 s41, s5
	s_cbranch_execz .LBB32_58
; %bb.55:
	v_subrev_nc_u32_e32 v73, 26, v0
	s_movk_i32 s42, 0x3b0
	s_mov_b32 s5, 0
	s_mov_b32 s43, s13
	.p2align	6
.LBB32_56:                              ; =>This Inner Loop Header: Depth=1
	v_mov_b32_e32 v76, s43
	v_add_nc_u32_e32 v73, -1, v73
	s_add_i32 s43, s43, 16
	s_clause 0x3
	buffer_load_dword v74, v76, s[0:3], 0 offen offset:8
	buffer_load_dword v75, v76, s[0:3], 0 offen offset:12
	buffer_load_dword v82, v76, s[0:3], 0 offen
	buffer_load_dword v83, v76, s[0:3], 0 offen offset:4
	v_mov_b32_e32 v76, s42
	v_cmp_eq_u32_e32 vcc_lo, 0, v73
	s_add_i32 s42, s42, 16
	ds_read_b128 v[78:81], v76
	s_or_b32 s5, vcc_lo, s5
	s_waitcnt vmcnt(2) lgkmcnt(0)
	v_mul_f64 v[84:85], v[80:81], v[74:75]
	v_mul_f64 v[74:75], v[78:79], v[74:75]
	s_waitcnt vmcnt(0)
	v_fma_f64 v[78:79], v[78:79], v[82:83], -v[84:85]
	v_fma_f64 v[74:75], v[80:81], v[82:83], v[74:75]
	v_add_f64 v[1:2], v[1:2], v[78:79]
	v_add_f64 v[3:4], v[3:4], v[74:75]
	s_andn2_b32 exec_lo, exec_lo, s5
	s_cbranch_execnz .LBB32_56
; %bb.57:
	s_or_b32 exec_lo, exec_lo, s5
.LBB32_58:
	s_or_b32 exec_lo, exec_lo, s41
	v_mov_b32_e32 v73, 0
	ds_read_b128 v[73:76], v73 offset:400
	s_waitcnt lgkmcnt(0)
	v_mul_f64 v[78:79], v[3:4], v[75:76]
	v_mul_f64 v[75:76], v[1:2], v[75:76]
	v_fma_f64 v[1:2], v[1:2], v[73:74], -v[78:79]
	v_fma_f64 v[3:4], v[3:4], v[73:74], v[75:76]
	buffer_store_dword v2, off, s[0:3], 0 offset:404
	buffer_store_dword v1, off, s[0:3], 0 offset:400
	;; [unrolled: 1-line block ×4, first 2 shown]
.LBB32_59:
	s_or_b32 exec_lo, exec_lo, s8
	v_mov_b32_e32 v4, s15
	v_cmp_lt_u32_e64 s5, 24, v0
	s_clause 0x3
	buffer_load_dword v1, v4, s[0:3], 0 offen
	buffer_load_dword v2, v4, s[0:3], 0 offen offset:4
	buffer_load_dword v3, v4, s[0:3], 0 offen offset:8
	;; [unrolled: 1-line block ×3, first 2 shown]
	s_waitcnt vmcnt(0)
	ds_write_b128 v72, v[1:4]
	s_waitcnt lgkmcnt(0)
	s_waitcnt_vscnt null, 0x0
	s_barrier
	buffer_gl0_inv
	s_and_saveexec_b32 s8, s5
	s_cbranch_execz .LBB32_67
; %bb.60:
	ds_read_b128 v[1:4], v72
	s_andn2_b32 vcc_lo, exec_lo, s40
	s_cbranch_vccnz .LBB32_62
; %bb.61:
	s_clause 0x3
	buffer_load_dword v73, v71, s[0:3], 0 offen offset:8
	buffer_load_dword v74, v71, s[0:3], 0 offen offset:12
	buffer_load_dword v75, v71, s[0:3], 0 offen
	buffer_load_dword v76, v71, s[0:3], 0 offen offset:4
	s_waitcnt vmcnt(2) lgkmcnt(0)
	v_mul_f64 v[78:79], v[3:4], v[73:74]
	v_mul_f64 v[73:74], v[1:2], v[73:74]
	s_waitcnt vmcnt(0)
	v_fma_f64 v[1:2], v[1:2], v[75:76], -v[78:79]
	v_fma_f64 v[3:4], v[3:4], v[75:76], v[73:74]
.LBB32_62:
	s_and_saveexec_b32 s41, s4
	s_cbranch_execz .LBB32_66
; %bb.63:
	v_subrev_nc_u32_e32 v73, 25, v0
	s_movk_i32 s42, 0x3a0
	s_mov_b32 s4, 0
	s_mov_b32 s43, s14
	.p2align	6
.LBB32_64:                              ; =>This Inner Loop Header: Depth=1
	v_mov_b32_e32 v76, s43
	v_add_nc_u32_e32 v73, -1, v73
	s_add_i32 s43, s43, 16
	s_clause 0x3
	buffer_load_dword v74, v76, s[0:3], 0 offen offset:8
	buffer_load_dword v75, v76, s[0:3], 0 offen offset:12
	buffer_load_dword v82, v76, s[0:3], 0 offen
	buffer_load_dword v83, v76, s[0:3], 0 offen offset:4
	v_mov_b32_e32 v76, s42
	v_cmp_eq_u32_e32 vcc_lo, 0, v73
	s_add_i32 s42, s42, 16
	ds_read_b128 v[78:81], v76
	s_or_b32 s4, vcc_lo, s4
	s_waitcnt vmcnt(2) lgkmcnt(0)
	v_mul_f64 v[84:85], v[80:81], v[74:75]
	v_mul_f64 v[74:75], v[78:79], v[74:75]
	s_waitcnt vmcnt(0)
	v_fma_f64 v[78:79], v[78:79], v[82:83], -v[84:85]
	v_fma_f64 v[74:75], v[80:81], v[82:83], v[74:75]
	v_add_f64 v[1:2], v[1:2], v[78:79]
	v_add_f64 v[3:4], v[3:4], v[74:75]
	s_andn2_b32 exec_lo, exec_lo, s4
	s_cbranch_execnz .LBB32_64
; %bb.65:
	s_or_b32 exec_lo, exec_lo, s4
.LBB32_66:
	s_or_b32 exec_lo, exec_lo, s41
	v_mov_b32_e32 v73, 0
	ds_read_b128 v[73:76], v73 offset:384
	s_waitcnt lgkmcnt(0)
	v_mul_f64 v[78:79], v[3:4], v[75:76]
	v_mul_f64 v[75:76], v[1:2], v[75:76]
	v_fma_f64 v[1:2], v[1:2], v[73:74], -v[78:79]
	v_fma_f64 v[3:4], v[3:4], v[73:74], v[75:76]
	buffer_store_dword v2, off, s[0:3], 0 offset:388
	buffer_store_dword v1, off, s[0:3], 0 offset:384
	;; [unrolled: 1-line block ×4, first 2 shown]
.LBB32_67:
	s_or_b32 exec_lo, exec_lo, s8
	v_mov_b32_e32 v4, s16
	v_cmp_lt_u32_e64 s4, 23, v0
	s_clause 0x3
	buffer_load_dword v1, v4, s[0:3], 0 offen
	buffer_load_dword v2, v4, s[0:3], 0 offen offset:4
	buffer_load_dword v3, v4, s[0:3], 0 offen offset:8
	;; [unrolled: 1-line block ×3, first 2 shown]
	s_waitcnt vmcnt(0)
	ds_write_b128 v72, v[1:4]
	s_waitcnt lgkmcnt(0)
	s_waitcnt_vscnt null, 0x0
	s_barrier
	buffer_gl0_inv
	s_and_saveexec_b32 s8, s4
	s_cbranch_execz .LBB32_75
; %bb.68:
	ds_read_b128 v[1:4], v72
	s_andn2_b32 vcc_lo, exec_lo, s40
	s_cbranch_vccnz .LBB32_70
; %bb.69:
	s_clause 0x3
	buffer_load_dword v73, v71, s[0:3], 0 offen offset:8
	buffer_load_dword v74, v71, s[0:3], 0 offen offset:12
	buffer_load_dword v75, v71, s[0:3], 0 offen
	buffer_load_dword v76, v71, s[0:3], 0 offen offset:4
	s_waitcnt vmcnt(2) lgkmcnt(0)
	v_mul_f64 v[78:79], v[3:4], v[73:74]
	v_mul_f64 v[73:74], v[1:2], v[73:74]
	s_waitcnt vmcnt(0)
	v_fma_f64 v[1:2], v[1:2], v[75:76], -v[78:79]
	v_fma_f64 v[3:4], v[3:4], v[75:76], v[73:74]
.LBB32_70:
	s_and_saveexec_b32 s41, s5
	s_cbranch_execz .LBB32_74
; %bb.71:
	v_subrev_nc_u32_e32 v73, 24, v0
	s_movk_i32 s42, 0x390
	s_mov_b32 s5, 0
	s_mov_b32 s43, s15
	.p2align	6
.LBB32_72:                              ; =>This Inner Loop Header: Depth=1
	v_mov_b32_e32 v76, s43
	v_add_nc_u32_e32 v73, -1, v73
	s_add_i32 s43, s43, 16
	s_clause 0x3
	buffer_load_dword v74, v76, s[0:3], 0 offen offset:8
	buffer_load_dword v75, v76, s[0:3], 0 offen offset:12
	buffer_load_dword v82, v76, s[0:3], 0 offen
	buffer_load_dword v83, v76, s[0:3], 0 offen offset:4
	v_mov_b32_e32 v76, s42
	v_cmp_eq_u32_e32 vcc_lo, 0, v73
	s_add_i32 s42, s42, 16
	ds_read_b128 v[78:81], v76
	s_or_b32 s5, vcc_lo, s5
	s_waitcnt vmcnt(2) lgkmcnt(0)
	v_mul_f64 v[84:85], v[80:81], v[74:75]
	v_mul_f64 v[74:75], v[78:79], v[74:75]
	s_waitcnt vmcnt(0)
	v_fma_f64 v[78:79], v[78:79], v[82:83], -v[84:85]
	v_fma_f64 v[74:75], v[80:81], v[82:83], v[74:75]
	v_add_f64 v[1:2], v[1:2], v[78:79]
	v_add_f64 v[3:4], v[3:4], v[74:75]
	s_andn2_b32 exec_lo, exec_lo, s5
	s_cbranch_execnz .LBB32_72
; %bb.73:
	s_or_b32 exec_lo, exec_lo, s5
.LBB32_74:
	s_or_b32 exec_lo, exec_lo, s41
	v_mov_b32_e32 v73, 0
	ds_read_b128 v[73:76], v73 offset:368
	s_waitcnt lgkmcnt(0)
	v_mul_f64 v[78:79], v[3:4], v[75:76]
	v_mul_f64 v[75:76], v[1:2], v[75:76]
	v_fma_f64 v[1:2], v[1:2], v[73:74], -v[78:79]
	v_fma_f64 v[3:4], v[3:4], v[73:74], v[75:76]
	buffer_store_dword v2, off, s[0:3], 0 offset:372
	buffer_store_dword v1, off, s[0:3], 0 offset:368
	;; [unrolled: 1-line block ×4, first 2 shown]
.LBB32_75:
	s_or_b32 exec_lo, exec_lo, s8
	v_mov_b32_e32 v4, s17
	v_cmp_lt_u32_e64 s5, 22, v0
	s_clause 0x3
	buffer_load_dword v1, v4, s[0:3], 0 offen
	buffer_load_dword v2, v4, s[0:3], 0 offen offset:4
	buffer_load_dword v3, v4, s[0:3], 0 offen offset:8
	;; [unrolled: 1-line block ×3, first 2 shown]
	s_waitcnt vmcnt(0)
	ds_write_b128 v72, v[1:4]
	s_waitcnt lgkmcnt(0)
	s_waitcnt_vscnt null, 0x0
	s_barrier
	buffer_gl0_inv
	s_and_saveexec_b32 s8, s5
	s_cbranch_execz .LBB32_83
; %bb.76:
	ds_read_b128 v[1:4], v72
	s_andn2_b32 vcc_lo, exec_lo, s40
	s_cbranch_vccnz .LBB32_78
; %bb.77:
	s_clause 0x3
	buffer_load_dword v73, v71, s[0:3], 0 offen offset:8
	buffer_load_dword v74, v71, s[0:3], 0 offen offset:12
	buffer_load_dword v75, v71, s[0:3], 0 offen
	buffer_load_dword v76, v71, s[0:3], 0 offen offset:4
	s_waitcnt vmcnt(2) lgkmcnt(0)
	v_mul_f64 v[78:79], v[3:4], v[73:74]
	v_mul_f64 v[73:74], v[1:2], v[73:74]
	s_waitcnt vmcnt(0)
	v_fma_f64 v[1:2], v[1:2], v[75:76], -v[78:79]
	v_fma_f64 v[3:4], v[3:4], v[75:76], v[73:74]
.LBB32_78:
	s_and_saveexec_b32 s41, s4
	s_cbranch_execz .LBB32_82
; %bb.79:
	v_subrev_nc_u32_e32 v73, 23, v0
	s_movk_i32 s42, 0x380
	s_mov_b32 s4, 0
	s_mov_b32 s43, s16
	.p2align	6
.LBB32_80:                              ; =>This Inner Loop Header: Depth=1
	v_mov_b32_e32 v76, s43
	v_add_nc_u32_e32 v73, -1, v73
	s_add_i32 s43, s43, 16
	s_clause 0x3
	buffer_load_dword v74, v76, s[0:3], 0 offen offset:8
	buffer_load_dword v75, v76, s[0:3], 0 offen offset:12
	buffer_load_dword v82, v76, s[0:3], 0 offen
	buffer_load_dword v83, v76, s[0:3], 0 offen offset:4
	v_mov_b32_e32 v76, s42
	v_cmp_eq_u32_e32 vcc_lo, 0, v73
	s_add_i32 s42, s42, 16
	ds_read_b128 v[78:81], v76
	s_or_b32 s4, vcc_lo, s4
	s_waitcnt vmcnt(2) lgkmcnt(0)
	v_mul_f64 v[84:85], v[80:81], v[74:75]
	v_mul_f64 v[74:75], v[78:79], v[74:75]
	s_waitcnt vmcnt(0)
	v_fma_f64 v[78:79], v[78:79], v[82:83], -v[84:85]
	v_fma_f64 v[74:75], v[80:81], v[82:83], v[74:75]
	v_add_f64 v[1:2], v[1:2], v[78:79]
	v_add_f64 v[3:4], v[3:4], v[74:75]
	s_andn2_b32 exec_lo, exec_lo, s4
	s_cbranch_execnz .LBB32_80
; %bb.81:
	s_or_b32 exec_lo, exec_lo, s4
.LBB32_82:
	s_or_b32 exec_lo, exec_lo, s41
	v_mov_b32_e32 v73, 0
	ds_read_b128 v[73:76], v73 offset:352
	s_waitcnt lgkmcnt(0)
	v_mul_f64 v[78:79], v[3:4], v[75:76]
	v_mul_f64 v[75:76], v[1:2], v[75:76]
	v_fma_f64 v[1:2], v[1:2], v[73:74], -v[78:79]
	v_fma_f64 v[3:4], v[3:4], v[73:74], v[75:76]
	buffer_store_dword v2, off, s[0:3], 0 offset:356
	buffer_store_dword v1, off, s[0:3], 0 offset:352
	;; [unrolled: 1-line block ×4, first 2 shown]
.LBB32_83:
	s_or_b32 exec_lo, exec_lo, s8
	v_mov_b32_e32 v4, s18
	v_cmp_lt_u32_e64 s4, 21, v0
	s_clause 0x3
	buffer_load_dword v1, v4, s[0:3], 0 offen
	buffer_load_dword v2, v4, s[0:3], 0 offen offset:4
	buffer_load_dword v3, v4, s[0:3], 0 offen offset:8
	;; [unrolled: 1-line block ×3, first 2 shown]
	s_waitcnt vmcnt(0)
	ds_write_b128 v72, v[1:4]
	s_waitcnt lgkmcnt(0)
	s_waitcnt_vscnt null, 0x0
	s_barrier
	buffer_gl0_inv
	s_and_saveexec_b32 s8, s4
	s_cbranch_execz .LBB32_91
; %bb.84:
	ds_read_b128 v[1:4], v72
	s_andn2_b32 vcc_lo, exec_lo, s40
	s_cbranch_vccnz .LBB32_86
; %bb.85:
	s_clause 0x3
	buffer_load_dword v73, v71, s[0:3], 0 offen offset:8
	buffer_load_dword v74, v71, s[0:3], 0 offen offset:12
	buffer_load_dword v75, v71, s[0:3], 0 offen
	buffer_load_dword v76, v71, s[0:3], 0 offen offset:4
	s_waitcnt vmcnt(2) lgkmcnt(0)
	v_mul_f64 v[78:79], v[3:4], v[73:74]
	v_mul_f64 v[73:74], v[1:2], v[73:74]
	s_waitcnt vmcnt(0)
	v_fma_f64 v[1:2], v[1:2], v[75:76], -v[78:79]
	v_fma_f64 v[3:4], v[3:4], v[75:76], v[73:74]
.LBB32_86:
	s_and_saveexec_b32 s41, s5
	s_cbranch_execz .LBB32_90
; %bb.87:
	v_subrev_nc_u32_e32 v73, 22, v0
	s_movk_i32 s42, 0x370
	s_mov_b32 s5, 0
	s_mov_b32 s43, s17
	.p2align	6
.LBB32_88:                              ; =>This Inner Loop Header: Depth=1
	v_mov_b32_e32 v76, s43
	v_add_nc_u32_e32 v73, -1, v73
	s_add_i32 s43, s43, 16
	s_clause 0x3
	buffer_load_dword v74, v76, s[0:3], 0 offen offset:8
	buffer_load_dword v75, v76, s[0:3], 0 offen offset:12
	buffer_load_dword v82, v76, s[0:3], 0 offen
	buffer_load_dword v83, v76, s[0:3], 0 offen offset:4
	v_mov_b32_e32 v76, s42
	v_cmp_eq_u32_e32 vcc_lo, 0, v73
	s_add_i32 s42, s42, 16
	ds_read_b128 v[78:81], v76
	s_or_b32 s5, vcc_lo, s5
	s_waitcnt vmcnt(2) lgkmcnt(0)
	v_mul_f64 v[84:85], v[80:81], v[74:75]
	v_mul_f64 v[74:75], v[78:79], v[74:75]
	s_waitcnt vmcnt(0)
	v_fma_f64 v[78:79], v[78:79], v[82:83], -v[84:85]
	v_fma_f64 v[74:75], v[80:81], v[82:83], v[74:75]
	v_add_f64 v[1:2], v[1:2], v[78:79]
	v_add_f64 v[3:4], v[3:4], v[74:75]
	s_andn2_b32 exec_lo, exec_lo, s5
	s_cbranch_execnz .LBB32_88
; %bb.89:
	s_or_b32 exec_lo, exec_lo, s5
.LBB32_90:
	s_or_b32 exec_lo, exec_lo, s41
	v_mov_b32_e32 v73, 0
	ds_read_b128 v[73:76], v73 offset:336
	s_waitcnt lgkmcnt(0)
	v_mul_f64 v[78:79], v[3:4], v[75:76]
	v_mul_f64 v[75:76], v[1:2], v[75:76]
	v_fma_f64 v[1:2], v[1:2], v[73:74], -v[78:79]
	v_fma_f64 v[3:4], v[3:4], v[73:74], v[75:76]
	buffer_store_dword v2, off, s[0:3], 0 offset:340
	buffer_store_dword v1, off, s[0:3], 0 offset:336
	;; [unrolled: 1-line block ×4, first 2 shown]
.LBB32_91:
	s_or_b32 exec_lo, exec_lo, s8
	v_mov_b32_e32 v4, s19
	v_cmp_lt_u32_e64 s5, 20, v0
	s_clause 0x3
	buffer_load_dword v1, v4, s[0:3], 0 offen
	buffer_load_dword v2, v4, s[0:3], 0 offen offset:4
	buffer_load_dword v3, v4, s[0:3], 0 offen offset:8
	;; [unrolled: 1-line block ×3, first 2 shown]
	s_waitcnt vmcnt(0)
	ds_write_b128 v72, v[1:4]
	s_waitcnt lgkmcnt(0)
	s_waitcnt_vscnt null, 0x0
	s_barrier
	buffer_gl0_inv
	s_and_saveexec_b32 s8, s5
	s_cbranch_execz .LBB32_99
; %bb.92:
	ds_read_b128 v[1:4], v72
	s_andn2_b32 vcc_lo, exec_lo, s40
	s_cbranch_vccnz .LBB32_94
; %bb.93:
	s_clause 0x3
	buffer_load_dword v73, v71, s[0:3], 0 offen offset:8
	buffer_load_dword v74, v71, s[0:3], 0 offen offset:12
	buffer_load_dword v75, v71, s[0:3], 0 offen
	buffer_load_dword v76, v71, s[0:3], 0 offen offset:4
	s_waitcnt vmcnt(2) lgkmcnt(0)
	v_mul_f64 v[78:79], v[3:4], v[73:74]
	v_mul_f64 v[73:74], v[1:2], v[73:74]
	s_waitcnt vmcnt(0)
	v_fma_f64 v[1:2], v[1:2], v[75:76], -v[78:79]
	v_fma_f64 v[3:4], v[3:4], v[75:76], v[73:74]
.LBB32_94:
	s_and_saveexec_b32 s41, s4
	s_cbranch_execz .LBB32_98
; %bb.95:
	v_subrev_nc_u32_e32 v73, 21, v0
	s_movk_i32 s42, 0x360
	s_mov_b32 s4, 0
	s_mov_b32 s43, s18
	.p2align	6
.LBB32_96:                              ; =>This Inner Loop Header: Depth=1
	v_mov_b32_e32 v76, s43
	v_add_nc_u32_e32 v73, -1, v73
	s_add_i32 s43, s43, 16
	s_clause 0x3
	buffer_load_dword v74, v76, s[0:3], 0 offen offset:8
	buffer_load_dword v75, v76, s[0:3], 0 offen offset:12
	buffer_load_dword v82, v76, s[0:3], 0 offen
	buffer_load_dword v83, v76, s[0:3], 0 offen offset:4
	v_mov_b32_e32 v76, s42
	v_cmp_eq_u32_e32 vcc_lo, 0, v73
	s_add_i32 s42, s42, 16
	ds_read_b128 v[78:81], v76
	s_or_b32 s4, vcc_lo, s4
	s_waitcnt vmcnt(2) lgkmcnt(0)
	v_mul_f64 v[84:85], v[80:81], v[74:75]
	v_mul_f64 v[74:75], v[78:79], v[74:75]
	s_waitcnt vmcnt(0)
	v_fma_f64 v[78:79], v[78:79], v[82:83], -v[84:85]
	v_fma_f64 v[74:75], v[80:81], v[82:83], v[74:75]
	v_add_f64 v[1:2], v[1:2], v[78:79]
	v_add_f64 v[3:4], v[3:4], v[74:75]
	s_andn2_b32 exec_lo, exec_lo, s4
	s_cbranch_execnz .LBB32_96
; %bb.97:
	s_or_b32 exec_lo, exec_lo, s4
.LBB32_98:
	s_or_b32 exec_lo, exec_lo, s41
	v_mov_b32_e32 v73, 0
	ds_read_b128 v[73:76], v73 offset:320
	s_waitcnt lgkmcnt(0)
	v_mul_f64 v[78:79], v[3:4], v[75:76]
	v_mul_f64 v[75:76], v[1:2], v[75:76]
	v_fma_f64 v[1:2], v[1:2], v[73:74], -v[78:79]
	v_fma_f64 v[3:4], v[3:4], v[73:74], v[75:76]
	buffer_store_dword v2, off, s[0:3], 0 offset:324
	buffer_store_dword v1, off, s[0:3], 0 offset:320
	;; [unrolled: 1-line block ×4, first 2 shown]
.LBB32_99:
	s_or_b32 exec_lo, exec_lo, s8
	v_mov_b32_e32 v4, s20
	v_cmp_lt_u32_e64 s4, 19, v0
	s_clause 0x3
	buffer_load_dword v1, v4, s[0:3], 0 offen
	buffer_load_dword v2, v4, s[0:3], 0 offen offset:4
	buffer_load_dword v3, v4, s[0:3], 0 offen offset:8
	;; [unrolled: 1-line block ×3, first 2 shown]
	s_waitcnt vmcnt(0)
	ds_write_b128 v72, v[1:4]
	s_waitcnt lgkmcnt(0)
	s_waitcnt_vscnt null, 0x0
	s_barrier
	buffer_gl0_inv
	s_and_saveexec_b32 s8, s4
	s_cbranch_execz .LBB32_107
; %bb.100:
	ds_read_b128 v[1:4], v72
	s_andn2_b32 vcc_lo, exec_lo, s40
	s_cbranch_vccnz .LBB32_102
; %bb.101:
	s_clause 0x3
	buffer_load_dword v73, v71, s[0:3], 0 offen offset:8
	buffer_load_dword v74, v71, s[0:3], 0 offen offset:12
	buffer_load_dword v75, v71, s[0:3], 0 offen
	buffer_load_dword v76, v71, s[0:3], 0 offen offset:4
	s_waitcnt vmcnt(2) lgkmcnt(0)
	v_mul_f64 v[78:79], v[3:4], v[73:74]
	v_mul_f64 v[73:74], v[1:2], v[73:74]
	s_waitcnt vmcnt(0)
	v_fma_f64 v[1:2], v[1:2], v[75:76], -v[78:79]
	v_fma_f64 v[3:4], v[3:4], v[75:76], v[73:74]
.LBB32_102:
	s_and_saveexec_b32 s41, s5
	s_cbranch_execz .LBB32_106
; %bb.103:
	v_subrev_nc_u32_e32 v73, 20, v0
	s_movk_i32 s42, 0x350
	s_mov_b32 s5, 0
	s_mov_b32 s43, s19
	.p2align	6
.LBB32_104:                             ; =>This Inner Loop Header: Depth=1
	v_mov_b32_e32 v76, s43
	v_add_nc_u32_e32 v73, -1, v73
	s_add_i32 s43, s43, 16
	s_clause 0x3
	buffer_load_dword v74, v76, s[0:3], 0 offen offset:8
	buffer_load_dword v75, v76, s[0:3], 0 offen offset:12
	buffer_load_dword v82, v76, s[0:3], 0 offen
	buffer_load_dword v83, v76, s[0:3], 0 offen offset:4
	v_mov_b32_e32 v76, s42
	v_cmp_eq_u32_e32 vcc_lo, 0, v73
	s_add_i32 s42, s42, 16
	ds_read_b128 v[78:81], v76
	s_or_b32 s5, vcc_lo, s5
	s_waitcnt vmcnt(2) lgkmcnt(0)
	v_mul_f64 v[84:85], v[80:81], v[74:75]
	v_mul_f64 v[74:75], v[78:79], v[74:75]
	s_waitcnt vmcnt(0)
	v_fma_f64 v[78:79], v[78:79], v[82:83], -v[84:85]
	v_fma_f64 v[74:75], v[80:81], v[82:83], v[74:75]
	v_add_f64 v[1:2], v[1:2], v[78:79]
	v_add_f64 v[3:4], v[3:4], v[74:75]
	s_andn2_b32 exec_lo, exec_lo, s5
	s_cbranch_execnz .LBB32_104
; %bb.105:
	s_or_b32 exec_lo, exec_lo, s5
.LBB32_106:
	s_or_b32 exec_lo, exec_lo, s41
	v_mov_b32_e32 v73, 0
	ds_read_b128 v[73:76], v73 offset:304
	s_waitcnt lgkmcnt(0)
	v_mul_f64 v[78:79], v[3:4], v[75:76]
	v_mul_f64 v[75:76], v[1:2], v[75:76]
	v_fma_f64 v[1:2], v[1:2], v[73:74], -v[78:79]
	v_fma_f64 v[3:4], v[3:4], v[73:74], v[75:76]
	buffer_store_dword v2, off, s[0:3], 0 offset:308
	buffer_store_dword v1, off, s[0:3], 0 offset:304
	;; [unrolled: 1-line block ×4, first 2 shown]
.LBB32_107:
	s_or_b32 exec_lo, exec_lo, s8
	v_mov_b32_e32 v4, s21
	v_cmp_lt_u32_e64 s5, 18, v0
	s_clause 0x3
	buffer_load_dword v1, v4, s[0:3], 0 offen
	buffer_load_dword v2, v4, s[0:3], 0 offen offset:4
	buffer_load_dword v3, v4, s[0:3], 0 offen offset:8
	;; [unrolled: 1-line block ×3, first 2 shown]
	s_waitcnt vmcnt(0)
	ds_write_b128 v72, v[1:4]
	s_waitcnt lgkmcnt(0)
	s_waitcnt_vscnt null, 0x0
	s_barrier
	buffer_gl0_inv
	s_and_saveexec_b32 s8, s5
	s_cbranch_execz .LBB32_115
; %bb.108:
	ds_read_b128 v[1:4], v72
	s_andn2_b32 vcc_lo, exec_lo, s40
	s_cbranch_vccnz .LBB32_110
; %bb.109:
	s_clause 0x3
	buffer_load_dword v73, v71, s[0:3], 0 offen offset:8
	buffer_load_dword v74, v71, s[0:3], 0 offen offset:12
	buffer_load_dword v75, v71, s[0:3], 0 offen
	buffer_load_dword v76, v71, s[0:3], 0 offen offset:4
	s_waitcnt vmcnt(2) lgkmcnt(0)
	v_mul_f64 v[78:79], v[3:4], v[73:74]
	v_mul_f64 v[73:74], v[1:2], v[73:74]
	s_waitcnt vmcnt(0)
	v_fma_f64 v[1:2], v[1:2], v[75:76], -v[78:79]
	v_fma_f64 v[3:4], v[3:4], v[75:76], v[73:74]
.LBB32_110:
	s_and_saveexec_b32 s41, s4
	s_cbranch_execz .LBB32_114
; %bb.111:
	v_subrev_nc_u32_e32 v73, 19, v0
	s_movk_i32 s42, 0x340
	s_mov_b32 s4, 0
	s_mov_b32 s43, s20
	.p2align	6
.LBB32_112:                             ; =>This Inner Loop Header: Depth=1
	v_mov_b32_e32 v76, s43
	v_add_nc_u32_e32 v73, -1, v73
	s_add_i32 s43, s43, 16
	s_clause 0x3
	buffer_load_dword v74, v76, s[0:3], 0 offen offset:8
	buffer_load_dword v75, v76, s[0:3], 0 offen offset:12
	buffer_load_dword v82, v76, s[0:3], 0 offen
	buffer_load_dword v83, v76, s[0:3], 0 offen offset:4
	v_mov_b32_e32 v76, s42
	v_cmp_eq_u32_e32 vcc_lo, 0, v73
	s_add_i32 s42, s42, 16
	ds_read_b128 v[78:81], v76
	s_or_b32 s4, vcc_lo, s4
	s_waitcnt vmcnt(2) lgkmcnt(0)
	v_mul_f64 v[84:85], v[80:81], v[74:75]
	v_mul_f64 v[74:75], v[78:79], v[74:75]
	s_waitcnt vmcnt(0)
	v_fma_f64 v[78:79], v[78:79], v[82:83], -v[84:85]
	v_fma_f64 v[74:75], v[80:81], v[82:83], v[74:75]
	v_add_f64 v[1:2], v[1:2], v[78:79]
	v_add_f64 v[3:4], v[3:4], v[74:75]
	s_andn2_b32 exec_lo, exec_lo, s4
	s_cbranch_execnz .LBB32_112
; %bb.113:
	s_or_b32 exec_lo, exec_lo, s4
.LBB32_114:
	s_or_b32 exec_lo, exec_lo, s41
	v_mov_b32_e32 v73, 0
	ds_read_b128 v[73:76], v73 offset:288
	s_waitcnt lgkmcnt(0)
	v_mul_f64 v[78:79], v[3:4], v[75:76]
	v_mul_f64 v[75:76], v[1:2], v[75:76]
	v_fma_f64 v[1:2], v[1:2], v[73:74], -v[78:79]
	v_fma_f64 v[3:4], v[3:4], v[73:74], v[75:76]
	buffer_store_dword v2, off, s[0:3], 0 offset:292
	buffer_store_dword v1, off, s[0:3], 0 offset:288
	;; [unrolled: 1-line block ×4, first 2 shown]
.LBB32_115:
	s_or_b32 exec_lo, exec_lo, s8
	v_mov_b32_e32 v4, s22
	v_cmp_lt_u32_e64 s4, 17, v0
	s_clause 0x3
	buffer_load_dword v1, v4, s[0:3], 0 offen
	buffer_load_dword v2, v4, s[0:3], 0 offen offset:4
	buffer_load_dword v3, v4, s[0:3], 0 offen offset:8
	;; [unrolled: 1-line block ×3, first 2 shown]
	s_waitcnt vmcnt(0)
	ds_write_b128 v72, v[1:4]
	s_waitcnt lgkmcnt(0)
	s_waitcnt_vscnt null, 0x0
	s_barrier
	buffer_gl0_inv
	s_and_saveexec_b32 s8, s4
	s_cbranch_execz .LBB32_123
; %bb.116:
	ds_read_b128 v[1:4], v72
	s_andn2_b32 vcc_lo, exec_lo, s40
	s_cbranch_vccnz .LBB32_118
; %bb.117:
	s_clause 0x3
	buffer_load_dword v73, v71, s[0:3], 0 offen offset:8
	buffer_load_dword v74, v71, s[0:3], 0 offen offset:12
	buffer_load_dword v75, v71, s[0:3], 0 offen
	buffer_load_dword v76, v71, s[0:3], 0 offen offset:4
	s_waitcnt vmcnt(2) lgkmcnt(0)
	v_mul_f64 v[78:79], v[3:4], v[73:74]
	v_mul_f64 v[73:74], v[1:2], v[73:74]
	s_waitcnt vmcnt(0)
	v_fma_f64 v[1:2], v[1:2], v[75:76], -v[78:79]
	v_fma_f64 v[3:4], v[3:4], v[75:76], v[73:74]
.LBB32_118:
	s_and_saveexec_b32 s41, s5
	s_cbranch_execz .LBB32_122
; %bb.119:
	v_subrev_nc_u32_e32 v73, 18, v0
	s_movk_i32 s42, 0x330
	s_mov_b32 s5, 0
	s_mov_b32 s43, s21
	.p2align	6
.LBB32_120:                             ; =>This Inner Loop Header: Depth=1
	v_mov_b32_e32 v76, s43
	v_add_nc_u32_e32 v73, -1, v73
	s_add_i32 s43, s43, 16
	s_clause 0x3
	buffer_load_dword v74, v76, s[0:3], 0 offen offset:8
	buffer_load_dword v75, v76, s[0:3], 0 offen offset:12
	buffer_load_dword v82, v76, s[0:3], 0 offen
	buffer_load_dword v83, v76, s[0:3], 0 offen offset:4
	v_mov_b32_e32 v76, s42
	v_cmp_eq_u32_e32 vcc_lo, 0, v73
	s_add_i32 s42, s42, 16
	ds_read_b128 v[78:81], v76
	s_or_b32 s5, vcc_lo, s5
	s_waitcnt vmcnt(2) lgkmcnt(0)
	v_mul_f64 v[84:85], v[80:81], v[74:75]
	v_mul_f64 v[74:75], v[78:79], v[74:75]
	s_waitcnt vmcnt(0)
	v_fma_f64 v[78:79], v[78:79], v[82:83], -v[84:85]
	v_fma_f64 v[74:75], v[80:81], v[82:83], v[74:75]
	v_add_f64 v[1:2], v[1:2], v[78:79]
	v_add_f64 v[3:4], v[3:4], v[74:75]
	s_andn2_b32 exec_lo, exec_lo, s5
	s_cbranch_execnz .LBB32_120
; %bb.121:
	s_or_b32 exec_lo, exec_lo, s5
.LBB32_122:
	s_or_b32 exec_lo, exec_lo, s41
	v_mov_b32_e32 v73, 0
	ds_read_b128 v[73:76], v73 offset:272
	s_waitcnt lgkmcnt(0)
	v_mul_f64 v[78:79], v[3:4], v[75:76]
	v_mul_f64 v[75:76], v[1:2], v[75:76]
	v_fma_f64 v[1:2], v[1:2], v[73:74], -v[78:79]
	v_fma_f64 v[3:4], v[3:4], v[73:74], v[75:76]
	buffer_store_dword v2, off, s[0:3], 0 offset:276
	buffer_store_dword v1, off, s[0:3], 0 offset:272
	;; [unrolled: 1-line block ×4, first 2 shown]
.LBB32_123:
	s_or_b32 exec_lo, exec_lo, s8
	v_mov_b32_e32 v4, s23
	v_cmp_lt_u32_e64 s5, 16, v0
	s_clause 0x3
	buffer_load_dword v1, v4, s[0:3], 0 offen
	buffer_load_dword v2, v4, s[0:3], 0 offen offset:4
	buffer_load_dword v3, v4, s[0:3], 0 offen offset:8
	;; [unrolled: 1-line block ×3, first 2 shown]
	s_waitcnt vmcnt(0)
	ds_write_b128 v72, v[1:4]
	s_waitcnt lgkmcnt(0)
	s_waitcnt_vscnt null, 0x0
	s_barrier
	buffer_gl0_inv
	s_and_saveexec_b32 s8, s5
	s_cbranch_execz .LBB32_131
; %bb.124:
	ds_read_b128 v[1:4], v72
	s_andn2_b32 vcc_lo, exec_lo, s40
	s_cbranch_vccnz .LBB32_126
; %bb.125:
	s_clause 0x3
	buffer_load_dword v73, v71, s[0:3], 0 offen offset:8
	buffer_load_dword v74, v71, s[0:3], 0 offen offset:12
	buffer_load_dword v75, v71, s[0:3], 0 offen
	buffer_load_dword v76, v71, s[0:3], 0 offen offset:4
	s_waitcnt vmcnt(2) lgkmcnt(0)
	v_mul_f64 v[78:79], v[3:4], v[73:74]
	v_mul_f64 v[73:74], v[1:2], v[73:74]
	s_waitcnt vmcnt(0)
	v_fma_f64 v[1:2], v[1:2], v[75:76], -v[78:79]
	v_fma_f64 v[3:4], v[3:4], v[75:76], v[73:74]
.LBB32_126:
	s_and_saveexec_b32 s41, s4
	s_cbranch_execz .LBB32_130
; %bb.127:
	v_subrev_nc_u32_e32 v73, 17, v0
	s_movk_i32 s42, 0x320
	s_mov_b32 s4, 0
	s_mov_b32 s43, s22
	.p2align	6
.LBB32_128:                             ; =>This Inner Loop Header: Depth=1
	v_mov_b32_e32 v76, s43
	v_add_nc_u32_e32 v73, -1, v73
	s_add_i32 s43, s43, 16
	s_clause 0x3
	buffer_load_dword v74, v76, s[0:3], 0 offen offset:8
	buffer_load_dword v75, v76, s[0:3], 0 offen offset:12
	buffer_load_dword v82, v76, s[0:3], 0 offen
	buffer_load_dword v83, v76, s[0:3], 0 offen offset:4
	v_mov_b32_e32 v76, s42
	v_cmp_eq_u32_e32 vcc_lo, 0, v73
	s_add_i32 s42, s42, 16
	ds_read_b128 v[78:81], v76
	s_or_b32 s4, vcc_lo, s4
	s_waitcnt vmcnt(2) lgkmcnt(0)
	v_mul_f64 v[84:85], v[80:81], v[74:75]
	v_mul_f64 v[74:75], v[78:79], v[74:75]
	s_waitcnt vmcnt(0)
	v_fma_f64 v[78:79], v[78:79], v[82:83], -v[84:85]
	v_fma_f64 v[74:75], v[80:81], v[82:83], v[74:75]
	v_add_f64 v[1:2], v[1:2], v[78:79]
	v_add_f64 v[3:4], v[3:4], v[74:75]
	s_andn2_b32 exec_lo, exec_lo, s4
	s_cbranch_execnz .LBB32_128
; %bb.129:
	s_or_b32 exec_lo, exec_lo, s4
.LBB32_130:
	s_or_b32 exec_lo, exec_lo, s41
	v_mov_b32_e32 v73, 0
	ds_read_b128 v[73:76], v73 offset:256
	s_waitcnt lgkmcnt(0)
	v_mul_f64 v[78:79], v[3:4], v[75:76]
	v_mul_f64 v[75:76], v[1:2], v[75:76]
	v_fma_f64 v[1:2], v[1:2], v[73:74], -v[78:79]
	v_fma_f64 v[3:4], v[3:4], v[73:74], v[75:76]
	buffer_store_dword v2, off, s[0:3], 0 offset:260
	buffer_store_dword v1, off, s[0:3], 0 offset:256
	;; [unrolled: 1-line block ×4, first 2 shown]
.LBB32_131:
	s_or_b32 exec_lo, exec_lo, s8
	v_mov_b32_e32 v4, s24
	v_cmp_lt_u32_e64 s4, 15, v0
	s_clause 0x3
	buffer_load_dword v1, v4, s[0:3], 0 offen
	buffer_load_dword v2, v4, s[0:3], 0 offen offset:4
	buffer_load_dword v3, v4, s[0:3], 0 offen offset:8
	;; [unrolled: 1-line block ×3, first 2 shown]
	s_waitcnt vmcnt(0)
	ds_write_b128 v72, v[1:4]
	s_waitcnt lgkmcnt(0)
	s_waitcnt_vscnt null, 0x0
	s_barrier
	buffer_gl0_inv
	s_and_saveexec_b32 s8, s4
	s_cbranch_execz .LBB32_139
; %bb.132:
	ds_read_b128 v[1:4], v72
	s_andn2_b32 vcc_lo, exec_lo, s40
	s_cbranch_vccnz .LBB32_134
; %bb.133:
	s_clause 0x3
	buffer_load_dword v73, v71, s[0:3], 0 offen offset:8
	buffer_load_dword v74, v71, s[0:3], 0 offen offset:12
	buffer_load_dword v75, v71, s[0:3], 0 offen
	buffer_load_dword v76, v71, s[0:3], 0 offen offset:4
	s_waitcnt vmcnt(2) lgkmcnt(0)
	v_mul_f64 v[78:79], v[3:4], v[73:74]
	v_mul_f64 v[73:74], v[1:2], v[73:74]
	s_waitcnt vmcnt(0)
	v_fma_f64 v[1:2], v[1:2], v[75:76], -v[78:79]
	v_fma_f64 v[3:4], v[3:4], v[75:76], v[73:74]
.LBB32_134:
	s_and_saveexec_b32 s41, s5
	s_cbranch_execz .LBB32_138
; %bb.135:
	v_add_nc_u32_e32 v73, -16, v0
	s_movk_i32 s42, 0x310
	s_mov_b32 s5, 0
	s_mov_b32 s43, s23
	.p2align	6
.LBB32_136:                             ; =>This Inner Loop Header: Depth=1
	v_mov_b32_e32 v76, s43
	v_add_nc_u32_e32 v73, -1, v73
	s_add_i32 s43, s43, 16
	s_clause 0x3
	buffer_load_dword v74, v76, s[0:3], 0 offen offset:8
	buffer_load_dword v75, v76, s[0:3], 0 offen offset:12
	buffer_load_dword v82, v76, s[0:3], 0 offen
	buffer_load_dword v83, v76, s[0:3], 0 offen offset:4
	v_mov_b32_e32 v76, s42
	v_cmp_eq_u32_e32 vcc_lo, 0, v73
	s_add_i32 s42, s42, 16
	ds_read_b128 v[78:81], v76
	s_or_b32 s5, vcc_lo, s5
	s_waitcnt vmcnt(2) lgkmcnt(0)
	v_mul_f64 v[84:85], v[80:81], v[74:75]
	v_mul_f64 v[74:75], v[78:79], v[74:75]
	s_waitcnt vmcnt(0)
	v_fma_f64 v[78:79], v[78:79], v[82:83], -v[84:85]
	v_fma_f64 v[74:75], v[80:81], v[82:83], v[74:75]
	v_add_f64 v[1:2], v[1:2], v[78:79]
	v_add_f64 v[3:4], v[3:4], v[74:75]
	s_andn2_b32 exec_lo, exec_lo, s5
	s_cbranch_execnz .LBB32_136
; %bb.137:
	s_or_b32 exec_lo, exec_lo, s5
.LBB32_138:
	s_or_b32 exec_lo, exec_lo, s41
	v_mov_b32_e32 v73, 0
	ds_read_b128 v[73:76], v73 offset:240
	s_waitcnt lgkmcnt(0)
	v_mul_f64 v[78:79], v[3:4], v[75:76]
	v_mul_f64 v[75:76], v[1:2], v[75:76]
	v_fma_f64 v[1:2], v[1:2], v[73:74], -v[78:79]
	v_fma_f64 v[3:4], v[3:4], v[73:74], v[75:76]
	buffer_store_dword v2, off, s[0:3], 0 offset:244
	buffer_store_dword v1, off, s[0:3], 0 offset:240
	;; [unrolled: 1-line block ×4, first 2 shown]
.LBB32_139:
	s_or_b32 exec_lo, exec_lo, s8
	v_mov_b32_e32 v4, s25
	v_cmp_lt_u32_e64 s5, 14, v0
	s_clause 0x3
	buffer_load_dword v1, v4, s[0:3], 0 offen
	buffer_load_dword v2, v4, s[0:3], 0 offen offset:4
	buffer_load_dword v3, v4, s[0:3], 0 offen offset:8
	;; [unrolled: 1-line block ×3, first 2 shown]
	s_waitcnt vmcnt(0)
	ds_write_b128 v72, v[1:4]
	s_waitcnt lgkmcnt(0)
	s_waitcnt_vscnt null, 0x0
	s_barrier
	buffer_gl0_inv
	s_and_saveexec_b32 s8, s5
	s_cbranch_execz .LBB32_147
; %bb.140:
	ds_read_b128 v[1:4], v72
	s_andn2_b32 vcc_lo, exec_lo, s40
	s_cbranch_vccnz .LBB32_142
; %bb.141:
	s_clause 0x3
	buffer_load_dword v73, v71, s[0:3], 0 offen offset:8
	buffer_load_dword v74, v71, s[0:3], 0 offen offset:12
	buffer_load_dword v75, v71, s[0:3], 0 offen
	buffer_load_dword v76, v71, s[0:3], 0 offen offset:4
	s_waitcnt vmcnt(2) lgkmcnt(0)
	v_mul_f64 v[78:79], v[3:4], v[73:74]
	v_mul_f64 v[73:74], v[1:2], v[73:74]
	s_waitcnt vmcnt(0)
	v_fma_f64 v[1:2], v[1:2], v[75:76], -v[78:79]
	v_fma_f64 v[3:4], v[3:4], v[75:76], v[73:74]
.LBB32_142:
	s_and_saveexec_b32 s41, s4
	s_cbranch_execz .LBB32_146
; %bb.143:
	v_add_nc_u32_e32 v73, -15, v0
	s_movk_i32 s42, 0x300
	s_mov_b32 s4, 0
	s_mov_b32 s43, s24
	.p2align	6
.LBB32_144:                             ; =>This Inner Loop Header: Depth=1
	v_mov_b32_e32 v76, s43
	v_add_nc_u32_e32 v73, -1, v73
	s_add_i32 s43, s43, 16
	s_clause 0x3
	buffer_load_dword v74, v76, s[0:3], 0 offen offset:8
	buffer_load_dword v75, v76, s[0:3], 0 offen offset:12
	buffer_load_dword v82, v76, s[0:3], 0 offen
	buffer_load_dword v83, v76, s[0:3], 0 offen offset:4
	v_mov_b32_e32 v76, s42
	v_cmp_eq_u32_e32 vcc_lo, 0, v73
	s_add_i32 s42, s42, 16
	ds_read_b128 v[78:81], v76
	s_or_b32 s4, vcc_lo, s4
	s_waitcnt vmcnt(2) lgkmcnt(0)
	v_mul_f64 v[84:85], v[80:81], v[74:75]
	v_mul_f64 v[74:75], v[78:79], v[74:75]
	s_waitcnt vmcnt(0)
	v_fma_f64 v[78:79], v[78:79], v[82:83], -v[84:85]
	v_fma_f64 v[74:75], v[80:81], v[82:83], v[74:75]
	v_add_f64 v[1:2], v[1:2], v[78:79]
	v_add_f64 v[3:4], v[3:4], v[74:75]
	s_andn2_b32 exec_lo, exec_lo, s4
	s_cbranch_execnz .LBB32_144
; %bb.145:
	s_or_b32 exec_lo, exec_lo, s4
.LBB32_146:
	s_or_b32 exec_lo, exec_lo, s41
	v_mov_b32_e32 v73, 0
	ds_read_b128 v[73:76], v73 offset:224
	s_waitcnt lgkmcnt(0)
	v_mul_f64 v[78:79], v[3:4], v[75:76]
	v_mul_f64 v[75:76], v[1:2], v[75:76]
	v_fma_f64 v[1:2], v[1:2], v[73:74], -v[78:79]
	v_fma_f64 v[3:4], v[3:4], v[73:74], v[75:76]
	buffer_store_dword v2, off, s[0:3], 0 offset:228
	buffer_store_dword v1, off, s[0:3], 0 offset:224
	;; [unrolled: 1-line block ×4, first 2 shown]
.LBB32_147:
	s_or_b32 exec_lo, exec_lo, s8
	v_mov_b32_e32 v4, s26
	v_cmp_lt_u32_e64 s4, 13, v0
	s_clause 0x3
	buffer_load_dword v1, v4, s[0:3], 0 offen
	buffer_load_dword v2, v4, s[0:3], 0 offen offset:4
	buffer_load_dword v3, v4, s[0:3], 0 offen offset:8
	;; [unrolled: 1-line block ×3, first 2 shown]
	s_waitcnt vmcnt(0)
	ds_write_b128 v72, v[1:4]
	s_waitcnt lgkmcnt(0)
	s_waitcnt_vscnt null, 0x0
	s_barrier
	buffer_gl0_inv
	s_and_saveexec_b32 s8, s4
	s_cbranch_execz .LBB32_155
; %bb.148:
	ds_read_b128 v[1:4], v72
	s_andn2_b32 vcc_lo, exec_lo, s40
	s_cbranch_vccnz .LBB32_150
; %bb.149:
	s_clause 0x3
	buffer_load_dword v73, v71, s[0:3], 0 offen offset:8
	buffer_load_dword v74, v71, s[0:3], 0 offen offset:12
	buffer_load_dword v75, v71, s[0:3], 0 offen
	buffer_load_dword v76, v71, s[0:3], 0 offen offset:4
	s_waitcnt vmcnt(2) lgkmcnt(0)
	v_mul_f64 v[78:79], v[3:4], v[73:74]
	v_mul_f64 v[73:74], v[1:2], v[73:74]
	s_waitcnt vmcnt(0)
	v_fma_f64 v[1:2], v[1:2], v[75:76], -v[78:79]
	v_fma_f64 v[3:4], v[3:4], v[75:76], v[73:74]
.LBB32_150:
	s_and_saveexec_b32 s41, s5
	s_cbranch_execz .LBB32_154
; %bb.151:
	v_add_nc_u32_e32 v73, -14, v0
	s_movk_i32 s42, 0x2f0
	s_mov_b32 s5, 0
	s_mov_b32 s43, s25
	.p2align	6
.LBB32_152:                             ; =>This Inner Loop Header: Depth=1
	v_mov_b32_e32 v76, s43
	v_add_nc_u32_e32 v73, -1, v73
	s_add_i32 s43, s43, 16
	s_clause 0x3
	buffer_load_dword v74, v76, s[0:3], 0 offen offset:8
	buffer_load_dword v75, v76, s[0:3], 0 offen offset:12
	buffer_load_dword v82, v76, s[0:3], 0 offen
	buffer_load_dword v83, v76, s[0:3], 0 offen offset:4
	v_mov_b32_e32 v76, s42
	v_cmp_eq_u32_e32 vcc_lo, 0, v73
	s_add_i32 s42, s42, 16
	ds_read_b128 v[78:81], v76
	s_or_b32 s5, vcc_lo, s5
	s_waitcnt vmcnt(2) lgkmcnt(0)
	v_mul_f64 v[84:85], v[80:81], v[74:75]
	v_mul_f64 v[74:75], v[78:79], v[74:75]
	s_waitcnt vmcnt(0)
	v_fma_f64 v[78:79], v[78:79], v[82:83], -v[84:85]
	v_fma_f64 v[74:75], v[80:81], v[82:83], v[74:75]
	v_add_f64 v[1:2], v[1:2], v[78:79]
	v_add_f64 v[3:4], v[3:4], v[74:75]
	s_andn2_b32 exec_lo, exec_lo, s5
	s_cbranch_execnz .LBB32_152
; %bb.153:
	s_or_b32 exec_lo, exec_lo, s5
.LBB32_154:
	s_or_b32 exec_lo, exec_lo, s41
	v_mov_b32_e32 v73, 0
	ds_read_b128 v[73:76], v73 offset:208
	s_waitcnt lgkmcnt(0)
	v_mul_f64 v[78:79], v[3:4], v[75:76]
	v_mul_f64 v[75:76], v[1:2], v[75:76]
	v_fma_f64 v[1:2], v[1:2], v[73:74], -v[78:79]
	v_fma_f64 v[3:4], v[3:4], v[73:74], v[75:76]
	buffer_store_dword v2, off, s[0:3], 0 offset:212
	buffer_store_dword v1, off, s[0:3], 0 offset:208
	;; [unrolled: 1-line block ×4, first 2 shown]
.LBB32_155:
	s_or_b32 exec_lo, exec_lo, s8
	v_mov_b32_e32 v4, s27
	v_cmp_lt_u32_e64 s5, 12, v0
	s_clause 0x3
	buffer_load_dword v1, v4, s[0:3], 0 offen
	buffer_load_dword v2, v4, s[0:3], 0 offen offset:4
	buffer_load_dword v3, v4, s[0:3], 0 offen offset:8
	;; [unrolled: 1-line block ×3, first 2 shown]
	s_waitcnt vmcnt(0)
	ds_write_b128 v72, v[1:4]
	s_waitcnt lgkmcnt(0)
	s_waitcnt_vscnt null, 0x0
	s_barrier
	buffer_gl0_inv
	s_and_saveexec_b32 s8, s5
	s_cbranch_execz .LBB32_163
; %bb.156:
	ds_read_b128 v[1:4], v72
	s_andn2_b32 vcc_lo, exec_lo, s40
	s_cbranch_vccnz .LBB32_158
; %bb.157:
	s_clause 0x3
	buffer_load_dword v73, v71, s[0:3], 0 offen offset:8
	buffer_load_dword v74, v71, s[0:3], 0 offen offset:12
	buffer_load_dword v75, v71, s[0:3], 0 offen
	buffer_load_dword v76, v71, s[0:3], 0 offen offset:4
	s_waitcnt vmcnt(2) lgkmcnt(0)
	v_mul_f64 v[78:79], v[3:4], v[73:74]
	v_mul_f64 v[73:74], v[1:2], v[73:74]
	s_waitcnt vmcnt(0)
	v_fma_f64 v[1:2], v[1:2], v[75:76], -v[78:79]
	v_fma_f64 v[3:4], v[3:4], v[75:76], v[73:74]
.LBB32_158:
	s_and_saveexec_b32 s41, s4
	s_cbranch_execz .LBB32_162
; %bb.159:
	v_add_nc_u32_e32 v73, -13, v0
	s_movk_i32 s42, 0x2e0
	s_mov_b32 s4, 0
	s_mov_b32 s43, s26
	.p2align	6
.LBB32_160:                             ; =>This Inner Loop Header: Depth=1
	v_mov_b32_e32 v76, s43
	v_add_nc_u32_e32 v73, -1, v73
	s_add_i32 s43, s43, 16
	s_clause 0x3
	buffer_load_dword v74, v76, s[0:3], 0 offen offset:8
	buffer_load_dword v75, v76, s[0:3], 0 offen offset:12
	buffer_load_dword v82, v76, s[0:3], 0 offen
	buffer_load_dword v83, v76, s[0:3], 0 offen offset:4
	v_mov_b32_e32 v76, s42
	v_cmp_eq_u32_e32 vcc_lo, 0, v73
	s_add_i32 s42, s42, 16
	ds_read_b128 v[78:81], v76
	s_or_b32 s4, vcc_lo, s4
	s_waitcnt vmcnt(2) lgkmcnt(0)
	v_mul_f64 v[84:85], v[80:81], v[74:75]
	v_mul_f64 v[74:75], v[78:79], v[74:75]
	s_waitcnt vmcnt(0)
	v_fma_f64 v[78:79], v[78:79], v[82:83], -v[84:85]
	v_fma_f64 v[74:75], v[80:81], v[82:83], v[74:75]
	v_add_f64 v[1:2], v[1:2], v[78:79]
	v_add_f64 v[3:4], v[3:4], v[74:75]
	s_andn2_b32 exec_lo, exec_lo, s4
	s_cbranch_execnz .LBB32_160
; %bb.161:
	s_or_b32 exec_lo, exec_lo, s4
.LBB32_162:
	s_or_b32 exec_lo, exec_lo, s41
	v_mov_b32_e32 v73, 0
	ds_read_b128 v[73:76], v73 offset:192
	s_waitcnt lgkmcnt(0)
	v_mul_f64 v[78:79], v[3:4], v[75:76]
	v_mul_f64 v[75:76], v[1:2], v[75:76]
	v_fma_f64 v[1:2], v[1:2], v[73:74], -v[78:79]
	v_fma_f64 v[3:4], v[3:4], v[73:74], v[75:76]
	buffer_store_dword v2, off, s[0:3], 0 offset:196
	buffer_store_dword v1, off, s[0:3], 0 offset:192
	;; [unrolled: 1-line block ×4, first 2 shown]
.LBB32_163:
	s_or_b32 exec_lo, exec_lo, s8
	v_mov_b32_e32 v4, s28
	v_cmp_lt_u32_e64 s4, 11, v0
	s_clause 0x3
	buffer_load_dword v1, v4, s[0:3], 0 offen
	buffer_load_dword v2, v4, s[0:3], 0 offen offset:4
	buffer_load_dword v3, v4, s[0:3], 0 offen offset:8
	;; [unrolled: 1-line block ×3, first 2 shown]
	s_waitcnt vmcnt(0)
	ds_write_b128 v72, v[1:4]
	s_waitcnt lgkmcnt(0)
	s_waitcnt_vscnt null, 0x0
	s_barrier
	buffer_gl0_inv
	s_and_saveexec_b32 s8, s4
	s_cbranch_execz .LBB32_171
; %bb.164:
	ds_read_b128 v[1:4], v72
	s_andn2_b32 vcc_lo, exec_lo, s40
	s_cbranch_vccnz .LBB32_166
; %bb.165:
	s_clause 0x3
	buffer_load_dword v73, v71, s[0:3], 0 offen offset:8
	buffer_load_dword v74, v71, s[0:3], 0 offen offset:12
	buffer_load_dword v75, v71, s[0:3], 0 offen
	buffer_load_dword v76, v71, s[0:3], 0 offen offset:4
	s_waitcnt vmcnt(2) lgkmcnt(0)
	v_mul_f64 v[78:79], v[3:4], v[73:74]
	v_mul_f64 v[73:74], v[1:2], v[73:74]
	s_waitcnt vmcnt(0)
	v_fma_f64 v[1:2], v[1:2], v[75:76], -v[78:79]
	v_fma_f64 v[3:4], v[3:4], v[75:76], v[73:74]
.LBB32_166:
	s_and_saveexec_b32 s41, s5
	s_cbranch_execz .LBB32_170
; %bb.167:
	v_add_nc_u32_e32 v73, -12, v0
	s_movk_i32 s42, 0x2d0
	s_mov_b32 s5, 0
	s_mov_b32 s43, s27
	.p2align	6
.LBB32_168:                             ; =>This Inner Loop Header: Depth=1
	v_mov_b32_e32 v76, s43
	v_add_nc_u32_e32 v73, -1, v73
	s_add_i32 s43, s43, 16
	s_clause 0x3
	buffer_load_dword v74, v76, s[0:3], 0 offen offset:8
	buffer_load_dword v75, v76, s[0:3], 0 offen offset:12
	buffer_load_dword v82, v76, s[0:3], 0 offen
	buffer_load_dword v83, v76, s[0:3], 0 offen offset:4
	v_mov_b32_e32 v76, s42
	v_cmp_eq_u32_e32 vcc_lo, 0, v73
	s_add_i32 s42, s42, 16
	ds_read_b128 v[78:81], v76
	s_or_b32 s5, vcc_lo, s5
	s_waitcnt vmcnt(2) lgkmcnt(0)
	v_mul_f64 v[84:85], v[80:81], v[74:75]
	v_mul_f64 v[74:75], v[78:79], v[74:75]
	s_waitcnt vmcnt(0)
	v_fma_f64 v[78:79], v[78:79], v[82:83], -v[84:85]
	v_fma_f64 v[74:75], v[80:81], v[82:83], v[74:75]
	v_add_f64 v[1:2], v[1:2], v[78:79]
	v_add_f64 v[3:4], v[3:4], v[74:75]
	s_andn2_b32 exec_lo, exec_lo, s5
	s_cbranch_execnz .LBB32_168
; %bb.169:
	s_or_b32 exec_lo, exec_lo, s5
.LBB32_170:
	s_or_b32 exec_lo, exec_lo, s41
	v_mov_b32_e32 v73, 0
	ds_read_b128 v[73:76], v73 offset:176
	s_waitcnt lgkmcnt(0)
	v_mul_f64 v[78:79], v[3:4], v[75:76]
	v_mul_f64 v[75:76], v[1:2], v[75:76]
	v_fma_f64 v[1:2], v[1:2], v[73:74], -v[78:79]
	v_fma_f64 v[3:4], v[3:4], v[73:74], v[75:76]
	buffer_store_dword v2, off, s[0:3], 0 offset:180
	buffer_store_dword v1, off, s[0:3], 0 offset:176
	;; [unrolled: 1-line block ×4, first 2 shown]
.LBB32_171:
	s_or_b32 exec_lo, exec_lo, s8
	v_mov_b32_e32 v4, s29
	v_cmp_lt_u32_e64 s5, 10, v0
	s_clause 0x3
	buffer_load_dword v1, v4, s[0:3], 0 offen
	buffer_load_dword v2, v4, s[0:3], 0 offen offset:4
	buffer_load_dword v3, v4, s[0:3], 0 offen offset:8
	;; [unrolled: 1-line block ×3, first 2 shown]
	s_waitcnt vmcnt(0)
	ds_write_b128 v72, v[1:4]
	s_waitcnt lgkmcnt(0)
	s_waitcnt_vscnt null, 0x0
	s_barrier
	buffer_gl0_inv
	s_and_saveexec_b32 s8, s5
	s_cbranch_execz .LBB32_179
; %bb.172:
	ds_read_b128 v[1:4], v72
	s_andn2_b32 vcc_lo, exec_lo, s40
	s_cbranch_vccnz .LBB32_174
; %bb.173:
	s_clause 0x3
	buffer_load_dword v73, v71, s[0:3], 0 offen offset:8
	buffer_load_dword v74, v71, s[0:3], 0 offen offset:12
	buffer_load_dword v75, v71, s[0:3], 0 offen
	buffer_load_dword v76, v71, s[0:3], 0 offen offset:4
	s_waitcnt vmcnt(2) lgkmcnt(0)
	v_mul_f64 v[78:79], v[3:4], v[73:74]
	v_mul_f64 v[73:74], v[1:2], v[73:74]
	s_waitcnt vmcnt(0)
	v_fma_f64 v[1:2], v[1:2], v[75:76], -v[78:79]
	v_fma_f64 v[3:4], v[3:4], v[75:76], v[73:74]
.LBB32_174:
	s_and_saveexec_b32 s41, s4
	s_cbranch_execz .LBB32_178
; %bb.175:
	v_add_nc_u32_e32 v73, -11, v0
	s_movk_i32 s42, 0x2c0
	s_mov_b32 s4, 0
	s_mov_b32 s43, s28
	.p2align	6
.LBB32_176:                             ; =>This Inner Loop Header: Depth=1
	v_mov_b32_e32 v76, s43
	v_add_nc_u32_e32 v73, -1, v73
	s_add_i32 s43, s43, 16
	s_clause 0x3
	buffer_load_dword v74, v76, s[0:3], 0 offen offset:8
	buffer_load_dword v75, v76, s[0:3], 0 offen offset:12
	buffer_load_dword v82, v76, s[0:3], 0 offen
	buffer_load_dword v83, v76, s[0:3], 0 offen offset:4
	v_mov_b32_e32 v76, s42
	v_cmp_eq_u32_e32 vcc_lo, 0, v73
	s_add_i32 s42, s42, 16
	ds_read_b128 v[78:81], v76
	s_or_b32 s4, vcc_lo, s4
	s_waitcnt vmcnt(2) lgkmcnt(0)
	v_mul_f64 v[84:85], v[80:81], v[74:75]
	v_mul_f64 v[74:75], v[78:79], v[74:75]
	s_waitcnt vmcnt(0)
	v_fma_f64 v[78:79], v[78:79], v[82:83], -v[84:85]
	v_fma_f64 v[74:75], v[80:81], v[82:83], v[74:75]
	v_add_f64 v[1:2], v[1:2], v[78:79]
	v_add_f64 v[3:4], v[3:4], v[74:75]
	s_andn2_b32 exec_lo, exec_lo, s4
	s_cbranch_execnz .LBB32_176
; %bb.177:
	s_or_b32 exec_lo, exec_lo, s4
.LBB32_178:
	s_or_b32 exec_lo, exec_lo, s41
	v_mov_b32_e32 v73, 0
	ds_read_b128 v[73:76], v73 offset:160
	s_waitcnt lgkmcnt(0)
	v_mul_f64 v[78:79], v[3:4], v[75:76]
	v_mul_f64 v[75:76], v[1:2], v[75:76]
	v_fma_f64 v[1:2], v[1:2], v[73:74], -v[78:79]
	v_fma_f64 v[3:4], v[3:4], v[73:74], v[75:76]
	buffer_store_dword v2, off, s[0:3], 0 offset:164
	buffer_store_dword v1, off, s[0:3], 0 offset:160
	;; [unrolled: 1-line block ×4, first 2 shown]
.LBB32_179:
	s_or_b32 exec_lo, exec_lo, s8
	v_mov_b32_e32 v4, s30
	v_cmp_lt_u32_e64 s4, 9, v0
	s_clause 0x3
	buffer_load_dword v1, v4, s[0:3], 0 offen
	buffer_load_dword v2, v4, s[0:3], 0 offen offset:4
	buffer_load_dword v3, v4, s[0:3], 0 offen offset:8
	;; [unrolled: 1-line block ×3, first 2 shown]
	s_waitcnt vmcnt(0)
	ds_write_b128 v72, v[1:4]
	s_waitcnt lgkmcnt(0)
	s_waitcnt_vscnt null, 0x0
	s_barrier
	buffer_gl0_inv
	s_and_saveexec_b32 s8, s4
	s_cbranch_execz .LBB32_187
; %bb.180:
	ds_read_b128 v[1:4], v72
	s_andn2_b32 vcc_lo, exec_lo, s40
	s_cbranch_vccnz .LBB32_182
; %bb.181:
	s_clause 0x3
	buffer_load_dword v73, v71, s[0:3], 0 offen offset:8
	buffer_load_dword v74, v71, s[0:3], 0 offen offset:12
	buffer_load_dword v75, v71, s[0:3], 0 offen
	buffer_load_dword v76, v71, s[0:3], 0 offen offset:4
	s_waitcnt vmcnt(2) lgkmcnt(0)
	v_mul_f64 v[78:79], v[3:4], v[73:74]
	v_mul_f64 v[73:74], v[1:2], v[73:74]
	s_waitcnt vmcnt(0)
	v_fma_f64 v[1:2], v[1:2], v[75:76], -v[78:79]
	v_fma_f64 v[3:4], v[3:4], v[75:76], v[73:74]
.LBB32_182:
	s_and_saveexec_b32 s41, s5
	s_cbranch_execz .LBB32_186
; %bb.183:
	v_add_nc_u32_e32 v73, -10, v0
	s_movk_i32 s42, 0x2b0
	s_mov_b32 s5, 0
	s_mov_b32 s43, s29
	.p2align	6
.LBB32_184:                             ; =>This Inner Loop Header: Depth=1
	v_mov_b32_e32 v76, s43
	v_add_nc_u32_e32 v73, -1, v73
	s_add_i32 s43, s43, 16
	s_clause 0x3
	buffer_load_dword v74, v76, s[0:3], 0 offen offset:8
	buffer_load_dword v75, v76, s[0:3], 0 offen offset:12
	buffer_load_dword v82, v76, s[0:3], 0 offen
	buffer_load_dword v83, v76, s[0:3], 0 offen offset:4
	v_mov_b32_e32 v76, s42
	v_cmp_eq_u32_e32 vcc_lo, 0, v73
	s_add_i32 s42, s42, 16
	ds_read_b128 v[78:81], v76
	s_or_b32 s5, vcc_lo, s5
	s_waitcnt vmcnt(2) lgkmcnt(0)
	v_mul_f64 v[84:85], v[80:81], v[74:75]
	v_mul_f64 v[74:75], v[78:79], v[74:75]
	s_waitcnt vmcnt(0)
	v_fma_f64 v[78:79], v[78:79], v[82:83], -v[84:85]
	v_fma_f64 v[74:75], v[80:81], v[82:83], v[74:75]
	v_add_f64 v[1:2], v[1:2], v[78:79]
	v_add_f64 v[3:4], v[3:4], v[74:75]
	s_andn2_b32 exec_lo, exec_lo, s5
	s_cbranch_execnz .LBB32_184
; %bb.185:
	s_or_b32 exec_lo, exec_lo, s5
.LBB32_186:
	s_or_b32 exec_lo, exec_lo, s41
	v_mov_b32_e32 v73, 0
	ds_read_b128 v[73:76], v73 offset:144
	s_waitcnt lgkmcnt(0)
	v_mul_f64 v[78:79], v[3:4], v[75:76]
	v_mul_f64 v[75:76], v[1:2], v[75:76]
	v_fma_f64 v[1:2], v[1:2], v[73:74], -v[78:79]
	v_fma_f64 v[3:4], v[3:4], v[73:74], v[75:76]
	buffer_store_dword v2, off, s[0:3], 0 offset:148
	buffer_store_dword v1, off, s[0:3], 0 offset:144
	;; [unrolled: 1-line block ×4, first 2 shown]
.LBB32_187:
	s_or_b32 exec_lo, exec_lo, s8
	v_mov_b32_e32 v4, s31
	v_cmp_lt_u32_e64 s5, 8, v0
	s_clause 0x3
	buffer_load_dword v1, v4, s[0:3], 0 offen
	buffer_load_dword v2, v4, s[0:3], 0 offen offset:4
	buffer_load_dword v3, v4, s[0:3], 0 offen offset:8
	;; [unrolled: 1-line block ×3, first 2 shown]
	s_waitcnt vmcnt(0)
	ds_write_b128 v72, v[1:4]
	s_waitcnt lgkmcnt(0)
	s_waitcnt_vscnt null, 0x0
	s_barrier
	buffer_gl0_inv
	s_and_saveexec_b32 s8, s5
	s_cbranch_execz .LBB32_195
; %bb.188:
	ds_read_b128 v[1:4], v72
	s_andn2_b32 vcc_lo, exec_lo, s40
	s_cbranch_vccnz .LBB32_190
; %bb.189:
	s_clause 0x3
	buffer_load_dword v73, v71, s[0:3], 0 offen offset:8
	buffer_load_dword v74, v71, s[0:3], 0 offen offset:12
	buffer_load_dword v75, v71, s[0:3], 0 offen
	buffer_load_dword v76, v71, s[0:3], 0 offen offset:4
	s_waitcnt vmcnt(2) lgkmcnt(0)
	v_mul_f64 v[78:79], v[3:4], v[73:74]
	v_mul_f64 v[73:74], v[1:2], v[73:74]
	s_waitcnt vmcnt(0)
	v_fma_f64 v[1:2], v[1:2], v[75:76], -v[78:79]
	v_fma_f64 v[3:4], v[3:4], v[75:76], v[73:74]
.LBB32_190:
	s_and_saveexec_b32 s41, s4
	s_cbranch_execz .LBB32_194
; %bb.191:
	v_add_nc_u32_e32 v73, -9, v0
	s_movk_i32 s42, 0x2a0
	s_mov_b32 s4, 0
	s_mov_b32 s43, s30
	.p2align	6
.LBB32_192:                             ; =>This Inner Loop Header: Depth=1
	v_mov_b32_e32 v76, s43
	v_add_nc_u32_e32 v73, -1, v73
	s_add_i32 s43, s43, 16
	s_clause 0x3
	buffer_load_dword v74, v76, s[0:3], 0 offen offset:8
	buffer_load_dword v75, v76, s[0:3], 0 offen offset:12
	buffer_load_dword v82, v76, s[0:3], 0 offen
	buffer_load_dword v83, v76, s[0:3], 0 offen offset:4
	v_mov_b32_e32 v76, s42
	v_cmp_eq_u32_e32 vcc_lo, 0, v73
	s_add_i32 s42, s42, 16
	ds_read_b128 v[78:81], v76
	s_or_b32 s4, vcc_lo, s4
	s_waitcnt vmcnt(2) lgkmcnt(0)
	v_mul_f64 v[84:85], v[80:81], v[74:75]
	v_mul_f64 v[74:75], v[78:79], v[74:75]
	s_waitcnt vmcnt(0)
	v_fma_f64 v[78:79], v[78:79], v[82:83], -v[84:85]
	v_fma_f64 v[74:75], v[80:81], v[82:83], v[74:75]
	v_add_f64 v[1:2], v[1:2], v[78:79]
	v_add_f64 v[3:4], v[3:4], v[74:75]
	s_andn2_b32 exec_lo, exec_lo, s4
	s_cbranch_execnz .LBB32_192
; %bb.193:
	s_or_b32 exec_lo, exec_lo, s4
.LBB32_194:
	s_or_b32 exec_lo, exec_lo, s41
	v_mov_b32_e32 v73, 0
	ds_read_b128 v[73:76], v73 offset:128
	s_waitcnt lgkmcnt(0)
	v_mul_f64 v[78:79], v[3:4], v[75:76]
	v_mul_f64 v[75:76], v[1:2], v[75:76]
	v_fma_f64 v[1:2], v[1:2], v[73:74], -v[78:79]
	v_fma_f64 v[3:4], v[3:4], v[73:74], v[75:76]
	buffer_store_dword v2, off, s[0:3], 0 offset:132
	buffer_store_dword v1, off, s[0:3], 0 offset:128
	;; [unrolled: 1-line block ×4, first 2 shown]
.LBB32_195:
	s_or_b32 exec_lo, exec_lo, s8
	v_mov_b32_e32 v4, s33
	v_cmp_lt_u32_e64 s4, 7, v0
	s_clause 0x3
	buffer_load_dword v1, v4, s[0:3], 0 offen
	buffer_load_dword v2, v4, s[0:3], 0 offen offset:4
	buffer_load_dword v3, v4, s[0:3], 0 offen offset:8
	;; [unrolled: 1-line block ×3, first 2 shown]
	s_waitcnt vmcnt(0)
	ds_write_b128 v72, v[1:4]
	s_waitcnt lgkmcnt(0)
	s_waitcnt_vscnt null, 0x0
	s_barrier
	buffer_gl0_inv
	s_and_saveexec_b32 s8, s4
	s_cbranch_execz .LBB32_203
; %bb.196:
	ds_read_b128 v[1:4], v72
	s_andn2_b32 vcc_lo, exec_lo, s40
	s_cbranch_vccnz .LBB32_198
; %bb.197:
	s_clause 0x3
	buffer_load_dword v73, v71, s[0:3], 0 offen offset:8
	buffer_load_dword v74, v71, s[0:3], 0 offen offset:12
	buffer_load_dword v75, v71, s[0:3], 0 offen
	buffer_load_dword v76, v71, s[0:3], 0 offen offset:4
	s_waitcnt vmcnt(2) lgkmcnt(0)
	v_mul_f64 v[78:79], v[3:4], v[73:74]
	v_mul_f64 v[73:74], v[1:2], v[73:74]
	s_waitcnt vmcnt(0)
	v_fma_f64 v[1:2], v[1:2], v[75:76], -v[78:79]
	v_fma_f64 v[3:4], v[3:4], v[75:76], v[73:74]
.LBB32_198:
	s_and_saveexec_b32 s41, s5
	s_cbranch_execz .LBB32_202
; %bb.199:
	v_add_nc_u32_e32 v73, -8, v0
	s_movk_i32 s42, 0x290
	s_mov_b32 s5, 0
	s_mov_b32 s43, s31
	.p2align	6
.LBB32_200:                             ; =>This Inner Loop Header: Depth=1
	v_mov_b32_e32 v76, s43
	v_add_nc_u32_e32 v73, -1, v73
	s_add_i32 s43, s43, 16
	s_clause 0x3
	buffer_load_dword v74, v76, s[0:3], 0 offen offset:8
	buffer_load_dword v75, v76, s[0:3], 0 offen offset:12
	buffer_load_dword v82, v76, s[0:3], 0 offen
	buffer_load_dword v83, v76, s[0:3], 0 offen offset:4
	v_mov_b32_e32 v76, s42
	v_cmp_eq_u32_e32 vcc_lo, 0, v73
	s_add_i32 s42, s42, 16
	ds_read_b128 v[78:81], v76
	s_or_b32 s5, vcc_lo, s5
	s_waitcnt vmcnt(2) lgkmcnt(0)
	v_mul_f64 v[84:85], v[80:81], v[74:75]
	v_mul_f64 v[74:75], v[78:79], v[74:75]
	s_waitcnt vmcnt(0)
	v_fma_f64 v[78:79], v[78:79], v[82:83], -v[84:85]
	v_fma_f64 v[74:75], v[80:81], v[82:83], v[74:75]
	v_add_f64 v[1:2], v[1:2], v[78:79]
	v_add_f64 v[3:4], v[3:4], v[74:75]
	s_andn2_b32 exec_lo, exec_lo, s5
	s_cbranch_execnz .LBB32_200
; %bb.201:
	s_or_b32 exec_lo, exec_lo, s5
.LBB32_202:
	s_or_b32 exec_lo, exec_lo, s41
	v_mov_b32_e32 v73, 0
	ds_read_b128 v[73:76], v73 offset:112
	s_waitcnt lgkmcnt(0)
	v_mul_f64 v[78:79], v[3:4], v[75:76]
	v_mul_f64 v[75:76], v[1:2], v[75:76]
	v_fma_f64 v[1:2], v[1:2], v[73:74], -v[78:79]
	v_fma_f64 v[3:4], v[3:4], v[73:74], v[75:76]
	buffer_store_dword v2, off, s[0:3], 0 offset:116
	buffer_store_dword v1, off, s[0:3], 0 offset:112
	buffer_store_dword v4, off, s[0:3], 0 offset:124
	buffer_store_dword v3, off, s[0:3], 0 offset:120
.LBB32_203:
	s_or_b32 exec_lo, exec_lo, s8
	v_mov_b32_e32 v4, s34
	v_cmp_lt_u32_e64 s5, 6, v0
	s_clause 0x3
	buffer_load_dword v1, v4, s[0:3], 0 offen
	buffer_load_dword v2, v4, s[0:3], 0 offen offset:4
	buffer_load_dword v3, v4, s[0:3], 0 offen offset:8
	;; [unrolled: 1-line block ×3, first 2 shown]
	s_waitcnt vmcnt(0)
	ds_write_b128 v72, v[1:4]
	s_waitcnt lgkmcnt(0)
	s_waitcnt_vscnt null, 0x0
	s_barrier
	buffer_gl0_inv
	s_and_saveexec_b32 s8, s5
	s_cbranch_execz .LBB32_211
; %bb.204:
	ds_read_b128 v[1:4], v72
	s_andn2_b32 vcc_lo, exec_lo, s40
	s_cbranch_vccnz .LBB32_206
; %bb.205:
	s_clause 0x3
	buffer_load_dword v73, v71, s[0:3], 0 offen offset:8
	buffer_load_dword v74, v71, s[0:3], 0 offen offset:12
	buffer_load_dword v75, v71, s[0:3], 0 offen
	buffer_load_dword v76, v71, s[0:3], 0 offen offset:4
	s_waitcnt vmcnt(2) lgkmcnt(0)
	v_mul_f64 v[78:79], v[3:4], v[73:74]
	v_mul_f64 v[73:74], v[1:2], v[73:74]
	s_waitcnt vmcnt(0)
	v_fma_f64 v[1:2], v[1:2], v[75:76], -v[78:79]
	v_fma_f64 v[3:4], v[3:4], v[75:76], v[73:74]
.LBB32_206:
	s_and_saveexec_b32 s41, s4
	s_cbranch_execz .LBB32_210
; %bb.207:
	v_add_nc_u32_e32 v73, -7, v0
	s_movk_i32 s42, 0x280
	s_mov_b32 s4, 0
	s_mov_b32 s43, s33
	.p2align	6
.LBB32_208:                             ; =>This Inner Loop Header: Depth=1
	v_mov_b32_e32 v76, s43
	v_add_nc_u32_e32 v73, -1, v73
	s_add_i32 s43, s43, 16
	s_clause 0x3
	buffer_load_dword v74, v76, s[0:3], 0 offen offset:8
	buffer_load_dword v75, v76, s[0:3], 0 offen offset:12
	buffer_load_dword v82, v76, s[0:3], 0 offen
	buffer_load_dword v83, v76, s[0:3], 0 offen offset:4
	v_mov_b32_e32 v76, s42
	v_cmp_eq_u32_e32 vcc_lo, 0, v73
	s_add_i32 s42, s42, 16
	ds_read_b128 v[78:81], v76
	s_or_b32 s4, vcc_lo, s4
	s_waitcnt vmcnt(2) lgkmcnt(0)
	v_mul_f64 v[84:85], v[80:81], v[74:75]
	v_mul_f64 v[74:75], v[78:79], v[74:75]
	s_waitcnt vmcnt(0)
	v_fma_f64 v[78:79], v[78:79], v[82:83], -v[84:85]
	v_fma_f64 v[74:75], v[80:81], v[82:83], v[74:75]
	v_add_f64 v[1:2], v[1:2], v[78:79]
	v_add_f64 v[3:4], v[3:4], v[74:75]
	s_andn2_b32 exec_lo, exec_lo, s4
	s_cbranch_execnz .LBB32_208
; %bb.209:
	s_or_b32 exec_lo, exec_lo, s4
.LBB32_210:
	s_or_b32 exec_lo, exec_lo, s41
	v_mov_b32_e32 v73, 0
	ds_read_b128 v[73:76], v73 offset:96
	s_waitcnt lgkmcnt(0)
	v_mul_f64 v[78:79], v[3:4], v[75:76]
	v_mul_f64 v[75:76], v[1:2], v[75:76]
	v_fma_f64 v[1:2], v[1:2], v[73:74], -v[78:79]
	v_fma_f64 v[3:4], v[3:4], v[73:74], v[75:76]
	buffer_store_dword v2, off, s[0:3], 0 offset:100
	buffer_store_dword v1, off, s[0:3], 0 offset:96
	;; [unrolled: 1-line block ×4, first 2 shown]
.LBB32_211:
	s_or_b32 exec_lo, exec_lo, s8
	v_mov_b32_e32 v4, s35
	v_cmp_lt_u32_e64 s4, 5, v0
	s_clause 0x3
	buffer_load_dword v1, v4, s[0:3], 0 offen
	buffer_load_dword v2, v4, s[0:3], 0 offen offset:4
	buffer_load_dword v3, v4, s[0:3], 0 offen offset:8
	;; [unrolled: 1-line block ×3, first 2 shown]
	s_waitcnt vmcnt(0)
	ds_write_b128 v72, v[1:4]
	s_waitcnt lgkmcnt(0)
	s_waitcnt_vscnt null, 0x0
	s_barrier
	buffer_gl0_inv
	s_and_saveexec_b32 s8, s4
	s_cbranch_execz .LBB32_219
; %bb.212:
	ds_read_b128 v[1:4], v72
	s_andn2_b32 vcc_lo, exec_lo, s40
	s_cbranch_vccnz .LBB32_214
; %bb.213:
	s_clause 0x3
	buffer_load_dword v73, v71, s[0:3], 0 offen offset:8
	buffer_load_dword v74, v71, s[0:3], 0 offen offset:12
	buffer_load_dword v75, v71, s[0:3], 0 offen
	buffer_load_dword v76, v71, s[0:3], 0 offen offset:4
	s_waitcnt vmcnt(2) lgkmcnt(0)
	v_mul_f64 v[78:79], v[3:4], v[73:74]
	v_mul_f64 v[73:74], v[1:2], v[73:74]
	s_waitcnt vmcnt(0)
	v_fma_f64 v[1:2], v[1:2], v[75:76], -v[78:79]
	v_fma_f64 v[3:4], v[3:4], v[75:76], v[73:74]
.LBB32_214:
	s_and_saveexec_b32 s41, s5
	s_cbranch_execz .LBB32_218
; %bb.215:
	v_add_nc_u32_e32 v73, -6, v0
	s_movk_i32 s42, 0x270
	s_mov_b32 s5, 0
	s_mov_b32 s43, s34
	.p2align	6
.LBB32_216:                             ; =>This Inner Loop Header: Depth=1
	v_mov_b32_e32 v76, s43
	v_add_nc_u32_e32 v73, -1, v73
	s_add_i32 s43, s43, 16
	s_clause 0x3
	buffer_load_dword v74, v76, s[0:3], 0 offen offset:8
	buffer_load_dword v75, v76, s[0:3], 0 offen offset:12
	buffer_load_dword v82, v76, s[0:3], 0 offen
	buffer_load_dword v83, v76, s[0:3], 0 offen offset:4
	v_mov_b32_e32 v76, s42
	v_cmp_eq_u32_e32 vcc_lo, 0, v73
	s_add_i32 s42, s42, 16
	ds_read_b128 v[78:81], v76
	s_or_b32 s5, vcc_lo, s5
	s_waitcnt vmcnt(2) lgkmcnt(0)
	v_mul_f64 v[84:85], v[80:81], v[74:75]
	v_mul_f64 v[74:75], v[78:79], v[74:75]
	s_waitcnt vmcnt(0)
	v_fma_f64 v[78:79], v[78:79], v[82:83], -v[84:85]
	v_fma_f64 v[74:75], v[80:81], v[82:83], v[74:75]
	v_add_f64 v[1:2], v[1:2], v[78:79]
	v_add_f64 v[3:4], v[3:4], v[74:75]
	s_andn2_b32 exec_lo, exec_lo, s5
	s_cbranch_execnz .LBB32_216
; %bb.217:
	s_or_b32 exec_lo, exec_lo, s5
.LBB32_218:
	s_or_b32 exec_lo, exec_lo, s41
	v_mov_b32_e32 v73, 0
	ds_read_b128 v[73:76], v73 offset:80
	s_waitcnt lgkmcnt(0)
	v_mul_f64 v[78:79], v[3:4], v[75:76]
	v_mul_f64 v[75:76], v[1:2], v[75:76]
	v_fma_f64 v[1:2], v[1:2], v[73:74], -v[78:79]
	v_fma_f64 v[3:4], v[3:4], v[73:74], v[75:76]
	buffer_store_dword v2, off, s[0:3], 0 offset:84
	buffer_store_dword v1, off, s[0:3], 0 offset:80
	;; [unrolled: 1-line block ×4, first 2 shown]
.LBB32_219:
	s_or_b32 exec_lo, exec_lo, s8
	v_mov_b32_e32 v4, s36
	v_cmp_lt_u32_e64 s5, 4, v0
	s_clause 0x3
	buffer_load_dword v1, v4, s[0:3], 0 offen
	buffer_load_dword v2, v4, s[0:3], 0 offen offset:4
	buffer_load_dword v3, v4, s[0:3], 0 offen offset:8
	;; [unrolled: 1-line block ×3, first 2 shown]
	s_waitcnt vmcnt(0)
	ds_write_b128 v72, v[1:4]
	s_waitcnt lgkmcnt(0)
	s_waitcnt_vscnt null, 0x0
	s_barrier
	buffer_gl0_inv
	s_and_saveexec_b32 s8, s5
	s_cbranch_execz .LBB32_227
; %bb.220:
	ds_read_b128 v[1:4], v72
	s_andn2_b32 vcc_lo, exec_lo, s40
	s_cbranch_vccnz .LBB32_222
; %bb.221:
	s_clause 0x3
	buffer_load_dword v73, v71, s[0:3], 0 offen offset:8
	buffer_load_dword v74, v71, s[0:3], 0 offen offset:12
	buffer_load_dword v75, v71, s[0:3], 0 offen
	buffer_load_dword v76, v71, s[0:3], 0 offen offset:4
	s_waitcnt vmcnt(2) lgkmcnt(0)
	v_mul_f64 v[78:79], v[3:4], v[73:74]
	v_mul_f64 v[73:74], v[1:2], v[73:74]
	s_waitcnt vmcnt(0)
	v_fma_f64 v[1:2], v[1:2], v[75:76], -v[78:79]
	v_fma_f64 v[3:4], v[3:4], v[75:76], v[73:74]
.LBB32_222:
	s_and_saveexec_b32 s41, s4
	s_cbranch_execz .LBB32_226
; %bb.223:
	v_add_nc_u32_e32 v73, -5, v0
	s_movk_i32 s42, 0x260
	s_mov_b32 s4, 0
	s_mov_b32 s43, s35
	.p2align	6
.LBB32_224:                             ; =>This Inner Loop Header: Depth=1
	v_mov_b32_e32 v76, s43
	v_add_nc_u32_e32 v73, -1, v73
	s_add_i32 s43, s43, 16
	s_clause 0x3
	buffer_load_dword v74, v76, s[0:3], 0 offen offset:8
	buffer_load_dword v75, v76, s[0:3], 0 offen offset:12
	buffer_load_dword v82, v76, s[0:3], 0 offen
	buffer_load_dword v83, v76, s[0:3], 0 offen offset:4
	v_mov_b32_e32 v76, s42
	v_cmp_eq_u32_e32 vcc_lo, 0, v73
	s_add_i32 s42, s42, 16
	ds_read_b128 v[78:81], v76
	s_or_b32 s4, vcc_lo, s4
	s_waitcnt vmcnt(2) lgkmcnt(0)
	v_mul_f64 v[84:85], v[80:81], v[74:75]
	v_mul_f64 v[74:75], v[78:79], v[74:75]
	s_waitcnt vmcnt(0)
	v_fma_f64 v[78:79], v[78:79], v[82:83], -v[84:85]
	v_fma_f64 v[74:75], v[80:81], v[82:83], v[74:75]
	v_add_f64 v[1:2], v[1:2], v[78:79]
	v_add_f64 v[3:4], v[3:4], v[74:75]
	s_andn2_b32 exec_lo, exec_lo, s4
	s_cbranch_execnz .LBB32_224
; %bb.225:
	s_or_b32 exec_lo, exec_lo, s4
.LBB32_226:
	s_or_b32 exec_lo, exec_lo, s41
	v_mov_b32_e32 v73, 0
	ds_read_b128 v[73:76], v73 offset:64
	s_waitcnt lgkmcnt(0)
	v_mul_f64 v[78:79], v[3:4], v[75:76]
	v_mul_f64 v[75:76], v[1:2], v[75:76]
	v_fma_f64 v[1:2], v[1:2], v[73:74], -v[78:79]
	v_fma_f64 v[3:4], v[3:4], v[73:74], v[75:76]
	buffer_store_dword v2, off, s[0:3], 0 offset:68
	buffer_store_dword v1, off, s[0:3], 0 offset:64
	;; [unrolled: 1-line block ×4, first 2 shown]
.LBB32_227:
	s_or_b32 exec_lo, exec_lo, s8
	v_mov_b32_e32 v4, s37
	v_cmp_lt_u32_e64 s4, 3, v0
	s_clause 0x3
	buffer_load_dword v1, v4, s[0:3], 0 offen
	buffer_load_dword v2, v4, s[0:3], 0 offen offset:4
	buffer_load_dword v3, v4, s[0:3], 0 offen offset:8
	;; [unrolled: 1-line block ×3, first 2 shown]
	s_waitcnt vmcnt(0)
	ds_write_b128 v72, v[1:4]
	s_waitcnt lgkmcnt(0)
	s_waitcnt_vscnt null, 0x0
	s_barrier
	buffer_gl0_inv
	s_and_saveexec_b32 s8, s4
	s_cbranch_execz .LBB32_235
; %bb.228:
	ds_read_b128 v[1:4], v72
	s_andn2_b32 vcc_lo, exec_lo, s40
	s_cbranch_vccnz .LBB32_230
; %bb.229:
	s_clause 0x3
	buffer_load_dword v73, v71, s[0:3], 0 offen offset:8
	buffer_load_dword v74, v71, s[0:3], 0 offen offset:12
	buffer_load_dword v75, v71, s[0:3], 0 offen
	buffer_load_dword v76, v71, s[0:3], 0 offen offset:4
	s_waitcnt vmcnt(2) lgkmcnt(0)
	v_mul_f64 v[78:79], v[3:4], v[73:74]
	v_mul_f64 v[73:74], v[1:2], v[73:74]
	s_waitcnt vmcnt(0)
	v_fma_f64 v[1:2], v[1:2], v[75:76], -v[78:79]
	v_fma_f64 v[3:4], v[3:4], v[75:76], v[73:74]
.LBB32_230:
	s_and_saveexec_b32 s41, s5
	s_cbranch_execz .LBB32_234
; %bb.231:
	v_add_nc_u32_e32 v73, -4, v0
	s_movk_i32 s42, 0x250
	s_mov_b32 s5, 0
	s_mov_b32 s43, s36
	.p2align	6
.LBB32_232:                             ; =>This Inner Loop Header: Depth=1
	v_mov_b32_e32 v76, s43
	v_add_nc_u32_e32 v73, -1, v73
	s_add_i32 s43, s43, 16
	s_clause 0x3
	buffer_load_dword v74, v76, s[0:3], 0 offen offset:8
	buffer_load_dword v75, v76, s[0:3], 0 offen offset:12
	buffer_load_dword v82, v76, s[0:3], 0 offen
	buffer_load_dword v83, v76, s[0:3], 0 offen offset:4
	v_mov_b32_e32 v76, s42
	v_cmp_eq_u32_e32 vcc_lo, 0, v73
	s_add_i32 s42, s42, 16
	ds_read_b128 v[78:81], v76
	s_or_b32 s5, vcc_lo, s5
	s_waitcnt vmcnt(2) lgkmcnt(0)
	v_mul_f64 v[84:85], v[80:81], v[74:75]
	v_mul_f64 v[74:75], v[78:79], v[74:75]
	s_waitcnt vmcnt(0)
	v_fma_f64 v[78:79], v[78:79], v[82:83], -v[84:85]
	v_fma_f64 v[74:75], v[80:81], v[82:83], v[74:75]
	v_add_f64 v[1:2], v[1:2], v[78:79]
	v_add_f64 v[3:4], v[3:4], v[74:75]
	s_andn2_b32 exec_lo, exec_lo, s5
	s_cbranch_execnz .LBB32_232
; %bb.233:
	s_or_b32 exec_lo, exec_lo, s5
.LBB32_234:
	s_or_b32 exec_lo, exec_lo, s41
	v_mov_b32_e32 v73, 0
	ds_read_b128 v[73:76], v73 offset:48
	s_waitcnt lgkmcnt(0)
	v_mul_f64 v[78:79], v[3:4], v[75:76]
	v_mul_f64 v[75:76], v[1:2], v[75:76]
	v_fma_f64 v[1:2], v[1:2], v[73:74], -v[78:79]
	v_fma_f64 v[3:4], v[3:4], v[73:74], v[75:76]
	buffer_store_dword v2, off, s[0:3], 0 offset:52
	buffer_store_dword v1, off, s[0:3], 0 offset:48
	buffer_store_dword v4, off, s[0:3], 0 offset:60
	buffer_store_dword v3, off, s[0:3], 0 offset:56
.LBB32_235:
	s_or_b32 exec_lo, exec_lo, s8
	v_mov_b32_e32 v4, s38
	v_cmp_lt_u32_e64 s5, 2, v0
	s_clause 0x3
	buffer_load_dword v1, v4, s[0:3], 0 offen
	buffer_load_dword v2, v4, s[0:3], 0 offen offset:4
	buffer_load_dword v3, v4, s[0:3], 0 offen offset:8
	;; [unrolled: 1-line block ×3, first 2 shown]
	s_waitcnt vmcnt(0)
	ds_write_b128 v72, v[1:4]
	s_waitcnt lgkmcnt(0)
	s_waitcnt_vscnt null, 0x0
	s_barrier
	buffer_gl0_inv
	s_and_saveexec_b32 s8, s5
	s_cbranch_execz .LBB32_243
; %bb.236:
	ds_read_b128 v[1:4], v72
	s_andn2_b32 vcc_lo, exec_lo, s40
	s_cbranch_vccnz .LBB32_238
; %bb.237:
	s_clause 0x3
	buffer_load_dword v73, v71, s[0:3], 0 offen offset:8
	buffer_load_dword v74, v71, s[0:3], 0 offen offset:12
	buffer_load_dword v75, v71, s[0:3], 0 offen
	buffer_load_dword v76, v71, s[0:3], 0 offen offset:4
	s_waitcnt vmcnt(2) lgkmcnt(0)
	v_mul_f64 v[78:79], v[3:4], v[73:74]
	v_mul_f64 v[73:74], v[1:2], v[73:74]
	s_waitcnt vmcnt(0)
	v_fma_f64 v[1:2], v[1:2], v[75:76], -v[78:79]
	v_fma_f64 v[3:4], v[3:4], v[75:76], v[73:74]
.LBB32_238:
	s_and_saveexec_b32 s41, s4
	s_cbranch_execz .LBB32_242
; %bb.239:
	v_add_nc_u32_e32 v73, -3, v0
	s_movk_i32 s42, 0x240
	s_mov_b32 s4, 0
	s_mov_b32 s43, s37
	.p2align	6
.LBB32_240:                             ; =>This Inner Loop Header: Depth=1
	v_mov_b32_e32 v76, s43
	v_add_nc_u32_e32 v73, -1, v73
	s_add_i32 s43, s43, 16
	s_clause 0x3
	buffer_load_dword v74, v76, s[0:3], 0 offen offset:8
	buffer_load_dword v75, v76, s[0:3], 0 offen offset:12
	buffer_load_dword v82, v76, s[0:3], 0 offen
	buffer_load_dword v83, v76, s[0:3], 0 offen offset:4
	v_mov_b32_e32 v76, s42
	v_cmp_eq_u32_e32 vcc_lo, 0, v73
	s_add_i32 s42, s42, 16
	ds_read_b128 v[78:81], v76
	s_or_b32 s4, vcc_lo, s4
	s_waitcnt vmcnt(2) lgkmcnt(0)
	v_mul_f64 v[84:85], v[80:81], v[74:75]
	v_mul_f64 v[74:75], v[78:79], v[74:75]
	s_waitcnt vmcnt(0)
	v_fma_f64 v[78:79], v[78:79], v[82:83], -v[84:85]
	v_fma_f64 v[74:75], v[80:81], v[82:83], v[74:75]
	v_add_f64 v[1:2], v[1:2], v[78:79]
	v_add_f64 v[3:4], v[3:4], v[74:75]
	s_andn2_b32 exec_lo, exec_lo, s4
	s_cbranch_execnz .LBB32_240
; %bb.241:
	s_or_b32 exec_lo, exec_lo, s4
.LBB32_242:
	s_or_b32 exec_lo, exec_lo, s41
	v_mov_b32_e32 v73, 0
	ds_read_b128 v[73:76], v73 offset:32
	s_waitcnt lgkmcnt(0)
	v_mul_f64 v[78:79], v[3:4], v[75:76]
	v_mul_f64 v[75:76], v[1:2], v[75:76]
	v_fma_f64 v[1:2], v[1:2], v[73:74], -v[78:79]
	v_fma_f64 v[3:4], v[3:4], v[73:74], v[75:76]
	buffer_store_dword v2, off, s[0:3], 0 offset:36
	buffer_store_dword v1, off, s[0:3], 0 offset:32
	;; [unrolled: 1-line block ×4, first 2 shown]
.LBB32_243:
	s_or_b32 exec_lo, exec_lo, s8
	v_mov_b32_e32 v4, s39
	v_cmp_lt_u32_e64 s4, 1, v0
	s_clause 0x3
	buffer_load_dword v1, v4, s[0:3], 0 offen
	buffer_load_dword v2, v4, s[0:3], 0 offen offset:4
	buffer_load_dword v3, v4, s[0:3], 0 offen offset:8
	buffer_load_dword v4, v4, s[0:3], 0 offen offset:12
	s_waitcnt vmcnt(0)
	ds_write_b128 v72, v[1:4]
	s_waitcnt lgkmcnt(0)
	s_waitcnt_vscnt null, 0x0
	s_barrier
	buffer_gl0_inv
	s_and_saveexec_b32 s8, s4
	s_cbranch_execz .LBB32_251
; %bb.244:
	ds_read_b128 v[1:4], v72
	s_andn2_b32 vcc_lo, exec_lo, s40
	s_cbranch_vccnz .LBB32_246
; %bb.245:
	s_clause 0x3
	buffer_load_dword v73, v71, s[0:3], 0 offen offset:8
	buffer_load_dword v74, v71, s[0:3], 0 offen offset:12
	buffer_load_dword v75, v71, s[0:3], 0 offen
	buffer_load_dword v76, v71, s[0:3], 0 offen offset:4
	s_waitcnt vmcnt(2) lgkmcnt(0)
	v_mul_f64 v[78:79], v[3:4], v[73:74]
	v_mul_f64 v[73:74], v[1:2], v[73:74]
	s_waitcnt vmcnt(0)
	v_fma_f64 v[1:2], v[1:2], v[75:76], -v[78:79]
	v_fma_f64 v[3:4], v[3:4], v[75:76], v[73:74]
.LBB32_246:
	s_and_saveexec_b32 s41, s5
	s_cbranch_execz .LBB32_250
; %bb.247:
	v_add_nc_u32_e32 v73, -2, v0
	s_movk_i32 s42, 0x230
	s_mov_b32 s5, 0
	s_mov_b32 s43, s38
	.p2align	6
.LBB32_248:                             ; =>This Inner Loop Header: Depth=1
	v_mov_b32_e32 v76, s43
	v_add_nc_u32_e32 v73, -1, v73
	s_add_i32 s43, s43, 16
	s_clause 0x3
	buffer_load_dword v74, v76, s[0:3], 0 offen offset:8
	buffer_load_dword v75, v76, s[0:3], 0 offen offset:12
	buffer_load_dword v82, v76, s[0:3], 0 offen
	buffer_load_dword v83, v76, s[0:3], 0 offen offset:4
	v_mov_b32_e32 v76, s42
	v_cmp_eq_u32_e32 vcc_lo, 0, v73
	s_add_i32 s42, s42, 16
	ds_read_b128 v[78:81], v76
	s_or_b32 s5, vcc_lo, s5
	s_waitcnt vmcnt(2) lgkmcnt(0)
	v_mul_f64 v[84:85], v[80:81], v[74:75]
	v_mul_f64 v[74:75], v[78:79], v[74:75]
	s_waitcnt vmcnt(0)
	v_fma_f64 v[78:79], v[78:79], v[82:83], -v[84:85]
	v_fma_f64 v[74:75], v[80:81], v[82:83], v[74:75]
	v_add_f64 v[1:2], v[1:2], v[78:79]
	v_add_f64 v[3:4], v[3:4], v[74:75]
	s_andn2_b32 exec_lo, exec_lo, s5
	s_cbranch_execnz .LBB32_248
; %bb.249:
	s_or_b32 exec_lo, exec_lo, s5
.LBB32_250:
	s_or_b32 exec_lo, exec_lo, s41
	v_mov_b32_e32 v73, 0
	ds_read_b128 v[73:76], v73 offset:16
	s_waitcnt lgkmcnt(0)
	v_mul_f64 v[78:79], v[3:4], v[75:76]
	v_mul_f64 v[75:76], v[1:2], v[75:76]
	v_fma_f64 v[1:2], v[1:2], v[73:74], -v[78:79]
	v_fma_f64 v[3:4], v[3:4], v[73:74], v[75:76]
	buffer_store_dword v2, off, s[0:3], 0 offset:20
	buffer_store_dword v1, off, s[0:3], 0 offset:16
	;; [unrolled: 1-line block ×4, first 2 shown]
.LBB32_251:
	s_or_b32 exec_lo, exec_lo, s8
	s_clause 0x3
	buffer_load_dword v1, off, s[0:3], 0
	buffer_load_dword v2, off, s[0:3], 0 offset:4
	buffer_load_dword v3, off, s[0:3], 0 offset:8
	;; [unrolled: 1-line block ×3, first 2 shown]
	s_mov_b32 s8, 0
	s_mov_b32 s5, 0
	s_mov_b32 s41, exec_lo
                                        ; implicit-def: $sgpr42
	s_waitcnt vmcnt(0)
	ds_write_b128 v72, v[1:4]
	s_waitcnt lgkmcnt(0)
	s_waitcnt_vscnt null, 0x0
	s_barrier
	buffer_gl0_inv
                                        ; implicit-def: $vgpr1_vgpr2
	v_cmpx_ne_u32_e32 0, v0
	s_cbranch_execz .LBB32_259
; %bb.252:
	ds_read_b128 v[1:4], v72
	s_andn2_b32 vcc_lo, exec_lo, s40
	s_cbranch_vccnz .LBB32_254
; %bb.253:
	s_clause 0x3
	buffer_load_dword v73, v71, s[0:3], 0 offen offset:8
	buffer_load_dword v74, v71, s[0:3], 0 offen offset:12
	buffer_load_dword v75, v71, s[0:3], 0 offen
	buffer_load_dword v76, v71, s[0:3], 0 offen offset:4
	s_waitcnt vmcnt(2) lgkmcnt(0)
	v_mul_f64 v[78:79], v[3:4], v[73:74]
	v_mul_f64 v[73:74], v[1:2], v[73:74]
	s_waitcnt vmcnt(0)
	v_fma_f64 v[1:2], v[1:2], v[75:76], -v[78:79]
	v_fma_f64 v[3:4], v[3:4], v[75:76], v[73:74]
.LBB32_254:
	s_and_saveexec_b32 s5, s4
	s_cbranch_execz .LBB32_258
; %bb.255:
	v_add_nc_u32_e32 v73, -1, v0
	s_movk_i32 s42, 0x220
	s_mov_b32 s4, 0
	s_mov_b32 s43, s39
	.p2align	6
.LBB32_256:                             ; =>This Inner Loop Header: Depth=1
	v_mov_b32_e32 v76, s43
	v_add_nc_u32_e32 v73, -1, v73
	s_add_i32 s43, s43, 16
	s_clause 0x3
	buffer_load_dword v74, v76, s[0:3], 0 offen offset:8
	buffer_load_dword v75, v76, s[0:3], 0 offen offset:12
	buffer_load_dword v82, v76, s[0:3], 0 offen
	buffer_load_dword v83, v76, s[0:3], 0 offen offset:4
	v_mov_b32_e32 v76, s42
	v_cmp_eq_u32_e32 vcc_lo, 0, v73
	s_add_i32 s42, s42, 16
	ds_read_b128 v[78:81], v76
	s_or_b32 s4, vcc_lo, s4
	s_waitcnt vmcnt(2) lgkmcnt(0)
	v_mul_f64 v[84:85], v[80:81], v[74:75]
	v_mul_f64 v[74:75], v[78:79], v[74:75]
	s_waitcnt vmcnt(0)
	v_fma_f64 v[78:79], v[78:79], v[82:83], -v[84:85]
	v_fma_f64 v[74:75], v[80:81], v[82:83], v[74:75]
	v_add_f64 v[1:2], v[1:2], v[78:79]
	v_add_f64 v[3:4], v[3:4], v[74:75]
	s_andn2_b32 exec_lo, exec_lo, s4
	s_cbranch_execnz .LBB32_256
; %bb.257:
	s_or_b32 exec_lo, exec_lo, s4
.LBB32_258:
	s_or_b32 exec_lo, exec_lo, s5
	v_mov_b32_e32 v73, 0
	s_mov_b32 s5, exec_lo
	s_or_b32 s42, 0, 8
	ds_read_b128 v[73:76], v73
	s_waitcnt lgkmcnt(0)
	v_mul_f64 v[78:79], v[3:4], v[75:76]
	v_mul_f64 v[75:76], v[1:2], v[75:76]
	v_fma_f64 v[78:79], v[1:2], v[73:74], -v[78:79]
	v_fma_f64 v[1:2], v[3:4], v[73:74], v[75:76]
	buffer_store_dword v79, off, s[0:3], 0 offset:4
	buffer_store_dword v78, off, s[0:3], 0
.LBB32_259:
	s_or_b32 exec_lo, exec_lo, s41
	s_and_b32 vcc_lo, exec_lo, s8
	s_cbranch_vccnz .LBB32_261
	s_branch .LBB32_512
.LBB32_260:
	s_mov_b32 s5, 0
                                        ; implicit-def: $vgpr1_vgpr2
                                        ; implicit-def: $sgpr42
	s_cbranch_execz .LBB32_512
.LBB32_261:
	v_mov_b32_e32 v4, s39
	v_cmp_eq_u32_e64 s4, 0, v0
	v_cndmask_b32_e64 v73, 0, 1, s40
	s_clause 0x3
	buffer_load_dword v1, v4, s[0:3], 0 offen
	buffer_load_dword v2, v4, s[0:3], 0 offen offset:4
	buffer_load_dword v3, v4, s[0:3], 0 offen offset:8
	;; [unrolled: 1-line block ×3, first 2 shown]
	s_waitcnt vmcnt(0)
	ds_write_b128 v72, v[1:4]
	s_waitcnt lgkmcnt(0)
	s_waitcnt_vscnt null, 0x0
	s_barrier
	buffer_gl0_inv
	s_and_saveexec_b32 s8, s4
	s_cbranch_execz .LBB32_265
; %bb.262:
	ds_read_b128 v[1:4], v72
	s_andn2_b32 vcc_lo, exec_lo, s40
	s_cbranch_vccnz .LBB32_264
; %bb.263:
	s_clause 0x3
	buffer_load_dword v74, v71, s[0:3], 0 offen offset:8
	buffer_load_dword v75, v71, s[0:3], 0 offen offset:12
	buffer_load_dword v78, v71, s[0:3], 0 offen
	buffer_load_dword v79, v71, s[0:3], 0 offen offset:4
	s_waitcnt vmcnt(2) lgkmcnt(0)
	v_mul_f64 v[80:81], v[3:4], v[74:75]
	v_mul_f64 v[74:75], v[1:2], v[74:75]
	s_waitcnt vmcnt(0)
	v_fma_f64 v[1:2], v[1:2], v[78:79], -v[80:81]
	v_fma_f64 v[3:4], v[3:4], v[78:79], v[74:75]
.LBB32_264:
	v_mov_b32_e32 v74, 0
	ds_read_b128 v[78:81], v74 offset:16
	s_waitcnt lgkmcnt(0)
	v_mul_f64 v[74:75], v[3:4], v[80:81]
	v_mul_f64 v[80:81], v[1:2], v[80:81]
	v_fma_f64 v[1:2], v[1:2], v[78:79], -v[74:75]
	v_fma_f64 v[3:4], v[3:4], v[78:79], v[80:81]
	buffer_store_dword v2, off, s[0:3], 0 offset:20
	buffer_store_dword v1, off, s[0:3], 0 offset:16
	;; [unrolled: 1-line block ×4, first 2 shown]
.LBB32_265:
	s_or_b32 exec_lo, exec_lo, s8
	v_mov_b32_e32 v4, s38
	s_mov_b32 s8, exec_lo
	s_clause 0x3
	buffer_load_dword v1, v4, s[0:3], 0 offen
	buffer_load_dword v2, v4, s[0:3], 0 offen offset:4
	buffer_load_dword v3, v4, s[0:3], 0 offen offset:8
	;; [unrolled: 1-line block ×3, first 2 shown]
	s_waitcnt vmcnt(0)
	ds_write_b128 v72, v[1:4]
	s_waitcnt lgkmcnt(0)
	s_waitcnt_vscnt null, 0x0
	s_barrier
	buffer_gl0_inv
	v_cmpx_gt_u32_e32 2, v0
	s_cbranch_execz .LBB32_271
; %bb.266:
	ds_read_b128 v[1:4], v72
	v_cmp_ne_u32_e32 vcc_lo, 1, v73
	s_cbranch_vccnz .LBB32_268
; %bb.267:
	s_clause 0x3
	buffer_load_dword v74, v71, s[0:3], 0 offen offset:8
	buffer_load_dword v75, v71, s[0:3], 0 offen offset:12
	buffer_load_dword v78, v71, s[0:3], 0 offen
	buffer_load_dword v79, v71, s[0:3], 0 offen offset:4
	s_waitcnt vmcnt(2) lgkmcnt(0)
	v_mul_f64 v[80:81], v[3:4], v[74:75]
	v_mul_f64 v[74:75], v[1:2], v[74:75]
	s_waitcnt vmcnt(0)
	v_fma_f64 v[1:2], v[1:2], v[78:79], -v[80:81]
	v_fma_f64 v[3:4], v[3:4], v[78:79], v[74:75]
.LBB32_268:
	s_and_saveexec_b32 s40, s4
	s_cbranch_execz .LBB32_270
; %bb.269:
	s_clause 0x3
	buffer_load_dword v74, off, s[0:3], 0 offset:24
	buffer_load_dword v75, off, s[0:3], 0 offset:28
	;; [unrolled: 1-line block ×4, first 2 shown]
	v_mov_b32_e32 v76, 0
	ds_read_b128 v[78:81], v76 offset:544
	s_waitcnt vmcnt(2) lgkmcnt(0)
	v_mul_f64 v[84:85], v[80:81], v[74:75]
	v_mul_f64 v[74:75], v[78:79], v[74:75]
	s_waitcnt vmcnt(0)
	v_fma_f64 v[78:79], v[78:79], v[82:83], -v[84:85]
	v_fma_f64 v[74:75], v[80:81], v[82:83], v[74:75]
	v_add_f64 v[1:2], v[1:2], v[78:79]
	v_add_f64 v[3:4], v[3:4], v[74:75]
.LBB32_270:
	s_or_b32 exec_lo, exec_lo, s40
	v_mov_b32_e32 v74, 0
	ds_read_b128 v[78:81], v74 offset:32
	s_waitcnt lgkmcnt(0)
	v_mul_f64 v[74:75], v[3:4], v[80:81]
	v_mul_f64 v[80:81], v[1:2], v[80:81]
	v_fma_f64 v[1:2], v[1:2], v[78:79], -v[74:75]
	v_fma_f64 v[3:4], v[3:4], v[78:79], v[80:81]
	buffer_store_dword v2, off, s[0:3], 0 offset:36
	buffer_store_dword v1, off, s[0:3], 0 offset:32
	;; [unrolled: 1-line block ×4, first 2 shown]
.LBB32_271:
	s_or_b32 exec_lo, exec_lo, s8
	v_mov_b32_e32 v4, s37
	s_mov_b32 s8, exec_lo
	s_clause 0x3
	buffer_load_dword v1, v4, s[0:3], 0 offen
	buffer_load_dword v2, v4, s[0:3], 0 offen offset:4
	buffer_load_dword v3, v4, s[0:3], 0 offen offset:8
	;; [unrolled: 1-line block ×3, first 2 shown]
	s_waitcnt vmcnt(0)
	ds_write_b128 v72, v[1:4]
	s_waitcnt lgkmcnt(0)
	s_waitcnt_vscnt null, 0x0
	s_barrier
	buffer_gl0_inv
	v_cmpx_gt_u32_e32 3, v0
	s_cbranch_execz .LBB32_279
; %bb.272:
	ds_read_b128 v[1:4], v72
	v_cmp_ne_u32_e32 vcc_lo, 1, v73
	s_cbranch_vccnz .LBB32_274
; %bb.273:
	s_clause 0x3
	buffer_load_dword v74, v71, s[0:3], 0 offen offset:8
	buffer_load_dword v75, v71, s[0:3], 0 offen offset:12
	buffer_load_dword v78, v71, s[0:3], 0 offen
	buffer_load_dword v79, v71, s[0:3], 0 offen offset:4
	s_waitcnt vmcnt(2) lgkmcnt(0)
	v_mul_f64 v[80:81], v[3:4], v[74:75]
	v_mul_f64 v[74:75], v[1:2], v[74:75]
	s_waitcnt vmcnt(0)
	v_fma_f64 v[1:2], v[1:2], v[78:79], -v[80:81]
	v_fma_f64 v[3:4], v[3:4], v[78:79], v[74:75]
.LBB32_274:
	s_mov_b32 s40, exec_lo
	v_cmpx_ne_u32_e32 2, v0
	s_cbranch_execz .LBB32_278
; %bb.275:
	s_clause 0x3
	buffer_load_dword v74, v71, s[0:3], 0 offen offset:24
	buffer_load_dword v75, v71, s[0:3], 0 offen offset:28
	;; [unrolled: 1-line block ×4, first 2 shown]
	ds_read_b128 v[78:81], v72 offset:16
	s_waitcnt vmcnt(2) lgkmcnt(0)
	v_mul_f64 v[84:85], v[80:81], v[74:75]
	v_mul_f64 v[74:75], v[78:79], v[74:75]
	s_waitcnt vmcnt(0)
	v_fma_f64 v[78:79], v[78:79], v[82:83], -v[84:85]
	v_fma_f64 v[74:75], v[80:81], v[82:83], v[74:75]
	v_add_f64 v[1:2], v[1:2], v[78:79]
	v_add_f64 v[3:4], v[3:4], v[74:75]
	s_and_saveexec_b32 s41, s4
	s_cbranch_execz .LBB32_277
; %bb.276:
	s_clause 0x3
	buffer_load_dword v74, off, s[0:3], 0 offset:40
	buffer_load_dword v75, off, s[0:3], 0 offset:44
	;; [unrolled: 1-line block ×4, first 2 shown]
	v_mov_b32_e32 v76, 0
	ds_read_b128 v[78:81], v76 offset:560
	s_waitcnt vmcnt(2) lgkmcnt(0)
	v_mul_f64 v[84:85], v[78:79], v[74:75]
	v_mul_f64 v[74:75], v[80:81], v[74:75]
	s_waitcnt vmcnt(0)
	v_fma_f64 v[80:81], v[80:81], v[82:83], v[84:85]
	v_fma_f64 v[74:75], v[78:79], v[82:83], -v[74:75]
	v_add_f64 v[3:4], v[3:4], v[80:81]
	v_add_f64 v[1:2], v[1:2], v[74:75]
.LBB32_277:
	s_or_b32 exec_lo, exec_lo, s41
.LBB32_278:
	s_or_b32 exec_lo, exec_lo, s40
	v_mov_b32_e32 v74, 0
	ds_read_b128 v[78:81], v74 offset:48
	s_waitcnt lgkmcnt(0)
	v_mul_f64 v[74:75], v[3:4], v[80:81]
	v_mul_f64 v[80:81], v[1:2], v[80:81]
	v_fma_f64 v[1:2], v[1:2], v[78:79], -v[74:75]
	v_fma_f64 v[3:4], v[3:4], v[78:79], v[80:81]
	buffer_store_dword v2, off, s[0:3], 0 offset:52
	buffer_store_dword v1, off, s[0:3], 0 offset:48
	;; [unrolled: 1-line block ×4, first 2 shown]
.LBB32_279:
	s_or_b32 exec_lo, exec_lo, s8
	v_mov_b32_e32 v4, s36
	s_mov_b32 s4, exec_lo
	s_clause 0x3
	buffer_load_dword v1, v4, s[0:3], 0 offen
	buffer_load_dword v2, v4, s[0:3], 0 offen offset:4
	buffer_load_dword v3, v4, s[0:3], 0 offen offset:8
	;; [unrolled: 1-line block ×3, first 2 shown]
	s_waitcnt vmcnt(0)
	ds_write_b128 v72, v[1:4]
	s_waitcnt lgkmcnt(0)
	s_waitcnt_vscnt null, 0x0
	s_barrier
	buffer_gl0_inv
	v_cmpx_gt_u32_e32 4, v0
	s_cbranch_execz .LBB32_287
; %bb.280:
	ds_read_b128 v[1:4], v72
	v_cmp_ne_u32_e32 vcc_lo, 1, v73
	s_cbranch_vccnz .LBB32_282
; %bb.281:
	s_clause 0x3
	buffer_load_dword v74, v71, s[0:3], 0 offen offset:8
	buffer_load_dword v75, v71, s[0:3], 0 offen offset:12
	buffer_load_dword v78, v71, s[0:3], 0 offen
	buffer_load_dword v79, v71, s[0:3], 0 offen offset:4
	s_waitcnt vmcnt(2) lgkmcnt(0)
	v_mul_f64 v[80:81], v[3:4], v[74:75]
	v_mul_f64 v[74:75], v[1:2], v[74:75]
	s_waitcnt vmcnt(0)
	v_fma_f64 v[1:2], v[1:2], v[78:79], -v[80:81]
	v_fma_f64 v[3:4], v[3:4], v[78:79], v[74:75]
.LBB32_282:
	s_mov_b32 s8, exec_lo
	v_cmpx_ne_u32_e32 3, v0
	s_cbranch_execz .LBB32_286
; %bb.283:
	v_add_nc_u32_e32 v74, 0x220, v77
	v_add3_u32 v75, 0, v77, 16
	v_mov_b32_e32 v76, v0
	s_mov_b32 s40, 0
	.p2align	6
.LBB32_284:                             ; =>This Inner Loop Header: Depth=1
	s_clause 0x3
	buffer_load_dword v82, v75, s[0:3], 0 offen offset:8
	buffer_load_dword v83, v75, s[0:3], 0 offen offset:12
	buffer_load_dword v84, v75, s[0:3], 0 offen
	buffer_load_dword v85, v75, s[0:3], 0 offen offset:4
	ds_read_b128 v[78:81], v74
	v_add_nc_u32_e32 v76, 1, v76
	v_add_nc_u32_e32 v74, 16, v74
	;; [unrolled: 1-line block ×3, first 2 shown]
	v_cmp_lt_u32_e32 vcc_lo, 2, v76
	s_or_b32 s40, vcc_lo, s40
	s_waitcnt vmcnt(2) lgkmcnt(0)
	v_mul_f64 v[86:87], v[80:81], v[82:83]
	v_mul_f64 v[82:83], v[78:79], v[82:83]
	s_waitcnt vmcnt(0)
	v_fma_f64 v[78:79], v[78:79], v[84:85], -v[86:87]
	v_fma_f64 v[80:81], v[80:81], v[84:85], v[82:83]
	v_add_f64 v[1:2], v[1:2], v[78:79]
	v_add_f64 v[3:4], v[3:4], v[80:81]
	s_andn2_b32 exec_lo, exec_lo, s40
	s_cbranch_execnz .LBB32_284
; %bb.285:
	s_or_b32 exec_lo, exec_lo, s40
.LBB32_286:
	s_or_b32 exec_lo, exec_lo, s8
	v_mov_b32_e32 v74, 0
	ds_read_b128 v[78:81], v74 offset:64
	s_waitcnt lgkmcnt(0)
	v_mul_f64 v[74:75], v[3:4], v[80:81]
	v_mul_f64 v[80:81], v[1:2], v[80:81]
	v_fma_f64 v[1:2], v[1:2], v[78:79], -v[74:75]
	v_fma_f64 v[3:4], v[3:4], v[78:79], v[80:81]
	buffer_store_dword v2, off, s[0:3], 0 offset:68
	buffer_store_dword v1, off, s[0:3], 0 offset:64
	;; [unrolled: 1-line block ×4, first 2 shown]
.LBB32_287:
	s_or_b32 exec_lo, exec_lo, s4
	v_mov_b32_e32 v4, s35
	s_mov_b32 s4, exec_lo
	s_clause 0x3
	buffer_load_dword v1, v4, s[0:3], 0 offen
	buffer_load_dword v2, v4, s[0:3], 0 offen offset:4
	buffer_load_dword v3, v4, s[0:3], 0 offen offset:8
	;; [unrolled: 1-line block ×3, first 2 shown]
	s_waitcnt vmcnt(0)
	ds_write_b128 v72, v[1:4]
	s_waitcnt lgkmcnt(0)
	s_waitcnt_vscnt null, 0x0
	s_barrier
	buffer_gl0_inv
	v_cmpx_gt_u32_e32 5, v0
	s_cbranch_execz .LBB32_295
; %bb.288:
	ds_read_b128 v[1:4], v72
	v_cmp_ne_u32_e32 vcc_lo, 1, v73
	s_cbranch_vccnz .LBB32_290
; %bb.289:
	s_clause 0x3
	buffer_load_dword v74, v71, s[0:3], 0 offen offset:8
	buffer_load_dword v75, v71, s[0:3], 0 offen offset:12
	buffer_load_dword v78, v71, s[0:3], 0 offen
	buffer_load_dword v79, v71, s[0:3], 0 offen offset:4
	s_waitcnt vmcnt(2) lgkmcnt(0)
	v_mul_f64 v[80:81], v[3:4], v[74:75]
	v_mul_f64 v[74:75], v[1:2], v[74:75]
	s_waitcnt vmcnt(0)
	v_fma_f64 v[1:2], v[1:2], v[78:79], -v[80:81]
	v_fma_f64 v[3:4], v[3:4], v[78:79], v[74:75]
.LBB32_290:
	s_mov_b32 s8, exec_lo
	v_cmpx_ne_u32_e32 4, v0
	s_cbranch_execz .LBB32_294
; %bb.291:
	v_add_nc_u32_e32 v74, 0x220, v77
	v_add3_u32 v75, 0, v77, 16
	v_mov_b32_e32 v76, v0
	s_mov_b32 s40, 0
	.p2align	6
.LBB32_292:                             ; =>This Inner Loop Header: Depth=1
	s_clause 0x3
	buffer_load_dword v82, v75, s[0:3], 0 offen offset:8
	buffer_load_dword v83, v75, s[0:3], 0 offen offset:12
	buffer_load_dword v84, v75, s[0:3], 0 offen
	buffer_load_dword v85, v75, s[0:3], 0 offen offset:4
	ds_read_b128 v[78:81], v74
	v_add_nc_u32_e32 v76, 1, v76
	v_add_nc_u32_e32 v74, 16, v74
	;; [unrolled: 1-line block ×3, first 2 shown]
	v_cmp_lt_u32_e32 vcc_lo, 3, v76
	s_or_b32 s40, vcc_lo, s40
	s_waitcnt vmcnt(2) lgkmcnt(0)
	v_mul_f64 v[86:87], v[80:81], v[82:83]
	v_mul_f64 v[82:83], v[78:79], v[82:83]
	s_waitcnt vmcnt(0)
	v_fma_f64 v[78:79], v[78:79], v[84:85], -v[86:87]
	v_fma_f64 v[80:81], v[80:81], v[84:85], v[82:83]
	v_add_f64 v[1:2], v[1:2], v[78:79]
	v_add_f64 v[3:4], v[3:4], v[80:81]
	s_andn2_b32 exec_lo, exec_lo, s40
	s_cbranch_execnz .LBB32_292
; %bb.293:
	s_or_b32 exec_lo, exec_lo, s40
.LBB32_294:
	s_or_b32 exec_lo, exec_lo, s8
	v_mov_b32_e32 v74, 0
	ds_read_b128 v[78:81], v74 offset:80
	s_waitcnt lgkmcnt(0)
	v_mul_f64 v[74:75], v[3:4], v[80:81]
	v_mul_f64 v[80:81], v[1:2], v[80:81]
	v_fma_f64 v[1:2], v[1:2], v[78:79], -v[74:75]
	v_fma_f64 v[3:4], v[3:4], v[78:79], v[80:81]
	buffer_store_dword v2, off, s[0:3], 0 offset:84
	buffer_store_dword v1, off, s[0:3], 0 offset:80
	buffer_store_dword v4, off, s[0:3], 0 offset:92
	buffer_store_dword v3, off, s[0:3], 0 offset:88
.LBB32_295:
	s_or_b32 exec_lo, exec_lo, s4
	v_mov_b32_e32 v4, s34
	s_mov_b32 s4, exec_lo
	s_clause 0x3
	buffer_load_dword v1, v4, s[0:3], 0 offen
	buffer_load_dword v2, v4, s[0:3], 0 offen offset:4
	buffer_load_dword v3, v4, s[0:3], 0 offen offset:8
	buffer_load_dword v4, v4, s[0:3], 0 offen offset:12
	s_waitcnt vmcnt(0)
	ds_write_b128 v72, v[1:4]
	s_waitcnt lgkmcnt(0)
	s_waitcnt_vscnt null, 0x0
	s_barrier
	buffer_gl0_inv
	v_cmpx_gt_u32_e32 6, v0
	s_cbranch_execz .LBB32_303
; %bb.296:
	ds_read_b128 v[1:4], v72
	v_cmp_ne_u32_e32 vcc_lo, 1, v73
	s_cbranch_vccnz .LBB32_298
; %bb.297:
	s_clause 0x3
	buffer_load_dword v74, v71, s[0:3], 0 offen offset:8
	buffer_load_dword v75, v71, s[0:3], 0 offen offset:12
	buffer_load_dword v78, v71, s[0:3], 0 offen
	buffer_load_dword v79, v71, s[0:3], 0 offen offset:4
	s_waitcnt vmcnt(2) lgkmcnt(0)
	v_mul_f64 v[80:81], v[3:4], v[74:75]
	v_mul_f64 v[74:75], v[1:2], v[74:75]
	s_waitcnt vmcnt(0)
	v_fma_f64 v[1:2], v[1:2], v[78:79], -v[80:81]
	v_fma_f64 v[3:4], v[3:4], v[78:79], v[74:75]
.LBB32_298:
	s_mov_b32 s8, exec_lo
	v_cmpx_ne_u32_e32 5, v0
	s_cbranch_execz .LBB32_302
; %bb.299:
	v_add_nc_u32_e32 v74, 0x220, v77
	v_add3_u32 v75, 0, v77, 16
	v_mov_b32_e32 v76, v0
	s_mov_b32 s40, 0
	.p2align	6
.LBB32_300:                             ; =>This Inner Loop Header: Depth=1
	s_clause 0x3
	buffer_load_dword v82, v75, s[0:3], 0 offen offset:8
	buffer_load_dword v83, v75, s[0:3], 0 offen offset:12
	buffer_load_dword v84, v75, s[0:3], 0 offen
	buffer_load_dword v85, v75, s[0:3], 0 offen offset:4
	ds_read_b128 v[78:81], v74
	v_add_nc_u32_e32 v76, 1, v76
	v_add_nc_u32_e32 v74, 16, v74
	;; [unrolled: 1-line block ×3, first 2 shown]
	v_cmp_lt_u32_e32 vcc_lo, 4, v76
	s_or_b32 s40, vcc_lo, s40
	s_waitcnt vmcnt(2) lgkmcnt(0)
	v_mul_f64 v[86:87], v[80:81], v[82:83]
	v_mul_f64 v[82:83], v[78:79], v[82:83]
	s_waitcnt vmcnt(0)
	v_fma_f64 v[78:79], v[78:79], v[84:85], -v[86:87]
	v_fma_f64 v[80:81], v[80:81], v[84:85], v[82:83]
	v_add_f64 v[1:2], v[1:2], v[78:79]
	v_add_f64 v[3:4], v[3:4], v[80:81]
	s_andn2_b32 exec_lo, exec_lo, s40
	s_cbranch_execnz .LBB32_300
; %bb.301:
	s_or_b32 exec_lo, exec_lo, s40
.LBB32_302:
	s_or_b32 exec_lo, exec_lo, s8
	v_mov_b32_e32 v74, 0
	ds_read_b128 v[78:81], v74 offset:96
	s_waitcnt lgkmcnt(0)
	v_mul_f64 v[74:75], v[3:4], v[80:81]
	v_mul_f64 v[80:81], v[1:2], v[80:81]
	v_fma_f64 v[1:2], v[1:2], v[78:79], -v[74:75]
	v_fma_f64 v[3:4], v[3:4], v[78:79], v[80:81]
	buffer_store_dword v2, off, s[0:3], 0 offset:100
	buffer_store_dword v1, off, s[0:3], 0 offset:96
	;; [unrolled: 1-line block ×4, first 2 shown]
.LBB32_303:
	s_or_b32 exec_lo, exec_lo, s4
	v_mov_b32_e32 v4, s33
	s_mov_b32 s4, exec_lo
	s_clause 0x3
	buffer_load_dword v1, v4, s[0:3], 0 offen
	buffer_load_dword v2, v4, s[0:3], 0 offen offset:4
	buffer_load_dword v3, v4, s[0:3], 0 offen offset:8
	;; [unrolled: 1-line block ×3, first 2 shown]
	s_waitcnt vmcnt(0)
	ds_write_b128 v72, v[1:4]
	s_waitcnt lgkmcnt(0)
	s_waitcnt_vscnt null, 0x0
	s_barrier
	buffer_gl0_inv
	v_cmpx_gt_u32_e32 7, v0
	s_cbranch_execz .LBB32_311
; %bb.304:
	ds_read_b128 v[1:4], v72
	v_cmp_ne_u32_e32 vcc_lo, 1, v73
	s_cbranch_vccnz .LBB32_306
; %bb.305:
	s_clause 0x3
	buffer_load_dword v74, v71, s[0:3], 0 offen offset:8
	buffer_load_dword v75, v71, s[0:3], 0 offen offset:12
	buffer_load_dword v78, v71, s[0:3], 0 offen
	buffer_load_dword v79, v71, s[0:3], 0 offen offset:4
	s_waitcnt vmcnt(2) lgkmcnt(0)
	v_mul_f64 v[80:81], v[3:4], v[74:75]
	v_mul_f64 v[74:75], v[1:2], v[74:75]
	s_waitcnt vmcnt(0)
	v_fma_f64 v[1:2], v[1:2], v[78:79], -v[80:81]
	v_fma_f64 v[3:4], v[3:4], v[78:79], v[74:75]
.LBB32_306:
	s_mov_b32 s8, exec_lo
	v_cmpx_ne_u32_e32 6, v0
	s_cbranch_execz .LBB32_310
; %bb.307:
	v_add_nc_u32_e32 v74, 0x220, v77
	v_add3_u32 v75, 0, v77, 16
	v_mov_b32_e32 v76, v0
	s_mov_b32 s40, 0
	.p2align	6
.LBB32_308:                             ; =>This Inner Loop Header: Depth=1
	s_clause 0x3
	buffer_load_dword v82, v75, s[0:3], 0 offen offset:8
	buffer_load_dword v83, v75, s[0:3], 0 offen offset:12
	buffer_load_dword v84, v75, s[0:3], 0 offen
	buffer_load_dword v85, v75, s[0:3], 0 offen offset:4
	ds_read_b128 v[78:81], v74
	v_add_nc_u32_e32 v76, 1, v76
	v_add_nc_u32_e32 v74, 16, v74
	;; [unrolled: 1-line block ×3, first 2 shown]
	v_cmp_lt_u32_e32 vcc_lo, 5, v76
	s_or_b32 s40, vcc_lo, s40
	s_waitcnt vmcnt(2) lgkmcnt(0)
	v_mul_f64 v[86:87], v[80:81], v[82:83]
	v_mul_f64 v[82:83], v[78:79], v[82:83]
	s_waitcnt vmcnt(0)
	v_fma_f64 v[78:79], v[78:79], v[84:85], -v[86:87]
	v_fma_f64 v[80:81], v[80:81], v[84:85], v[82:83]
	v_add_f64 v[1:2], v[1:2], v[78:79]
	v_add_f64 v[3:4], v[3:4], v[80:81]
	s_andn2_b32 exec_lo, exec_lo, s40
	s_cbranch_execnz .LBB32_308
; %bb.309:
	s_or_b32 exec_lo, exec_lo, s40
.LBB32_310:
	s_or_b32 exec_lo, exec_lo, s8
	v_mov_b32_e32 v74, 0
	ds_read_b128 v[78:81], v74 offset:112
	s_waitcnt lgkmcnt(0)
	v_mul_f64 v[74:75], v[3:4], v[80:81]
	v_mul_f64 v[80:81], v[1:2], v[80:81]
	v_fma_f64 v[1:2], v[1:2], v[78:79], -v[74:75]
	v_fma_f64 v[3:4], v[3:4], v[78:79], v[80:81]
	buffer_store_dword v2, off, s[0:3], 0 offset:116
	buffer_store_dword v1, off, s[0:3], 0 offset:112
	;; [unrolled: 1-line block ×4, first 2 shown]
.LBB32_311:
	s_or_b32 exec_lo, exec_lo, s4
	v_mov_b32_e32 v4, s31
	s_mov_b32 s4, exec_lo
	s_clause 0x3
	buffer_load_dword v1, v4, s[0:3], 0 offen
	buffer_load_dword v2, v4, s[0:3], 0 offen offset:4
	buffer_load_dword v3, v4, s[0:3], 0 offen offset:8
	;; [unrolled: 1-line block ×3, first 2 shown]
	s_waitcnt vmcnt(0)
	ds_write_b128 v72, v[1:4]
	s_waitcnt lgkmcnt(0)
	s_waitcnt_vscnt null, 0x0
	s_barrier
	buffer_gl0_inv
	v_cmpx_gt_u32_e32 8, v0
	s_cbranch_execz .LBB32_319
; %bb.312:
	ds_read_b128 v[1:4], v72
	v_cmp_ne_u32_e32 vcc_lo, 1, v73
	s_cbranch_vccnz .LBB32_314
; %bb.313:
	s_clause 0x3
	buffer_load_dword v74, v71, s[0:3], 0 offen offset:8
	buffer_load_dword v75, v71, s[0:3], 0 offen offset:12
	buffer_load_dword v78, v71, s[0:3], 0 offen
	buffer_load_dword v79, v71, s[0:3], 0 offen offset:4
	s_waitcnt vmcnt(2) lgkmcnt(0)
	v_mul_f64 v[80:81], v[3:4], v[74:75]
	v_mul_f64 v[74:75], v[1:2], v[74:75]
	s_waitcnt vmcnt(0)
	v_fma_f64 v[1:2], v[1:2], v[78:79], -v[80:81]
	v_fma_f64 v[3:4], v[3:4], v[78:79], v[74:75]
.LBB32_314:
	s_mov_b32 s8, exec_lo
	v_cmpx_ne_u32_e32 7, v0
	s_cbranch_execz .LBB32_318
; %bb.315:
	v_add_nc_u32_e32 v74, 0x220, v77
	v_add3_u32 v75, 0, v77, 16
	v_mov_b32_e32 v76, v0
	s_mov_b32 s40, 0
	.p2align	6
.LBB32_316:                             ; =>This Inner Loop Header: Depth=1
	s_clause 0x3
	buffer_load_dword v82, v75, s[0:3], 0 offen offset:8
	buffer_load_dword v83, v75, s[0:3], 0 offen offset:12
	buffer_load_dword v84, v75, s[0:3], 0 offen
	buffer_load_dword v85, v75, s[0:3], 0 offen offset:4
	ds_read_b128 v[78:81], v74
	v_add_nc_u32_e32 v76, 1, v76
	v_add_nc_u32_e32 v74, 16, v74
	;; [unrolled: 1-line block ×3, first 2 shown]
	v_cmp_lt_u32_e32 vcc_lo, 6, v76
	s_or_b32 s40, vcc_lo, s40
	s_waitcnt vmcnt(2) lgkmcnt(0)
	v_mul_f64 v[86:87], v[80:81], v[82:83]
	v_mul_f64 v[82:83], v[78:79], v[82:83]
	s_waitcnt vmcnt(0)
	v_fma_f64 v[78:79], v[78:79], v[84:85], -v[86:87]
	v_fma_f64 v[80:81], v[80:81], v[84:85], v[82:83]
	v_add_f64 v[1:2], v[1:2], v[78:79]
	v_add_f64 v[3:4], v[3:4], v[80:81]
	s_andn2_b32 exec_lo, exec_lo, s40
	s_cbranch_execnz .LBB32_316
; %bb.317:
	s_or_b32 exec_lo, exec_lo, s40
.LBB32_318:
	s_or_b32 exec_lo, exec_lo, s8
	v_mov_b32_e32 v74, 0
	ds_read_b128 v[78:81], v74 offset:128
	s_waitcnt lgkmcnt(0)
	v_mul_f64 v[74:75], v[3:4], v[80:81]
	v_mul_f64 v[80:81], v[1:2], v[80:81]
	v_fma_f64 v[1:2], v[1:2], v[78:79], -v[74:75]
	v_fma_f64 v[3:4], v[3:4], v[78:79], v[80:81]
	buffer_store_dword v2, off, s[0:3], 0 offset:132
	buffer_store_dword v1, off, s[0:3], 0 offset:128
	;; [unrolled: 1-line block ×4, first 2 shown]
.LBB32_319:
	s_or_b32 exec_lo, exec_lo, s4
	v_mov_b32_e32 v4, s30
	s_mov_b32 s4, exec_lo
	s_clause 0x3
	buffer_load_dword v1, v4, s[0:3], 0 offen
	buffer_load_dword v2, v4, s[0:3], 0 offen offset:4
	buffer_load_dword v3, v4, s[0:3], 0 offen offset:8
	;; [unrolled: 1-line block ×3, first 2 shown]
	s_waitcnt vmcnt(0)
	ds_write_b128 v72, v[1:4]
	s_waitcnt lgkmcnt(0)
	s_waitcnt_vscnt null, 0x0
	s_barrier
	buffer_gl0_inv
	v_cmpx_gt_u32_e32 9, v0
	s_cbranch_execz .LBB32_327
; %bb.320:
	ds_read_b128 v[1:4], v72
	v_cmp_ne_u32_e32 vcc_lo, 1, v73
	s_cbranch_vccnz .LBB32_322
; %bb.321:
	s_clause 0x3
	buffer_load_dword v74, v71, s[0:3], 0 offen offset:8
	buffer_load_dword v75, v71, s[0:3], 0 offen offset:12
	buffer_load_dword v78, v71, s[0:3], 0 offen
	buffer_load_dword v79, v71, s[0:3], 0 offen offset:4
	s_waitcnt vmcnt(2) lgkmcnt(0)
	v_mul_f64 v[80:81], v[3:4], v[74:75]
	v_mul_f64 v[74:75], v[1:2], v[74:75]
	s_waitcnt vmcnt(0)
	v_fma_f64 v[1:2], v[1:2], v[78:79], -v[80:81]
	v_fma_f64 v[3:4], v[3:4], v[78:79], v[74:75]
.LBB32_322:
	s_mov_b32 s8, exec_lo
	v_cmpx_ne_u32_e32 8, v0
	s_cbranch_execz .LBB32_326
; %bb.323:
	v_add_nc_u32_e32 v74, 0x220, v77
	v_add3_u32 v75, 0, v77, 16
	v_mov_b32_e32 v76, v0
	s_mov_b32 s40, 0
	.p2align	6
.LBB32_324:                             ; =>This Inner Loop Header: Depth=1
	s_clause 0x3
	buffer_load_dword v82, v75, s[0:3], 0 offen offset:8
	buffer_load_dword v83, v75, s[0:3], 0 offen offset:12
	buffer_load_dword v84, v75, s[0:3], 0 offen
	buffer_load_dword v85, v75, s[0:3], 0 offen offset:4
	ds_read_b128 v[78:81], v74
	v_add_nc_u32_e32 v76, 1, v76
	v_add_nc_u32_e32 v74, 16, v74
	;; [unrolled: 1-line block ×3, first 2 shown]
	v_cmp_lt_u32_e32 vcc_lo, 7, v76
	s_or_b32 s40, vcc_lo, s40
	s_waitcnt vmcnt(2) lgkmcnt(0)
	v_mul_f64 v[86:87], v[80:81], v[82:83]
	v_mul_f64 v[82:83], v[78:79], v[82:83]
	s_waitcnt vmcnt(0)
	v_fma_f64 v[78:79], v[78:79], v[84:85], -v[86:87]
	v_fma_f64 v[80:81], v[80:81], v[84:85], v[82:83]
	v_add_f64 v[1:2], v[1:2], v[78:79]
	v_add_f64 v[3:4], v[3:4], v[80:81]
	s_andn2_b32 exec_lo, exec_lo, s40
	s_cbranch_execnz .LBB32_324
; %bb.325:
	s_or_b32 exec_lo, exec_lo, s40
.LBB32_326:
	s_or_b32 exec_lo, exec_lo, s8
	v_mov_b32_e32 v74, 0
	ds_read_b128 v[78:81], v74 offset:144
	s_waitcnt lgkmcnt(0)
	v_mul_f64 v[74:75], v[3:4], v[80:81]
	v_mul_f64 v[80:81], v[1:2], v[80:81]
	v_fma_f64 v[1:2], v[1:2], v[78:79], -v[74:75]
	v_fma_f64 v[3:4], v[3:4], v[78:79], v[80:81]
	buffer_store_dword v2, off, s[0:3], 0 offset:148
	buffer_store_dword v1, off, s[0:3], 0 offset:144
	;; [unrolled: 1-line block ×4, first 2 shown]
.LBB32_327:
	s_or_b32 exec_lo, exec_lo, s4
	v_mov_b32_e32 v4, s29
	s_mov_b32 s4, exec_lo
	s_clause 0x3
	buffer_load_dword v1, v4, s[0:3], 0 offen
	buffer_load_dword v2, v4, s[0:3], 0 offen offset:4
	buffer_load_dword v3, v4, s[0:3], 0 offen offset:8
	;; [unrolled: 1-line block ×3, first 2 shown]
	s_waitcnt vmcnt(0)
	ds_write_b128 v72, v[1:4]
	s_waitcnt lgkmcnt(0)
	s_waitcnt_vscnt null, 0x0
	s_barrier
	buffer_gl0_inv
	v_cmpx_gt_u32_e32 10, v0
	s_cbranch_execz .LBB32_335
; %bb.328:
	ds_read_b128 v[1:4], v72
	v_cmp_ne_u32_e32 vcc_lo, 1, v73
	s_cbranch_vccnz .LBB32_330
; %bb.329:
	s_clause 0x3
	buffer_load_dword v74, v71, s[0:3], 0 offen offset:8
	buffer_load_dword v75, v71, s[0:3], 0 offen offset:12
	buffer_load_dword v78, v71, s[0:3], 0 offen
	buffer_load_dword v79, v71, s[0:3], 0 offen offset:4
	s_waitcnt vmcnt(2) lgkmcnt(0)
	v_mul_f64 v[80:81], v[3:4], v[74:75]
	v_mul_f64 v[74:75], v[1:2], v[74:75]
	s_waitcnt vmcnt(0)
	v_fma_f64 v[1:2], v[1:2], v[78:79], -v[80:81]
	v_fma_f64 v[3:4], v[3:4], v[78:79], v[74:75]
.LBB32_330:
	s_mov_b32 s8, exec_lo
	v_cmpx_ne_u32_e32 9, v0
	s_cbranch_execz .LBB32_334
; %bb.331:
	v_add_nc_u32_e32 v74, 0x220, v77
	v_add3_u32 v75, 0, v77, 16
	v_mov_b32_e32 v76, v0
	s_mov_b32 s40, 0
	.p2align	6
.LBB32_332:                             ; =>This Inner Loop Header: Depth=1
	s_clause 0x3
	buffer_load_dword v82, v75, s[0:3], 0 offen offset:8
	buffer_load_dword v83, v75, s[0:3], 0 offen offset:12
	buffer_load_dword v84, v75, s[0:3], 0 offen
	buffer_load_dword v85, v75, s[0:3], 0 offen offset:4
	ds_read_b128 v[78:81], v74
	v_add_nc_u32_e32 v76, 1, v76
	v_add_nc_u32_e32 v74, 16, v74
	;; [unrolled: 1-line block ×3, first 2 shown]
	v_cmp_lt_u32_e32 vcc_lo, 8, v76
	s_or_b32 s40, vcc_lo, s40
	s_waitcnt vmcnt(2) lgkmcnt(0)
	v_mul_f64 v[86:87], v[80:81], v[82:83]
	v_mul_f64 v[82:83], v[78:79], v[82:83]
	s_waitcnt vmcnt(0)
	v_fma_f64 v[78:79], v[78:79], v[84:85], -v[86:87]
	v_fma_f64 v[80:81], v[80:81], v[84:85], v[82:83]
	v_add_f64 v[1:2], v[1:2], v[78:79]
	v_add_f64 v[3:4], v[3:4], v[80:81]
	s_andn2_b32 exec_lo, exec_lo, s40
	s_cbranch_execnz .LBB32_332
; %bb.333:
	s_or_b32 exec_lo, exec_lo, s40
.LBB32_334:
	s_or_b32 exec_lo, exec_lo, s8
	v_mov_b32_e32 v74, 0
	ds_read_b128 v[78:81], v74 offset:160
	s_waitcnt lgkmcnt(0)
	v_mul_f64 v[74:75], v[3:4], v[80:81]
	v_mul_f64 v[80:81], v[1:2], v[80:81]
	v_fma_f64 v[1:2], v[1:2], v[78:79], -v[74:75]
	v_fma_f64 v[3:4], v[3:4], v[78:79], v[80:81]
	buffer_store_dword v2, off, s[0:3], 0 offset:164
	buffer_store_dword v1, off, s[0:3], 0 offset:160
	;; [unrolled: 1-line block ×4, first 2 shown]
.LBB32_335:
	s_or_b32 exec_lo, exec_lo, s4
	v_mov_b32_e32 v4, s28
	s_mov_b32 s4, exec_lo
	s_clause 0x3
	buffer_load_dword v1, v4, s[0:3], 0 offen
	buffer_load_dword v2, v4, s[0:3], 0 offen offset:4
	buffer_load_dword v3, v4, s[0:3], 0 offen offset:8
	buffer_load_dword v4, v4, s[0:3], 0 offen offset:12
	s_waitcnt vmcnt(0)
	ds_write_b128 v72, v[1:4]
	s_waitcnt lgkmcnt(0)
	s_waitcnt_vscnt null, 0x0
	s_barrier
	buffer_gl0_inv
	v_cmpx_gt_u32_e32 11, v0
	s_cbranch_execz .LBB32_343
; %bb.336:
	ds_read_b128 v[1:4], v72
	v_cmp_ne_u32_e32 vcc_lo, 1, v73
	s_cbranch_vccnz .LBB32_338
; %bb.337:
	s_clause 0x3
	buffer_load_dword v74, v71, s[0:3], 0 offen offset:8
	buffer_load_dword v75, v71, s[0:3], 0 offen offset:12
	buffer_load_dword v78, v71, s[0:3], 0 offen
	buffer_load_dword v79, v71, s[0:3], 0 offen offset:4
	s_waitcnt vmcnt(2) lgkmcnt(0)
	v_mul_f64 v[80:81], v[3:4], v[74:75]
	v_mul_f64 v[74:75], v[1:2], v[74:75]
	s_waitcnt vmcnt(0)
	v_fma_f64 v[1:2], v[1:2], v[78:79], -v[80:81]
	v_fma_f64 v[3:4], v[3:4], v[78:79], v[74:75]
.LBB32_338:
	s_mov_b32 s8, exec_lo
	v_cmpx_ne_u32_e32 10, v0
	s_cbranch_execz .LBB32_342
; %bb.339:
	v_add_nc_u32_e32 v74, 0x220, v77
	v_add3_u32 v75, 0, v77, 16
	v_mov_b32_e32 v76, v0
	s_mov_b32 s40, 0
	.p2align	6
.LBB32_340:                             ; =>This Inner Loop Header: Depth=1
	s_clause 0x3
	buffer_load_dword v82, v75, s[0:3], 0 offen offset:8
	buffer_load_dword v83, v75, s[0:3], 0 offen offset:12
	buffer_load_dword v84, v75, s[0:3], 0 offen
	buffer_load_dword v85, v75, s[0:3], 0 offen offset:4
	ds_read_b128 v[78:81], v74
	v_add_nc_u32_e32 v76, 1, v76
	v_add_nc_u32_e32 v74, 16, v74
	;; [unrolled: 1-line block ×3, first 2 shown]
	v_cmp_lt_u32_e32 vcc_lo, 9, v76
	s_or_b32 s40, vcc_lo, s40
	s_waitcnt vmcnt(2) lgkmcnt(0)
	v_mul_f64 v[86:87], v[80:81], v[82:83]
	v_mul_f64 v[82:83], v[78:79], v[82:83]
	s_waitcnt vmcnt(0)
	v_fma_f64 v[78:79], v[78:79], v[84:85], -v[86:87]
	v_fma_f64 v[80:81], v[80:81], v[84:85], v[82:83]
	v_add_f64 v[1:2], v[1:2], v[78:79]
	v_add_f64 v[3:4], v[3:4], v[80:81]
	s_andn2_b32 exec_lo, exec_lo, s40
	s_cbranch_execnz .LBB32_340
; %bb.341:
	s_or_b32 exec_lo, exec_lo, s40
.LBB32_342:
	s_or_b32 exec_lo, exec_lo, s8
	v_mov_b32_e32 v74, 0
	ds_read_b128 v[78:81], v74 offset:176
	s_waitcnt lgkmcnt(0)
	v_mul_f64 v[74:75], v[3:4], v[80:81]
	v_mul_f64 v[80:81], v[1:2], v[80:81]
	v_fma_f64 v[1:2], v[1:2], v[78:79], -v[74:75]
	v_fma_f64 v[3:4], v[3:4], v[78:79], v[80:81]
	buffer_store_dword v2, off, s[0:3], 0 offset:180
	buffer_store_dword v1, off, s[0:3], 0 offset:176
	;; [unrolled: 1-line block ×4, first 2 shown]
.LBB32_343:
	s_or_b32 exec_lo, exec_lo, s4
	v_mov_b32_e32 v4, s27
	s_mov_b32 s4, exec_lo
	s_clause 0x3
	buffer_load_dword v1, v4, s[0:3], 0 offen
	buffer_load_dword v2, v4, s[0:3], 0 offen offset:4
	buffer_load_dword v3, v4, s[0:3], 0 offen offset:8
	;; [unrolled: 1-line block ×3, first 2 shown]
	s_waitcnt vmcnt(0)
	ds_write_b128 v72, v[1:4]
	s_waitcnt lgkmcnt(0)
	s_waitcnt_vscnt null, 0x0
	s_barrier
	buffer_gl0_inv
	v_cmpx_gt_u32_e32 12, v0
	s_cbranch_execz .LBB32_351
; %bb.344:
	ds_read_b128 v[1:4], v72
	v_cmp_ne_u32_e32 vcc_lo, 1, v73
	s_cbranch_vccnz .LBB32_346
; %bb.345:
	s_clause 0x3
	buffer_load_dword v74, v71, s[0:3], 0 offen offset:8
	buffer_load_dword v75, v71, s[0:3], 0 offen offset:12
	buffer_load_dword v78, v71, s[0:3], 0 offen
	buffer_load_dword v79, v71, s[0:3], 0 offen offset:4
	s_waitcnt vmcnt(2) lgkmcnt(0)
	v_mul_f64 v[80:81], v[3:4], v[74:75]
	v_mul_f64 v[74:75], v[1:2], v[74:75]
	s_waitcnt vmcnt(0)
	v_fma_f64 v[1:2], v[1:2], v[78:79], -v[80:81]
	v_fma_f64 v[3:4], v[3:4], v[78:79], v[74:75]
.LBB32_346:
	s_mov_b32 s8, exec_lo
	v_cmpx_ne_u32_e32 11, v0
	s_cbranch_execz .LBB32_350
; %bb.347:
	v_add_nc_u32_e32 v74, 0x220, v77
	v_add3_u32 v75, 0, v77, 16
	v_mov_b32_e32 v76, v0
	s_mov_b32 s40, 0
	.p2align	6
.LBB32_348:                             ; =>This Inner Loop Header: Depth=1
	s_clause 0x3
	buffer_load_dword v82, v75, s[0:3], 0 offen offset:8
	buffer_load_dword v83, v75, s[0:3], 0 offen offset:12
	buffer_load_dword v84, v75, s[0:3], 0 offen
	buffer_load_dword v85, v75, s[0:3], 0 offen offset:4
	ds_read_b128 v[78:81], v74
	v_add_nc_u32_e32 v76, 1, v76
	v_add_nc_u32_e32 v74, 16, v74
	;; [unrolled: 1-line block ×3, first 2 shown]
	v_cmp_lt_u32_e32 vcc_lo, 10, v76
	s_or_b32 s40, vcc_lo, s40
	s_waitcnt vmcnt(2) lgkmcnt(0)
	v_mul_f64 v[86:87], v[80:81], v[82:83]
	v_mul_f64 v[82:83], v[78:79], v[82:83]
	s_waitcnt vmcnt(0)
	v_fma_f64 v[78:79], v[78:79], v[84:85], -v[86:87]
	v_fma_f64 v[80:81], v[80:81], v[84:85], v[82:83]
	v_add_f64 v[1:2], v[1:2], v[78:79]
	v_add_f64 v[3:4], v[3:4], v[80:81]
	s_andn2_b32 exec_lo, exec_lo, s40
	s_cbranch_execnz .LBB32_348
; %bb.349:
	s_or_b32 exec_lo, exec_lo, s40
.LBB32_350:
	s_or_b32 exec_lo, exec_lo, s8
	v_mov_b32_e32 v74, 0
	ds_read_b128 v[78:81], v74 offset:192
	s_waitcnt lgkmcnt(0)
	v_mul_f64 v[74:75], v[3:4], v[80:81]
	v_mul_f64 v[80:81], v[1:2], v[80:81]
	v_fma_f64 v[1:2], v[1:2], v[78:79], -v[74:75]
	v_fma_f64 v[3:4], v[3:4], v[78:79], v[80:81]
	buffer_store_dword v2, off, s[0:3], 0 offset:196
	buffer_store_dword v1, off, s[0:3], 0 offset:192
	;; [unrolled: 1-line block ×4, first 2 shown]
.LBB32_351:
	s_or_b32 exec_lo, exec_lo, s4
	v_mov_b32_e32 v4, s26
	s_mov_b32 s4, exec_lo
	s_clause 0x3
	buffer_load_dword v1, v4, s[0:3], 0 offen
	buffer_load_dword v2, v4, s[0:3], 0 offen offset:4
	buffer_load_dword v3, v4, s[0:3], 0 offen offset:8
	buffer_load_dword v4, v4, s[0:3], 0 offen offset:12
	s_waitcnt vmcnt(0)
	ds_write_b128 v72, v[1:4]
	s_waitcnt lgkmcnt(0)
	s_waitcnt_vscnt null, 0x0
	s_barrier
	buffer_gl0_inv
	v_cmpx_gt_u32_e32 13, v0
	s_cbranch_execz .LBB32_359
; %bb.352:
	ds_read_b128 v[1:4], v72
	v_cmp_ne_u32_e32 vcc_lo, 1, v73
	s_cbranch_vccnz .LBB32_354
; %bb.353:
	s_clause 0x3
	buffer_load_dword v74, v71, s[0:3], 0 offen offset:8
	buffer_load_dword v75, v71, s[0:3], 0 offen offset:12
	buffer_load_dword v78, v71, s[0:3], 0 offen
	buffer_load_dword v79, v71, s[0:3], 0 offen offset:4
	s_waitcnt vmcnt(2) lgkmcnt(0)
	v_mul_f64 v[80:81], v[3:4], v[74:75]
	v_mul_f64 v[74:75], v[1:2], v[74:75]
	s_waitcnt vmcnt(0)
	v_fma_f64 v[1:2], v[1:2], v[78:79], -v[80:81]
	v_fma_f64 v[3:4], v[3:4], v[78:79], v[74:75]
.LBB32_354:
	s_mov_b32 s8, exec_lo
	v_cmpx_ne_u32_e32 12, v0
	s_cbranch_execz .LBB32_358
; %bb.355:
	v_add_nc_u32_e32 v74, 0x220, v77
	v_add3_u32 v75, 0, v77, 16
	v_mov_b32_e32 v76, v0
	s_mov_b32 s40, 0
	.p2align	6
.LBB32_356:                             ; =>This Inner Loop Header: Depth=1
	s_clause 0x3
	buffer_load_dword v82, v75, s[0:3], 0 offen offset:8
	buffer_load_dword v83, v75, s[0:3], 0 offen offset:12
	buffer_load_dword v84, v75, s[0:3], 0 offen
	buffer_load_dword v85, v75, s[0:3], 0 offen offset:4
	ds_read_b128 v[78:81], v74
	v_add_nc_u32_e32 v76, 1, v76
	v_add_nc_u32_e32 v74, 16, v74
	;; [unrolled: 1-line block ×3, first 2 shown]
	v_cmp_lt_u32_e32 vcc_lo, 11, v76
	s_or_b32 s40, vcc_lo, s40
	s_waitcnt vmcnt(2) lgkmcnt(0)
	v_mul_f64 v[86:87], v[80:81], v[82:83]
	v_mul_f64 v[82:83], v[78:79], v[82:83]
	s_waitcnt vmcnt(0)
	v_fma_f64 v[78:79], v[78:79], v[84:85], -v[86:87]
	v_fma_f64 v[80:81], v[80:81], v[84:85], v[82:83]
	v_add_f64 v[1:2], v[1:2], v[78:79]
	v_add_f64 v[3:4], v[3:4], v[80:81]
	s_andn2_b32 exec_lo, exec_lo, s40
	s_cbranch_execnz .LBB32_356
; %bb.357:
	s_or_b32 exec_lo, exec_lo, s40
.LBB32_358:
	s_or_b32 exec_lo, exec_lo, s8
	v_mov_b32_e32 v74, 0
	ds_read_b128 v[78:81], v74 offset:208
	s_waitcnt lgkmcnt(0)
	v_mul_f64 v[74:75], v[3:4], v[80:81]
	v_mul_f64 v[80:81], v[1:2], v[80:81]
	v_fma_f64 v[1:2], v[1:2], v[78:79], -v[74:75]
	v_fma_f64 v[3:4], v[3:4], v[78:79], v[80:81]
	buffer_store_dword v2, off, s[0:3], 0 offset:212
	buffer_store_dword v1, off, s[0:3], 0 offset:208
	;; [unrolled: 1-line block ×4, first 2 shown]
.LBB32_359:
	s_or_b32 exec_lo, exec_lo, s4
	v_mov_b32_e32 v4, s25
	s_mov_b32 s4, exec_lo
	s_clause 0x3
	buffer_load_dword v1, v4, s[0:3], 0 offen
	buffer_load_dword v2, v4, s[0:3], 0 offen offset:4
	buffer_load_dword v3, v4, s[0:3], 0 offen offset:8
	;; [unrolled: 1-line block ×3, first 2 shown]
	s_waitcnt vmcnt(0)
	ds_write_b128 v72, v[1:4]
	s_waitcnt lgkmcnt(0)
	s_waitcnt_vscnt null, 0x0
	s_barrier
	buffer_gl0_inv
	v_cmpx_gt_u32_e32 14, v0
	s_cbranch_execz .LBB32_367
; %bb.360:
	ds_read_b128 v[1:4], v72
	v_cmp_ne_u32_e32 vcc_lo, 1, v73
	s_cbranch_vccnz .LBB32_362
; %bb.361:
	s_clause 0x3
	buffer_load_dword v74, v71, s[0:3], 0 offen offset:8
	buffer_load_dword v75, v71, s[0:3], 0 offen offset:12
	buffer_load_dword v78, v71, s[0:3], 0 offen
	buffer_load_dword v79, v71, s[0:3], 0 offen offset:4
	s_waitcnt vmcnt(2) lgkmcnt(0)
	v_mul_f64 v[80:81], v[3:4], v[74:75]
	v_mul_f64 v[74:75], v[1:2], v[74:75]
	s_waitcnt vmcnt(0)
	v_fma_f64 v[1:2], v[1:2], v[78:79], -v[80:81]
	v_fma_f64 v[3:4], v[3:4], v[78:79], v[74:75]
.LBB32_362:
	s_mov_b32 s8, exec_lo
	v_cmpx_ne_u32_e32 13, v0
	s_cbranch_execz .LBB32_366
; %bb.363:
	v_add_nc_u32_e32 v74, 0x220, v77
	v_add3_u32 v75, 0, v77, 16
	v_mov_b32_e32 v76, v0
	s_mov_b32 s40, 0
	.p2align	6
.LBB32_364:                             ; =>This Inner Loop Header: Depth=1
	s_clause 0x3
	buffer_load_dword v82, v75, s[0:3], 0 offen offset:8
	buffer_load_dword v83, v75, s[0:3], 0 offen offset:12
	buffer_load_dword v84, v75, s[0:3], 0 offen
	buffer_load_dword v85, v75, s[0:3], 0 offen offset:4
	ds_read_b128 v[78:81], v74
	v_add_nc_u32_e32 v76, 1, v76
	v_add_nc_u32_e32 v74, 16, v74
	;; [unrolled: 1-line block ×3, first 2 shown]
	v_cmp_lt_u32_e32 vcc_lo, 12, v76
	s_or_b32 s40, vcc_lo, s40
	s_waitcnt vmcnt(2) lgkmcnt(0)
	v_mul_f64 v[86:87], v[80:81], v[82:83]
	v_mul_f64 v[82:83], v[78:79], v[82:83]
	s_waitcnt vmcnt(0)
	v_fma_f64 v[78:79], v[78:79], v[84:85], -v[86:87]
	v_fma_f64 v[80:81], v[80:81], v[84:85], v[82:83]
	v_add_f64 v[1:2], v[1:2], v[78:79]
	v_add_f64 v[3:4], v[3:4], v[80:81]
	s_andn2_b32 exec_lo, exec_lo, s40
	s_cbranch_execnz .LBB32_364
; %bb.365:
	s_or_b32 exec_lo, exec_lo, s40
.LBB32_366:
	s_or_b32 exec_lo, exec_lo, s8
	v_mov_b32_e32 v74, 0
	ds_read_b128 v[78:81], v74 offset:224
	s_waitcnt lgkmcnt(0)
	v_mul_f64 v[74:75], v[3:4], v[80:81]
	v_mul_f64 v[80:81], v[1:2], v[80:81]
	v_fma_f64 v[1:2], v[1:2], v[78:79], -v[74:75]
	v_fma_f64 v[3:4], v[3:4], v[78:79], v[80:81]
	buffer_store_dword v2, off, s[0:3], 0 offset:228
	buffer_store_dword v1, off, s[0:3], 0 offset:224
	;; [unrolled: 1-line block ×4, first 2 shown]
.LBB32_367:
	s_or_b32 exec_lo, exec_lo, s4
	v_mov_b32_e32 v4, s24
	s_mov_b32 s4, exec_lo
	s_clause 0x3
	buffer_load_dword v1, v4, s[0:3], 0 offen
	buffer_load_dword v2, v4, s[0:3], 0 offen offset:4
	buffer_load_dword v3, v4, s[0:3], 0 offen offset:8
	;; [unrolled: 1-line block ×3, first 2 shown]
	s_waitcnt vmcnt(0)
	ds_write_b128 v72, v[1:4]
	s_waitcnt lgkmcnt(0)
	s_waitcnt_vscnt null, 0x0
	s_barrier
	buffer_gl0_inv
	v_cmpx_gt_u32_e32 15, v0
	s_cbranch_execz .LBB32_375
; %bb.368:
	ds_read_b128 v[1:4], v72
	v_cmp_ne_u32_e32 vcc_lo, 1, v73
	s_cbranch_vccnz .LBB32_370
; %bb.369:
	s_clause 0x3
	buffer_load_dword v74, v71, s[0:3], 0 offen offset:8
	buffer_load_dword v75, v71, s[0:3], 0 offen offset:12
	buffer_load_dword v78, v71, s[0:3], 0 offen
	buffer_load_dword v79, v71, s[0:3], 0 offen offset:4
	s_waitcnt vmcnt(2) lgkmcnt(0)
	v_mul_f64 v[80:81], v[3:4], v[74:75]
	v_mul_f64 v[74:75], v[1:2], v[74:75]
	s_waitcnt vmcnt(0)
	v_fma_f64 v[1:2], v[1:2], v[78:79], -v[80:81]
	v_fma_f64 v[3:4], v[3:4], v[78:79], v[74:75]
.LBB32_370:
	s_mov_b32 s8, exec_lo
	v_cmpx_ne_u32_e32 14, v0
	s_cbranch_execz .LBB32_374
; %bb.371:
	v_add_nc_u32_e32 v74, 0x220, v77
	v_add3_u32 v75, 0, v77, 16
	v_mov_b32_e32 v76, v0
	s_mov_b32 s40, 0
	.p2align	6
.LBB32_372:                             ; =>This Inner Loop Header: Depth=1
	s_clause 0x3
	buffer_load_dword v82, v75, s[0:3], 0 offen offset:8
	buffer_load_dword v83, v75, s[0:3], 0 offen offset:12
	buffer_load_dword v84, v75, s[0:3], 0 offen
	buffer_load_dword v85, v75, s[0:3], 0 offen offset:4
	ds_read_b128 v[78:81], v74
	v_add_nc_u32_e32 v76, 1, v76
	v_add_nc_u32_e32 v74, 16, v74
	;; [unrolled: 1-line block ×3, first 2 shown]
	v_cmp_lt_u32_e32 vcc_lo, 13, v76
	s_or_b32 s40, vcc_lo, s40
	s_waitcnt vmcnt(2) lgkmcnt(0)
	v_mul_f64 v[86:87], v[80:81], v[82:83]
	v_mul_f64 v[82:83], v[78:79], v[82:83]
	s_waitcnt vmcnt(0)
	v_fma_f64 v[78:79], v[78:79], v[84:85], -v[86:87]
	v_fma_f64 v[80:81], v[80:81], v[84:85], v[82:83]
	v_add_f64 v[1:2], v[1:2], v[78:79]
	v_add_f64 v[3:4], v[3:4], v[80:81]
	s_andn2_b32 exec_lo, exec_lo, s40
	s_cbranch_execnz .LBB32_372
; %bb.373:
	s_or_b32 exec_lo, exec_lo, s40
.LBB32_374:
	s_or_b32 exec_lo, exec_lo, s8
	v_mov_b32_e32 v74, 0
	ds_read_b128 v[78:81], v74 offset:240
	s_waitcnt lgkmcnt(0)
	v_mul_f64 v[74:75], v[3:4], v[80:81]
	v_mul_f64 v[80:81], v[1:2], v[80:81]
	v_fma_f64 v[1:2], v[1:2], v[78:79], -v[74:75]
	v_fma_f64 v[3:4], v[3:4], v[78:79], v[80:81]
	buffer_store_dword v2, off, s[0:3], 0 offset:244
	buffer_store_dword v1, off, s[0:3], 0 offset:240
	buffer_store_dword v4, off, s[0:3], 0 offset:252
	buffer_store_dword v3, off, s[0:3], 0 offset:248
.LBB32_375:
	s_or_b32 exec_lo, exec_lo, s4
	v_mov_b32_e32 v4, s23
	s_mov_b32 s4, exec_lo
	s_clause 0x3
	buffer_load_dword v1, v4, s[0:3], 0 offen
	buffer_load_dword v2, v4, s[0:3], 0 offen offset:4
	buffer_load_dword v3, v4, s[0:3], 0 offen offset:8
	;; [unrolled: 1-line block ×3, first 2 shown]
	s_waitcnt vmcnt(0)
	ds_write_b128 v72, v[1:4]
	s_waitcnt lgkmcnt(0)
	s_waitcnt_vscnt null, 0x0
	s_barrier
	buffer_gl0_inv
	v_cmpx_gt_u32_e32 16, v0
	s_cbranch_execz .LBB32_383
; %bb.376:
	ds_read_b128 v[1:4], v72
	v_cmp_ne_u32_e32 vcc_lo, 1, v73
	s_cbranch_vccnz .LBB32_378
; %bb.377:
	s_clause 0x3
	buffer_load_dword v74, v71, s[0:3], 0 offen offset:8
	buffer_load_dword v75, v71, s[0:3], 0 offen offset:12
	buffer_load_dword v78, v71, s[0:3], 0 offen
	buffer_load_dword v79, v71, s[0:3], 0 offen offset:4
	s_waitcnt vmcnt(2) lgkmcnt(0)
	v_mul_f64 v[80:81], v[3:4], v[74:75]
	v_mul_f64 v[74:75], v[1:2], v[74:75]
	s_waitcnt vmcnt(0)
	v_fma_f64 v[1:2], v[1:2], v[78:79], -v[80:81]
	v_fma_f64 v[3:4], v[3:4], v[78:79], v[74:75]
.LBB32_378:
	s_mov_b32 s8, exec_lo
	v_cmpx_ne_u32_e32 15, v0
	s_cbranch_execz .LBB32_382
; %bb.379:
	v_add_nc_u32_e32 v74, 0x220, v77
	v_add3_u32 v75, 0, v77, 16
	v_mov_b32_e32 v76, v0
	s_mov_b32 s40, 0
	.p2align	6
.LBB32_380:                             ; =>This Inner Loop Header: Depth=1
	s_clause 0x3
	buffer_load_dword v82, v75, s[0:3], 0 offen offset:8
	buffer_load_dword v83, v75, s[0:3], 0 offen offset:12
	buffer_load_dword v84, v75, s[0:3], 0 offen
	buffer_load_dword v85, v75, s[0:3], 0 offen offset:4
	ds_read_b128 v[78:81], v74
	v_add_nc_u32_e32 v76, 1, v76
	v_add_nc_u32_e32 v74, 16, v74
	;; [unrolled: 1-line block ×3, first 2 shown]
	v_cmp_lt_u32_e32 vcc_lo, 14, v76
	s_or_b32 s40, vcc_lo, s40
	s_waitcnt vmcnt(2) lgkmcnt(0)
	v_mul_f64 v[86:87], v[80:81], v[82:83]
	v_mul_f64 v[82:83], v[78:79], v[82:83]
	s_waitcnt vmcnt(0)
	v_fma_f64 v[78:79], v[78:79], v[84:85], -v[86:87]
	v_fma_f64 v[80:81], v[80:81], v[84:85], v[82:83]
	v_add_f64 v[1:2], v[1:2], v[78:79]
	v_add_f64 v[3:4], v[3:4], v[80:81]
	s_andn2_b32 exec_lo, exec_lo, s40
	s_cbranch_execnz .LBB32_380
; %bb.381:
	s_or_b32 exec_lo, exec_lo, s40
.LBB32_382:
	s_or_b32 exec_lo, exec_lo, s8
	v_mov_b32_e32 v74, 0
	ds_read_b128 v[78:81], v74 offset:256
	s_waitcnt lgkmcnt(0)
	v_mul_f64 v[74:75], v[3:4], v[80:81]
	v_mul_f64 v[80:81], v[1:2], v[80:81]
	v_fma_f64 v[1:2], v[1:2], v[78:79], -v[74:75]
	v_fma_f64 v[3:4], v[3:4], v[78:79], v[80:81]
	buffer_store_dword v2, off, s[0:3], 0 offset:260
	buffer_store_dword v1, off, s[0:3], 0 offset:256
	;; [unrolled: 1-line block ×4, first 2 shown]
.LBB32_383:
	s_or_b32 exec_lo, exec_lo, s4
	v_mov_b32_e32 v4, s22
	s_mov_b32 s4, exec_lo
	s_clause 0x3
	buffer_load_dword v1, v4, s[0:3], 0 offen
	buffer_load_dword v2, v4, s[0:3], 0 offen offset:4
	buffer_load_dword v3, v4, s[0:3], 0 offen offset:8
	;; [unrolled: 1-line block ×3, first 2 shown]
	s_waitcnt vmcnt(0)
	ds_write_b128 v72, v[1:4]
	s_waitcnt lgkmcnt(0)
	s_waitcnt_vscnt null, 0x0
	s_barrier
	buffer_gl0_inv
	v_cmpx_gt_u32_e32 17, v0
	s_cbranch_execz .LBB32_391
; %bb.384:
	ds_read_b128 v[1:4], v72
	v_cmp_ne_u32_e32 vcc_lo, 1, v73
	s_cbranch_vccnz .LBB32_386
; %bb.385:
	s_clause 0x3
	buffer_load_dword v74, v71, s[0:3], 0 offen offset:8
	buffer_load_dword v75, v71, s[0:3], 0 offen offset:12
	buffer_load_dword v78, v71, s[0:3], 0 offen
	buffer_load_dword v79, v71, s[0:3], 0 offen offset:4
	s_waitcnt vmcnt(2) lgkmcnt(0)
	v_mul_f64 v[80:81], v[3:4], v[74:75]
	v_mul_f64 v[74:75], v[1:2], v[74:75]
	s_waitcnt vmcnt(0)
	v_fma_f64 v[1:2], v[1:2], v[78:79], -v[80:81]
	v_fma_f64 v[3:4], v[3:4], v[78:79], v[74:75]
.LBB32_386:
	s_mov_b32 s8, exec_lo
	v_cmpx_ne_u32_e32 16, v0
	s_cbranch_execz .LBB32_390
; %bb.387:
	v_add_nc_u32_e32 v74, 0x220, v77
	v_add3_u32 v75, 0, v77, 16
	v_mov_b32_e32 v76, v0
	s_mov_b32 s40, 0
	.p2align	6
.LBB32_388:                             ; =>This Inner Loop Header: Depth=1
	s_clause 0x3
	buffer_load_dword v82, v75, s[0:3], 0 offen offset:8
	buffer_load_dword v83, v75, s[0:3], 0 offen offset:12
	buffer_load_dword v84, v75, s[0:3], 0 offen
	buffer_load_dword v85, v75, s[0:3], 0 offen offset:4
	ds_read_b128 v[78:81], v74
	v_add_nc_u32_e32 v76, 1, v76
	v_add_nc_u32_e32 v74, 16, v74
	;; [unrolled: 1-line block ×3, first 2 shown]
	v_cmp_lt_u32_e32 vcc_lo, 15, v76
	s_or_b32 s40, vcc_lo, s40
	s_waitcnt vmcnt(2) lgkmcnt(0)
	v_mul_f64 v[86:87], v[80:81], v[82:83]
	v_mul_f64 v[82:83], v[78:79], v[82:83]
	s_waitcnt vmcnt(0)
	v_fma_f64 v[78:79], v[78:79], v[84:85], -v[86:87]
	v_fma_f64 v[80:81], v[80:81], v[84:85], v[82:83]
	v_add_f64 v[1:2], v[1:2], v[78:79]
	v_add_f64 v[3:4], v[3:4], v[80:81]
	s_andn2_b32 exec_lo, exec_lo, s40
	s_cbranch_execnz .LBB32_388
; %bb.389:
	s_or_b32 exec_lo, exec_lo, s40
.LBB32_390:
	s_or_b32 exec_lo, exec_lo, s8
	v_mov_b32_e32 v74, 0
	ds_read_b128 v[78:81], v74 offset:272
	s_waitcnt lgkmcnt(0)
	v_mul_f64 v[74:75], v[3:4], v[80:81]
	v_mul_f64 v[80:81], v[1:2], v[80:81]
	v_fma_f64 v[1:2], v[1:2], v[78:79], -v[74:75]
	v_fma_f64 v[3:4], v[3:4], v[78:79], v[80:81]
	buffer_store_dword v2, off, s[0:3], 0 offset:276
	buffer_store_dword v1, off, s[0:3], 0 offset:272
	;; [unrolled: 1-line block ×4, first 2 shown]
.LBB32_391:
	s_or_b32 exec_lo, exec_lo, s4
	v_mov_b32_e32 v4, s21
	s_mov_b32 s4, exec_lo
	s_clause 0x3
	buffer_load_dword v1, v4, s[0:3], 0 offen
	buffer_load_dword v2, v4, s[0:3], 0 offen offset:4
	buffer_load_dword v3, v4, s[0:3], 0 offen offset:8
	;; [unrolled: 1-line block ×3, first 2 shown]
	s_waitcnt vmcnt(0)
	ds_write_b128 v72, v[1:4]
	s_waitcnt lgkmcnt(0)
	s_waitcnt_vscnt null, 0x0
	s_barrier
	buffer_gl0_inv
	v_cmpx_gt_u32_e32 18, v0
	s_cbranch_execz .LBB32_399
; %bb.392:
	ds_read_b128 v[1:4], v72
	v_cmp_ne_u32_e32 vcc_lo, 1, v73
	s_cbranch_vccnz .LBB32_394
; %bb.393:
	s_clause 0x3
	buffer_load_dword v74, v71, s[0:3], 0 offen offset:8
	buffer_load_dword v75, v71, s[0:3], 0 offen offset:12
	buffer_load_dword v78, v71, s[0:3], 0 offen
	buffer_load_dword v79, v71, s[0:3], 0 offen offset:4
	s_waitcnt vmcnt(2) lgkmcnt(0)
	v_mul_f64 v[80:81], v[3:4], v[74:75]
	v_mul_f64 v[74:75], v[1:2], v[74:75]
	s_waitcnt vmcnt(0)
	v_fma_f64 v[1:2], v[1:2], v[78:79], -v[80:81]
	v_fma_f64 v[3:4], v[3:4], v[78:79], v[74:75]
.LBB32_394:
	s_mov_b32 s8, exec_lo
	v_cmpx_ne_u32_e32 17, v0
	s_cbranch_execz .LBB32_398
; %bb.395:
	v_add_nc_u32_e32 v74, 0x220, v77
	v_add3_u32 v75, 0, v77, 16
	v_mov_b32_e32 v76, v0
	s_mov_b32 s40, 0
	.p2align	6
.LBB32_396:                             ; =>This Inner Loop Header: Depth=1
	s_clause 0x3
	buffer_load_dword v82, v75, s[0:3], 0 offen offset:8
	buffer_load_dword v83, v75, s[0:3], 0 offen offset:12
	buffer_load_dword v84, v75, s[0:3], 0 offen
	buffer_load_dword v85, v75, s[0:3], 0 offen offset:4
	ds_read_b128 v[78:81], v74
	v_add_nc_u32_e32 v76, 1, v76
	v_add_nc_u32_e32 v74, 16, v74
	;; [unrolled: 1-line block ×3, first 2 shown]
	v_cmp_lt_u32_e32 vcc_lo, 16, v76
	s_or_b32 s40, vcc_lo, s40
	s_waitcnt vmcnt(2) lgkmcnt(0)
	v_mul_f64 v[86:87], v[80:81], v[82:83]
	v_mul_f64 v[82:83], v[78:79], v[82:83]
	s_waitcnt vmcnt(0)
	v_fma_f64 v[78:79], v[78:79], v[84:85], -v[86:87]
	v_fma_f64 v[80:81], v[80:81], v[84:85], v[82:83]
	v_add_f64 v[1:2], v[1:2], v[78:79]
	v_add_f64 v[3:4], v[3:4], v[80:81]
	s_andn2_b32 exec_lo, exec_lo, s40
	s_cbranch_execnz .LBB32_396
; %bb.397:
	s_or_b32 exec_lo, exec_lo, s40
.LBB32_398:
	s_or_b32 exec_lo, exec_lo, s8
	v_mov_b32_e32 v74, 0
	ds_read_b128 v[78:81], v74 offset:288
	s_waitcnt lgkmcnt(0)
	v_mul_f64 v[74:75], v[3:4], v[80:81]
	v_mul_f64 v[80:81], v[1:2], v[80:81]
	v_fma_f64 v[1:2], v[1:2], v[78:79], -v[74:75]
	v_fma_f64 v[3:4], v[3:4], v[78:79], v[80:81]
	buffer_store_dword v2, off, s[0:3], 0 offset:292
	buffer_store_dword v1, off, s[0:3], 0 offset:288
	;; [unrolled: 1-line block ×4, first 2 shown]
.LBB32_399:
	s_or_b32 exec_lo, exec_lo, s4
	v_mov_b32_e32 v4, s20
	s_mov_b32 s4, exec_lo
	s_clause 0x3
	buffer_load_dword v1, v4, s[0:3], 0 offen
	buffer_load_dword v2, v4, s[0:3], 0 offen offset:4
	buffer_load_dword v3, v4, s[0:3], 0 offen offset:8
	;; [unrolled: 1-line block ×3, first 2 shown]
	s_waitcnt vmcnt(0)
	ds_write_b128 v72, v[1:4]
	s_waitcnt lgkmcnt(0)
	s_waitcnt_vscnt null, 0x0
	s_barrier
	buffer_gl0_inv
	v_cmpx_gt_u32_e32 19, v0
	s_cbranch_execz .LBB32_407
; %bb.400:
	ds_read_b128 v[1:4], v72
	v_cmp_ne_u32_e32 vcc_lo, 1, v73
	s_cbranch_vccnz .LBB32_402
; %bb.401:
	s_clause 0x3
	buffer_load_dword v74, v71, s[0:3], 0 offen offset:8
	buffer_load_dword v75, v71, s[0:3], 0 offen offset:12
	buffer_load_dword v78, v71, s[0:3], 0 offen
	buffer_load_dword v79, v71, s[0:3], 0 offen offset:4
	s_waitcnt vmcnt(2) lgkmcnt(0)
	v_mul_f64 v[80:81], v[3:4], v[74:75]
	v_mul_f64 v[74:75], v[1:2], v[74:75]
	s_waitcnt vmcnt(0)
	v_fma_f64 v[1:2], v[1:2], v[78:79], -v[80:81]
	v_fma_f64 v[3:4], v[3:4], v[78:79], v[74:75]
.LBB32_402:
	s_mov_b32 s8, exec_lo
	v_cmpx_ne_u32_e32 18, v0
	s_cbranch_execz .LBB32_406
; %bb.403:
	v_add_nc_u32_e32 v74, 0x220, v77
	v_add3_u32 v75, 0, v77, 16
	v_mov_b32_e32 v76, v0
	s_mov_b32 s40, 0
	.p2align	6
.LBB32_404:                             ; =>This Inner Loop Header: Depth=1
	s_clause 0x3
	buffer_load_dword v82, v75, s[0:3], 0 offen offset:8
	buffer_load_dword v83, v75, s[0:3], 0 offen offset:12
	buffer_load_dword v84, v75, s[0:3], 0 offen
	buffer_load_dword v85, v75, s[0:3], 0 offen offset:4
	ds_read_b128 v[78:81], v74
	v_add_nc_u32_e32 v76, 1, v76
	v_add_nc_u32_e32 v74, 16, v74
	;; [unrolled: 1-line block ×3, first 2 shown]
	v_cmp_lt_u32_e32 vcc_lo, 17, v76
	s_or_b32 s40, vcc_lo, s40
	s_waitcnt vmcnt(2) lgkmcnt(0)
	v_mul_f64 v[86:87], v[80:81], v[82:83]
	v_mul_f64 v[82:83], v[78:79], v[82:83]
	s_waitcnt vmcnt(0)
	v_fma_f64 v[78:79], v[78:79], v[84:85], -v[86:87]
	v_fma_f64 v[80:81], v[80:81], v[84:85], v[82:83]
	v_add_f64 v[1:2], v[1:2], v[78:79]
	v_add_f64 v[3:4], v[3:4], v[80:81]
	s_andn2_b32 exec_lo, exec_lo, s40
	s_cbranch_execnz .LBB32_404
; %bb.405:
	s_or_b32 exec_lo, exec_lo, s40
.LBB32_406:
	s_or_b32 exec_lo, exec_lo, s8
	v_mov_b32_e32 v74, 0
	ds_read_b128 v[78:81], v74 offset:304
	s_waitcnt lgkmcnt(0)
	v_mul_f64 v[74:75], v[3:4], v[80:81]
	v_mul_f64 v[80:81], v[1:2], v[80:81]
	v_fma_f64 v[1:2], v[1:2], v[78:79], -v[74:75]
	v_fma_f64 v[3:4], v[3:4], v[78:79], v[80:81]
	buffer_store_dword v2, off, s[0:3], 0 offset:308
	buffer_store_dword v1, off, s[0:3], 0 offset:304
	;; [unrolled: 1-line block ×4, first 2 shown]
.LBB32_407:
	s_or_b32 exec_lo, exec_lo, s4
	v_mov_b32_e32 v4, s19
	s_mov_b32 s4, exec_lo
	s_clause 0x3
	buffer_load_dword v1, v4, s[0:3], 0 offen
	buffer_load_dword v2, v4, s[0:3], 0 offen offset:4
	buffer_load_dword v3, v4, s[0:3], 0 offen offset:8
	;; [unrolled: 1-line block ×3, first 2 shown]
	s_waitcnt vmcnt(0)
	ds_write_b128 v72, v[1:4]
	s_waitcnt lgkmcnt(0)
	s_waitcnt_vscnt null, 0x0
	s_barrier
	buffer_gl0_inv
	v_cmpx_gt_u32_e32 20, v0
	s_cbranch_execz .LBB32_415
; %bb.408:
	ds_read_b128 v[1:4], v72
	v_cmp_ne_u32_e32 vcc_lo, 1, v73
	s_cbranch_vccnz .LBB32_410
; %bb.409:
	s_clause 0x3
	buffer_load_dword v74, v71, s[0:3], 0 offen offset:8
	buffer_load_dword v75, v71, s[0:3], 0 offen offset:12
	buffer_load_dword v78, v71, s[0:3], 0 offen
	buffer_load_dword v79, v71, s[0:3], 0 offen offset:4
	s_waitcnt vmcnt(2) lgkmcnt(0)
	v_mul_f64 v[80:81], v[3:4], v[74:75]
	v_mul_f64 v[74:75], v[1:2], v[74:75]
	s_waitcnt vmcnt(0)
	v_fma_f64 v[1:2], v[1:2], v[78:79], -v[80:81]
	v_fma_f64 v[3:4], v[3:4], v[78:79], v[74:75]
.LBB32_410:
	s_mov_b32 s8, exec_lo
	v_cmpx_ne_u32_e32 19, v0
	s_cbranch_execz .LBB32_414
; %bb.411:
	v_add_nc_u32_e32 v74, 0x220, v77
	v_add3_u32 v75, 0, v77, 16
	v_mov_b32_e32 v76, v0
	s_mov_b32 s40, 0
	.p2align	6
.LBB32_412:                             ; =>This Inner Loop Header: Depth=1
	s_clause 0x3
	buffer_load_dword v82, v75, s[0:3], 0 offen offset:8
	buffer_load_dword v83, v75, s[0:3], 0 offen offset:12
	buffer_load_dword v84, v75, s[0:3], 0 offen
	buffer_load_dword v85, v75, s[0:3], 0 offen offset:4
	ds_read_b128 v[78:81], v74
	v_add_nc_u32_e32 v76, 1, v76
	v_add_nc_u32_e32 v74, 16, v74
	;; [unrolled: 1-line block ×3, first 2 shown]
	v_cmp_lt_u32_e32 vcc_lo, 18, v76
	s_or_b32 s40, vcc_lo, s40
	s_waitcnt vmcnt(2) lgkmcnt(0)
	v_mul_f64 v[86:87], v[80:81], v[82:83]
	v_mul_f64 v[82:83], v[78:79], v[82:83]
	s_waitcnt vmcnt(0)
	v_fma_f64 v[78:79], v[78:79], v[84:85], -v[86:87]
	v_fma_f64 v[80:81], v[80:81], v[84:85], v[82:83]
	v_add_f64 v[1:2], v[1:2], v[78:79]
	v_add_f64 v[3:4], v[3:4], v[80:81]
	s_andn2_b32 exec_lo, exec_lo, s40
	s_cbranch_execnz .LBB32_412
; %bb.413:
	s_or_b32 exec_lo, exec_lo, s40
.LBB32_414:
	s_or_b32 exec_lo, exec_lo, s8
	v_mov_b32_e32 v74, 0
	ds_read_b128 v[78:81], v74 offset:320
	s_waitcnt lgkmcnt(0)
	v_mul_f64 v[74:75], v[3:4], v[80:81]
	v_mul_f64 v[80:81], v[1:2], v[80:81]
	v_fma_f64 v[1:2], v[1:2], v[78:79], -v[74:75]
	v_fma_f64 v[3:4], v[3:4], v[78:79], v[80:81]
	buffer_store_dword v2, off, s[0:3], 0 offset:324
	buffer_store_dword v1, off, s[0:3], 0 offset:320
	;; [unrolled: 1-line block ×4, first 2 shown]
.LBB32_415:
	s_or_b32 exec_lo, exec_lo, s4
	v_mov_b32_e32 v4, s18
	s_mov_b32 s4, exec_lo
	s_clause 0x3
	buffer_load_dword v1, v4, s[0:3], 0 offen
	buffer_load_dword v2, v4, s[0:3], 0 offen offset:4
	buffer_load_dword v3, v4, s[0:3], 0 offen offset:8
	;; [unrolled: 1-line block ×3, first 2 shown]
	s_waitcnt vmcnt(0)
	ds_write_b128 v72, v[1:4]
	s_waitcnt lgkmcnt(0)
	s_waitcnt_vscnt null, 0x0
	s_barrier
	buffer_gl0_inv
	v_cmpx_gt_u32_e32 21, v0
	s_cbranch_execz .LBB32_423
; %bb.416:
	ds_read_b128 v[1:4], v72
	v_cmp_ne_u32_e32 vcc_lo, 1, v73
	s_cbranch_vccnz .LBB32_418
; %bb.417:
	s_clause 0x3
	buffer_load_dword v74, v71, s[0:3], 0 offen offset:8
	buffer_load_dword v75, v71, s[0:3], 0 offen offset:12
	buffer_load_dword v78, v71, s[0:3], 0 offen
	buffer_load_dword v79, v71, s[0:3], 0 offen offset:4
	s_waitcnt vmcnt(2) lgkmcnt(0)
	v_mul_f64 v[80:81], v[3:4], v[74:75]
	v_mul_f64 v[74:75], v[1:2], v[74:75]
	s_waitcnt vmcnt(0)
	v_fma_f64 v[1:2], v[1:2], v[78:79], -v[80:81]
	v_fma_f64 v[3:4], v[3:4], v[78:79], v[74:75]
.LBB32_418:
	s_mov_b32 s8, exec_lo
	v_cmpx_ne_u32_e32 20, v0
	s_cbranch_execz .LBB32_422
; %bb.419:
	v_add_nc_u32_e32 v74, 0x220, v77
	v_add3_u32 v75, 0, v77, 16
	v_mov_b32_e32 v76, v0
	s_mov_b32 s40, 0
	.p2align	6
.LBB32_420:                             ; =>This Inner Loop Header: Depth=1
	s_clause 0x3
	buffer_load_dword v82, v75, s[0:3], 0 offen offset:8
	buffer_load_dword v83, v75, s[0:3], 0 offen offset:12
	buffer_load_dword v84, v75, s[0:3], 0 offen
	buffer_load_dword v85, v75, s[0:3], 0 offen offset:4
	ds_read_b128 v[78:81], v74
	v_add_nc_u32_e32 v76, 1, v76
	v_add_nc_u32_e32 v74, 16, v74
	;; [unrolled: 1-line block ×3, first 2 shown]
	v_cmp_lt_u32_e32 vcc_lo, 19, v76
	s_or_b32 s40, vcc_lo, s40
	s_waitcnt vmcnt(2) lgkmcnt(0)
	v_mul_f64 v[86:87], v[80:81], v[82:83]
	v_mul_f64 v[82:83], v[78:79], v[82:83]
	s_waitcnt vmcnt(0)
	v_fma_f64 v[78:79], v[78:79], v[84:85], -v[86:87]
	v_fma_f64 v[80:81], v[80:81], v[84:85], v[82:83]
	v_add_f64 v[1:2], v[1:2], v[78:79]
	v_add_f64 v[3:4], v[3:4], v[80:81]
	s_andn2_b32 exec_lo, exec_lo, s40
	s_cbranch_execnz .LBB32_420
; %bb.421:
	s_or_b32 exec_lo, exec_lo, s40
.LBB32_422:
	s_or_b32 exec_lo, exec_lo, s8
	v_mov_b32_e32 v74, 0
	ds_read_b128 v[78:81], v74 offset:336
	s_waitcnt lgkmcnt(0)
	v_mul_f64 v[74:75], v[3:4], v[80:81]
	v_mul_f64 v[80:81], v[1:2], v[80:81]
	v_fma_f64 v[1:2], v[1:2], v[78:79], -v[74:75]
	v_fma_f64 v[3:4], v[3:4], v[78:79], v[80:81]
	buffer_store_dword v2, off, s[0:3], 0 offset:340
	buffer_store_dword v1, off, s[0:3], 0 offset:336
	;; [unrolled: 1-line block ×4, first 2 shown]
.LBB32_423:
	s_or_b32 exec_lo, exec_lo, s4
	v_mov_b32_e32 v4, s17
	s_mov_b32 s4, exec_lo
	s_clause 0x3
	buffer_load_dword v1, v4, s[0:3], 0 offen
	buffer_load_dword v2, v4, s[0:3], 0 offen offset:4
	buffer_load_dword v3, v4, s[0:3], 0 offen offset:8
	;; [unrolled: 1-line block ×3, first 2 shown]
	s_waitcnt vmcnt(0)
	ds_write_b128 v72, v[1:4]
	s_waitcnt lgkmcnt(0)
	s_waitcnt_vscnt null, 0x0
	s_barrier
	buffer_gl0_inv
	v_cmpx_gt_u32_e32 22, v0
	s_cbranch_execz .LBB32_431
; %bb.424:
	ds_read_b128 v[1:4], v72
	v_cmp_ne_u32_e32 vcc_lo, 1, v73
	s_cbranch_vccnz .LBB32_426
; %bb.425:
	s_clause 0x3
	buffer_load_dword v74, v71, s[0:3], 0 offen offset:8
	buffer_load_dword v75, v71, s[0:3], 0 offen offset:12
	buffer_load_dword v78, v71, s[0:3], 0 offen
	buffer_load_dword v79, v71, s[0:3], 0 offen offset:4
	s_waitcnt vmcnt(2) lgkmcnt(0)
	v_mul_f64 v[80:81], v[3:4], v[74:75]
	v_mul_f64 v[74:75], v[1:2], v[74:75]
	s_waitcnt vmcnt(0)
	v_fma_f64 v[1:2], v[1:2], v[78:79], -v[80:81]
	v_fma_f64 v[3:4], v[3:4], v[78:79], v[74:75]
.LBB32_426:
	s_mov_b32 s8, exec_lo
	v_cmpx_ne_u32_e32 21, v0
	s_cbranch_execz .LBB32_430
; %bb.427:
	v_add_nc_u32_e32 v74, 0x220, v77
	v_add3_u32 v75, 0, v77, 16
	v_mov_b32_e32 v76, v0
	s_mov_b32 s40, 0
	.p2align	6
.LBB32_428:                             ; =>This Inner Loop Header: Depth=1
	s_clause 0x3
	buffer_load_dword v82, v75, s[0:3], 0 offen offset:8
	buffer_load_dword v83, v75, s[0:3], 0 offen offset:12
	buffer_load_dword v84, v75, s[0:3], 0 offen
	buffer_load_dword v85, v75, s[0:3], 0 offen offset:4
	ds_read_b128 v[78:81], v74
	v_add_nc_u32_e32 v76, 1, v76
	v_add_nc_u32_e32 v74, 16, v74
	;; [unrolled: 1-line block ×3, first 2 shown]
	v_cmp_lt_u32_e32 vcc_lo, 20, v76
	s_or_b32 s40, vcc_lo, s40
	s_waitcnt vmcnt(2) lgkmcnt(0)
	v_mul_f64 v[86:87], v[80:81], v[82:83]
	v_mul_f64 v[82:83], v[78:79], v[82:83]
	s_waitcnt vmcnt(0)
	v_fma_f64 v[78:79], v[78:79], v[84:85], -v[86:87]
	v_fma_f64 v[80:81], v[80:81], v[84:85], v[82:83]
	v_add_f64 v[1:2], v[1:2], v[78:79]
	v_add_f64 v[3:4], v[3:4], v[80:81]
	s_andn2_b32 exec_lo, exec_lo, s40
	s_cbranch_execnz .LBB32_428
; %bb.429:
	s_or_b32 exec_lo, exec_lo, s40
.LBB32_430:
	s_or_b32 exec_lo, exec_lo, s8
	v_mov_b32_e32 v74, 0
	ds_read_b128 v[78:81], v74 offset:352
	s_waitcnt lgkmcnt(0)
	v_mul_f64 v[74:75], v[3:4], v[80:81]
	v_mul_f64 v[80:81], v[1:2], v[80:81]
	v_fma_f64 v[1:2], v[1:2], v[78:79], -v[74:75]
	v_fma_f64 v[3:4], v[3:4], v[78:79], v[80:81]
	buffer_store_dword v2, off, s[0:3], 0 offset:356
	buffer_store_dword v1, off, s[0:3], 0 offset:352
	buffer_store_dword v4, off, s[0:3], 0 offset:364
	buffer_store_dword v3, off, s[0:3], 0 offset:360
.LBB32_431:
	s_or_b32 exec_lo, exec_lo, s4
	v_mov_b32_e32 v4, s16
	s_mov_b32 s4, exec_lo
	s_clause 0x3
	buffer_load_dword v1, v4, s[0:3], 0 offen
	buffer_load_dword v2, v4, s[0:3], 0 offen offset:4
	buffer_load_dword v3, v4, s[0:3], 0 offen offset:8
	;; [unrolled: 1-line block ×3, first 2 shown]
	s_waitcnt vmcnt(0)
	ds_write_b128 v72, v[1:4]
	s_waitcnt lgkmcnt(0)
	s_waitcnt_vscnt null, 0x0
	s_barrier
	buffer_gl0_inv
	v_cmpx_gt_u32_e32 23, v0
	s_cbranch_execz .LBB32_439
; %bb.432:
	ds_read_b128 v[1:4], v72
	v_cmp_ne_u32_e32 vcc_lo, 1, v73
	s_cbranch_vccnz .LBB32_434
; %bb.433:
	s_clause 0x3
	buffer_load_dword v74, v71, s[0:3], 0 offen offset:8
	buffer_load_dword v75, v71, s[0:3], 0 offen offset:12
	buffer_load_dword v78, v71, s[0:3], 0 offen
	buffer_load_dword v79, v71, s[0:3], 0 offen offset:4
	s_waitcnt vmcnt(2) lgkmcnt(0)
	v_mul_f64 v[80:81], v[3:4], v[74:75]
	v_mul_f64 v[74:75], v[1:2], v[74:75]
	s_waitcnt vmcnt(0)
	v_fma_f64 v[1:2], v[1:2], v[78:79], -v[80:81]
	v_fma_f64 v[3:4], v[3:4], v[78:79], v[74:75]
.LBB32_434:
	s_mov_b32 s8, exec_lo
	v_cmpx_ne_u32_e32 22, v0
	s_cbranch_execz .LBB32_438
; %bb.435:
	v_add_nc_u32_e32 v74, 0x220, v77
	v_add3_u32 v75, 0, v77, 16
	v_mov_b32_e32 v76, v0
	s_mov_b32 s40, 0
	.p2align	6
.LBB32_436:                             ; =>This Inner Loop Header: Depth=1
	s_clause 0x3
	buffer_load_dword v82, v75, s[0:3], 0 offen offset:8
	buffer_load_dword v83, v75, s[0:3], 0 offen offset:12
	buffer_load_dword v84, v75, s[0:3], 0 offen
	buffer_load_dword v85, v75, s[0:3], 0 offen offset:4
	ds_read_b128 v[78:81], v74
	v_add_nc_u32_e32 v76, 1, v76
	v_add_nc_u32_e32 v74, 16, v74
	;; [unrolled: 1-line block ×3, first 2 shown]
	v_cmp_lt_u32_e32 vcc_lo, 21, v76
	s_or_b32 s40, vcc_lo, s40
	s_waitcnt vmcnt(2) lgkmcnt(0)
	v_mul_f64 v[86:87], v[80:81], v[82:83]
	v_mul_f64 v[82:83], v[78:79], v[82:83]
	s_waitcnt vmcnt(0)
	v_fma_f64 v[78:79], v[78:79], v[84:85], -v[86:87]
	v_fma_f64 v[80:81], v[80:81], v[84:85], v[82:83]
	v_add_f64 v[1:2], v[1:2], v[78:79]
	v_add_f64 v[3:4], v[3:4], v[80:81]
	s_andn2_b32 exec_lo, exec_lo, s40
	s_cbranch_execnz .LBB32_436
; %bb.437:
	s_or_b32 exec_lo, exec_lo, s40
.LBB32_438:
	s_or_b32 exec_lo, exec_lo, s8
	v_mov_b32_e32 v74, 0
	ds_read_b128 v[78:81], v74 offset:368
	s_waitcnt lgkmcnt(0)
	v_mul_f64 v[74:75], v[3:4], v[80:81]
	v_mul_f64 v[80:81], v[1:2], v[80:81]
	v_fma_f64 v[1:2], v[1:2], v[78:79], -v[74:75]
	v_fma_f64 v[3:4], v[3:4], v[78:79], v[80:81]
	buffer_store_dword v2, off, s[0:3], 0 offset:372
	buffer_store_dword v1, off, s[0:3], 0 offset:368
	;; [unrolled: 1-line block ×4, first 2 shown]
.LBB32_439:
	s_or_b32 exec_lo, exec_lo, s4
	v_mov_b32_e32 v4, s15
	s_mov_b32 s4, exec_lo
	s_clause 0x3
	buffer_load_dword v1, v4, s[0:3], 0 offen
	buffer_load_dword v2, v4, s[0:3], 0 offen offset:4
	buffer_load_dword v3, v4, s[0:3], 0 offen offset:8
	;; [unrolled: 1-line block ×3, first 2 shown]
	s_waitcnt vmcnt(0)
	ds_write_b128 v72, v[1:4]
	s_waitcnt lgkmcnt(0)
	s_waitcnt_vscnt null, 0x0
	s_barrier
	buffer_gl0_inv
	v_cmpx_gt_u32_e32 24, v0
	s_cbranch_execz .LBB32_447
; %bb.440:
	ds_read_b128 v[1:4], v72
	v_cmp_ne_u32_e32 vcc_lo, 1, v73
	s_cbranch_vccnz .LBB32_442
; %bb.441:
	s_clause 0x3
	buffer_load_dword v74, v71, s[0:3], 0 offen offset:8
	buffer_load_dword v75, v71, s[0:3], 0 offen offset:12
	buffer_load_dword v78, v71, s[0:3], 0 offen
	buffer_load_dword v79, v71, s[0:3], 0 offen offset:4
	s_waitcnt vmcnt(2) lgkmcnt(0)
	v_mul_f64 v[80:81], v[3:4], v[74:75]
	v_mul_f64 v[74:75], v[1:2], v[74:75]
	s_waitcnt vmcnt(0)
	v_fma_f64 v[1:2], v[1:2], v[78:79], -v[80:81]
	v_fma_f64 v[3:4], v[3:4], v[78:79], v[74:75]
.LBB32_442:
	s_mov_b32 s8, exec_lo
	v_cmpx_ne_u32_e32 23, v0
	s_cbranch_execz .LBB32_446
; %bb.443:
	v_add_nc_u32_e32 v74, 0x220, v77
	v_add3_u32 v75, 0, v77, 16
	v_mov_b32_e32 v76, v0
	s_mov_b32 s40, 0
	.p2align	6
.LBB32_444:                             ; =>This Inner Loop Header: Depth=1
	s_clause 0x3
	buffer_load_dword v82, v75, s[0:3], 0 offen offset:8
	buffer_load_dword v83, v75, s[0:3], 0 offen offset:12
	buffer_load_dword v84, v75, s[0:3], 0 offen
	buffer_load_dword v85, v75, s[0:3], 0 offen offset:4
	ds_read_b128 v[78:81], v74
	v_add_nc_u32_e32 v76, 1, v76
	v_add_nc_u32_e32 v74, 16, v74
	;; [unrolled: 1-line block ×3, first 2 shown]
	v_cmp_lt_u32_e32 vcc_lo, 22, v76
	s_or_b32 s40, vcc_lo, s40
	s_waitcnt vmcnt(2) lgkmcnt(0)
	v_mul_f64 v[86:87], v[80:81], v[82:83]
	v_mul_f64 v[82:83], v[78:79], v[82:83]
	s_waitcnt vmcnt(0)
	v_fma_f64 v[78:79], v[78:79], v[84:85], -v[86:87]
	v_fma_f64 v[80:81], v[80:81], v[84:85], v[82:83]
	v_add_f64 v[1:2], v[1:2], v[78:79]
	v_add_f64 v[3:4], v[3:4], v[80:81]
	s_andn2_b32 exec_lo, exec_lo, s40
	s_cbranch_execnz .LBB32_444
; %bb.445:
	s_or_b32 exec_lo, exec_lo, s40
.LBB32_446:
	s_or_b32 exec_lo, exec_lo, s8
	v_mov_b32_e32 v74, 0
	ds_read_b128 v[78:81], v74 offset:384
	s_waitcnt lgkmcnt(0)
	v_mul_f64 v[74:75], v[3:4], v[80:81]
	v_mul_f64 v[80:81], v[1:2], v[80:81]
	v_fma_f64 v[1:2], v[1:2], v[78:79], -v[74:75]
	v_fma_f64 v[3:4], v[3:4], v[78:79], v[80:81]
	buffer_store_dword v2, off, s[0:3], 0 offset:388
	buffer_store_dword v1, off, s[0:3], 0 offset:384
	;; [unrolled: 1-line block ×4, first 2 shown]
.LBB32_447:
	s_or_b32 exec_lo, exec_lo, s4
	v_mov_b32_e32 v4, s14
	s_mov_b32 s4, exec_lo
	s_clause 0x3
	buffer_load_dword v1, v4, s[0:3], 0 offen
	buffer_load_dword v2, v4, s[0:3], 0 offen offset:4
	buffer_load_dword v3, v4, s[0:3], 0 offen offset:8
	;; [unrolled: 1-line block ×3, first 2 shown]
	s_waitcnt vmcnt(0)
	ds_write_b128 v72, v[1:4]
	s_waitcnt lgkmcnt(0)
	s_waitcnt_vscnt null, 0x0
	s_barrier
	buffer_gl0_inv
	v_cmpx_gt_u32_e32 25, v0
	s_cbranch_execz .LBB32_455
; %bb.448:
	ds_read_b128 v[1:4], v72
	v_cmp_ne_u32_e32 vcc_lo, 1, v73
	s_cbranch_vccnz .LBB32_450
; %bb.449:
	s_clause 0x3
	buffer_load_dword v74, v71, s[0:3], 0 offen offset:8
	buffer_load_dword v75, v71, s[0:3], 0 offen offset:12
	buffer_load_dword v78, v71, s[0:3], 0 offen
	buffer_load_dword v79, v71, s[0:3], 0 offen offset:4
	s_waitcnt vmcnt(2) lgkmcnt(0)
	v_mul_f64 v[80:81], v[3:4], v[74:75]
	v_mul_f64 v[74:75], v[1:2], v[74:75]
	s_waitcnt vmcnt(0)
	v_fma_f64 v[1:2], v[1:2], v[78:79], -v[80:81]
	v_fma_f64 v[3:4], v[3:4], v[78:79], v[74:75]
.LBB32_450:
	s_mov_b32 s8, exec_lo
	v_cmpx_ne_u32_e32 24, v0
	s_cbranch_execz .LBB32_454
; %bb.451:
	v_add_nc_u32_e32 v74, 0x220, v77
	v_add3_u32 v75, 0, v77, 16
	v_mov_b32_e32 v76, v0
	s_mov_b32 s40, 0
	.p2align	6
.LBB32_452:                             ; =>This Inner Loop Header: Depth=1
	s_clause 0x3
	buffer_load_dword v82, v75, s[0:3], 0 offen offset:8
	buffer_load_dword v83, v75, s[0:3], 0 offen offset:12
	buffer_load_dword v84, v75, s[0:3], 0 offen
	buffer_load_dword v85, v75, s[0:3], 0 offen offset:4
	ds_read_b128 v[78:81], v74
	v_add_nc_u32_e32 v76, 1, v76
	v_add_nc_u32_e32 v74, 16, v74
	;; [unrolled: 1-line block ×3, first 2 shown]
	v_cmp_lt_u32_e32 vcc_lo, 23, v76
	s_or_b32 s40, vcc_lo, s40
	s_waitcnt vmcnt(2) lgkmcnt(0)
	v_mul_f64 v[86:87], v[80:81], v[82:83]
	v_mul_f64 v[82:83], v[78:79], v[82:83]
	s_waitcnt vmcnt(0)
	v_fma_f64 v[78:79], v[78:79], v[84:85], -v[86:87]
	v_fma_f64 v[80:81], v[80:81], v[84:85], v[82:83]
	v_add_f64 v[1:2], v[1:2], v[78:79]
	v_add_f64 v[3:4], v[3:4], v[80:81]
	s_andn2_b32 exec_lo, exec_lo, s40
	s_cbranch_execnz .LBB32_452
; %bb.453:
	s_or_b32 exec_lo, exec_lo, s40
.LBB32_454:
	s_or_b32 exec_lo, exec_lo, s8
	v_mov_b32_e32 v74, 0
	ds_read_b128 v[78:81], v74 offset:400
	s_waitcnt lgkmcnt(0)
	v_mul_f64 v[74:75], v[3:4], v[80:81]
	v_mul_f64 v[80:81], v[1:2], v[80:81]
	v_fma_f64 v[1:2], v[1:2], v[78:79], -v[74:75]
	v_fma_f64 v[3:4], v[3:4], v[78:79], v[80:81]
	buffer_store_dword v2, off, s[0:3], 0 offset:404
	buffer_store_dword v1, off, s[0:3], 0 offset:400
	;; [unrolled: 1-line block ×4, first 2 shown]
.LBB32_455:
	s_or_b32 exec_lo, exec_lo, s4
	v_mov_b32_e32 v4, s13
	s_mov_b32 s4, exec_lo
	s_clause 0x3
	buffer_load_dword v1, v4, s[0:3], 0 offen
	buffer_load_dword v2, v4, s[0:3], 0 offen offset:4
	buffer_load_dword v3, v4, s[0:3], 0 offen offset:8
	;; [unrolled: 1-line block ×3, first 2 shown]
	s_waitcnt vmcnt(0)
	ds_write_b128 v72, v[1:4]
	s_waitcnt lgkmcnt(0)
	s_waitcnt_vscnt null, 0x0
	s_barrier
	buffer_gl0_inv
	v_cmpx_gt_u32_e32 26, v0
	s_cbranch_execz .LBB32_463
; %bb.456:
	ds_read_b128 v[1:4], v72
	v_cmp_ne_u32_e32 vcc_lo, 1, v73
	s_cbranch_vccnz .LBB32_458
; %bb.457:
	s_clause 0x3
	buffer_load_dword v74, v71, s[0:3], 0 offen offset:8
	buffer_load_dword v75, v71, s[0:3], 0 offen offset:12
	buffer_load_dword v78, v71, s[0:3], 0 offen
	buffer_load_dword v79, v71, s[0:3], 0 offen offset:4
	s_waitcnt vmcnt(2) lgkmcnt(0)
	v_mul_f64 v[80:81], v[3:4], v[74:75]
	v_mul_f64 v[74:75], v[1:2], v[74:75]
	s_waitcnt vmcnt(0)
	v_fma_f64 v[1:2], v[1:2], v[78:79], -v[80:81]
	v_fma_f64 v[3:4], v[3:4], v[78:79], v[74:75]
.LBB32_458:
	s_mov_b32 s8, exec_lo
	v_cmpx_ne_u32_e32 25, v0
	s_cbranch_execz .LBB32_462
; %bb.459:
	v_add_nc_u32_e32 v74, 0x220, v77
	v_add3_u32 v75, 0, v77, 16
	v_mov_b32_e32 v76, v0
	s_mov_b32 s40, 0
	.p2align	6
.LBB32_460:                             ; =>This Inner Loop Header: Depth=1
	s_clause 0x3
	buffer_load_dword v82, v75, s[0:3], 0 offen offset:8
	buffer_load_dword v83, v75, s[0:3], 0 offen offset:12
	buffer_load_dword v84, v75, s[0:3], 0 offen
	buffer_load_dword v85, v75, s[0:3], 0 offen offset:4
	ds_read_b128 v[78:81], v74
	v_add_nc_u32_e32 v76, 1, v76
	v_add_nc_u32_e32 v74, 16, v74
	;; [unrolled: 1-line block ×3, first 2 shown]
	v_cmp_lt_u32_e32 vcc_lo, 24, v76
	s_or_b32 s40, vcc_lo, s40
	s_waitcnt vmcnt(2) lgkmcnt(0)
	v_mul_f64 v[86:87], v[80:81], v[82:83]
	v_mul_f64 v[82:83], v[78:79], v[82:83]
	s_waitcnt vmcnt(0)
	v_fma_f64 v[78:79], v[78:79], v[84:85], -v[86:87]
	v_fma_f64 v[80:81], v[80:81], v[84:85], v[82:83]
	v_add_f64 v[1:2], v[1:2], v[78:79]
	v_add_f64 v[3:4], v[3:4], v[80:81]
	s_andn2_b32 exec_lo, exec_lo, s40
	s_cbranch_execnz .LBB32_460
; %bb.461:
	s_or_b32 exec_lo, exec_lo, s40
.LBB32_462:
	s_or_b32 exec_lo, exec_lo, s8
	v_mov_b32_e32 v74, 0
	ds_read_b128 v[78:81], v74 offset:416
	s_waitcnt lgkmcnt(0)
	v_mul_f64 v[74:75], v[3:4], v[80:81]
	v_mul_f64 v[80:81], v[1:2], v[80:81]
	v_fma_f64 v[1:2], v[1:2], v[78:79], -v[74:75]
	v_fma_f64 v[3:4], v[3:4], v[78:79], v[80:81]
	buffer_store_dword v2, off, s[0:3], 0 offset:420
	buffer_store_dword v1, off, s[0:3], 0 offset:416
	;; [unrolled: 1-line block ×4, first 2 shown]
.LBB32_463:
	s_or_b32 exec_lo, exec_lo, s4
	v_mov_b32_e32 v4, s12
	s_mov_b32 s4, exec_lo
	s_clause 0x3
	buffer_load_dword v1, v4, s[0:3], 0 offen
	buffer_load_dword v2, v4, s[0:3], 0 offen offset:4
	buffer_load_dword v3, v4, s[0:3], 0 offen offset:8
	;; [unrolled: 1-line block ×3, first 2 shown]
	s_waitcnt vmcnt(0)
	ds_write_b128 v72, v[1:4]
	s_waitcnt lgkmcnt(0)
	s_waitcnt_vscnt null, 0x0
	s_barrier
	buffer_gl0_inv
	v_cmpx_gt_u32_e32 27, v0
	s_cbranch_execz .LBB32_471
; %bb.464:
	ds_read_b128 v[1:4], v72
	v_cmp_ne_u32_e32 vcc_lo, 1, v73
	s_cbranch_vccnz .LBB32_466
; %bb.465:
	s_clause 0x3
	buffer_load_dword v74, v71, s[0:3], 0 offen offset:8
	buffer_load_dword v75, v71, s[0:3], 0 offen offset:12
	buffer_load_dword v78, v71, s[0:3], 0 offen
	buffer_load_dword v79, v71, s[0:3], 0 offen offset:4
	s_waitcnt vmcnt(2) lgkmcnt(0)
	v_mul_f64 v[80:81], v[3:4], v[74:75]
	v_mul_f64 v[74:75], v[1:2], v[74:75]
	s_waitcnt vmcnt(0)
	v_fma_f64 v[1:2], v[1:2], v[78:79], -v[80:81]
	v_fma_f64 v[3:4], v[3:4], v[78:79], v[74:75]
.LBB32_466:
	s_mov_b32 s8, exec_lo
	v_cmpx_ne_u32_e32 26, v0
	s_cbranch_execz .LBB32_470
; %bb.467:
	v_add_nc_u32_e32 v74, 0x220, v77
	v_add3_u32 v75, 0, v77, 16
	v_mov_b32_e32 v76, v0
	s_mov_b32 s40, 0
	.p2align	6
.LBB32_468:                             ; =>This Inner Loop Header: Depth=1
	s_clause 0x3
	buffer_load_dword v82, v75, s[0:3], 0 offen offset:8
	buffer_load_dword v83, v75, s[0:3], 0 offen offset:12
	buffer_load_dword v84, v75, s[0:3], 0 offen
	buffer_load_dword v85, v75, s[0:3], 0 offen offset:4
	ds_read_b128 v[78:81], v74
	v_add_nc_u32_e32 v76, 1, v76
	v_add_nc_u32_e32 v74, 16, v74
	;; [unrolled: 1-line block ×3, first 2 shown]
	v_cmp_lt_u32_e32 vcc_lo, 25, v76
	s_or_b32 s40, vcc_lo, s40
	s_waitcnt vmcnt(2) lgkmcnt(0)
	v_mul_f64 v[86:87], v[80:81], v[82:83]
	v_mul_f64 v[82:83], v[78:79], v[82:83]
	s_waitcnt vmcnt(0)
	v_fma_f64 v[78:79], v[78:79], v[84:85], -v[86:87]
	v_fma_f64 v[80:81], v[80:81], v[84:85], v[82:83]
	v_add_f64 v[1:2], v[1:2], v[78:79]
	v_add_f64 v[3:4], v[3:4], v[80:81]
	s_andn2_b32 exec_lo, exec_lo, s40
	s_cbranch_execnz .LBB32_468
; %bb.469:
	s_or_b32 exec_lo, exec_lo, s40
.LBB32_470:
	s_or_b32 exec_lo, exec_lo, s8
	v_mov_b32_e32 v74, 0
	ds_read_b128 v[78:81], v74 offset:432
	s_waitcnt lgkmcnt(0)
	v_mul_f64 v[74:75], v[3:4], v[80:81]
	v_mul_f64 v[80:81], v[1:2], v[80:81]
	v_fma_f64 v[1:2], v[1:2], v[78:79], -v[74:75]
	v_fma_f64 v[3:4], v[3:4], v[78:79], v[80:81]
	buffer_store_dword v2, off, s[0:3], 0 offset:436
	buffer_store_dword v1, off, s[0:3], 0 offset:432
	;; [unrolled: 1-line block ×4, first 2 shown]
.LBB32_471:
	s_or_b32 exec_lo, exec_lo, s4
	v_mov_b32_e32 v4, s11
	s_mov_b32 s4, exec_lo
	s_clause 0x3
	buffer_load_dword v1, v4, s[0:3], 0 offen
	buffer_load_dword v2, v4, s[0:3], 0 offen offset:4
	buffer_load_dword v3, v4, s[0:3], 0 offen offset:8
	;; [unrolled: 1-line block ×3, first 2 shown]
	s_waitcnt vmcnt(0)
	ds_write_b128 v72, v[1:4]
	s_waitcnt lgkmcnt(0)
	s_waitcnt_vscnt null, 0x0
	s_barrier
	buffer_gl0_inv
	v_cmpx_gt_u32_e32 28, v0
	s_cbranch_execz .LBB32_479
; %bb.472:
	ds_read_b128 v[1:4], v72
	v_cmp_ne_u32_e32 vcc_lo, 1, v73
	s_cbranch_vccnz .LBB32_474
; %bb.473:
	s_clause 0x3
	buffer_load_dword v74, v71, s[0:3], 0 offen offset:8
	buffer_load_dword v75, v71, s[0:3], 0 offen offset:12
	buffer_load_dword v78, v71, s[0:3], 0 offen
	buffer_load_dword v79, v71, s[0:3], 0 offen offset:4
	s_waitcnt vmcnt(2) lgkmcnt(0)
	v_mul_f64 v[80:81], v[3:4], v[74:75]
	v_mul_f64 v[74:75], v[1:2], v[74:75]
	s_waitcnt vmcnt(0)
	v_fma_f64 v[1:2], v[1:2], v[78:79], -v[80:81]
	v_fma_f64 v[3:4], v[3:4], v[78:79], v[74:75]
.LBB32_474:
	s_mov_b32 s8, exec_lo
	v_cmpx_ne_u32_e32 27, v0
	s_cbranch_execz .LBB32_478
; %bb.475:
	v_add_nc_u32_e32 v74, 0x220, v77
	v_add3_u32 v75, 0, v77, 16
	v_mov_b32_e32 v76, v0
	s_mov_b32 s40, 0
	.p2align	6
.LBB32_476:                             ; =>This Inner Loop Header: Depth=1
	s_clause 0x3
	buffer_load_dword v82, v75, s[0:3], 0 offen offset:8
	buffer_load_dword v83, v75, s[0:3], 0 offen offset:12
	buffer_load_dword v84, v75, s[0:3], 0 offen
	buffer_load_dword v85, v75, s[0:3], 0 offen offset:4
	ds_read_b128 v[78:81], v74
	v_add_nc_u32_e32 v76, 1, v76
	v_add_nc_u32_e32 v74, 16, v74
	;; [unrolled: 1-line block ×3, first 2 shown]
	v_cmp_lt_u32_e32 vcc_lo, 26, v76
	s_or_b32 s40, vcc_lo, s40
	s_waitcnt vmcnt(2) lgkmcnt(0)
	v_mul_f64 v[86:87], v[80:81], v[82:83]
	v_mul_f64 v[82:83], v[78:79], v[82:83]
	s_waitcnt vmcnt(0)
	v_fma_f64 v[78:79], v[78:79], v[84:85], -v[86:87]
	v_fma_f64 v[80:81], v[80:81], v[84:85], v[82:83]
	v_add_f64 v[1:2], v[1:2], v[78:79]
	v_add_f64 v[3:4], v[3:4], v[80:81]
	s_andn2_b32 exec_lo, exec_lo, s40
	s_cbranch_execnz .LBB32_476
; %bb.477:
	s_or_b32 exec_lo, exec_lo, s40
.LBB32_478:
	s_or_b32 exec_lo, exec_lo, s8
	v_mov_b32_e32 v74, 0
	ds_read_b128 v[78:81], v74 offset:448
	s_waitcnt lgkmcnt(0)
	v_mul_f64 v[74:75], v[3:4], v[80:81]
	v_mul_f64 v[80:81], v[1:2], v[80:81]
	v_fma_f64 v[1:2], v[1:2], v[78:79], -v[74:75]
	v_fma_f64 v[3:4], v[3:4], v[78:79], v[80:81]
	buffer_store_dword v2, off, s[0:3], 0 offset:452
	buffer_store_dword v1, off, s[0:3], 0 offset:448
	;; [unrolled: 1-line block ×4, first 2 shown]
.LBB32_479:
	s_or_b32 exec_lo, exec_lo, s4
	v_mov_b32_e32 v4, s10
	s_mov_b32 s4, exec_lo
	s_clause 0x3
	buffer_load_dword v1, v4, s[0:3], 0 offen
	buffer_load_dword v2, v4, s[0:3], 0 offen offset:4
	buffer_load_dword v3, v4, s[0:3], 0 offen offset:8
	;; [unrolled: 1-line block ×3, first 2 shown]
	s_waitcnt vmcnt(0)
	ds_write_b128 v72, v[1:4]
	s_waitcnt lgkmcnt(0)
	s_waitcnt_vscnt null, 0x0
	s_barrier
	buffer_gl0_inv
	v_cmpx_gt_u32_e32 29, v0
	s_cbranch_execz .LBB32_487
; %bb.480:
	ds_read_b128 v[1:4], v72
	v_cmp_ne_u32_e32 vcc_lo, 1, v73
	s_cbranch_vccnz .LBB32_482
; %bb.481:
	s_clause 0x3
	buffer_load_dword v74, v71, s[0:3], 0 offen offset:8
	buffer_load_dword v75, v71, s[0:3], 0 offen offset:12
	buffer_load_dword v78, v71, s[0:3], 0 offen
	buffer_load_dword v79, v71, s[0:3], 0 offen offset:4
	s_waitcnt vmcnt(2) lgkmcnt(0)
	v_mul_f64 v[80:81], v[3:4], v[74:75]
	v_mul_f64 v[74:75], v[1:2], v[74:75]
	s_waitcnt vmcnt(0)
	v_fma_f64 v[1:2], v[1:2], v[78:79], -v[80:81]
	v_fma_f64 v[3:4], v[3:4], v[78:79], v[74:75]
.LBB32_482:
	s_mov_b32 s8, exec_lo
	v_cmpx_ne_u32_e32 28, v0
	s_cbranch_execz .LBB32_486
; %bb.483:
	v_add_nc_u32_e32 v74, 0x220, v77
	v_add3_u32 v75, 0, v77, 16
	v_mov_b32_e32 v76, v0
	s_mov_b32 s40, 0
	.p2align	6
.LBB32_484:                             ; =>This Inner Loop Header: Depth=1
	s_clause 0x3
	buffer_load_dword v82, v75, s[0:3], 0 offen offset:8
	buffer_load_dword v83, v75, s[0:3], 0 offen offset:12
	buffer_load_dword v84, v75, s[0:3], 0 offen
	buffer_load_dword v85, v75, s[0:3], 0 offen offset:4
	ds_read_b128 v[78:81], v74
	v_add_nc_u32_e32 v76, 1, v76
	v_add_nc_u32_e32 v74, 16, v74
	;; [unrolled: 1-line block ×3, first 2 shown]
	v_cmp_lt_u32_e32 vcc_lo, 27, v76
	s_or_b32 s40, vcc_lo, s40
	s_waitcnt vmcnt(2) lgkmcnt(0)
	v_mul_f64 v[86:87], v[80:81], v[82:83]
	v_mul_f64 v[82:83], v[78:79], v[82:83]
	s_waitcnt vmcnt(0)
	v_fma_f64 v[78:79], v[78:79], v[84:85], -v[86:87]
	v_fma_f64 v[80:81], v[80:81], v[84:85], v[82:83]
	v_add_f64 v[1:2], v[1:2], v[78:79]
	v_add_f64 v[3:4], v[3:4], v[80:81]
	s_andn2_b32 exec_lo, exec_lo, s40
	s_cbranch_execnz .LBB32_484
; %bb.485:
	s_or_b32 exec_lo, exec_lo, s40
.LBB32_486:
	s_or_b32 exec_lo, exec_lo, s8
	v_mov_b32_e32 v74, 0
	ds_read_b128 v[78:81], v74 offset:464
	s_waitcnt lgkmcnt(0)
	v_mul_f64 v[74:75], v[3:4], v[80:81]
	v_mul_f64 v[80:81], v[1:2], v[80:81]
	v_fma_f64 v[1:2], v[1:2], v[78:79], -v[74:75]
	v_fma_f64 v[3:4], v[3:4], v[78:79], v[80:81]
	buffer_store_dword v2, off, s[0:3], 0 offset:468
	buffer_store_dword v1, off, s[0:3], 0 offset:464
	;; [unrolled: 1-line block ×4, first 2 shown]
.LBB32_487:
	s_or_b32 exec_lo, exec_lo, s4
	v_mov_b32_e32 v4, s9
	s_mov_b32 s4, exec_lo
	s_clause 0x3
	buffer_load_dword v1, v4, s[0:3], 0 offen
	buffer_load_dword v2, v4, s[0:3], 0 offen offset:4
	buffer_load_dword v3, v4, s[0:3], 0 offen offset:8
	;; [unrolled: 1-line block ×3, first 2 shown]
	s_waitcnt vmcnt(0)
	ds_write_b128 v72, v[1:4]
	s_waitcnt lgkmcnt(0)
	s_waitcnt_vscnt null, 0x0
	s_barrier
	buffer_gl0_inv
	v_cmpx_gt_u32_e32 30, v0
	s_cbranch_execz .LBB32_495
; %bb.488:
	ds_read_b128 v[1:4], v72
	v_cmp_ne_u32_e32 vcc_lo, 1, v73
	s_cbranch_vccnz .LBB32_490
; %bb.489:
	s_clause 0x3
	buffer_load_dword v74, v71, s[0:3], 0 offen offset:8
	buffer_load_dword v75, v71, s[0:3], 0 offen offset:12
	buffer_load_dword v78, v71, s[0:3], 0 offen
	buffer_load_dword v79, v71, s[0:3], 0 offen offset:4
	s_waitcnt vmcnt(2) lgkmcnt(0)
	v_mul_f64 v[80:81], v[3:4], v[74:75]
	v_mul_f64 v[74:75], v[1:2], v[74:75]
	s_waitcnt vmcnt(0)
	v_fma_f64 v[1:2], v[1:2], v[78:79], -v[80:81]
	v_fma_f64 v[3:4], v[3:4], v[78:79], v[74:75]
.LBB32_490:
	s_mov_b32 s8, exec_lo
	v_cmpx_ne_u32_e32 29, v0
	s_cbranch_execz .LBB32_494
; %bb.491:
	v_add_nc_u32_e32 v74, 0x220, v77
	v_add3_u32 v75, 0, v77, 16
	v_mov_b32_e32 v76, v0
	s_mov_b32 s40, 0
	.p2align	6
.LBB32_492:                             ; =>This Inner Loop Header: Depth=1
	s_clause 0x3
	buffer_load_dword v82, v75, s[0:3], 0 offen offset:8
	buffer_load_dword v83, v75, s[0:3], 0 offen offset:12
	buffer_load_dword v84, v75, s[0:3], 0 offen
	buffer_load_dword v85, v75, s[0:3], 0 offen offset:4
	ds_read_b128 v[78:81], v74
	v_add_nc_u32_e32 v76, 1, v76
	v_add_nc_u32_e32 v74, 16, v74
	;; [unrolled: 1-line block ×3, first 2 shown]
	v_cmp_lt_u32_e32 vcc_lo, 28, v76
	s_or_b32 s40, vcc_lo, s40
	s_waitcnt vmcnt(2) lgkmcnt(0)
	v_mul_f64 v[86:87], v[80:81], v[82:83]
	v_mul_f64 v[82:83], v[78:79], v[82:83]
	s_waitcnt vmcnt(0)
	v_fma_f64 v[78:79], v[78:79], v[84:85], -v[86:87]
	v_fma_f64 v[80:81], v[80:81], v[84:85], v[82:83]
	v_add_f64 v[1:2], v[1:2], v[78:79]
	v_add_f64 v[3:4], v[3:4], v[80:81]
	s_andn2_b32 exec_lo, exec_lo, s40
	s_cbranch_execnz .LBB32_492
; %bb.493:
	s_or_b32 exec_lo, exec_lo, s40
.LBB32_494:
	s_or_b32 exec_lo, exec_lo, s8
	v_mov_b32_e32 v74, 0
	ds_read_b128 v[78:81], v74 offset:480
	s_waitcnt lgkmcnt(0)
	v_mul_f64 v[74:75], v[3:4], v[80:81]
	v_mul_f64 v[80:81], v[1:2], v[80:81]
	v_fma_f64 v[1:2], v[1:2], v[78:79], -v[74:75]
	v_fma_f64 v[3:4], v[3:4], v[78:79], v[80:81]
	buffer_store_dword v2, off, s[0:3], 0 offset:484
	buffer_store_dword v1, off, s[0:3], 0 offset:480
	;; [unrolled: 1-line block ×4, first 2 shown]
.LBB32_495:
	s_or_b32 exec_lo, exec_lo, s4
	v_mov_b32_e32 v4, s7
	v_cmp_gt_u32_e64 s4, 31, v0
	s_clause 0x3
	buffer_load_dword v1, v4, s[0:3], 0 offen
	buffer_load_dword v2, v4, s[0:3], 0 offen offset:4
	buffer_load_dword v3, v4, s[0:3], 0 offen offset:8
	;; [unrolled: 1-line block ×3, first 2 shown]
	s_waitcnt vmcnt(0)
	ds_write_b128 v72, v[1:4]
	s_waitcnt lgkmcnt(0)
	s_waitcnt_vscnt null, 0x0
	s_barrier
	buffer_gl0_inv
	s_and_saveexec_b32 s8, s4
	s_cbranch_execz .LBB32_503
; %bb.496:
	ds_read_b128 v[1:4], v72
	v_cmp_ne_u32_e32 vcc_lo, 1, v73
	s_cbranch_vccnz .LBB32_498
; %bb.497:
	s_clause 0x3
	buffer_load_dword v74, v71, s[0:3], 0 offen offset:8
	buffer_load_dword v75, v71, s[0:3], 0 offen offset:12
	buffer_load_dword v78, v71, s[0:3], 0 offen
	buffer_load_dword v79, v71, s[0:3], 0 offen offset:4
	s_waitcnt vmcnt(2) lgkmcnt(0)
	v_mul_f64 v[80:81], v[3:4], v[74:75]
	v_mul_f64 v[74:75], v[1:2], v[74:75]
	s_waitcnt vmcnt(0)
	v_fma_f64 v[1:2], v[1:2], v[78:79], -v[80:81]
	v_fma_f64 v[3:4], v[3:4], v[78:79], v[74:75]
.LBB32_498:
	s_mov_b32 s40, exec_lo
	v_cmpx_ne_u32_e32 30, v0
	s_cbranch_execz .LBB32_502
; %bb.499:
	v_add_nc_u32_e32 v74, 0x220, v77
	v_add3_u32 v75, 0, v77, 16
	v_mov_b32_e32 v76, v0
	s_mov_b32 s41, 0
	.p2align	6
.LBB32_500:                             ; =>This Inner Loop Header: Depth=1
	s_clause 0x3
	buffer_load_dword v82, v75, s[0:3], 0 offen offset:8
	buffer_load_dword v83, v75, s[0:3], 0 offen offset:12
	buffer_load_dword v84, v75, s[0:3], 0 offen
	buffer_load_dword v85, v75, s[0:3], 0 offen offset:4
	ds_read_b128 v[78:81], v74
	v_add_nc_u32_e32 v76, 1, v76
	v_add_nc_u32_e32 v74, 16, v74
	;; [unrolled: 1-line block ×3, first 2 shown]
	v_cmp_lt_u32_e32 vcc_lo, 29, v76
	s_or_b32 s41, vcc_lo, s41
	s_waitcnt vmcnt(2) lgkmcnt(0)
	v_mul_f64 v[86:87], v[80:81], v[82:83]
	v_mul_f64 v[82:83], v[78:79], v[82:83]
	s_waitcnt vmcnt(0)
	v_fma_f64 v[78:79], v[78:79], v[84:85], -v[86:87]
	v_fma_f64 v[80:81], v[80:81], v[84:85], v[82:83]
	v_add_f64 v[1:2], v[1:2], v[78:79]
	v_add_f64 v[3:4], v[3:4], v[80:81]
	s_andn2_b32 exec_lo, exec_lo, s41
	s_cbranch_execnz .LBB32_500
; %bb.501:
	s_or_b32 exec_lo, exec_lo, s41
.LBB32_502:
	s_or_b32 exec_lo, exec_lo, s40
	v_mov_b32_e32 v74, 0
	ds_read_b128 v[78:81], v74 offset:496
	s_waitcnt lgkmcnt(0)
	v_mul_f64 v[74:75], v[3:4], v[80:81]
	v_mul_f64 v[80:81], v[1:2], v[80:81]
	v_fma_f64 v[1:2], v[1:2], v[78:79], -v[74:75]
	v_fma_f64 v[3:4], v[3:4], v[78:79], v[80:81]
	buffer_store_dword v2, off, s[0:3], 0 offset:500
	buffer_store_dword v1, off, s[0:3], 0 offset:496
	;; [unrolled: 1-line block ×4, first 2 shown]
.LBB32_503:
	s_or_b32 exec_lo, exec_lo, s8
	v_mov_b32_e32 v4, s6
	s_mov_b32 s8, exec_lo
                                        ; implicit-def: $sgpr42
	s_clause 0x3
	buffer_load_dword v1, v4, s[0:3], 0 offen
	buffer_load_dword v2, v4, s[0:3], 0 offen offset:4
	buffer_load_dword v3, v4, s[0:3], 0 offen offset:8
	;; [unrolled: 1-line block ×3, first 2 shown]
	s_waitcnt vmcnt(0)
	ds_write_b128 v72, v[1:4]
	s_waitcnt lgkmcnt(0)
	s_waitcnt_vscnt null, 0x0
	s_barrier
	buffer_gl0_inv
                                        ; implicit-def: $vgpr1_vgpr2
	v_cmpx_ne_u32_e32 32, v0
	s_cbranch_execz .LBB32_511
; %bb.504:
	ds_read_b128 v[1:4], v72
	v_cmp_ne_u32_e32 vcc_lo, 1, v73
	s_cbranch_vccnz .LBB32_506
; %bb.505:
	s_clause 0x3
	buffer_load_dword v72, v71, s[0:3], 0 offen offset:8
	buffer_load_dword v73, v71, s[0:3], 0 offen offset:12
	buffer_load_dword v74, v71, s[0:3], 0 offen
	buffer_load_dword v75, v71, s[0:3], 0 offen offset:4
	s_waitcnt vmcnt(2) lgkmcnt(0)
	v_mul_f64 v[78:79], v[3:4], v[72:73]
	v_mul_f64 v[71:72], v[1:2], v[72:73]
	s_waitcnt vmcnt(0)
	v_fma_f64 v[1:2], v[1:2], v[74:75], -v[78:79]
	v_fma_f64 v[3:4], v[3:4], v[74:75], v[71:72]
.LBB32_506:
	s_and_saveexec_b32 s40, s4
	s_cbranch_execz .LBB32_510
; %bb.507:
	v_add_nc_u32_e32 v71, 0x220, v77
	v_add3_u32 v72, 0, v77, 16
	s_mov_b32 s4, 0
	.p2align	6
.LBB32_508:                             ; =>This Inner Loop Header: Depth=1
	s_clause 0x3
	buffer_load_dword v77, v72, s[0:3], 0 offen offset:8
	buffer_load_dword v78, v72, s[0:3], 0 offen offset:12
	buffer_load_dword v79, v72, s[0:3], 0 offen
	buffer_load_dword v80, v72, s[0:3], 0 offen offset:4
	ds_read_b128 v[73:76], v71
	v_add_nc_u32_e32 v0, 1, v0
	v_add_nc_u32_e32 v71, 16, v71
	;; [unrolled: 1-line block ×3, first 2 shown]
	v_cmp_lt_u32_e32 vcc_lo, 30, v0
	s_or_b32 s4, vcc_lo, s4
	s_waitcnt vmcnt(2) lgkmcnt(0)
	v_mul_f64 v[81:82], v[75:76], v[77:78]
	v_mul_f64 v[77:78], v[73:74], v[77:78]
	s_waitcnt vmcnt(0)
	v_fma_f64 v[73:74], v[73:74], v[79:80], -v[81:82]
	v_fma_f64 v[75:76], v[75:76], v[79:80], v[77:78]
	v_add_f64 v[1:2], v[1:2], v[73:74]
	v_add_f64 v[3:4], v[3:4], v[75:76]
	s_andn2_b32 exec_lo, exec_lo, s4
	s_cbranch_execnz .LBB32_508
; %bb.509:
	s_or_b32 exec_lo, exec_lo, s4
.LBB32_510:
	s_or_b32 exec_lo, exec_lo, s40
	v_mov_b32_e32 v0, 0
	s_movk_i32 s42, 0x208
	s_or_b32 s5, s5, exec_lo
	ds_read_b128 v[71:74], v0 offset:512
	s_waitcnt lgkmcnt(0)
	v_mul_f64 v[75:76], v[3:4], v[73:74]
	v_mul_f64 v[73:74], v[1:2], v[73:74]
	v_fma_f64 v[75:76], v[1:2], v[71:72], -v[75:76]
	v_fma_f64 v[1:2], v[3:4], v[71:72], v[73:74]
	buffer_store_dword v76, off, s[0:3], 0 offset:516
	buffer_store_dword v75, off, s[0:3], 0 offset:512
.LBB32_511:
	s_or_b32 exec_lo, exec_lo, s8
.LBB32_512:
	s_and_saveexec_b32 s4, s5
	s_cbranch_execz .LBB32_514
; %bb.513:
	v_mov_b32_e32 v0, s42
	buffer_store_dword v2, v0, s[0:3], 0 offen offset:4
	buffer_store_dword v1, v0, s[0:3], 0 offen
.LBB32_514:
	s_or_b32 exec_lo, exec_lo, s4
	s_clause 0x3
	buffer_load_dword v0, off, s[0:3], 0
	buffer_load_dword v1, off, s[0:3], 0 offset:4
	buffer_load_dword v2, off, s[0:3], 0 offset:8
	;; [unrolled: 1-line block ×3, first 2 shown]
	v_mov_b32_e32 v4, s39
	v_mov_b32_e32 v82, s37
	;; [unrolled: 1-line block ×4, first 2 shown]
	s_clause 0x3
	buffer_load_dword v71, v4, s[0:3], 0 offen
	buffer_load_dword v72, v4, s[0:3], 0 offen offset:4
	buffer_load_dword v73, v4, s[0:3], 0 offen offset:8
	;; [unrolled: 1-line block ×3, first 2 shown]
	v_mov_b32_e32 v4, s38
	v_mov_b32_e32 v102, s6
	s_clause 0x7
	buffer_load_dword v75, v4, s[0:3], 0 offen
	buffer_load_dword v76, v4, s[0:3], 0 offen offset:4
	buffer_load_dword v77, v4, s[0:3], 0 offen offset:8
	;; [unrolled: 1-line block ×3, first 2 shown]
	buffer_load_dword v79, v82, s[0:3], 0 offen
	buffer_load_dword v80, v82, s[0:3], 0 offen offset:4
	buffer_load_dword v81, v82, s[0:3], 0 offen offset:8
	;; [unrolled: 1-line block ×3, first 2 shown]
	v_mov_b32_e32 v4, s36
	s_clause 0x3
	buffer_load_dword v83, v4, s[0:3], 0 offen
	buffer_load_dword v84, v4, s[0:3], 0 offen offset:4
	buffer_load_dword v85, v4, s[0:3], 0 offen offset:8
	buffer_load_dword v86, v4, s[0:3], 0 offen offset:12
	v_mov_b32_e32 v4, s35
	s_clause 0x3
	buffer_load_dword v87, v4, s[0:3], 0 offen
	buffer_load_dword v88, v4, s[0:3], 0 offen offset:4
	buffer_load_dword v89, v4, s[0:3], 0 offen offset:8
	buffer_load_dword v90, v4, s[0:3], 0 offen offset:12
	v_mov_b32_e32 v4, s34
	s_waitcnt vmcnt(20)
	global_store_dwordx4 v[7:8], v[0:3], off
	s_clause 0x3
	buffer_load_dword v0, v4, s[0:3], 0 offen
	buffer_load_dword v1, v4, s[0:3], 0 offen offset:4
	buffer_load_dword v2, v4, s[0:3], 0 offen offset:8
	;; [unrolled: 1-line block ×3, first 2 shown]
	v_mov_b32_e32 v4, s33
	s_clause 0x3
	buffer_load_dword v91, v4, s[0:3], 0 offen
	buffer_load_dword v92, v4, s[0:3], 0 offen offset:4
	buffer_load_dword v93, v4, s[0:3], 0 offen offset:8
	buffer_load_dword v94, v4, s[0:3], 0 offen offset:12
	v_mov_b32_e32 v4, s31
	s_waitcnt vmcnt(24)
	global_store_dwordx4 v[9:10], v[71:74], off
	v_mov_b32_e32 v74, s30
	s_clause 0x3
	buffer_load_dword v7, v4, s[0:3], 0 offen
	buffer_load_dword v8, v4, s[0:3], 0 offen offset:4
	buffer_load_dword v9, v4, s[0:3], 0 offen offset:8
	buffer_load_dword v10, v4, s[0:3], 0 offen offset:12
	v_mov_b32_e32 v4, s29
	s_waitcnt vmcnt(24)
	global_store_dwordx4 v[5:6], v[75:78], off
	v_mov_b32_e32 v5, s28
	s_clause 0x3
	buffer_load_dword v71, v74, s[0:3], 0 offen
	buffer_load_dword v72, v74, s[0:3], 0 offen offset:4
	buffer_load_dword v73, v74, s[0:3], 0 offen offset:8
	;; [unrolled: 1-line block ×3, first 2 shown]
	s_waitcnt vmcnt(24)
	global_store_dwordx4 v[55:56], v[79:82], off
	s_clause 0x7
	buffer_load_dword v75, v4, s[0:3], 0 offen
	buffer_load_dword v76, v4, s[0:3], 0 offen offset:4
	buffer_load_dword v77, v4, s[0:3], 0 offen offset:8
	;; [unrolled: 1-line block ×3, first 2 shown]
	buffer_load_dword v79, v5, s[0:3], 0 offen
	buffer_load_dword v80, v5, s[0:3], 0 offen offset:4
	buffer_load_dword v81, v5, s[0:3], 0 offen offset:8
	;; [unrolled: 1-line block ×3, first 2 shown]
	v_mov_b32_e32 v4, s27
	v_mov_b32_e32 v5, s26
	s_waitcnt vmcnt(28)
	global_store_dwordx4 v[51:52], v[83:86], off
	s_clause 0x7
	buffer_load_dword v83, v4, s[0:3], 0 offen
	buffer_load_dword v84, v4, s[0:3], 0 offen offset:4
	buffer_load_dword v85, v4, s[0:3], 0 offen offset:8
	buffer_load_dword v86, v4, s[0:3], 0 offen offset:12
	buffer_load_dword v95, v5, s[0:3], 0 offen
	buffer_load_dword v96, v5, s[0:3], 0 offen offset:4
	buffer_load_dword v97, v5, s[0:3], 0 offen offset:8
	;; [unrolled: 1-line block ×3, first 2 shown]
	v_mov_b32_e32 v4, s25
	s_waitcnt vmcnt(32)
	global_store_dwordx4 v[49:50], v[87:90], off
	s_clause 0x3
	buffer_load_dword v49, v4, s[0:3], 0 offen
	buffer_load_dword v50, v4, s[0:3], 0 offen offset:4
	buffer_load_dword v51, v4, s[0:3], 0 offen offset:8
	;; [unrolled: 1-line block ×3, first 2 shown]
	v_mov_b32_e32 v4, s24
	v_mov_b32_e32 v5, s23
	;; [unrolled: 1-line block ×4, first 2 shown]
	s_waitcnt vmcnt(32)
	global_store_dwordx4 v[45:46], v[0:3], off
	s_clause 0x7
	buffer_load_dword v0, v4, s[0:3], 0 offen
	buffer_load_dword v1, v4, s[0:3], 0 offen offset:4
	buffer_load_dword v2, v4, s[0:3], 0 offen offset:8
	;; [unrolled: 1-line block ×3, first 2 shown]
	buffer_load_dword v87, v5, s[0:3], 0 offen
	buffer_load_dword v88, v5, s[0:3], 0 offen offset:4
	buffer_load_dword v89, v5, s[0:3], 0 offen offset:8
	;; [unrolled: 1-line block ×3, first 2 shown]
	v_mov_b32_e32 v4, s22
	s_waitcnt vmcnt(36)
	global_store_dwordx4 v[43:44], v[91:94], off
	s_clause 0x3
	buffer_load_dword v43, v4, s[0:3], 0 offen
	buffer_load_dword v44, v4, s[0:3], 0 offen offset:4
	buffer_load_dword v45, v4, s[0:3], 0 offen offset:8
	;; [unrolled: 1-line block ×3, first 2 shown]
	v_mov_b32_e32 v92, s11
	v_mov_b32_e32 v91, s14
	;; [unrolled: 1-line block ×3, first 2 shown]
	s_waitcnt vmcnt(36)
	global_store_dwordx4 v[39:40], v[7:10], off
	v_mov_b32_e32 v8, s19
	v_mov_b32_e32 v10, s17
	;; [unrolled: 1-line block ×3, first 2 shown]
	s_waitcnt vmcnt(32)
	global_store_dwordx4 v[33:34], v[71:74], off
	v_mov_b32_e32 v33, s13
	s_waitcnt vmcnt(28)
	global_store_dwordx4 v[31:32], v[75:78], off
	s_waitcnt vmcnt(24)
	global_store_dwordx4 v[29:30], v[79:82], off
	v_mov_b32_e32 v9, s18
	s_clause 0x7
	buffer_load_dword v4, v55, s[0:3], 0 offen
	buffer_load_dword v5, v55, s[0:3], 0 offen offset:4
	buffer_load_dword v6, v55, s[0:3], 0 offen offset:8
	;; [unrolled: 1-line block ×3, first 2 shown]
	buffer_load_dword v29, v56, s[0:3], 0 offen
	buffer_load_dword v30, v56, s[0:3], 0 offen offset:4
	buffer_load_dword v31, v56, s[0:3], 0 offen offset:8
	;; [unrolled: 1-line block ×3, first 2 shown]
	s_waitcnt vmcnt(28)
	global_store_dwordx4 v[27:28], v[83:86], off
	v_mov_b32_e32 v39, s16
	s_clause 0x7
	buffer_load_dword v71, v8, s[0:3], 0 offen
	buffer_load_dword v72, v8, s[0:3], 0 offen offset:4
	buffer_load_dword v73, v8, s[0:3], 0 offen offset:8
	buffer_load_dword v74, v8, s[0:3], 0 offen offset:12
	buffer_load_dword v75, v9, s[0:3], 0 offen
	buffer_load_dword v76, v9, s[0:3], 0 offen offset:4
	buffer_load_dword v77, v9, s[0:3], 0 offen offset:8
	;; [unrolled: 1-line block ×3, first 2 shown]
	s_waitcnt vmcnt(32)
	global_store_dwordx4 v[25:26], v[95:98], off
	s_clause 0x7
	buffer_load_dword v25, v10, s[0:3], 0 offen
	buffer_load_dword v26, v10, s[0:3], 0 offen offset:4
	buffer_load_dword v27, v10, s[0:3], 0 offen offset:8
	;; [unrolled: 1-line block ×3, first 2 shown]
	buffer_load_dword v79, v39, s[0:3], 0 offen
	buffer_load_dword v80, v39, s[0:3], 0 offen offset:4
	buffer_load_dword v81, v39, s[0:3], 0 offen offset:8
	;; [unrolled: 1-line block ×3, first 2 shown]
	v_mov_b32_e32 v34, s12
	s_waitcnt vmcnt(36)
	global_store_dwordx4 v[23:24], v[49:52], off
	s_clause 0x7
	buffer_load_dword v49, v40, s[0:3], 0 offen
	buffer_load_dword v50, v40, s[0:3], 0 offen offset:4
	buffer_load_dword v51, v40, s[0:3], 0 offen offset:8
	buffer_load_dword v52, v40, s[0:3], 0 offen offset:12
	buffer_load_dword v83, v91, s[0:3], 0 offen
	buffer_load_dword v84, v91, s[0:3], 0 offen offset:4
	buffer_load_dword v85, v91, s[0:3], 0 offen offset:8
	buffer_load_dword v86, v91, s[0:3], 0 offen offset:12
	s_waitcnt vmcnt(40)
	global_store_dwordx4 v[21:22], v[0:3], off
	s_clause 0x7
	buffer_load_dword v0, v33, s[0:3], 0 offen
	buffer_load_dword v1, v33, s[0:3], 0 offen offset:4
	buffer_load_dword v2, v33, s[0:3], 0 offen offset:8
	buffer_load_dword v3, v33, s[0:3], 0 offen offset:12
	buffer_load_dword v21, v34, s[0:3], 0 offen
	buffer_load_dword v22, v34, s[0:3], 0 offen offset:4
	buffer_load_dword v23, v34, s[0:3], 0 offen offset:8
	buffer_load_dword v24, v34, s[0:3], 0 offen offset:12
	;; [unrolled: 11-line block ×4, first 2 shown]
	buffer_load_dword v99, v102, s[0:3], 0 offen
	buffer_load_dword v100, v102, s[0:3], 0 offen offset:4
	buffer_load_dword v101, v102, s[0:3], 0 offen offset:8
	;; [unrolled: 1-line block ×3, first 2 shown]
	s_waitcnt vmcnt(56)
	global_store_dwordx4 v[11:12], v[4:7], off
	s_waitcnt vmcnt(52)
	global_store_dwordx4 v[13:14], v[29:32], off
	;; [unrolled: 2-line block ×15, first 2 shown]
.LBB32_515:
	s_endpgm
	.section	.rodata,"a",@progbits
	.p2align	6, 0x0
	.amdhsa_kernel _ZN9rocsolver6v33100L18trti2_kernel_smallILi33E19rocblas_complex_numIdEPS3_EEv13rocblas_fill_17rocblas_diagonal_T1_iil
		.amdhsa_group_segment_fixed_size 1056
		.amdhsa_private_segment_fixed_size 544
		.amdhsa_kernarg_size 32
		.amdhsa_user_sgpr_count 6
		.amdhsa_user_sgpr_private_segment_buffer 1
		.amdhsa_user_sgpr_dispatch_ptr 0
		.amdhsa_user_sgpr_queue_ptr 0
		.amdhsa_user_sgpr_kernarg_segment_ptr 1
		.amdhsa_user_sgpr_dispatch_id 0
		.amdhsa_user_sgpr_flat_scratch_init 0
		.amdhsa_user_sgpr_private_segment_size 0
		.amdhsa_wavefront_size32 1
		.amdhsa_uses_dynamic_stack 0
		.amdhsa_system_sgpr_private_segment_wavefront_offset 1
		.amdhsa_system_sgpr_workgroup_id_x 1
		.amdhsa_system_sgpr_workgroup_id_y 0
		.amdhsa_system_sgpr_workgroup_id_z 0
		.amdhsa_system_sgpr_workgroup_info 0
		.amdhsa_system_vgpr_workitem_id 0
		.amdhsa_next_free_vgpr 103
		.amdhsa_next_free_sgpr 54
		.amdhsa_reserve_vcc 1
		.amdhsa_reserve_flat_scratch 0
		.amdhsa_float_round_mode_32 0
		.amdhsa_float_round_mode_16_64 0
		.amdhsa_float_denorm_mode_32 3
		.amdhsa_float_denorm_mode_16_64 3
		.amdhsa_dx10_clamp 1
		.amdhsa_ieee_mode 1
		.amdhsa_fp16_overflow 0
		.amdhsa_workgroup_processor_mode 1
		.amdhsa_memory_ordered 1
		.amdhsa_forward_progress 1
		.amdhsa_shared_vgpr_count 0
		.amdhsa_exception_fp_ieee_invalid_op 0
		.amdhsa_exception_fp_denorm_src 0
		.amdhsa_exception_fp_ieee_div_zero 0
		.amdhsa_exception_fp_ieee_overflow 0
		.amdhsa_exception_fp_ieee_underflow 0
		.amdhsa_exception_fp_ieee_inexact 0
		.amdhsa_exception_int_div_zero 0
	.end_amdhsa_kernel
	.section	.text._ZN9rocsolver6v33100L18trti2_kernel_smallILi33E19rocblas_complex_numIdEPS3_EEv13rocblas_fill_17rocblas_diagonal_T1_iil,"axG",@progbits,_ZN9rocsolver6v33100L18trti2_kernel_smallILi33E19rocblas_complex_numIdEPS3_EEv13rocblas_fill_17rocblas_diagonal_T1_iil,comdat
.Lfunc_end32:
	.size	_ZN9rocsolver6v33100L18trti2_kernel_smallILi33E19rocblas_complex_numIdEPS3_EEv13rocblas_fill_17rocblas_diagonal_T1_iil, .Lfunc_end32-_ZN9rocsolver6v33100L18trti2_kernel_smallILi33E19rocblas_complex_numIdEPS3_EEv13rocblas_fill_17rocblas_diagonal_T1_iil
                                        ; -- End function
	.set _ZN9rocsolver6v33100L18trti2_kernel_smallILi33E19rocblas_complex_numIdEPS3_EEv13rocblas_fill_17rocblas_diagonal_T1_iil.num_vgpr, 103
	.set _ZN9rocsolver6v33100L18trti2_kernel_smallILi33E19rocblas_complex_numIdEPS3_EEv13rocblas_fill_17rocblas_diagonal_T1_iil.num_agpr, 0
	.set _ZN9rocsolver6v33100L18trti2_kernel_smallILi33E19rocblas_complex_numIdEPS3_EEv13rocblas_fill_17rocblas_diagonal_T1_iil.numbered_sgpr, 54
	.set _ZN9rocsolver6v33100L18trti2_kernel_smallILi33E19rocblas_complex_numIdEPS3_EEv13rocblas_fill_17rocblas_diagonal_T1_iil.num_named_barrier, 0
	.set _ZN9rocsolver6v33100L18trti2_kernel_smallILi33E19rocblas_complex_numIdEPS3_EEv13rocblas_fill_17rocblas_diagonal_T1_iil.private_seg_size, 544
	.set _ZN9rocsolver6v33100L18trti2_kernel_smallILi33E19rocblas_complex_numIdEPS3_EEv13rocblas_fill_17rocblas_diagonal_T1_iil.uses_vcc, 1
	.set _ZN9rocsolver6v33100L18trti2_kernel_smallILi33E19rocblas_complex_numIdEPS3_EEv13rocblas_fill_17rocblas_diagonal_T1_iil.uses_flat_scratch, 0
	.set _ZN9rocsolver6v33100L18trti2_kernel_smallILi33E19rocblas_complex_numIdEPS3_EEv13rocblas_fill_17rocblas_diagonal_T1_iil.has_dyn_sized_stack, 0
	.set _ZN9rocsolver6v33100L18trti2_kernel_smallILi33E19rocblas_complex_numIdEPS3_EEv13rocblas_fill_17rocblas_diagonal_T1_iil.has_recursion, 0
	.set _ZN9rocsolver6v33100L18trti2_kernel_smallILi33E19rocblas_complex_numIdEPS3_EEv13rocblas_fill_17rocblas_diagonal_T1_iil.has_indirect_call, 0
	.section	.AMDGPU.csdata,"",@progbits
; Kernel info:
; codeLenInByte = 33336
; TotalNumSgprs: 56
; NumVgprs: 103
; ScratchSize: 544
; MemoryBound: 0
; FloatMode: 240
; IeeeMode: 1
; LDSByteSize: 1056 bytes/workgroup (compile time only)
; SGPRBlocks: 0
; VGPRBlocks: 12
; NumSGPRsForWavesPerEU: 56
; NumVGPRsForWavesPerEU: 103
; Occupancy: 9
; WaveLimiterHint : 0
; COMPUTE_PGM_RSRC2:SCRATCH_EN: 1
; COMPUTE_PGM_RSRC2:USER_SGPR: 6
; COMPUTE_PGM_RSRC2:TRAP_HANDLER: 0
; COMPUTE_PGM_RSRC2:TGID_X_EN: 1
; COMPUTE_PGM_RSRC2:TGID_Y_EN: 0
; COMPUTE_PGM_RSRC2:TGID_Z_EN: 0
; COMPUTE_PGM_RSRC2:TIDIG_COMP_CNT: 0
	.section	.text._ZN9rocsolver6v33100L18trti2_kernel_smallILi34E19rocblas_complex_numIdEPS3_EEv13rocblas_fill_17rocblas_diagonal_T1_iil,"axG",@progbits,_ZN9rocsolver6v33100L18trti2_kernel_smallILi34E19rocblas_complex_numIdEPS3_EEv13rocblas_fill_17rocblas_diagonal_T1_iil,comdat
	.globl	_ZN9rocsolver6v33100L18trti2_kernel_smallILi34E19rocblas_complex_numIdEPS3_EEv13rocblas_fill_17rocblas_diagonal_T1_iil ; -- Begin function _ZN9rocsolver6v33100L18trti2_kernel_smallILi34E19rocblas_complex_numIdEPS3_EEv13rocblas_fill_17rocblas_diagonal_T1_iil
	.p2align	8
	.type	_ZN9rocsolver6v33100L18trti2_kernel_smallILi34E19rocblas_complex_numIdEPS3_EEv13rocblas_fill_17rocblas_diagonal_T1_iil,@function
_ZN9rocsolver6v33100L18trti2_kernel_smallILi34E19rocblas_complex_numIdEPS3_EEv13rocblas_fill_17rocblas_diagonal_T1_iil: ; @_ZN9rocsolver6v33100L18trti2_kernel_smallILi34E19rocblas_complex_numIdEPS3_EEv13rocblas_fill_17rocblas_diagonal_T1_iil
; %bb.0:
	s_add_u32 s0, s0, s7
	s_addc_u32 s1, s1, 0
	s_mov_b32 s7, exec_lo
	v_cmpx_gt_u32_e32 34, v0
	s_cbranch_execz .LBB33_531
; %bb.1:
	s_load_dwordx8 s[8:15], s[4:5], 0x0
	s_ashr_i32 s4, s6, 31
	v_lshlrev_b32_e32 v79, 4, v0
	s_movk_i32 s16, 0xf0
	s_movk_i32 s17, 0x100
	s_movk_i32 s18, 0x110
	s_movk_i32 s19, 0x120
	s_movk_i32 s20, 0x130
	s_movk_i32 s21, 0x140
	s_movk_i32 s43, 0x150
	s_movk_i32 s44, 0x160
	s_movk_i32 s45, 0x170
	s_movk_i32 s46, 0x180
	s_movk_i32 s47, 0x190
	s_movk_i32 s48, 0x1a0
	s_movk_i32 s49, 0x1b0
	s_movk_i32 s50, 0x1c0
	s_movk_i32 s51, 0x1d0
	s_movk_i32 s52, 0x1e0
	s_movk_i32 s53, 0x1f0
	s_waitcnt lgkmcnt(0)
	s_mul_hi_u32 s5, s14, s6
	s_mul_i32 s4, s14, s4
	s_mul_i32 s7, s15, s6
	s_add_i32 s5, s5, s4
	s_mul_i32 s4, s14, s6
	s_add_i32 s5, s5, s7
	s_ashr_i32 s7, s12, 31
	s_lshl_b64 s[4:5], s[4:5], 4
	s_mov_b32 s6, s12
	s_add_u32 s10, s10, s4
	s_addc_u32 s11, s11, s5
	s_lshl_b64 s[4:5], s[6:7], 4
	v_add3_u32 v5, s13, s13, v0
	s_add_u32 s4, s10, s4
	s_addc_u32 s5, s11, s5
	v_add_co_u32 v59, s10, s4, v79
	global_load_dwordx4 v[1:4], v79, s[4:5]
	v_add_nc_u32_e32 v8, s13, v5
	v_ashrrev_i32_e32 v6, 31, v5
	s_mov_b32 s6, s13
	s_ashr_i32 s7, s13, 31
	v_add_co_ci_u32_e64 v60, null, s5, 0, s10
	v_add_nc_u32_e32 v7, s13, v8
	s_lshl_b64 s[6:7], s[6:7], 4
	v_lshlrev_b64 v[5:6], 4, v[5:6]
	v_add_co_u32 v65, vcc_lo, v59, s6
	v_add_nc_u32_e32 v11, s13, v7
	v_ashrrev_i32_e32 v9, 31, v8
	v_add_co_ci_u32_e64 v66, null, s7, v60, vcc_lo
	v_add_co_u32 v75, vcc_lo, s4, v5
	v_add_nc_u32_e32 v13, s13, v11
	v_lshlrev_b64 v[9:10], 4, v[8:9]
	v_ashrrev_i32_e32 v8, 31, v7
	global_load_dwordx4 v[42:45], v[65:66], off
	v_add_co_ci_u32_e64 v76, null, s5, v6, vcc_lo
	v_add_nc_u32_e32 v15, s13, v13
	v_lshlrev_b64 v[7:8], 4, v[7:8]
	v_add_co_u32 v71, vcc_lo, s4, v9
	global_load_dwordx4 v[46:49], v[75:76], off
	v_add_nc_u32_e32 v17, s13, v15
	v_add_co_ci_u32_e64 v72, null, s5, v10, vcc_lo
	v_ashrrev_i32_e32 v12, 31, v11
	v_ashrrev_i32_e32 v14, 31, v13
	v_add_nc_u32_e32 v19, s13, v17
	global_load_dwordx4 v[50:53], v[71:72], off
	v_ashrrev_i32_e32 v16, 31, v15
	v_lshlrev_b64 v[11:12], 4, v[11:12]
	v_ashrrev_i32_e32 v18, 31, v17
	v_add_nc_u32_e32 v21, s13, v19
	v_ashrrev_i32_e32 v20, 31, v19
	v_lshlrev_b64 v[15:16], 4, v[15:16]
	s_cmpk_lg_i32 s9, 0x84
	s_movk_i32 s6, 0x70
	v_add_nc_u32_e32 v23, s13, v21
	v_lshlrev_b64 v[19:20], 4, v[19:20]
	v_ashrrev_i32_e32 v22, 31, v21
	s_movk_i32 s7, 0x80
	s_movk_i32 s10, 0x90
	v_add_nc_u32_e32 v25, s13, v23
	v_ashrrev_i32_e32 v24, 31, v23
	s_movk_i32 s11, 0xa0
	s_movk_i32 s12, 0xb0
	;; [unrolled: 1-line block ×3, first 2 shown]
	v_add_nc_u32_e32 v29, s13, v25
	s_movk_i32 s15, 0xe0
	s_movk_i32 s54, 0x200
	;; [unrolled: 1-line block ×3, first 2 shown]
	s_cselect_b32 s42, -1, 0
	v_add_nc_u32_e32 v31, s13, v29
	v_ashrrev_i32_e32 v30, 31, v29
	s_cmpk_eq_i32 s9, 0x84
	v_add_nc_u32_e32 v33, s13, v31
	v_ashrrev_i32_e32 v32, 31, v31
	v_add_nc_u32_e32 v35, s13, v33
	v_ashrrev_i32_e32 v34, 31, v33
	;; [unrolled: 2-line block ×5, first 2 shown]
	v_add_nc_u32_e32 v54, s13, v41
	v_add_nc_u32_e32 v77, s13, v54
	v_ashrrev_i32_e32 v55, 31, v54
	v_add_nc_u32_e32 v80, s13, v77
	v_ashrrev_i32_e32 v78, 31, v77
	;; [unrolled: 2-line block ×13, first 2 shown]
	s_movk_i32 s13, 0xc0
	v_ashrrev_i32_e32 v27, 31, v26
	v_lshlrev_b64 v[5:6], 4, v[26:27]
	v_lshlrev_b64 v[26:27], 4, v[13:14]
	v_add_co_u32 v9, vcc_lo, s4, v5
	v_add_co_ci_u32_e64 v10, null, s5, v6, vcc_lo
	v_add_co_u32 v73, vcc_lo, s4, v7
	v_add_co_ci_u32_e64 v74, null, s5, v8, vcc_lo
	global_load_dwordx4 v[5:8], v[9:10], off
	v_add_co_u32 v67, vcc_lo, s4, v11
	v_add_co_ci_u32_e64 v68, null, s5, v12, vcc_lo
	v_add_co_u32 v69, vcc_lo, s4, v26
	v_add_co_ci_u32_e64 v70, null, s5, v27, vcc_lo
	v_lshlrev_b64 v[26:27], 4, v[17:18]
	v_add_co_u32 v63, vcc_lo, s4, v15
	v_add_co_ci_u32_e64 v64, null, s5, v16, vcc_lo
	s_waitcnt vmcnt(4)
	buffer_store_dword v4, off, s[0:3], 0 offset:12
	buffer_store_dword v3, off, s[0:3], 0 offset:8
	;; [unrolled: 1-line block ×3, first 2 shown]
	buffer_store_dword v1, off, s[0:3], 0
	global_load_dwordx4 v[1:4], v[73:74], off
	v_add_co_u32 v61, vcc_lo, s4, v26
	v_add_co_ci_u32_e64 v62, null, s5, v27, vcc_lo
	v_lshlrev_b64 v[27:28], 4, v[21:22]
	v_add_co_u32 v57, vcc_lo, s4, v19
	s_waitcnt vmcnt(4)
	buffer_store_dword v45, off, s[0:3], 0 offset:28
	buffer_store_dword v44, off, s[0:3], 0 offset:24
	buffer_store_dword v43, off, s[0:3], 0 offset:20
	buffer_store_dword v42, off, s[0:3], 0 offset:16
	global_load_dwordx4 v[11:14], v[67:68], off
	s_waitcnt vmcnt(4)
	buffer_store_dword v49, off, s[0:3], 0 offset:44
	buffer_store_dword v48, off, s[0:3], 0 offset:40
	buffer_store_dword v47, off, s[0:3], 0 offset:36
	buffer_store_dword v46, off, s[0:3], 0 offset:32
	global_load_dwordx4 v[45:48], v[69:70], off
	;; [unrolled: 6-line block ×3, first 2 shown]
	v_add_co_ci_u32_e64 v58, null, s5, v20, vcc_lo
	v_add_co_u32 v43, vcc_lo, s4, v27
	v_lshlrev_b64 v[19:20], 4, v[23:24]
	v_ashrrev_i32_e32 v26, 31, v25
	v_add_co_ci_u32_e64 v44, null, s5, v28, vcc_lo
	v_ashrrev_i32_e32 v42, 31, v41
	s_waitcnt vmcnt(3)
	buffer_store_dword v4, off, s[0:3], 0 offset:76
	buffer_store_dword v3, off, s[0:3], 0 offset:72
	;; [unrolled: 1-line block ×4, first 2 shown]
	global_load_dwordx4 v[1:4], v[61:62], off
	v_add_co_u32 v27, vcc_lo, s4, v19
	v_add_co_ci_u32_e64 v28, null, s5, v20, vcc_lo
	s_waitcnt vmcnt(3)
	buffer_store_dword v14, off, s[0:3], 0 offset:92
	buffer_store_dword v13, off, s[0:3], 0 offset:88
	;; [unrolled: 1-line block ×4, first 2 shown]
	global_load_dwordx4 v[21:24], v[57:58], off
	s_waitcnt vmcnt(3)
	buffer_store_dword v48, off, s[0:3], 0 offset:108
	buffer_store_dword v47, off, s[0:3], 0 offset:104
	;; [unrolled: 1-line block ×4, first 2 shown]
	v_lshlrev_b64 v[11:12], 4, v[25:26]
	global_load_dwordx4 v[45:48], v[43:44], off
	s_waitcnt vmcnt(3)
	buffer_store_dword v18, off, s[0:3], 0 offset:124
	buffer_store_dword v17, off, s[0:3], 0 offset:120
	;; [unrolled: 1-line block ×4, first 2 shown]
	v_add_co_u32 v11, vcc_lo, s4, v11
	v_add_co_ci_u32_e64 v12, null, s5, v12, vcc_lo
	global_load_dwordx4 v[49:52], v[27:28], off
	v_lshlrev_b64 v[13:14], 4, v[29:30]
	v_lshlrev_b64 v[15:16], 4, v[31:32]
	;; [unrolled: 1-line block ×4, first 2 shown]
	s_waitcnt vmcnt(3)
	buffer_store_dword v4, off, s[0:3], 0 offset:140
	buffer_store_dword v3, off, s[0:3], 0 offset:136
	;; [unrolled: 1-line block ×4, first 2 shown]
	global_load_dwordx4 v[1:4], v[11:12], off
	v_add_co_u32 v19, vcc_lo, s4, v13
	v_add_co_ci_u32_e64 v20, null, s5, v14, vcc_lo
	v_lshlrev_b64 v[13:14], 4, v[33:34]
	s_waitcnt vmcnt(3)
	buffer_store_dword v21, off, s[0:3], 0 offset:144
	buffer_store_dword v22, off, s[0:3], 0 offset:148
	;; [unrolled: 1-line block ×4, first 2 shown]
	v_add_co_u32 v21, vcc_lo, s4, v15
	v_add_co_ci_u32_e64 v22, null, s5, v16, vcc_lo
	global_load_dwordx4 v[29:32], v[19:20], off
	s_waitcnt vmcnt(3)
	buffer_store_dword v45, off, s[0:3], 0 offset:160
	buffer_store_dword v46, off, s[0:3], 0 offset:164
	buffer_store_dword v47, off, s[0:3], 0 offset:168
	buffer_store_dword v48, off, s[0:3], 0 offset:172
	global_load_dwordx4 v[45:48], v[21:22], off
	v_add_co_u32 v15, vcc_lo, s4, v13
	v_add_co_ci_u32_e64 v16, null, s5, v14, vcc_lo
	v_add_co_u32 v13, vcc_lo, s4, v17
	s_waitcnt vmcnt(3)
	buffer_store_dword v49, off, s[0:3], 0 offset:176
	buffer_store_dword v50, off, s[0:3], 0 offset:180
	;; [unrolled: 1-line block ×4, first 2 shown]
	v_add_co_ci_u32_e64 v14, null, s5, v18, vcc_lo
	global_load_dwordx4 v[33:36], v[15:16], off
	v_lshlrev_b64 v[17:18], 4, v[37:38]
	s_waitcnt vmcnt(3)
	buffer_store_dword v4, off, s[0:3], 0 offset:204
	buffer_store_dword v3, off, s[0:3], 0 offset:200
	;; [unrolled: 1-line block ×4, first 2 shown]
	global_load_dwordx4 v[1:4], v[13:14], off
	v_add_co_u32 v23, vcc_lo, s4, v17
	v_add_co_ci_u32_e64 v24, null, s5, v18, vcc_lo
	v_add_co_u32 v25, vcc_lo, s4, v25
	v_lshlrev_b64 v[17:18], 4, v[41:42]
	v_add_co_ci_u32_e64 v26, null, s5, v26, vcc_lo
	s_waitcnt vmcnt(3)
	buffer_store_dword v32, off, s[0:3], 0 offset:220
	buffer_store_dword v31, off, s[0:3], 0 offset:216
	;; [unrolled: 1-line block ×4, first 2 shown]
	global_load_dwordx4 v[37:40], v[23:24], off
	s_waitcnt vmcnt(3)
	buffer_store_dword v48, off, s[0:3], 0 offset:236
	buffer_store_dword v47, off, s[0:3], 0 offset:232
	;; [unrolled: 1-line block ×4, first 2 shown]
	v_lshlrev_b64 v[29:30], 4, v[54:55]
	global_load_dwordx4 v[45:48], v[25:26], off
	v_add_co_u32 v17, vcc_lo, s4, v17
	v_add_co_ci_u32_e64 v18, null, s5, v18, vcc_lo
	v_add_co_u32 v29, vcc_lo, s4, v29
	s_waitcnt vmcnt(3)
	buffer_store_dword v36, off, s[0:3], 0 offset:252
	buffer_store_dword v35, off, s[0:3], 0 offset:248
	;; [unrolled: 1-line block ×4, first 2 shown]
	v_add_co_ci_u32_e64 v30, null, s5, v30, vcc_lo
	global_load_dwordx4 v[49:52], v[17:18], off
	v_lshlrev_b64 v[31:32], 4, v[77:78]
	v_lshlrev_b64 v[33:34], 4, v[80:81]
	;; [unrolled: 1-line block ×5, first 2 shown]
	s_waitcnt vmcnt(3)
	buffer_store_dword v4, off, s[0:3], 0 offset:268
	buffer_store_dword v3, off, s[0:3], 0 offset:264
	;; [unrolled: 1-line block ×4, first 2 shown]
	global_load_dwordx4 v[1:4], v[29:30], off
	v_add_co_u32 v31, vcc_lo, s4, v31
	v_add_co_ci_u32_e64 v32, null, s5, v32, vcc_lo
	v_add_co_u32 v33, vcc_lo, s4, v33
	v_add_co_ci_u32_e64 v34, null, s5, v34, vcc_lo
	s_waitcnt vmcnt(3)
	buffer_store_dword v40, off, s[0:3], 0 offset:284
	buffer_store_dword v39, off, s[0:3], 0 offset:280
	;; [unrolled: 1-line block ×4, first 2 shown]
	global_load_dwordx4 v[53:56], v[31:32], off
	s_waitcnt vmcnt(3)
	buffer_store_dword v48, off, s[0:3], 0 offset:300
	buffer_store_dword v47, off, s[0:3], 0 offset:296
	;; [unrolled: 1-line block ×4, first 2 shown]
	v_lshlrev_b64 v[37:38], 4, v[84:85]
	global_load_dwordx4 v[45:48], v[33:34], off
	v_add_co_u32 v35, vcc_lo, s4, v35
	v_add_co_ci_u32_e64 v36, null, s5, v36, vcc_lo
	v_add_co_u32 v37, vcc_lo, s4, v37
	s_waitcnt vmcnt(3)
	buffer_store_dword v52, off, s[0:3], 0 offset:316
	buffer_store_dword v51, off, s[0:3], 0 offset:312
	;; [unrolled: 1-line block ×4, first 2 shown]
	v_add_co_ci_u32_e64 v38, null, s5, v38, vcc_lo
	global_load_dwordx4 v[49:52], v[35:36], off
	v_lshlrev_b64 v[39:40], 4, v[86:87]
	s_waitcnt vmcnt(3)
	buffer_store_dword v4, off, s[0:3], 0 offset:332
	buffer_store_dword v3, off, s[0:3], 0 offset:328
	;; [unrolled: 1-line block ×4, first 2 shown]
	global_load_dwordx4 v[1:4], v[37:38], off
	v_add_co_u32 v39, vcc_lo, s4, v39
	v_add_co_ci_u32_e64 v40, null, s5, v40, vcc_lo
	v_add_co_u32 v41, vcc_lo, s4, v41
	s_waitcnt vmcnt(3)
	buffer_store_dword v56, off, s[0:3], 0 offset:348
	buffer_store_dword v55, off, s[0:3], 0 offset:344
	;; [unrolled: 1-line block ×4, first 2 shown]
	global_load_dwordx4 v[53:56], v[39:40], off
	v_add_co_ci_u32_e64 v42, null, s5, v42, vcc_lo
	s_waitcnt vmcnt(3)
	buffer_store_dword v48, off, s[0:3], 0 offset:364
	buffer_store_dword v47, off, s[0:3], 0 offset:360
	buffer_store_dword v46, off, s[0:3], 0 offset:356
	buffer_store_dword v45, off, s[0:3], 0 offset:352
	v_lshlrev_b64 v[47:48], 4, v[92:93]
	v_add_co_u32 v45, vcc_lo, s4, v77
	v_add_co_ci_u32_e64 v46, null, s5, v78, vcc_lo
	global_load_dwordx4 v[80:83], v[41:42], off
	v_add_co_u32 v47, vcc_lo, s4, v47
	s_waitcnt vmcnt(3)
	buffer_store_dword v52, off, s[0:3], 0 offset:380
	buffer_store_dword v51, off, s[0:3], 0 offset:376
	;; [unrolled: 1-line block ×4, first 2 shown]
	v_add_co_ci_u32_e64 v48, null, s5, v48, vcc_lo
	global_load_dwordx4 v[84:87], v[45:46], off
	v_lshlrev_b64 v[49:50], 4, v[94:95]
	v_lshlrev_b64 v[51:52], 4, v[96:97]
	;; [unrolled: 1-line block ×4, first 2 shown]
	s_waitcnt vmcnt(3)
	buffer_store_dword v4, off, s[0:3], 0 offset:396
	buffer_store_dword v3, off, s[0:3], 0 offset:392
	;; [unrolled: 1-line block ×4, first 2 shown]
	global_load_dwordx4 v[1:4], v[47:48], off
	v_add_co_u32 v49, vcc_lo, s4, v49
	v_add_co_ci_u32_e64 v50, null, s5, v50, vcc_lo
	v_add_co_u32 v51, vcc_lo, s4, v51
	v_add_co_ci_u32_e64 v52, null, s5, v52, vcc_lo
	s_waitcnt vmcnt(3)
	buffer_store_dword v56, off, s[0:3], 0 offset:412
	buffer_store_dword v55, off, s[0:3], 0 offset:408
	;; [unrolled: 1-line block ×4, first 2 shown]
	s_waitcnt vmcnt(2)
	buffer_store_dword v83, off, s[0:3], 0 offset:428
	buffer_store_dword v82, off, s[0:3], 0 offset:424
	;; [unrolled: 1-line block ×4, first 2 shown]
	s_clause 0x1
	global_load_dwordx4 v[80:83], v[49:50], off
	global_load_dwordx4 v[88:91], v[51:52], off
	v_add_co_u32 v53, vcc_lo, s4, v77
	v_add_co_ci_u32_e64 v54, null, s5, v78, vcc_lo
	v_add_co_u32 v55, vcc_lo, s4, v92
	s_waitcnt vmcnt(3)
	buffer_store_dword v87, off, s[0:3], 0 offset:444
	buffer_store_dword v86, off, s[0:3], 0 offset:440
	;; [unrolled: 1-line block ×4, first 2 shown]
	v_add_co_ci_u32_e64 v56, null, s5, v93, vcc_lo
	global_load_dwordx4 v[84:87], v[53:54], off
	s_movk_i32 s4, 0x50
	s_movk_i32 s5, 0x60
	s_waitcnt vmcnt(3)
	buffer_store_dword v4, off, s[0:3], 0 offset:460
	buffer_store_dword v3, off, s[0:3], 0 offset:456
	buffer_store_dword v2, off, s[0:3], 0 offset:452
	buffer_store_dword v1, off, s[0:3], 0 offset:448
	global_load_dwordx4 v[1:4], v[55:56], off
	s_waitcnt vmcnt(3)
	buffer_store_dword v83, off, s[0:3], 0 offset:476
	buffer_store_dword v82, off, s[0:3], 0 offset:472
	buffer_store_dword v81, off, s[0:3], 0 offset:468
	buffer_store_dword v80, off, s[0:3], 0 offset:464
	s_waitcnt vmcnt(2)
	buffer_store_dword v91, off, s[0:3], 0 offset:492
	buffer_store_dword v90, off, s[0:3], 0 offset:488
	buffer_store_dword v89, off, s[0:3], 0 offset:484
	buffer_store_dword v88, off, s[0:3], 0 offset:480
	;; [unrolled: 5-line block ×4, first 2 shown]
	buffer_store_dword v8, off, s[0:3], 0 offset:540
	buffer_store_dword v7, off, s[0:3], 0 offset:536
	;; [unrolled: 1-line block ×4, first 2 shown]
	s_cbranch_scc1 .LBB33_7
; %bb.2:
	v_lshl_add_u32 v80, v0, 4, 0
                                        ; implicit-def: $vgpr7_vgpr8
                                        ; implicit-def: $vgpr3_vgpr4
	s_clause 0x3
	buffer_load_dword v5, v80, s[0:3], 0 offen
	buffer_load_dword v6, v80, s[0:3], 0 offen offset:4
	buffer_load_dword v77, v80, s[0:3], 0 offen offset:8
	;; [unrolled: 1-line block ×3, first 2 shown]
	s_waitcnt vmcnt(0)
	v_cmp_ngt_f64_e64 s9, |v[5:6]|, |v[77:78]|
	s_and_saveexec_b32 s22, s9
	s_xor_b32 s9, exec_lo, s22
	s_cbranch_execz .LBB33_4
; %bb.3:
	v_div_scale_f64 v[1:2], null, v[77:78], v[77:78], v[5:6]
	v_div_scale_f64 v[81:82], vcc_lo, v[5:6], v[77:78], v[5:6]
	v_rcp_f64_e32 v[3:4], v[1:2]
	v_fma_f64 v[7:8], -v[1:2], v[3:4], 1.0
	v_fma_f64 v[3:4], v[3:4], v[7:8], v[3:4]
	v_fma_f64 v[7:8], -v[1:2], v[3:4], 1.0
	v_fma_f64 v[3:4], v[3:4], v[7:8], v[3:4]
	v_mul_f64 v[7:8], v[81:82], v[3:4]
	v_fma_f64 v[1:2], -v[1:2], v[7:8], v[81:82]
	v_div_fmas_f64 v[1:2], v[1:2], v[3:4], v[7:8]
	v_div_fixup_f64 v[1:2], v[1:2], v[77:78], v[5:6]
	v_fma_f64 v[3:4], v[5:6], v[1:2], v[77:78]
	v_div_scale_f64 v[5:6], null, v[3:4], v[3:4], 1.0
	v_div_scale_f64 v[81:82], vcc_lo, 1.0, v[3:4], 1.0
	v_rcp_f64_e32 v[7:8], v[5:6]
	v_fma_f64 v[77:78], -v[5:6], v[7:8], 1.0
	v_fma_f64 v[7:8], v[7:8], v[77:78], v[7:8]
	v_fma_f64 v[77:78], -v[5:6], v[7:8], 1.0
	v_fma_f64 v[7:8], v[7:8], v[77:78], v[7:8]
	v_mul_f64 v[77:78], v[81:82], v[7:8]
	v_fma_f64 v[5:6], -v[5:6], v[77:78], v[81:82]
	v_div_fmas_f64 v[5:6], v[5:6], v[7:8], v[77:78]
                                        ; implicit-def: $vgpr77_vgpr78
	v_div_fixup_f64 v[3:4], v[5:6], v[3:4], 1.0
                                        ; implicit-def: $vgpr5_vgpr6
	v_mul_f64 v[7:8], v[1:2], v[3:4]
	v_xor_b32_e32 v4, 0x80000000, v4
	v_xor_b32_e32 v2, 0x80000000, v8
	v_mov_b32_e32 v1, v7
.LBB33_4:
	s_andn2_saveexec_b32 s9, s9
	s_cbranch_execz .LBB33_6
; %bb.5:
	v_div_scale_f64 v[1:2], null, v[5:6], v[5:6], v[77:78]
	v_div_scale_f64 v[81:82], vcc_lo, v[77:78], v[5:6], v[77:78]
	v_rcp_f64_e32 v[3:4], v[1:2]
	v_fma_f64 v[7:8], -v[1:2], v[3:4], 1.0
	v_fma_f64 v[3:4], v[3:4], v[7:8], v[3:4]
	v_fma_f64 v[7:8], -v[1:2], v[3:4], 1.0
	v_fma_f64 v[3:4], v[3:4], v[7:8], v[3:4]
	v_mul_f64 v[7:8], v[81:82], v[3:4]
	v_fma_f64 v[1:2], -v[1:2], v[7:8], v[81:82]
	v_div_fmas_f64 v[1:2], v[1:2], v[3:4], v[7:8]
	v_div_fixup_f64 v[1:2], v[1:2], v[5:6], v[77:78]
	v_fma_f64 v[3:4], v[77:78], v[1:2], v[5:6]
	v_div_scale_f64 v[5:6], null, v[3:4], v[3:4], 1.0
	v_rcp_f64_e32 v[7:8], v[5:6]
	v_fma_f64 v[77:78], -v[5:6], v[7:8], 1.0
	v_fma_f64 v[7:8], v[7:8], v[77:78], v[7:8]
	v_fma_f64 v[77:78], -v[5:6], v[7:8], 1.0
	v_fma_f64 v[7:8], v[7:8], v[77:78], v[7:8]
	v_div_scale_f64 v[77:78], vcc_lo, 1.0, v[3:4], 1.0
	v_mul_f64 v[81:82], v[77:78], v[7:8]
	v_fma_f64 v[5:6], -v[5:6], v[81:82], v[77:78]
	v_div_fmas_f64 v[5:6], v[5:6], v[7:8], v[81:82]
	v_div_fixup_f64 v[7:8], v[5:6], v[3:4], 1.0
	v_mul_f64 v[3:4], v[1:2], -v[7:8]
	v_xor_b32_e32 v2, 0x80000000, v8
	v_mov_b32_e32 v1, v7
.LBB33_6:
	s_or_b32 exec_lo, exec_lo, s9
	buffer_store_dword v4, v80, s[0:3], 0 offen offset:12
	v_xor_b32_e32 v4, 0x80000000, v4
	buffer_store_dword v8, v80, s[0:3], 0 offen offset:4
	buffer_store_dword v7, v80, s[0:3], 0 offen
	buffer_store_dword v3, v80, s[0:3], 0 offen offset:8
	s_branch .LBB33_8
.LBB33_7:
	v_mov_b32_e32 v1, 0
	v_mov_b32_e32 v3, 0
	;; [unrolled: 1-line block ×4, first 2 shown]
.LBB33_8:
	v_add_nc_u32_e32 v6, 0x220, v79
	v_mov_b32_e32 v5, v79
	s_mov_b32 s40, 16
	s_mov_b32 s41, 32
	s_mov_b32 s39, 48
	s_mov_b32 s38, 64
	s_mov_b32 s37, s4
	s_mov_b32 s36, s5
	s_mov_b32 s35, s6
	s_mov_b32 s34, s7
	s_mov_b32 s33, s10
	s_mov_b32 s31, s11
	s_mov_b32 s30, s12
	s_mov_b32 s29, s13
	s_mov_b32 s28, s14
	s_mov_b32 s27, s15
	s_mov_b32 s26, s16
	s_mov_b32 s25, s17
	s_mov_b32 s24, s18
	s_mov_b32 s23, s19
	s_mov_b32 s22, s20
	s_mov_b32 s20, s43
	s_mov_b32 s19, s44
	s_mov_b32 s18, s45
	s_mov_b32 s17, s46
	s_mov_b32 s16, s47
	s_mov_b32 s15, s48
	s_mov_b32 s14, s49
	s_mov_b32 s13, s50
	s_mov_b32 s12, s51
	s_mov_b32 s11, s52
	s_mov_b32 s10, s53
	s_mov_b32 s9, s54
	s_mov_b32 s7, s55
	s_cmpk_eq_i32 s8, 0x79
	ds_write_b128 v79, v[1:4]
	s_cbranch_scc1 .LBB33_268
; %bb.9:
	v_mov_b32_e32 v4, s9
	v_cmp_eq_u32_e64 s4, 33, v0
	s_clause 0x3
	buffer_load_dword v1, v4, s[0:3], 0 offen
	buffer_load_dword v2, v4, s[0:3], 0 offen offset:4
	buffer_load_dword v3, v4, s[0:3], 0 offen offset:8
	;; [unrolled: 1-line block ×3, first 2 shown]
	s_waitcnt vmcnt(0)
	ds_write_b128 v6, v[1:4]
	s_waitcnt lgkmcnt(0)
	s_waitcnt_vscnt null, 0x0
	s_barrier
	buffer_gl0_inv
	s_and_saveexec_b32 s5, s4
	s_cbranch_execz .LBB33_13
; %bb.10:
	ds_read_b128 v[1:4], v6
	s_andn2_b32 vcc_lo, exec_lo, s42
	s_cbranch_vccnz .LBB33_12
; %bb.11:
	s_clause 0x3
	buffer_load_dword v7, v5, s[0:3], 0 offen offset:8
	buffer_load_dword v8, v5, s[0:3], 0 offen offset:12
	buffer_load_dword v77, v5, s[0:3], 0 offen
	buffer_load_dword v78, v5, s[0:3], 0 offen offset:4
	s_waitcnt vmcnt(2) lgkmcnt(0)
	v_mul_f64 v[80:81], v[3:4], v[7:8]
	v_mul_f64 v[7:8], v[1:2], v[7:8]
	s_waitcnt vmcnt(0)
	v_fma_f64 v[1:2], v[1:2], v[77:78], -v[80:81]
	v_fma_f64 v[3:4], v[3:4], v[77:78], v[7:8]
.LBB33_12:
	v_mov_b32_e32 v7, 0
	ds_read_b128 v[80:83], v7 offset:512
	s_waitcnt lgkmcnt(0)
	v_mul_f64 v[7:8], v[3:4], v[82:83]
	v_mul_f64 v[77:78], v[1:2], v[82:83]
	v_fma_f64 v[1:2], v[1:2], v[80:81], -v[7:8]
	v_fma_f64 v[3:4], v[3:4], v[80:81], v[77:78]
	buffer_store_dword v2, off, s[0:3], 0 offset:516
	buffer_store_dword v1, off, s[0:3], 0 offset:512
	;; [unrolled: 1-line block ×4, first 2 shown]
.LBB33_13:
	s_or_b32 exec_lo, exec_lo, s5
	v_mov_b32_e32 v4, s10
	v_cmp_lt_u32_e64 s5, 31, v0
	s_clause 0x3
	buffer_load_dword v1, v4, s[0:3], 0 offen
	buffer_load_dword v2, v4, s[0:3], 0 offen offset:4
	buffer_load_dword v3, v4, s[0:3], 0 offen offset:8
	;; [unrolled: 1-line block ×3, first 2 shown]
	s_waitcnt vmcnt(0)
	ds_write_b128 v6, v[1:4]
	s_waitcnt lgkmcnt(0)
	s_waitcnt_vscnt null, 0x0
	s_barrier
	buffer_gl0_inv
	s_and_saveexec_b32 s6, s5
	s_cbranch_execz .LBB33_19
; %bb.14:
	ds_read_b128 v[1:4], v6
	s_andn2_b32 vcc_lo, exec_lo, s42
	s_cbranch_vccnz .LBB33_16
; %bb.15:
	s_clause 0x3
	buffer_load_dword v7, v5, s[0:3], 0 offen offset:8
	buffer_load_dword v8, v5, s[0:3], 0 offen offset:12
	buffer_load_dword v77, v5, s[0:3], 0 offen
	buffer_load_dword v78, v5, s[0:3], 0 offen offset:4
	s_waitcnt vmcnt(2) lgkmcnt(0)
	v_mul_f64 v[80:81], v[3:4], v[7:8]
	v_mul_f64 v[7:8], v[1:2], v[7:8]
	s_waitcnt vmcnt(0)
	v_fma_f64 v[1:2], v[1:2], v[77:78], -v[80:81]
	v_fma_f64 v[3:4], v[3:4], v[77:78], v[7:8]
.LBB33_16:
	s_and_saveexec_b32 s8, s4
	s_cbranch_execz .LBB33_18
; %bb.17:
	s_clause 0x3
	buffer_load_dword v7, off, s[0:3], 0 offset:520
	buffer_load_dword v8, off, s[0:3], 0 offset:524
	buffer_load_dword v77, off, s[0:3], 0 offset:512
	buffer_load_dword v78, off, s[0:3], 0 offset:516
	v_mov_b32_e32 v80, 0
	ds_read_b128 v[80:83], v80 offset:1056
	s_waitcnt vmcnt(2) lgkmcnt(0)
	v_mul_f64 v[84:85], v[80:81], v[7:8]
	v_mul_f64 v[7:8], v[82:83], v[7:8]
	s_waitcnt vmcnt(0)
	v_fma_f64 v[82:83], v[82:83], v[77:78], v[84:85]
	v_fma_f64 v[7:8], v[80:81], v[77:78], -v[7:8]
	v_add_f64 v[3:4], v[3:4], v[82:83]
	v_add_f64 v[1:2], v[1:2], v[7:8]
.LBB33_18:
	s_or_b32 exec_lo, exec_lo, s8
	v_mov_b32_e32 v7, 0
	ds_read_b128 v[80:83], v7 offset:496
	s_waitcnt lgkmcnt(0)
	v_mul_f64 v[7:8], v[3:4], v[82:83]
	v_mul_f64 v[77:78], v[1:2], v[82:83]
	v_fma_f64 v[1:2], v[1:2], v[80:81], -v[7:8]
	v_fma_f64 v[3:4], v[3:4], v[80:81], v[77:78]
	buffer_store_dword v2, off, s[0:3], 0 offset:500
	buffer_store_dword v1, off, s[0:3], 0 offset:496
	buffer_store_dword v4, off, s[0:3], 0 offset:508
	buffer_store_dword v3, off, s[0:3], 0 offset:504
.LBB33_19:
	s_or_b32 exec_lo, exec_lo, s6
	v_mov_b32_e32 v4, s11
	v_cmp_lt_u32_e64 s4, 30, v0
	s_clause 0x3
	buffer_load_dword v1, v4, s[0:3], 0 offen
	buffer_load_dword v2, v4, s[0:3], 0 offen offset:4
	buffer_load_dword v3, v4, s[0:3], 0 offen offset:8
	;; [unrolled: 1-line block ×3, first 2 shown]
	s_waitcnt vmcnt(0)
	ds_write_b128 v6, v[1:4]
	s_waitcnt lgkmcnt(0)
	s_waitcnt_vscnt null, 0x0
	s_barrier
	buffer_gl0_inv
	s_and_saveexec_b32 s6, s4
	s_cbranch_execz .LBB33_27
; %bb.20:
	ds_read_b128 v[1:4], v6
	s_andn2_b32 vcc_lo, exec_lo, s42
	s_cbranch_vccnz .LBB33_22
; %bb.21:
	s_clause 0x3
	buffer_load_dword v7, v5, s[0:3], 0 offen offset:8
	buffer_load_dword v8, v5, s[0:3], 0 offen offset:12
	buffer_load_dword v77, v5, s[0:3], 0 offen
	buffer_load_dword v78, v5, s[0:3], 0 offen offset:4
	s_waitcnt vmcnt(2) lgkmcnt(0)
	v_mul_f64 v[80:81], v[3:4], v[7:8]
	v_mul_f64 v[7:8], v[1:2], v[7:8]
	s_waitcnt vmcnt(0)
	v_fma_f64 v[1:2], v[1:2], v[77:78], -v[80:81]
	v_fma_f64 v[3:4], v[3:4], v[77:78], v[7:8]
.LBB33_22:
	s_and_saveexec_b32 s8, s5
	s_cbranch_execz .LBB33_26
; %bb.23:
	v_subrev_nc_u32_e32 v7, 31, v0
	s_movk_i32 s43, 0x410
	s_mov_b32 s5, 0
	s_mov_b32 s44, s10
	.p2align	6
.LBB33_24:                              ; =>This Inner Loop Header: Depth=1
	v_mov_b32_e32 v8, s44
	v_add_nc_u32_e32 v7, -1, v7
	s_add_i32 s44, s44, 16
	s_clause 0x3
	buffer_load_dword v77, v8, s[0:3], 0 offen offset:8
	buffer_load_dword v78, v8, s[0:3], 0 offen offset:12
	buffer_load_dword v84, v8, s[0:3], 0 offen
	buffer_load_dword v85, v8, s[0:3], 0 offen offset:4
	v_mov_b32_e32 v8, s43
	v_cmp_eq_u32_e32 vcc_lo, 0, v7
	s_add_i32 s43, s43, 16
	ds_read_b128 v[80:83], v8
	s_or_b32 s5, vcc_lo, s5
	s_waitcnt vmcnt(2) lgkmcnt(0)
	v_mul_f64 v[86:87], v[82:83], v[77:78]
	v_mul_f64 v[77:78], v[80:81], v[77:78]
	s_waitcnt vmcnt(0)
	v_fma_f64 v[80:81], v[80:81], v[84:85], -v[86:87]
	v_fma_f64 v[77:78], v[82:83], v[84:85], v[77:78]
	v_add_f64 v[1:2], v[1:2], v[80:81]
	v_add_f64 v[3:4], v[3:4], v[77:78]
	s_andn2_b32 exec_lo, exec_lo, s5
	s_cbranch_execnz .LBB33_24
; %bb.25:
	s_or_b32 exec_lo, exec_lo, s5
.LBB33_26:
	s_or_b32 exec_lo, exec_lo, s8
	v_mov_b32_e32 v7, 0
	ds_read_b128 v[80:83], v7 offset:480
	s_waitcnt lgkmcnt(0)
	v_mul_f64 v[7:8], v[3:4], v[82:83]
	v_mul_f64 v[77:78], v[1:2], v[82:83]
	v_fma_f64 v[1:2], v[1:2], v[80:81], -v[7:8]
	v_fma_f64 v[3:4], v[3:4], v[80:81], v[77:78]
	buffer_store_dword v2, off, s[0:3], 0 offset:484
	buffer_store_dword v1, off, s[0:3], 0 offset:480
	;; [unrolled: 1-line block ×4, first 2 shown]
.LBB33_27:
	s_or_b32 exec_lo, exec_lo, s6
	v_mov_b32_e32 v4, s12
	v_cmp_lt_u32_e64 s5, 29, v0
	s_clause 0x3
	buffer_load_dword v1, v4, s[0:3], 0 offen
	buffer_load_dword v2, v4, s[0:3], 0 offen offset:4
	buffer_load_dword v3, v4, s[0:3], 0 offen offset:8
	;; [unrolled: 1-line block ×3, first 2 shown]
	s_waitcnt vmcnt(0)
	ds_write_b128 v6, v[1:4]
	s_waitcnt lgkmcnt(0)
	s_waitcnt_vscnt null, 0x0
	s_barrier
	buffer_gl0_inv
	s_and_saveexec_b32 s6, s5
	s_cbranch_execz .LBB33_35
; %bb.28:
	ds_read_b128 v[1:4], v6
	s_andn2_b32 vcc_lo, exec_lo, s42
	s_cbranch_vccnz .LBB33_30
; %bb.29:
	s_clause 0x3
	buffer_load_dword v7, v5, s[0:3], 0 offen offset:8
	buffer_load_dword v8, v5, s[0:3], 0 offen offset:12
	buffer_load_dword v77, v5, s[0:3], 0 offen
	buffer_load_dword v78, v5, s[0:3], 0 offen offset:4
	s_waitcnt vmcnt(2) lgkmcnt(0)
	v_mul_f64 v[80:81], v[3:4], v[7:8]
	v_mul_f64 v[7:8], v[1:2], v[7:8]
	s_waitcnt vmcnt(0)
	v_fma_f64 v[1:2], v[1:2], v[77:78], -v[80:81]
	v_fma_f64 v[3:4], v[3:4], v[77:78], v[7:8]
.LBB33_30:
	s_and_saveexec_b32 s8, s4
	s_cbranch_execz .LBB33_34
; %bb.31:
	v_subrev_nc_u32_e32 v7, 30, v0
	s_movk_i32 s43, 0x400
	s_mov_b32 s4, 0
	s_mov_b32 s44, s11
	.p2align	6
.LBB33_32:                              ; =>This Inner Loop Header: Depth=1
	v_mov_b32_e32 v8, s44
	v_add_nc_u32_e32 v7, -1, v7
	s_add_i32 s44, s44, 16
	s_clause 0x3
	buffer_load_dword v77, v8, s[0:3], 0 offen offset:8
	buffer_load_dword v78, v8, s[0:3], 0 offen offset:12
	buffer_load_dword v84, v8, s[0:3], 0 offen
	buffer_load_dword v85, v8, s[0:3], 0 offen offset:4
	v_mov_b32_e32 v8, s43
	v_cmp_eq_u32_e32 vcc_lo, 0, v7
	s_add_i32 s43, s43, 16
	ds_read_b128 v[80:83], v8
	s_or_b32 s4, vcc_lo, s4
	s_waitcnt vmcnt(2) lgkmcnt(0)
	v_mul_f64 v[86:87], v[82:83], v[77:78]
	v_mul_f64 v[77:78], v[80:81], v[77:78]
	s_waitcnt vmcnt(0)
	v_fma_f64 v[80:81], v[80:81], v[84:85], -v[86:87]
	v_fma_f64 v[77:78], v[82:83], v[84:85], v[77:78]
	v_add_f64 v[1:2], v[1:2], v[80:81]
	v_add_f64 v[3:4], v[3:4], v[77:78]
	s_andn2_b32 exec_lo, exec_lo, s4
	s_cbranch_execnz .LBB33_32
; %bb.33:
	s_or_b32 exec_lo, exec_lo, s4
.LBB33_34:
	s_or_b32 exec_lo, exec_lo, s8
	v_mov_b32_e32 v7, 0
	ds_read_b128 v[80:83], v7 offset:464
	s_waitcnt lgkmcnt(0)
	v_mul_f64 v[7:8], v[3:4], v[82:83]
	v_mul_f64 v[77:78], v[1:2], v[82:83]
	v_fma_f64 v[1:2], v[1:2], v[80:81], -v[7:8]
	v_fma_f64 v[3:4], v[3:4], v[80:81], v[77:78]
	buffer_store_dword v2, off, s[0:3], 0 offset:468
	buffer_store_dword v1, off, s[0:3], 0 offset:464
	;; [unrolled: 1-line block ×4, first 2 shown]
.LBB33_35:
	s_or_b32 exec_lo, exec_lo, s6
	v_mov_b32_e32 v4, s13
	v_cmp_lt_u32_e64 s4, 28, v0
	s_clause 0x3
	buffer_load_dword v1, v4, s[0:3], 0 offen
	buffer_load_dword v2, v4, s[0:3], 0 offen offset:4
	buffer_load_dword v3, v4, s[0:3], 0 offen offset:8
	;; [unrolled: 1-line block ×3, first 2 shown]
	s_waitcnt vmcnt(0)
	ds_write_b128 v6, v[1:4]
	s_waitcnt lgkmcnt(0)
	s_waitcnt_vscnt null, 0x0
	s_barrier
	buffer_gl0_inv
	s_and_saveexec_b32 s6, s4
	s_cbranch_execz .LBB33_43
; %bb.36:
	ds_read_b128 v[1:4], v6
	s_andn2_b32 vcc_lo, exec_lo, s42
	s_cbranch_vccnz .LBB33_38
; %bb.37:
	s_clause 0x3
	buffer_load_dword v7, v5, s[0:3], 0 offen offset:8
	buffer_load_dword v8, v5, s[0:3], 0 offen offset:12
	buffer_load_dword v77, v5, s[0:3], 0 offen
	buffer_load_dword v78, v5, s[0:3], 0 offen offset:4
	s_waitcnt vmcnt(2) lgkmcnt(0)
	v_mul_f64 v[80:81], v[3:4], v[7:8]
	v_mul_f64 v[7:8], v[1:2], v[7:8]
	s_waitcnt vmcnt(0)
	v_fma_f64 v[1:2], v[1:2], v[77:78], -v[80:81]
	v_fma_f64 v[3:4], v[3:4], v[77:78], v[7:8]
.LBB33_38:
	s_and_saveexec_b32 s8, s5
	s_cbranch_execz .LBB33_42
; %bb.39:
	v_subrev_nc_u32_e32 v7, 29, v0
	s_movk_i32 s43, 0x3f0
	s_mov_b32 s5, 0
	s_mov_b32 s44, s12
	.p2align	6
.LBB33_40:                              ; =>This Inner Loop Header: Depth=1
	v_mov_b32_e32 v8, s44
	v_add_nc_u32_e32 v7, -1, v7
	s_add_i32 s44, s44, 16
	s_clause 0x3
	buffer_load_dword v77, v8, s[0:3], 0 offen offset:8
	buffer_load_dword v78, v8, s[0:3], 0 offen offset:12
	buffer_load_dword v84, v8, s[0:3], 0 offen
	buffer_load_dword v85, v8, s[0:3], 0 offen offset:4
	v_mov_b32_e32 v8, s43
	v_cmp_eq_u32_e32 vcc_lo, 0, v7
	s_add_i32 s43, s43, 16
	ds_read_b128 v[80:83], v8
	s_or_b32 s5, vcc_lo, s5
	s_waitcnt vmcnt(2) lgkmcnt(0)
	v_mul_f64 v[86:87], v[82:83], v[77:78]
	v_mul_f64 v[77:78], v[80:81], v[77:78]
	s_waitcnt vmcnt(0)
	v_fma_f64 v[80:81], v[80:81], v[84:85], -v[86:87]
	v_fma_f64 v[77:78], v[82:83], v[84:85], v[77:78]
	v_add_f64 v[1:2], v[1:2], v[80:81]
	v_add_f64 v[3:4], v[3:4], v[77:78]
	s_andn2_b32 exec_lo, exec_lo, s5
	s_cbranch_execnz .LBB33_40
; %bb.41:
	s_or_b32 exec_lo, exec_lo, s5
.LBB33_42:
	s_or_b32 exec_lo, exec_lo, s8
	v_mov_b32_e32 v7, 0
	ds_read_b128 v[80:83], v7 offset:448
	s_waitcnt lgkmcnt(0)
	v_mul_f64 v[7:8], v[3:4], v[82:83]
	v_mul_f64 v[77:78], v[1:2], v[82:83]
	v_fma_f64 v[1:2], v[1:2], v[80:81], -v[7:8]
	v_fma_f64 v[3:4], v[3:4], v[80:81], v[77:78]
	buffer_store_dword v2, off, s[0:3], 0 offset:452
	buffer_store_dword v1, off, s[0:3], 0 offset:448
	;; [unrolled: 1-line block ×4, first 2 shown]
.LBB33_43:
	s_or_b32 exec_lo, exec_lo, s6
	v_mov_b32_e32 v4, s14
	v_cmp_lt_u32_e64 s5, 27, v0
	s_clause 0x3
	buffer_load_dword v1, v4, s[0:3], 0 offen
	buffer_load_dword v2, v4, s[0:3], 0 offen offset:4
	buffer_load_dword v3, v4, s[0:3], 0 offen offset:8
	;; [unrolled: 1-line block ×3, first 2 shown]
	s_waitcnt vmcnt(0)
	ds_write_b128 v6, v[1:4]
	s_waitcnt lgkmcnt(0)
	s_waitcnt_vscnt null, 0x0
	s_barrier
	buffer_gl0_inv
	s_and_saveexec_b32 s6, s5
	s_cbranch_execz .LBB33_51
; %bb.44:
	ds_read_b128 v[1:4], v6
	s_andn2_b32 vcc_lo, exec_lo, s42
	s_cbranch_vccnz .LBB33_46
; %bb.45:
	s_clause 0x3
	buffer_load_dword v7, v5, s[0:3], 0 offen offset:8
	buffer_load_dword v8, v5, s[0:3], 0 offen offset:12
	buffer_load_dword v77, v5, s[0:3], 0 offen
	buffer_load_dword v78, v5, s[0:3], 0 offen offset:4
	s_waitcnt vmcnt(2) lgkmcnt(0)
	v_mul_f64 v[80:81], v[3:4], v[7:8]
	v_mul_f64 v[7:8], v[1:2], v[7:8]
	s_waitcnt vmcnt(0)
	v_fma_f64 v[1:2], v[1:2], v[77:78], -v[80:81]
	v_fma_f64 v[3:4], v[3:4], v[77:78], v[7:8]
.LBB33_46:
	s_and_saveexec_b32 s8, s4
	s_cbranch_execz .LBB33_50
; %bb.47:
	v_subrev_nc_u32_e32 v7, 28, v0
	s_movk_i32 s43, 0x3e0
	s_mov_b32 s4, 0
	s_mov_b32 s44, s13
	.p2align	6
.LBB33_48:                              ; =>This Inner Loop Header: Depth=1
	v_mov_b32_e32 v8, s44
	v_add_nc_u32_e32 v7, -1, v7
	s_add_i32 s44, s44, 16
	s_clause 0x3
	buffer_load_dword v77, v8, s[0:3], 0 offen offset:8
	buffer_load_dword v78, v8, s[0:3], 0 offen offset:12
	buffer_load_dword v84, v8, s[0:3], 0 offen
	buffer_load_dword v85, v8, s[0:3], 0 offen offset:4
	v_mov_b32_e32 v8, s43
	v_cmp_eq_u32_e32 vcc_lo, 0, v7
	s_add_i32 s43, s43, 16
	ds_read_b128 v[80:83], v8
	s_or_b32 s4, vcc_lo, s4
	s_waitcnt vmcnt(2) lgkmcnt(0)
	v_mul_f64 v[86:87], v[82:83], v[77:78]
	v_mul_f64 v[77:78], v[80:81], v[77:78]
	s_waitcnt vmcnt(0)
	v_fma_f64 v[80:81], v[80:81], v[84:85], -v[86:87]
	v_fma_f64 v[77:78], v[82:83], v[84:85], v[77:78]
	v_add_f64 v[1:2], v[1:2], v[80:81]
	v_add_f64 v[3:4], v[3:4], v[77:78]
	s_andn2_b32 exec_lo, exec_lo, s4
	s_cbranch_execnz .LBB33_48
; %bb.49:
	s_or_b32 exec_lo, exec_lo, s4
.LBB33_50:
	s_or_b32 exec_lo, exec_lo, s8
	v_mov_b32_e32 v7, 0
	ds_read_b128 v[80:83], v7 offset:432
	s_waitcnt lgkmcnt(0)
	v_mul_f64 v[7:8], v[3:4], v[82:83]
	v_mul_f64 v[77:78], v[1:2], v[82:83]
	v_fma_f64 v[1:2], v[1:2], v[80:81], -v[7:8]
	v_fma_f64 v[3:4], v[3:4], v[80:81], v[77:78]
	buffer_store_dword v2, off, s[0:3], 0 offset:436
	buffer_store_dword v1, off, s[0:3], 0 offset:432
	;; [unrolled: 1-line block ×4, first 2 shown]
.LBB33_51:
	s_or_b32 exec_lo, exec_lo, s6
	v_mov_b32_e32 v4, s15
	v_cmp_lt_u32_e64 s4, 26, v0
	s_clause 0x3
	buffer_load_dword v1, v4, s[0:3], 0 offen
	buffer_load_dword v2, v4, s[0:3], 0 offen offset:4
	buffer_load_dword v3, v4, s[0:3], 0 offen offset:8
	;; [unrolled: 1-line block ×3, first 2 shown]
	s_waitcnt vmcnt(0)
	ds_write_b128 v6, v[1:4]
	s_waitcnt lgkmcnt(0)
	s_waitcnt_vscnt null, 0x0
	s_barrier
	buffer_gl0_inv
	s_and_saveexec_b32 s6, s4
	s_cbranch_execz .LBB33_59
; %bb.52:
	ds_read_b128 v[1:4], v6
	s_andn2_b32 vcc_lo, exec_lo, s42
	s_cbranch_vccnz .LBB33_54
; %bb.53:
	s_clause 0x3
	buffer_load_dword v7, v5, s[0:3], 0 offen offset:8
	buffer_load_dword v8, v5, s[0:3], 0 offen offset:12
	buffer_load_dword v77, v5, s[0:3], 0 offen
	buffer_load_dword v78, v5, s[0:3], 0 offen offset:4
	s_waitcnt vmcnt(2) lgkmcnt(0)
	v_mul_f64 v[80:81], v[3:4], v[7:8]
	v_mul_f64 v[7:8], v[1:2], v[7:8]
	s_waitcnt vmcnt(0)
	v_fma_f64 v[1:2], v[1:2], v[77:78], -v[80:81]
	v_fma_f64 v[3:4], v[3:4], v[77:78], v[7:8]
.LBB33_54:
	s_and_saveexec_b32 s8, s5
	s_cbranch_execz .LBB33_58
; %bb.55:
	v_subrev_nc_u32_e32 v7, 27, v0
	s_movk_i32 s43, 0x3d0
	s_mov_b32 s5, 0
	s_mov_b32 s44, s14
	.p2align	6
.LBB33_56:                              ; =>This Inner Loop Header: Depth=1
	v_mov_b32_e32 v8, s44
	v_add_nc_u32_e32 v7, -1, v7
	s_add_i32 s44, s44, 16
	s_clause 0x3
	buffer_load_dword v77, v8, s[0:3], 0 offen offset:8
	buffer_load_dword v78, v8, s[0:3], 0 offen offset:12
	buffer_load_dword v84, v8, s[0:3], 0 offen
	buffer_load_dword v85, v8, s[0:3], 0 offen offset:4
	v_mov_b32_e32 v8, s43
	v_cmp_eq_u32_e32 vcc_lo, 0, v7
	s_add_i32 s43, s43, 16
	ds_read_b128 v[80:83], v8
	s_or_b32 s5, vcc_lo, s5
	s_waitcnt vmcnt(2) lgkmcnt(0)
	v_mul_f64 v[86:87], v[82:83], v[77:78]
	v_mul_f64 v[77:78], v[80:81], v[77:78]
	s_waitcnt vmcnt(0)
	v_fma_f64 v[80:81], v[80:81], v[84:85], -v[86:87]
	v_fma_f64 v[77:78], v[82:83], v[84:85], v[77:78]
	v_add_f64 v[1:2], v[1:2], v[80:81]
	v_add_f64 v[3:4], v[3:4], v[77:78]
	s_andn2_b32 exec_lo, exec_lo, s5
	s_cbranch_execnz .LBB33_56
; %bb.57:
	s_or_b32 exec_lo, exec_lo, s5
.LBB33_58:
	s_or_b32 exec_lo, exec_lo, s8
	v_mov_b32_e32 v7, 0
	ds_read_b128 v[80:83], v7 offset:416
	s_waitcnt lgkmcnt(0)
	v_mul_f64 v[7:8], v[3:4], v[82:83]
	v_mul_f64 v[77:78], v[1:2], v[82:83]
	v_fma_f64 v[1:2], v[1:2], v[80:81], -v[7:8]
	v_fma_f64 v[3:4], v[3:4], v[80:81], v[77:78]
	buffer_store_dword v2, off, s[0:3], 0 offset:420
	buffer_store_dword v1, off, s[0:3], 0 offset:416
	;; [unrolled: 1-line block ×4, first 2 shown]
.LBB33_59:
	s_or_b32 exec_lo, exec_lo, s6
	v_mov_b32_e32 v4, s16
	v_cmp_lt_u32_e64 s5, 25, v0
	s_clause 0x3
	buffer_load_dword v1, v4, s[0:3], 0 offen
	buffer_load_dword v2, v4, s[0:3], 0 offen offset:4
	buffer_load_dword v3, v4, s[0:3], 0 offen offset:8
	;; [unrolled: 1-line block ×3, first 2 shown]
	s_waitcnt vmcnt(0)
	ds_write_b128 v6, v[1:4]
	s_waitcnt lgkmcnt(0)
	s_waitcnt_vscnt null, 0x0
	s_barrier
	buffer_gl0_inv
	s_and_saveexec_b32 s6, s5
	s_cbranch_execz .LBB33_67
; %bb.60:
	ds_read_b128 v[1:4], v6
	s_andn2_b32 vcc_lo, exec_lo, s42
	s_cbranch_vccnz .LBB33_62
; %bb.61:
	s_clause 0x3
	buffer_load_dword v7, v5, s[0:3], 0 offen offset:8
	buffer_load_dword v8, v5, s[0:3], 0 offen offset:12
	buffer_load_dword v77, v5, s[0:3], 0 offen
	buffer_load_dword v78, v5, s[0:3], 0 offen offset:4
	s_waitcnt vmcnt(2) lgkmcnt(0)
	v_mul_f64 v[80:81], v[3:4], v[7:8]
	v_mul_f64 v[7:8], v[1:2], v[7:8]
	s_waitcnt vmcnt(0)
	v_fma_f64 v[1:2], v[1:2], v[77:78], -v[80:81]
	v_fma_f64 v[3:4], v[3:4], v[77:78], v[7:8]
.LBB33_62:
	s_and_saveexec_b32 s8, s4
	s_cbranch_execz .LBB33_66
; %bb.63:
	v_subrev_nc_u32_e32 v7, 26, v0
	s_movk_i32 s43, 0x3c0
	s_mov_b32 s4, 0
	s_mov_b32 s44, s15
	.p2align	6
.LBB33_64:                              ; =>This Inner Loop Header: Depth=1
	v_mov_b32_e32 v8, s44
	v_add_nc_u32_e32 v7, -1, v7
	s_add_i32 s44, s44, 16
	s_clause 0x3
	buffer_load_dword v77, v8, s[0:3], 0 offen offset:8
	buffer_load_dword v78, v8, s[0:3], 0 offen offset:12
	buffer_load_dword v84, v8, s[0:3], 0 offen
	buffer_load_dword v85, v8, s[0:3], 0 offen offset:4
	v_mov_b32_e32 v8, s43
	v_cmp_eq_u32_e32 vcc_lo, 0, v7
	s_add_i32 s43, s43, 16
	ds_read_b128 v[80:83], v8
	s_or_b32 s4, vcc_lo, s4
	s_waitcnt vmcnt(2) lgkmcnt(0)
	v_mul_f64 v[86:87], v[82:83], v[77:78]
	v_mul_f64 v[77:78], v[80:81], v[77:78]
	s_waitcnt vmcnt(0)
	v_fma_f64 v[80:81], v[80:81], v[84:85], -v[86:87]
	v_fma_f64 v[77:78], v[82:83], v[84:85], v[77:78]
	v_add_f64 v[1:2], v[1:2], v[80:81]
	v_add_f64 v[3:4], v[3:4], v[77:78]
	s_andn2_b32 exec_lo, exec_lo, s4
	s_cbranch_execnz .LBB33_64
; %bb.65:
	s_or_b32 exec_lo, exec_lo, s4
.LBB33_66:
	s_or_b32 exec_lo, exec_lo, s8
	v_mov_b32_e32 v7, 0
	ds_read_b128 v[80:83], v7 offset:400
	s_waitcnt lgkmcnt(0)
	v_mul_f64 v[7:8], v[3:4], v[82:83]
	v_mul_f64 v[77:78], v[1:2], v[82:83]
	v_fma_f64 v[1:2], v[1:2], v[80:81], -v[7:8]
	v_fma_f64 v[3:4], v[3:4], v[80:81], v[77:78]
	buffer_store_dword v2, off, s[0:3], 0 offset:404
	buffer_store_dword v1, off, s[0:3], 0 offset:400
	;; [unrolled: 1-line block ×4, first 2 shown]
.LBB33_67:
	s_or_b32 exec_lo, exec_lo, s6
	v_mov_b32_e32 v4, s17
	v_cmp_lt_u32_e64 s4, 24, v0
	s_clause 0x3
	buffer_load_dword v1, v4, s[0:3], 0 offen
	buffer_load_dword v2, v4, s[0:3], 0 offen offset:4
	buffer_load_dword v3, v4, s[0:3], 0 offen offset:8
	;; [unrolled: 1-line block ×3, first 2 shown]
	s_waitcnt vmcnt(0)
	ds_write_b128 v6, v[1:4]
	s_waitcnt lgkmcnt(0)
	s_waitcnt_vscnt null, 0x0
	s_barrier
	buffer_gl0_inv
	s_and_saveexec_b32 s6, s4
	s_cbranch_execz .LBB33_75
; %bb.68:
	ds_read_b128 v[1:4], v6
	s_andn2_b32 vcc_lo, exec_lo, s42
	s_cbranch_vccnz .LBB33_70
; %bb.69:
	s_clause 0x3
	buffer_load_dword v7, v5, s[0:3], 0 offen offset:8
	buffer_load_dword v8, v5, s[0:3], 0 offen offset:12
	buffer_load_dword v77, v5, s[0:3], 0 offen
	buffer_load_dword v78, v5, s[0:3], 0 offen offset:4
	s_waitcnt vmcnt(2) lgkmcnt(0)
	v_mul_f64 v[80:81], v[3:4], v[7:8]
	v_mul_f64 v[7:8], v[1:2], v[7:8]
	s_waitcnt vmcnt(0)
	v_fma_f64 v[1:2], v[1:2], v[77:78], -v[80:81]
	v_fma_f64 v[3:4], v[3:4], v[77:78], v[7:8]
.LBB33_70:
	s_and_saveexec_b32 s8, s5
	s_cbranch_execz .LBB33_74
; %bb.71:
	v_subrev_nc_u32_e32 v7, 25, v0
	s_movk_i32 s43, 0x3b0
	s_mov_b32 s5, 0
	s_mov_b32 s44, s16
	.p2align	6
.LBB33_72:                              ; =>This Inner Loop Header: Depth=1
	v_mov_b32_e32 v8, s44
	v_add_nc_u32_e32 v7, -1, v7
	s_add_i32 s44, s44, 16
	s_clause 0x3
	buffer_load_dword v77, v8, s[0:3], 0 offen offset:8
	buffer_load_dword v78, v8, s[0:3], 0 offen offset:12
	buffer_load_dword v84, v8, s[0:3], 0 offen
	buffer_load_dword v85, v8, s[0:3], 0 offen offset:4
	v_mov_b32_e32 v8, s43
	v_cmp_eq_u32_e32 vcc_lo, 0, v7
	s_add_i32 s43, s43, 16
	ds_read_b128 v[80:83], v8
	s_or_b32 s5, vcc_lo, s5
	s_waitcnt vmcnt(2) lgkmcnt(0)
	v_mul_f64 v[86:87], v[82:83], v[77:78]
	v_mul_f64 v[77:78], v[80:81], v[77:78]
	s_waitcnt vmcnt(0)
	v_fma_f64 v[80:81], v[80:81], v[84:85], -v[86:87]
	v_fma_f64 v[77:78], v[82:83], v[84:85], v[77:78]
	v_add_f64 v[1:2], v[1:2], v[80:81]
	v_add_f64 v[3:4], v[3:4], v[77:78]
	s_andn2_b32 exec_lo, exec_lo, s5
	s_cbranch_execnz .LBB33_72
; %bb.73:
	s_or_b32 exec_lo, exec_lo, s5
.LBB33_74:
	s_or_b32 exec_lo, exec_lo, s8
	v_mov_b32_e32 v7, 0
	ds_read_b128 v[80:83], v7 offset:384
	s_waitcnt lgkmcnt(0)
	v_mul_f64 v[7:8], v[3:4], v[82:83]
	v_mul_f64 v[77:78], v[1:2], v[82:83]
	v_fma_f64 v[1:2], v[1:2], v[80:81], -v[7:8]
	v_fma_f64 v[3:4], v[3:4], v[80:81], v[77:78]
	buffer_store_dword v2, off, s[0:3], 0 offset:388
	buffer_store_dword v1, off, s[0:3], 0 offset:384
	;; [unrolled: 1-line block ×4, first 2 shown]
.LBB33_75:
	s_or_b32 exec_lo, exec_lo, s6
	v_mov_b32_e32 v4, s18
	v_cmp_lt_u32_e64 s5, 23, v0
	s_clause 0x3
	buffer_load_dword v1, v4, s[0:3], 0 offen
	buffer_load_dword v2, v4, s[0:3], 0 offen offset:4
	buffer_load_dword v3, v4, s[0:3], 0 offen offset:8
	;; [unrolled: 1-line block ×3, first 2 shown]
	s_waitcnt vmcnt(0)
	ds_write_b128 v6, v[1:4]
	s_waitcnt lgkmcnt(0)
	s_waitcnt_vscnt null, 0x0
	s_barrier
	buffer_gl0_inv
	s_and_saveexec_b32 s6, s5
	s_cbranch_execz .LBB33_83
; %bb.76:
	ds_read_b128 v[1:4], v6
	s_andn2_b32 vcc_lo, exec_lo, s42
	s_cbranch_vccnz .LBB33_78
; %bb.77:
	s_clause 0x3
	buffer_load_dword v7, v5, s[0:3], 0 offen offset:8
	buffer_load_dword v8, v5, s[0:3], 0 offen offset:12
	buffer_load_dword v77, v5, s[0:3], 0 offen
	buffer_load_dword v78, v5, s[0:3], 0 offen offset:4
	s_waitcnt vmcnt(2) lgkmcnt(0)
	v_mul_f64 v[80:81], v[3:4], v[7:8]
	v_mul_f64 v[7:8], v[1:2], v[7:8]
	s_waitcnt vmcnt(0)
	v_fma_f64 v[1:2], v[1:2], v[77:78], -v[80:81]
	v_fma_f64 v[3:4], v[3:4], v[77:78], v[7:8]
.LBB33_78:
	s_and_saveexec_b32 s8, s4
	s_cbranch_execz .LBB33_82
; %bb.79:
	v_subrev_nc_u32_e32 v7, 24, v0
	s_movk_i32 s43, 0x3a0
	s_mov_b32 s4, 0
	s_mov_b32 s44, s17
	.p2align	6
.LBB33_80:                              ; =>This Inner Loop Header: Depth=1
	v_mov_b32_e32 v8, s44
	v_add_nc_u32_e32 v7, -1, v7
	s_add_i32 s44, s44, 16
	s_clause 0x3
	buffer_load_dword v77, v8, s[0:3], 0 offen offset:8
	buffer_load_dword v78, v8, s[0:3], 0 offen offset:12
	buffer_load_dword v84, v8, s[0:3], 0 offen
	buffer_load_dword v85, v8, s[0:3], 0 offen offset:4
	v_mov_b32_e32 v8, s43
	v_cmp_eq_u32_e32 vcc_lo, 0, v7
	s_add_i32 s43, s43, 16
	ds_read_b128 v[80:83], v8
	s_or_b32 s4, vcc_lo, s4
	s_waitcnt vmcnt(2) lgkmcnt(0)
	v_mul_f64 v[86:87], v[82:83], v[77:78]
	v_mul_f64 v[77:78], v[80:81], v[77:78]
	s_waitcnt vmcnt(0)
	v_fma_f64 v[80:81], v[80:81], v[84:85], -v[86:87]
	v_fma_f64 v[77:78], v[82:83], v[84:85], v[77:78]
	v_add_f64 v[1:2], v[1:2], v[80:81]
	v_add_f64 v[3:4], v[3:4], v[77:78]
	s_andn2_b32 exec_lo, exec_lo, s4
	s_cbranch_execnz .LBB33_80
; %bb.81:
	s_or_b32 exec_lo, exec_lo, s4
.LBB33_82:
	s_or_b32 exec_lo, exec_lo, s8
	v_mov_b32_e32 v7, 0
	ds_read_b128 v[80:83], v7 offset:368
	s_waitcnt lgkmcnt(0)
	v_mul_f64 v[7:8], v[3:4], v[82:83]
	v_mul_f64 v[77:78], v[1:2], v[82:83]
	v_fma_f64 v[1:2], v[1:2], v[80:81], -v[7:8]
	v_fma_f64 v[3:4], v[3:4], v[80:81], v[77:78]
	buffer_store_dword v2, off, s[0:3], 0 offset:372
	buffer_store_dword v1, off, s[0:3], 0 offset:368
	;; [unrolled: 1-line block ×4, first 2 shown]
.LBB33_83:
	s_or_b32 exec_lo, exec_lo, s6
	v_mov_b32_e32 v4, s19
	v_cmp_lt_u32_e64 s4, 22, v0
	s_clause 0x3
	buffer_load_dword v1, v4, s[0:3], 0 offen
	buffer_load_dword v2, v4, s[0:3], 0 offen offset:4
	buffer_load_dword v3, v4, s[0:3], 0 offen offset:8
	;; [unrolled: 1-line block ×3, first 2 shown]
	s_waitcnt vmcnt(0)
	ds_write_b128 v6, v[1:4]
	s_waitcnt lgkmcnt(0)
	s_waitcnt_vscnt null, 0x0
	s_barrier
	buffer_gl0_inv
	s_and_saveexec_b32 s6, s4
	s_cbranch_execz .LBB33_91
; %bb.84:
	ds_read_b128 v[1:4], v6
	s_andn2_b32 vcc_lo, exec_lo, s42
	s_cbranch_vccnz .LBB33_86
; %bb.85:
	s_clause 0x3
	buffer_load_dword v7, v5, s[0:3], 0 offen offset:8
	buffer_load_dword v8, v5, s[0:3], 0 offen offset:12
	buffer_load_dword v77, v5, s[0:3], 0 offen
	buffer_load_dword v78, v5, s[0:3], 0 offen offset:4
	s_waitcnt vmcnt(2) lgkmcnt(0)
	v_mul_f64 v[80:81], v[3:4], v[7:8]
	v_mul_f64 v[7:8], v[1:2], v[7:8]
	s_waitcnt vmcnt(0)
	v_fma_f64 v[1:2], v[1:2], v[77:78], -v[80:81]
	v_fma_f64 v[3:4], v[3:4], v[77:78], v[7:8]
.LBB33_86:
	s_and_saveexec_b32 s8, s5
	s_cbranch_execz .LBB33_90
; %bb.87:
	v_subrev_nc_u32_e32 v7, 23, v0
	s_movk_i32 s43, 0x390
	s_mov_b32 s5, 0
	s_mov_b32 s44, s18
	.p2align	6
.LBB33_88:                              ; =>This Inner Loop Header: Depth=1
	v_mov_b32_e32 v8, s44
	v_add_nc_u32_e32 v7, -1, v7
	s_add_i32 s44, s44, 16
	s_clause 0x3
	buffer_load_dword v77, v8, s[0:3], 0 offen offset:8
	buffer_load_dword v78, v8, s[0:3], 0 offen offset:12
	buffer_load_dword v84, v8, s[0:3], 0 offen
	buffer_load_dword v85, v8, s[0:3], 0 offen offset:4
	v_mov_b32_e32 v8, s43
	v_cmp_eq_u32_e32 vcc_lo, 0, v7
	s_add_i32 s43, s43, 16
	ds_read_b128 v[80:83], v8
	s_or_b32 s5, vcc_lo, s5
	s_waitcnt vmcnt(2) lgkmcnt(0)
	v_mul_f64 v[86:87], v[82:83], v[77:78]
	v_mul_f64 v[77:78], v[80:81], v[77:78]
	s_waitcnt vmcnt(0)
	v_fma_f64 v[80:81], v[80:81], v[84:85], -v[86:87]
	v_fma_f64 v[77:78], v[82:83], v[84:85], v[77:78]
	v_add_f64 v[1:2], v[1:2], v[80:81]
	v_add_f64 v[3:4], v[3:4], v[77:78]
	s_andn2_b32 exec_lo, exec_lo, s5
	s_cbranch_execnz .LBB33_88
; %bb.89:
	s_or_b32 exec_lo, exec_lo, s5
.LBB33_90:
	s_or_b32 exec_lo, exec_lo, s8
	v_mov_b32_e32 v7, 0
	ds_read_b128 v[80:83], v7 offset:352
	s_waitcnt lgkmcnt(0)
	v_mul_f64 v[7:8], v[3:4], v[82:83]
	v_mul_f64 v[77:78], v[1:2], v[82:83]
	v_fma_f64 v[1:2], v[1:2], v[80:81], -v[7:8]
	v_fma_f64 v[3:4], v[3:4], v[80:81], v[77:78]
	buffer_store_dword v2, off, s[0:3], 0 offset:356
	buffer_store_dword v1, off, s[0:3], 0 offset:352
	;; [unrolled: 1-line block ×4, first 2 shown]
.LBB33_91:
	s_or_b32 exec_lo, exec_lo, s6
	v_mov_b32_e32 v4, s20
	v_cmp_lt_u32_e64 s5, 21, v0
	s_clause 0x3
	buffer_load_dword v1, v4, s[0:3], 0 offen
	buffer_load_dword v2, v4, s[0:3], 0 offen offset:4
	buffer_load_dword v3, v4, s[0:3], 0 offen offset:8
	;; [unrolled: 1-line block ×3, first 2 shown]
	s_waitcnt vmcnt(0)
	ds_write_b128 v6, v[1:4]
	s_waitcnt lgkmcnt(0)
	s_waitcnt_vscnt null, 0x0
	s_barrier
	buffer_gl0_inv
	s_and_saveexec_b32 s6, s5
	s_cbranch_execz .LBB33_99
; %bb.92:
	ds_read_b128 v[1:4], v6
	s_andn2_b32 vcc_lo, exec_lo, s42
	s_cbranch_vccnz .LBB33_94
; %bb.93:
	s_clause 0x3
	buffer_load_dword v7, v5, s[0:3], 0 offen offset:8
	buffer_load_dword v8, v5, s[0:3], 0 offen offset:12
	buffer_load_dword v77, v5, s[0:3], 0 offen
	buffer_load_dword v78, v5, s[0:3], 0 offen offset:4
	s_waitcnt vmcnt(2) lgkmcnt(0)
	v_mul_f64 v[80:81], v[3:4], v[7:8]
	v_mul_f64 v[7:8], v[1:2], v[7:8]
	s_waitcnt vmcnt(0)
	v_fma_f64 v[1:2], v[1:2], v[77:78], -v[80:81]
	v_fma_f64 v[3:4], v[3:4], v[77:78], v[7:8]
.LBB33_94:
	s_and_saveexec_b32 s8, s4
	s_cbranch_execz .LBB33_98
; %bb.95:
	v_subrev_nc_u32_e32 v7, 22, v0
	s_movk_i32 s43, 0x380
	s_mov_b32 s4, 0
	s_mov_b32 s44, s19
	.p2align	6
.LBB33_96:                              ; =>This Inner Loop Header: Depth=1
	v_mov_b32_e32 v8, s44
	v_add_nc_u32_e32 v7, -1, v7
	s_add_i32 s44, s44, 16
	s_clause 0x3
	buffer_load_dword v77, v8, s[0:3], 0 offen offset:8
	buffer_load_dword v78, v8, s[0:3], 0 offen offset:12
	buffer_load_dword v84, v8, s[0:3], 0 offen
	buffer_load_dword v85, v8, s[0:3], 0 offen offset:4
	v_mov_b32_e32 v8, s43
	v_cmp_eq_u32_e32 vcc_lo, 0, v7
	s_add_i32 s43, s43, 16
	ds_read_b128 v[80:83], v8
	s_or_b32 s4, vcc_lo, s4
	s_waitcnt vmcnt(2) lgkmcnt(0)
	v_mul_f64 v[86:87], v[82:83], v[77:78]
	v_mul_f64 v[77:78], v[80:81], v[77:78]
	s_waitcnt vmcnt(0)
	v_fma_f64 v[80:81], v[80:81], v[84:85], -v[86:87]
	v_fma_f64 v[77:78], v[82:83], v[84:85], v[77:78]
	v_add_f64 v[1:2], v[1:2], v[80:81]
	v_add_f64 v[3:4], v[3:4], v[77:78]
	s_andn2_b32 exec_lo, exec_lo, s4
	s_cbranch_execnz .LBB33_96
; %bb.97:
	s_or_b32 exec_lo, exec_lo, s4
.LBB33_98:
	s_or_b32 exec_lo, exec_lo, s8
	v_mov_b32_e32 v7, 0
	ds_read_b128 v[80:83], v7 offset:336
	s_waitcnt lgkmcnt(0)
	v_mul_f64 v[7:8], v[3:4], v[82:83]
	v_mul_f64 v[77:78], v[1:2], v[82:83]
	v_fma_f64 v[1:2], v[1:2], v[80:81], -v[7:8]
	v_fma_f64 v[3:4], v[3:4], v[80:81], v[77:78]
	buffer_store_dword v2, off, s[0:3], 0 offset:340
	buffer_store_dword v1, off, s[0:3], 0 offset:336
	buffer_store_dword v4, off, s[0:3], 0 offset:348
	buffer_store_dword v3, off, s[0:3], 0 offset:344
.LBB33_99:
	s_or_b32 exec_lo, exec_lo, s6
	v_mov_b32_e32 v4, s21
	v_cmp_lt_u32_e64 s4, 20, v0
	s_clause 0x3
	buffer_load_dword v1, v4, s[0:3], 0 offen
	buffer_load_dword v2, v4, s[0:3], 0 offen offset:4
	buffer_load_dword v3, v4, s[0:3], 0 offen offset:8
	;; [unrolled: 1-line block ×3, first 2 shown]
	s_waitcnt vmcnt(0)
	ds_write_b128 v6, v[1:4]
	s_waitcnt lgkmcnt(0)
	s_waitcnt_vscnt null, 0x0
	s_barrier
	buffer_gl0_inv
	s_and_saveexec_b32 s6, s4
	s_cbranch_execz .LBB33_107
; %bb.100:
	ds_read_b128 v[1:4], v6
	s_andn2_b32 vcc_lo, exec_lo, s42
	s_cbranch_vccnz .LBB33_102
; %bb.101:
	s_clause 0x3
	buffer_load_dword v7, v5, s[0:3], 0 offen offset:8
	buffer_load_dword v8, v5, s[0:3], 0 offen offset:12
	buffer_load_dword v77, v5, s[0:3], 0 offen
	buffer_load_dword v78, v5, s[0:3], 0 offen offset:4
	s_waitcnt vmcnt(2) lgkmcnt(0)
	v_mul_f64 v[80:81], v[3:4], v[7:8]
	v_mul_f64 v[7:8], v[1:2], v[7:8]
	s_waitcnt vmcnt(0)
	v_fma_f64 v[1:2], v[1:2], v[77:78], -v[80:81]
	v_fma_f64 v[3:4], v[3:4], v[77:78], v[7:8]
.LBB33_102:
	s_and_saveexec_b32 s8, s5
	s_cbranch_execz .LBB33_106
; %bb.103:
	v_subrev_nc_u32_e32 v7, 21, v0
	s_movk_i32 s43, 0x370
	s_mov_b32 s5, 0
	s_mov_b32 s44, s20
	.p2align	6
.LBB33_104:                             ; =>This Inner Loop Header: Depth=1
	v_mov_b32_e32 v8, s44
	v_add_nc_u32_e32 v7, -1, v7
	s_add_i32 s44, s44, 16
	s_clause 0x3
	buffer_load_dword v77, v8, s[0:3], 0 offen offset:8
	buffer_load_dword v78, v8, s[0:3], 0 offen offset:12
	buffer_load_dword v84, v8, s[0:3], 0 offen
	buffer_load_dword v85, v8, s[0:3], 0 offen offset:4
	v_mov_b32_e32 v8, s43
	v_cmp_eq_u32_e32 vcc_lo, 0, v7
	s_add_i32 s43, s43, 16
	ds_read_b128 v[80:83], v8
	s_or_b32 s5, vcc_lo, s5
	s_waitcnt vmcnt(2) lgkmcnt(0)
	v_mul_f64 v[86:87], v[82:83], v[77:78]
	v_mul_f64 v[77:78], v[80:81], v[77:78]
	s_waitcnt vmcnt(0)
	v_fma_f64 v[80:81], v[80:81], v[84:85], -v[86:87]
	v_fma_f64 v[77:78], v[82:83], v[84:85], v[77:78]
	v_add_f64 v[1:2], v[1:2], v[80:81]
	v_add_f64 v[3:4], v[3:4], v[77:78]
	s_andn2_b32 exec_lo, exec_lo, s5
	s_cbranch_execnz .LBB33_104
; %bb.105:
	s_or_b32 exec_lo, exec_lo, s5
.LBB33_106:
	s_or_b32 exec_lo, exec_lo, s8
	v_mov_b32_e32 v7, 0
	ds_read_b128 v[80:83], v7 offset:320
	s_waitcnt lgkmcnt(0)
	v_mul_f64 v[7:8], v[3:4], v[82:83]
	v_mul_f64 v[77:78], v[1:2], v[82:83]
	v_fma_f64 v[1:2], v[1:2], v[80:81], -v[7:8]
	v_fma_f64 v[3:4], v[3:4], v[80:81], v[77:78]
	buffer_store_dword v2, off, s[0:3], 0 offset:324
	buffer_store_dword v1, off, s[0:3], 0 offset:320
	;; [unrolled: 1-line block ×4, first 2 shown]
.LBB33_107:
	s_or_b32 exec_lo, exec_lo, s6
	v_mov_b32_e32 v4, s22
	v_cmp_lt_u32_e64 s5, 19, v0
	s_clause 0x3
	buffer_load_dword v1, v4, s[0:3], 0 offen
	buffer_load_dword v2, v4, s[0:3], 0 offen offset:4
	buffer_load_dword v3, v4, s[0:3], 0 offen offset:8
	;; [unrolled: 1-line block ×3, first 2 shown]
	s_waitcnt vmcnt(0)
	ds_write_b128 v6, v[1:4]
	s_waitcnt lgkmcnt(0)
	s_waitcnt_vscnt null, 0x0
	s_barrier
	buffer_gl0_inv
	s_and_saveexec_b32 s6, s5
	s_cbranch_execz .LBB33_115
; %bb.108:
	ds_read_b128 v[1:4], v6
	s_andn2_b32 vcc_lo, exec_lo, s42
	s_cbranch_vccnz .LBB33_110
; %bb.109:
	s_clause 0x3
	buffer_load_dword v7, v5, s[0:3], 0 offen offset:8
	buffer_load_dword v8, v5, s[0:3], 0 offen offset:12
	buffer_load_dword v77, v5, s[0:3], 0 offen
	buffer_load_dword v78, v5, s[0:3], 0 offen offset:4
	s_waitcnt vmcnt(2) lgkmcnt(0)
	v_mul_f64 v[80:81], v[3:4], v[7:8]
	v_mul_f64 v[7:8], v[1:2], v[7:8]
	s_waitcnt vmcnt(0)
	v_fma_f64 v[1:2], v[1:2], v[77:78], -v[80:81]
	v_fma_f64 v[3:4], v[3:4], v[77:78], v[7:8]
.LBB33_110:
	s_and_saveexec_b32 s8, s4
	s_cbranch_execz .LBB33_114
; %bb.111:
	v_subrev_nc_u32_e32 v7, 20, v0
	s_movk_i32 s43, 0x360
	s_mov_b32 s4, 0
	s_mov_b32 s44, s21
	.p2align	6
.LBB33_112:                             ; =>This Inner Loop Header: Depth=1
	v_mov_b32_e32 v8, s44
	v_add_nc_u32_e32 v7, -1, v7
	s_add_i32 s44, s44, 16
	s_clause 0x3
	buffer_load_dword v77, v8, s[0:3], 0 offen offset:8
	buffer_load_dword v78, v8, s[0:3], 0 offen offset:12
	buffer_load_dword v84, v8, s[0:3], 0 offen
	buffer_load_dword v85, v8, s[0:3], 0 offen offset:4
	v_mov_b32_e32 v8, s43
	v_cmp_eq_u32_e32 vcc_lo, 0, v7
	s_add_i32 s43, s43, 16
	ds_read_b128 v[80:83], v8
	s_or_b32 s4, vcc_lo, s4
	s_waitcnt vmcnt(2) lgkmcnt(0)
	v_mul_f64 v[86:87], v[82:83], v[77:78]
	v_mul_f64 v[77:78], v[80:81], v[77:78]
	s_waitcnt vmcnt(0)
	v_fma_f64 v[80:81], v[80:81], v[84:85], -v[86:87]
	v_fma_f64 v[77:78], v[82:83], v[84:85], v[77:78]
	v_add_f64 v[1:2], v[1:2], v[80:81]
	v_add_f64 v[3:4], v[3:4], v[77:78]
	s_andn2_b32 exec_lo, exec_lo, s4
	s_cbranch_execnz .LBB33_112
; %bb.113:
	s_or_b32 exec_lo, exec_lo, s4
.LBB33_114:
	s_or_b32 exec_lo, exec_lo, s8
	v_mov_b32_e32 v7, 0
	ds_read_b128 v[80:83], v7 offset:304
	s_waitcnt lgkmcnt(0)
	v_mul_f64 v[7:8], v[3:4], v[82:83]
	v_mul_f64 v[77:78], v[1:2], v[82:83]
	v_fma_f64 v[1:2], v[1:2], v[80:81], -v[7:8]
	v_fma_f64 v[3:4], v[3:4], v[80:81], v[77:78]
	buffer_store_dword v2, off, s[0:3], 0 offset:308
	buffer_store_dword v1, off, s[0:3], 0 offset:304
	;; [unrolled: 1-line block ×4, first 2 shown]
.LBB33_115:
	s_or_b32 exec_lo, exec_lo, s6
	v_mov_b32_e32 v4, s23
	v_cmp_lt_u32_e64 s4, 18, v0
	s_clause 0x3
	buffer_load_dword v1, v4, s[0:3], 0 offen
	buffer_load_dword v2, v4, s[0:3], 0 offen offset:4
	buffer_load_dword v3, v4, s[0:3], 0 offen offset:8
	;; [unrolled: 1-line block ×3, first 2 shown]
	s_waitcnt vmcnt(0)
	ds_write_b128 v6, v[1:4]
	s_waitcnt lgkmcnt(0)
	s_waitcnt_vscnt null, 0x0
	s_barrier
	buffer_gl0_inv
	s_and_saveexec_b32 s6, s4
	s_cbranch_execz .LBB33_123
; %bb.116:
	ds_read_b128 v[1:4], v6
	s_andn2_b32 vcc_lo, exec_lo, s42
	s_cbranch_vccnz .LBB33_118
; %bb.117:
	s_clause 0x3
	buffer_load_dword v7, v5, s[0:3], 0 offen offset:8
	buffer_load_dword v8, v5, s[0:3], 0 offen offset:12
	buffer_load_dword v77, v5, s[0:3], 0 offen
	buffer_load_dword v78, v5, s[0:3], 0 offen offset:4
	s_waitcnt vmcnt(2) lgkmcnt(0)
	v_mul_f64 v[80:81], v[3:4], v[7:8]
	v_mul_f64 v[7:8], v[1:2], v[7:8]
	s_waitcnt vmcnt(0)
	v_fma_f64 v[1:2], v[1:2], v[77:78], -v[80:81]
	v_fma_f64 v[3:4], v[3:4], v[77:78], v[7:8]
.LBB33_118:
	s_and_saveexec_b32 s8, s5
	s_cbranch_execz .LBB33_122
; %bb.119:
	v_subrev_nc_u32_e32 v7, 19, v0
	s_movk_i32 s43, 0x350
	s_mov_b32 s5, 0
	s_mov_b32 s44, s22
	.p2align	6
.LBB33_120:                             ; =>This Inner Loop Header: Depth=1
	v_mov_b32_e32 v8, s44
	v_add_nc_u32_e32 v7, -1, v7
	s_add_i32 s44, s44, 16
	s_clause 0x3
	buffer_load_dword v77, v8, s[0:3], 0 offen offset:8
	buffer_load_dword v78, v8, s[0:3], 0 offen offset:12
	buffer_load_dword v84, v8, s[0:3], 0 offen
	buffer_load_dword v85, v8, s[0:3], 0 offen offset:4
	v_mov_b32_e32 v8, s43
	v_cmp_eq_u32_e32 vcc_lo, 0, v7
	s_add_i32 s43, s43, 16
	ds_read_b128 v[80:83], v8
	s_or_b32 s5, vcc_lo, s5
	s_waitcnt vmcnt(2) lgkmcnt(0)
	v_mul_f64 v[86:87], v[82:83], v[77:78]
	v_mul_f64 v[77:78], v[80:81], v[77:78]
	s_waitcnt vmcnt(0)
	v_fma_f64 v[80:81], v[80:81], v[84:85], -v[86:87]
	v_fma_f64 v[77:78], v[82:83], v[84:85], v[77:78]
	v_add_f64 v[1:2], v[1:2], v[80:81]
	v_add_f64 v[3:4], v[3:4], v[77:78]
	s_andn2_b32 exec_lo, exec_lo, s5
	s_cbranch_execnz .LBB33_120
; %bb.121:
	s_or_b32 exec_lo, exec_lo, s5
.LBB33_122:
	s_or_b32 exec_lo, exec_lo, s8
	v_mov_b32_e32 v7, 0
	ds_read_b128 v[80:83], v7 offset:288
	s_waitcnt lgkmcnt(0)
	v_mul_f64 v[7:8], v[3:4], v[82:83]
	v_mul_f64 v[77:78], v[1:2], v[82:83]
	v_fma_f64 v[1:2], v[1:2], v[80:81], -v[7:8]
	v_fma_f64 v[3:4], v[3:4], v[80:81], v[77:78]
	buffer_store_dword v2, off, s[0:3], 0 offset:292
	buffer_store_dword v1, off, s[0:3], 0 offset:288
	;; [unrolled: 1-line block ×4, first 2 shown]
.LBB33_123:
	s_or_b32 exec_lo, exec_lo, s6
	v_mov_b32_e32 v4, s24
	v_cmp_lt_u32_e64 s5, 17, v0
	s_clause 0x3
	buffer_load_dword v1, v4, s[0:3], 0 offen
	buffer_load_dword v2, v4, s[0:3], 0 offen offset:4
	buffer_load_dword v3, v4, s[0:3], 0 offen offset:8
	;; [unrolled: 1-line block ×3, first 2 shown]
	s_waitcnt vmcnt(0)
	ds_write_b128 v6, v[1:4]
	s_waitcnt lgkmcnt(0)
	s_waitcnt_vscnt null, 0x0
	s_barrier
	buffer_gl0_inv
	s_and_saveexec_b32 s6, s5
	s_cbranch_execz .LBB33_131
; %bb.124:
	ds_read_b128 v[1:4], v6
	s_andn2_b32 vcc_lo, exec_lo, s42
	s_cbranch_vccnz .LBB33_126
; %bb.125:
	s_clause 0x3
	buffer_load_dword v7, v5, s[0:3], 0 offen offset:8
	buffer_load_dword v8, v5, s[0:3], 0 offen offset:12
	buffer_load_dword v77, v5, s[0:3], 0 offen
	buffer_load_dword v78, v5, s[0:3], 0 offen offset:4
	s_waitcnt vmcnt(2) lgkmcnt(0)
	v_mul_f64 v[80:81], v[3:4], v[7:8]
	v_mul_f64 v[7:8], v[1:2], v[7:8]
	s_waitcnt vmcnt(0)
	v_fma_f64 v[1:2], v[1:2], v[77:78], -v[80:81]
	v_fma_f64 v[3:4], v[3:4], v[77:78], v[7:8]
.LBB33_126:
	s_and_saveexec_b32 s8, s4
	s_cbranch_execz .LBB33_130
; %bb.127:
	v_subrev_nc_u32_e32 v7, 18, v0
	s_movk_i32 s43, 0x340
	s_mov_b32 s4, 0
	s_mov_b32 s44, s23
	.p2align	6
.LBB33_128:                             ; =>This Inner Loop Header: Depth=1
	v_mov_b32_e32 v8, s44
	v_add_nc_u32_e32 v7, -1, v7
	s_add_i32 s44, s44, 16
	s_clause 0x3
	buffer_load_dword v77, v8, s[0:3], 0 offen offset:8
	buffer_load_dword v78, v8, s[0:3], 0 offen offset:12
	buffer_load_dword v84, v8, s[0:3], 0 offen
	buffer_load_dword v85, v8, s[0:3], 0 offen offset:4
	v_mov_b32_e32 v8, s43
	v_cmp_eq_u32_e32 vcc_lo, 0, v7
	s_add_i32 s43, s43, 16
	ds_read_b128 v[80:83], v8
	s_or_b32 s4, vcc_lo, s4
	s_waitcnt vmcnt(2) lgkmcnt(0)
	v_mul_f64 v[86:87], v[82:83], v[77:78]
	v_mul_f64 v[77:78], v[80:81], v[77:78]
	s_waitcnt vmcnt(0)
	v_fma_f64 v[80:81], v[80:81], v[84:85], -v[86:87]
	v_fma_f64 v[77:78], v[82:83], v[84:85], v[77:78]
	v_add_f64 v[1:2], v[1:2], v[80:81]
	v_add_f64 v[3:4], v[3:4], v[77:78]
	s_andn2_b32 exec_lo, exec_lo, s4
	s_cbranch_execnz .LBB33_128
; %bb.129:
	s_or_b32 exec_lo, exec_lo, s4
.LBB33_130:
	s_or_b32 exec_lo, exec_lo, s8
	v_mov_b32_e32 v7, 0
	ds_read_b128 v[80:83], v7 offset:272
	s_waitcnt lgkmcnt(0)
	v_mul_f64 v[7:8], v[3:4], v[82:83]
	v_mul_f64 v[77:78], v[1:2], v[82:83]
	v_fma_f64 v[1:2], v[1:2], v[80:81], -v[7:8]
	v_fma_f64 v[3:4], v[3:4], v[80:81], v[77:78]
	buffer_store_dword v2, off, s[0:3], 0 offset:276
	buffer_store_dword v1, off, s[0:3], 0 offset:272
	;; [unrolled: 1-line block ×4, first 2 shown]
.LBB33_131:
	s_or_b32 exec_lo, exec_lo, s6
	v_mov_b32_e32 v4, s25
	v_cmp_lt_u32_e64 s4, 16, v0
	s_clause 0x3
	buffer_load_dword v1, v4, s[0:3], 0 offen
	buffer_load_dword v2, v4, s[0:3], 0 offen offset:4
	buffer_load_dword v3, v4, s[0:3], 0 offen offset:8
	;; [unrolled: 1-line block ×3, first 2 shown]
	s_waitcnt vmcnt(0)
	ds_write_b128 v6, v[1:4]
	s_waitcnt lgkmcnt(0)
	s_waitcnt_vscnt null, 0x0
	s_barrier
	buffer_gl0_inv
	s_and_saveexec_b32 s6, s4
	s_cbranch_execz .LBB33_139
; %bb.132:
	ds_read_b128 v[1:4], v6
	s_andn2_b32 vcc_lo, exec_lo, s42
	s_cbranch_vccnz .LBB33_134
; %bb.133:
	s_clause 0x3
	buffer_load_dword v7, v5, s[0:3], 0 offen offset:8
	buffer_load_dword v8, v5, s[0:3], 0 offen offset:12
	buffer_load_dword v77, v5, s[0:3], 0 offen
	buffer_load_dword v78, v5, s[0:3], 0 offen offset:4
	s_waitcnt vmcnt(2) lgkmcnt(0)
	v_mul_f64 v[80:81], v[3:4], v[7:8]
	v_mul_f64 v[7:8], v[1:2], v[7:8]
	s_waitcnt vmcnt(0)
	v_fma_f64 v[1:2], v[1:2], v[77:78], -v[80:81]
	v_fma_f64 v[3:4], v[3:4], v[77:78], v[7:8]
.LBB33_134:
	s_and_saveexec_b32 s8, s5
	s_cbranch_execz .LBB33_138
; %bb.135:
	v_subrev_nc_u32_e32 v7, 17, v0
	s_movk_i32 s43, 0x330
	s_mov_b32 s5, 0
	s_mov_b32 s44, s24
	.p2align	6
.LBB33_136:                             ; =>This Inner Loop Header: Depth=1
	v_mov_b32_e32 v8, s44
	v_add_nc_u32_e32 v7, -1, v7
	s_add_i32 s44, s44, 16
	s_clause 0x3
	buffer_load_dword v77, v8, s[0:3], 0 offen offset:8
	buffer_load_dword v78, v8, s[0:3], 0 offen offset:12
	buffer_load_dword v84, v8, s[0:3], 0 offen
	buffer_load_dword v85, v8, s[0:3], 0 offen offset:4
	v_mov_b32_e32 v8, s43
	v_cmp_eq_u32_e32 vcc_lo, 0, v7
	s_add_i32 s43, s43, 16
	ds_read_b128 v[80:83], v8
	s_or_b32 s5, vcc_lo, s5
	s_waitcnt vmcnt(2) lgkmcnt(0)
	v_mul_f64 v[86:87], v[82:83], v[77:78]
	v_mul_f64 v[77:78], v[80:81], v[77:78]
	s_waitcnt vmcnt(0)
	v_fma_f64 v[80:81], v[80:81], v[84:85], -v[86:87]
	v_fma_f64 v[77:78], v[82:83], v[84:85], v[77:78]
	v_add_f64 v[1:2], v[1:2], v[80:81]
	v_add_f64 v[3:4], v[3:4], v[77:78]
	s_andn2_b32 exec_lo, exec_lo, s5
	s_cbranch_execnz .LBB33_136
; %bb.137:
	s_or_b32 exec_lo, exec_lo, s5
.LBB33_138:
	s_or_b32 exec_lo, exec_lo, s8
	v_mov_b32_e32 v7, 0
	ds_read_b128 v[80:83], v7 offset:256
	s_waitcnt lgkmcnt(0)
	v_mul_f64 v[7:8], v[3:4], v[82:83]
	v_mul_f64 v[77:78], v[1:2], v[82:83]
	v_fma_f64 v[1:2], v[1:2], v[80:81], -v[7:8]
	v_fma_f64 v[3:4], v[3:4], v[80:81], v[77:78]
	buffer_store_dword v2, off, s[0:3], 0 offset:260
	buffer_store_dword v1, off, s[0:3], 0 offset:256
	;; [unrolled: 1-line block ×4, first 2 shown]
.LBB33_139:
	s_or_b32 exec_lo, exec_lo, s6
	v_mov_b32_e32 v4, s26
	v_cmp_lt_u32_e64 s5, 15, v0
	s_clause 0x3
	buffer_load_dword v1, v4, s[0:3], 0 offen
	buffer_load_dword v2, v4, s[0:3], 0 offen offset:4
	buffer_load_dword v3, v4, s[0:3], 0 offen offset:8
	;; [unrolled: 1-line block ×3, first 2 shown]
	s_waitcnt vmcnt(0)
	ds_write_b128 v6, v[1:4]
	s_waitcnt lgkmcnt(0)
	s_waitcnt_vscnt null, 0x0
	s_barrier
	buffer_gl0_inv
	s_and_saveexec_b32 s6, s5
	s_cbranch_execz .LBB33_147
; %bb.140:
	ds_read_b128 v[1:4], v6
	s_andn2_b32 vcc_lo, exec_lo, s42
	s_cbranch_vccnz .LBB33_142
; %bb.141:
	s_clause 0x3
	buffer_load_dword v7, v5, s[0:3], 0 offen offset:8
	buffer_load_dword v8, v5, s[0:3], 0 offen offset:12
	buffer_load_dword v77, v5, s[0:3], 0 offen
	buffer_load_dword v78, v5, s[0:3], 0 offen offset:4
	s_waitcnt vmcnt(2) lgkmcnt(0)
	v_mul_f64 v[80:81], v[3:4], v[7:8]
	v_mul_f64 v[7:8], v[1:2], v[7:8]
	s_waitcnt vmcnt(0)
	v_fma_f64 v[1:2], v[1:2], v[77:78], -v[80:81]
	v_fma_f64 v[3:4], v[3:4], v[77:78], v[7:8]
.LBB33_142:
	s_and_saveexec_b32 s8, s4
	s_cbranch_execz .LBB33_146
; %bb.143:
	v_add_nc_u32_e32 v7, -16, v0
	s_movk_i32 s43, 0x320
	s_mov_b32 s4, 0
	s_mov_b32 s44, s25
	.p2align	6
.LBB33_144:                             ; =>This Inner Loop Header: Depth=1
	v_mov_b32_e32 v8, s44
	v_add_nc_u32_e32 v7, -1, v7
	s_add_i32 s44, s44, 16
	s_clause 0x3
	buffer_load_dword v77, v8, s[0:3], 0 offen offset:8
	buffer_load_dword v78, v8, s[0:3], 0 offen offset:12
	buffer_load_dword v84, v8, s[0:3], 0 offen
	buffer_load_dword v85, v8, s[0:3], 0 offen offset:4
	v_mov_b32_e32 v8, s43
	v_cmp_eq_u32_e32 vcc_lo, 0, v7
	s_add_i32 s43, s43, 16
	ds_read_b128 v[80:83], v8
	s_or_b32 s4, vcc_lo, s4
	s_waitcnt vmcnt(2) lgkmcnt(0)
	v_mul_f64 v[86:87], v[82:83], v[77:78]
	v_mul_f64 v[77:78], v[80:81], v[77:78]
	s_waitcnt vmcnt(0)
	v_fma_f64 v[80:81], v[80:81], v[84:85], -v[86:87]
	v_fma_f64 v[77:78], v[82:83], v[84:85], v[77:78]
	v_add_f64 v[1:2], v[1:2], v[80:81]
	v_add_f64 v[3:4], v[3:4], v[77:78]
	s_andn2_b32 exec_lo, exec_lo, s4
	s_cbranch_execnz .LBB33_144
; %bb.145:
	s_or_b32 exec_lo, exec_lo, s4
.LBB33_146:
	s_or_b32 exec_lo, exec_lo, s8
	v_mov_b32_e32 v7, 0
	ds_read_b128 v[80:83], v7 offset:240
	s_waitcnt lgkmcnt(0)
	v_mul_f64 v[7:8], v[3:4], v[82:83]
	v_mul_f64 v[77:78], v[1:2], v[82:83]
	v_fma_f64 v[1:2], v[1:2], v[80:81], -v[7:8]
	v_fma_f64 v[3:4], v[3:4], v[80:81], v[77:78]
	buffer_store_dword v2, off, s[0:3], 0 offset:244
	buffer_store_dword v1, off, s[0:3], 0 offset:240
	;; [unrolled: 1-line block ×4, first 2 shown]
.LBB33_147:
	s_or_b32 exec_lo, exec_lo, s6
	v_mov_b32_e32 v4, s27
	v_cmp_lt_u32_e64 s4, 14, v0
	s_clause 0x3
	buffer_load_dword v1, v4, s[0:3], 0 offen
	buffer_load_dword v2, v4, s[0:3], 0 offen offset:4
	buffer_load_dword v3, v4, s[0:3], 0 offen offset:8
	;; [unrolled: 1-line block ×3, first 2 shown]
	s_waitcnt vmcnt(0)
	ds_write_b128 v6, v[1:4]
	s_waitcnt lgkmcnt(0)
	s_waitcnt_vscnt null, 0x0
	s_barrier
	buffer_gl0_inv
	s_and_saveexec_b32 s6, s4
	s_cbranch_execz .LBB33_155
; %bb.148:
	ds_read_b128 v[1:4], v6
	s_andn2_b32 vcc_lo, exec_lo, s42
	s_cbranch_vccnz .LBB33_150
; %bb.149:
	s_clause 0x3
	buffer_load_dword v7, v5, s[0:3], 0 offen offset:8
	buffer_load_dword v8, v5, s[0:3], 0 offen offset:12
	buffer_load_dword v77, v5, s[0:3], 0 offen
	buffer_load_dword v78, v5, s[0:3], 0 offen offset:4
	s_waitcnt vmcnt(2) lgkmcnt(0)
	v_mul_f64 v[80:81], v[3:4], v[7:8]
	v_mul_f64 v[7:8], v[1:2], v[7:8]
	s_waitcnt vmcnt(0)
	v_fma_f64 v[1:2], v[1:2], v[77:78], -v[80:81]
	v_fma_f64 v[3:4], v[3:4], v[77:78], v[7:8]
.LBB33_150:
	s_and_saveexec_b32 s8, s5
	s_cbranch_execz .LBB33_154
; %bb.151:
	v_add_nc_u32_e32 v7, -15, v0
	s_movk_i32 s43, 0x310
	s_mov_b32 s5, 0
	s_mov_b32 s44, s26
	.p2align	6
.LBB33_152:                             ; =>This Inner Loop Header: Depth=1
	v_mov_b32_e32 v8, s44
	v_add_nc_u32_e32 v7, -1, v7
	s_add_i32 s44, s44, 16
	s_clause 0x3
	buffer_load_dword v77, v8, s[0:3], 0 offen offset:8
	buffer_load_dword v78, v8, s[0:3], 0 offen offset:12
	buffer_load_dword v84, v8, s[0:3], 0 offen
	buffer_load_dword v85, v8, s[0:3], 0 offen offset:4
	v_mov_b32_e32 v8, s43
	v_cmp_eq_u32_e32 vcc_lo, 0, v7
	s_add_i32 s43, s43, 16
	ds_read_b128 v[80:83], v8
	s_or_b32 s5, vcc_lo, s5
	s_waitcnt vmcnt(2) lgkmcnt(0)
	v_mul_f64 v[86:87], v[82:83], v[77:78]
	v_mul_f64 v[77:78], v[80:81], v[77:78]
	s_waitcnt vmcnt(0)
	v_fma_f64 v[80:81], v[80:81], v[84:85], -v[86:87]
	v_fma_f64 v[77:78], v[82:83], v[84:85], v[77:78]
	v_add_f64 v[1:2], v[1:2], v[80:81]
	v_add_f64 v[3:4], v[3:4], v[77:78]
	s_andn2_b32 exec_lo, exec_lo, s5
	s_cbranch_execnz .LBB33_152
; %bb.153:
	s_or_b32 exec_lo, exec_lo, s5
.LBB33_154:
	s_or_b32 exec_lo, exec_lo, s8
	v_mov_b32_e32 v7, 0
	ds_read_b128 v[80:83], v7 offset:224
	s_waitcnt lgkmcnt(0)
	v_mul_f64 v[7:8], v[3:4], v[82:83]
	v_mul_f64 v[77:78], v[1:2], v[82:83]
	v_fma_f64 v[1:2], v[1:2], v[80:81], -v[7:8]
	v_fma_f64 v[3:4], v[3:4], v[80:81], v[77:78]
	buffer_store_dword v2, off, s[0:3], 0 offset:228
	buffer_store_dword v1, off, s[0:3], 0 offset:224
	;; [unrolled: 1-line block ×4, first 2 shown]
.LBB33_155:
	s_or_b32 exec_lo, exec_lo, s6
	v_mov_b32_e32 v4, s28
	v_cmp_lt_u32_e64 s5, 13, v0
	s_clause 0x3
	buffer_load_dword v1, v4, s[0:3], 0 offen
	buffer_load_dword v2, v4, s[0:3], 0 offen offset:4
	buffer_load_dword v3, v4, s[0:3], 0 offen offset:8
	;; [unrolled: 1-line block ×3, first 2 shown]
	s_waitcnt vmcnt(0)
	ds_write_b128 v6, v[1:4]
	s_waitcnt lgkmcnt(0)
	s_waitcnt_vscnt null, 0x0
	s_barrier
	buffer_gl0_inv
	s_and_saveexec_b32 s6, s5
	s_cbranch_execz .LBB33_163
; %bb.156:
	ds_read_b128 v[1:4], v6
	s_andn2_b32 vcc_lo, exec_lo, s42
	s_cbranch_vccnz .LBB33_158
; %bb.157:
	s_clause 0x3
	buffer_load_dword v7, v5, s[0:3], 0 offen offset:8
	buffer_load_dword v8, v5, s[0:3], 0 offen offset:12
	buffer_load_dword v77, v5, s[0:3], 0 offen
	buffer_load_dword v78, v5, s[0:3], 0 offen offset:4
	s_waitcnt vmcnt(2) lgkmcnt(0)
	v_mul_f64 v[80:81], v[3:4], v[7:8]
	v_mul_f64 v[7:8], v[1:2], v[7:8]
	s_waitcnt vmcnt(0)
	v_fma_f64 v[1:2], v[1:2], v[77:78], -v[80:81]
	v_fma_f64 v[3:4], v[3:4], v[77:78], v[7:8]
.LBB33_158:
	s_and_saveexec_b32 s8, s4
	s_cbranch_execz .LBB33_162
; %bb.159:
	v_add_nc_u32_e32 v7, -14, v0
	s_movk_i32 s43, 0x300
	s_mov_b32 s4, 0
	s_mov_b32 s44, s27
	.p2align	6
.LBB33_160:                             ; =>This Inner Loop Header: Depth=1
	v_mov_b32_e32 v8, s44
	v_add_nc_u32_e32 v7, -1, v7
	s_add_i32 s44, s44, 16
	s_clause 0x3
	buffer_load_dword v77, v8, s[0:3], 0 offen offset:8
	buffer_load_dword v78, v8, s[0:3], 0 offen offset:12
	buffer_load_dword v84, v8, s[0:3], 0 offen
	buffer_load_dword v85, v8, s[0:3], 0 offen offset:4
	v_mov_b32_e32 v8, s43
	v_cmp_eq_u32_e32 vcc_lo, 0, v7
	s_add_i32 s43, s43, 16
	ds_read_b128 v[80:83], v8
	s_or_b32 s4, vcc_lo, s4
	s_waitcnt vmcnt(2) lgkmcnt(0)
	v_mul_f64 v[86:87], v[82:83], v[77:78]
	v_mul_f64 v[77:78], v[80:81], v[77:78]
	s_waitcnt vmcnt(0)
	v_fma_f64 v[80:81], v[80:81], v[84:85], -v[86:87]
	v_fma_f64 v[77:78], v[82:83], v[84:85], v[77:78]
	v_add_f64 v[1:2], v[1:2], v[80:81]
	v_add_f64 v[3:4], v[3:4], v[77:78]
	s_andn2_b32 exec_lo, exec_lo, s4
	s_cbranch_execnz .LBB33_160
; %bb.161:
	s_or_b32 exec_lo, exec_lo, s4
.LBB33_162:
	s_or_b32 exec_lo, exec_lo, s8
	v_mov_b32_e32 v7, 0
	ds_read_b128 v[80:83], v7 offset:208
	s_waitcnt lgkmcnt(0)
	v_mul_f64 v[7:8], v[3:4], v[82:83]
	v_mul_f64 v[77:78], v[1:2], v[82:83]
	v_fma_f64 v[1:2], v[1:2], v[80:81], -v[7:8]
	v_fma_f64 v[3:4], v[3:4], v[80:81], v[77:78]
	buffer_store_dword v2, off, s[0:3], 0 offset:212
	buffer_store_dword v1, off, s[0:3], 0 offset:208
	;; [unrolled: 1-line block ×4, first 2 shown]
.LBB33_163:
	s_or_b32 exec_lo, exec_lo, s6
	v_mov_b32_e32 v4, s29
	v_cmp_lt_u32_e64 s4, 12, v0
	s_clause 0x3
	buffer_load_dword v1, v4, s[0:3], 0 offen
	buffer_load_dword v2, v4, s[0:3], 0 offen offset:4
	buffer_load_dword v3, v4, s[0:3], 0 offen offset:8
	;; [unrolled: 1-line block ×3, first 2 shown]
	s_waitcnt vmcnt(0)
	ds_write_b128 v6, v[1:4]
	s_waitcnt lgkmcnt(0)
	s_waitcnt_vscnt null, 0x0
	s_barrier
	buffer_gl0_inv
	s_and_saveexec_b32 s6, s4
	s_cbranch_execz .LBB33_171
; %bb.164:
	ds_read_b128 v[1:4], v6
	s_andn2_b32 vcc_lo, exec_lo, s42
	s_cbranch_vccnz .LBB33_166
; %bb.165:
	s_clause 0x3
	buffer_load_dword v7, v5, s[0:3], 0 offen offset:8
	buffer_load_dword v8, v5, s[0:3], 0 offen offset:12
	buffer_load_dword v77, v5, s[0:3], 0 offen
	buffer_load_dword v78, v5, s[0:3], 0 offen offset:4
	s_waitcnt vmcnt(2) lgkmcnt(0)
	v_mul_f64 v[80:81], v[3:4], v[7:8]
	v_mul_f64 v[7:8], v[1:2], v[7:8]
	s_waitcnt vmcnt(0)
	v_fma_f64 v[1:2], v[1:2], v[77:78], -v[80:81]
	v_fma_f64 v[3:4], v[3:4], v[77:78], v[7:8]
.LBB33_166:
	s_and_saveexec_b32 s8, s5
	s_cbranch_execz .LBB33_170
; %bb.167:
	v_add_nc_u32_e32 v7, -13, v0
	s_movk_i32 s43, 0x2f0
	s_mov_b32 s5, 0
	s_mov_b32 s44, s28
	.p2align	6
.LBB33_168:                             ; =>This Inner Loop Header: Depth=1
	v_mov_b32_e32 v8, s44
	v_add_nc_u32_e32 v7, -1, v7
	s_add_i32 s44, s44, 16
	s_clause 0x3
	buffer_load_dword v77, v8, s[0:3], 0 offen offset:8
	buffer_load_dword v78, v8, s[0:3], 0 offen offset:12
	buffer_load_dword v84, v8, s[0:3], 0 offen
	buffer_load_dword v85, v8, s[0:3], 0 offen offset:4
	v_mov_b32_e32 v8, s43
	v_cmp_eq_u32_e32 vcc_lo, 0, v7
	s_add_i32 s43, s43, 16
	ds_read_b128 v[80:83], v8
	s_or_b32 s5, vcc_lo, s5
	s_waitcnt vmcnt(2) lgkmcnt(0)
	v_mul_f64 v[86:87], v[82:83], v[77:78]
	v_mul_f64 v[77:78], v[80:81], v[77:78]
	s_waitcnt vmcnt(0)
	v_fma_f64 v[80:81], v[80:81], v[84:85], -v[86:87]
	v_fma_f64 v[77:78], v[82:83], v[84:85], v[77:78]
	v_add_f64 v[1:2], v[1:2], v[80:81]
	v_add_f64 v[3:4], v[3:4], v[77:78]
	s_andn2_b32 exec_lo, exec_lo, s5
	s_cbranch_execnz .LBB33_168
; %bb.169:
	s_or_b32 exec_lo, exec_lo, s5
.LBB33_170:
	s_or_b32 exec_lo, exec_lo, s8
	v_mov_b32_e32 v7, 0
	ds_read_b128 v[80:83], v7 offset:192
	s_waitcnt lgkmcnt(0)
	v_mul_f64 v[7:8], v[3:4], v[82:83]
	v_mul_f64 v[77:78], v[1:2], v[82:83]
	v_fma_f64 v[1:2], v[1:2], v[80:81], -v[7:8]
	v_fma_f64 v[3:4], v[3:4], v[80:81], v[77:78]
	buffer_store_dword v2, off, s[0:3], 0 offset:196
	buffer_store_dword v1, off, s[0:3], 0 offset:192
	;; [unrolled: 1-line block ×4, first 2 shown]
.LBB33_171:
	s_or_b32 exec_lo, exec_lo, s6
	v_mov_b32_e32 v4, s30
	v_cmp_lt_u32_e64 s5, 11, v0
	s_clause 0x3
	buffer_load_dword v1, v4, s[0:3], 0 offen
	buffer_load_dword v2, v4, s[0:3], 0 offen offset:4
	buffer_load_dword v3, v4, s[0:3], 0 offen offset:8
	buffer_load_dword v4, v4, s[0:3], 0 offen offset:12
	s_waitcnt vmcnt(0)
	ds_write_b128 v6, v[1:4]
	s_waitcnt lgkmcnt(0)
	s_waitcnt_vscnt null, 0x0
	s_barrier
	buffer_gl0_inv
	s_and_saveexec_b32 s6, s5
	s_cbranch_execz .LBB33_179
; %bb.172:
	ds_read_b128 v[1:4], v6
	s_andn2_b32 vcc_lo, exec_lo, s42
	s_cbranch_vccnz .LBB33_174
; %bb.173:
	s_clause 0x3
	buffer_load_dword v7, v5, s[0:3], 0 offen offset:8
	buffer_load_dword v8, v5, s[0:3], 0 offen offset:12
	buffer_load_dword v77, v5, s[0:3], 0 offen
	buffer_load_dword v78, v5, s[0:3], 0 offen offset:4
	s_waitcnt vmcnt(2) lgkmcnt(0)
	v_mul_f64 v[80:81], v[3:4], v[7:8]
	v_mul_f64 v[7:8], v[1:2], v[7:8]
	s_waitcnt vmcnt(0)
	v_fma_f64 v[1:2], v[1:2], v[77:78], -v[80:81]
	v_fma_f64 v[3:4], v[3:4], v[77:78], v[7:8]
.LBB33_174:
	s_and_saveexec_b32 s8, s4
	s_cbranch_execz .LBB33_178
; %bb.175:
	v_add_nc_u32_e32 v7, -12, v0
	s_movk_i32 s43, 0x2e0
	s_mov_b32 s4, 0
	s_mov_b32 s44, s29
	.p2align	6
.LBB33_176:                             ; =>This Inner Loop Header: Depth=1
	v_mov_b32_e32 v8, s44
	v_add_nc_u32_e32 v7, -1, v7
	s_add_i32 s44, s44, 16
	s_clause 0x3
	buffer_load_dword v77, v8, s[0:3], 0 offen offset:8
	buffer_load_dword v78, v8, s[0:3], 0 offen offset:12
	buffer_load_dword v84, v8, s[0:3], 0 offen
	buffer_load_dword v85, v8, s[0:3], 0 offen offset:4
	v_mov_b32_e32 v8, s43
	v_cmp_eq_u32_e32 vcc_lo, 0, v7
	s_add_i32 s43, s43, 16
	ds_read_b128 v[80:83], v8
	s_or_b32 s4, vcc_lo, s4
	s_waitcnt vmcnt(2) lgkmcnt(0)
	v_mul_f64 v[86:87], v[82:83], v[77:78]
	v_mul_f64 v[77:78], v[80:81], v[77:78]
	s_waitcnt vmcnt(0)
	v_fma_f64 v[80:81], v[80:81], v[84:85], -v[86:87]
	v_fma_f64 v[77:78], v[82:83], v[84:85], v[77:78]
	v_add_f64 v[1:2], v[1:2], v[80:81]
	v_add_f64 v[3:4], v[3:4], v[77:78]
	s_andn2_b32 exec_lo, exec_lo, s4
	s_cbranch_execnz .LBB33_176
; %bb.177:
	s_or_b32 exec_lo, exec_lo, s4
.LBB33_178:
	s_or_b32 exec_lo, exec_lo, s8
	v_mov_b32_e32 v7, 0
	ds_read_b128 v[80:83], v7 offset:176
	s_waitcnt lgkmcnt(0)
	v_mul_f64 v[7:8], v[3:4], v[82:83]
	v_mul_f64 v[77:78], v[1:2], v[82:83]
	v_fma_f64 v[1:2], v[1:2], v[80:81], -v[7:8]
	v_fma_f64 v[3:4], v[3:4], v[80:81], v[77:78]
	buffer_store_dword v2, off, s[0:3], 0 offset:180
	buffer_store_dword v1, off, s[0:3], 0 offset:176
	buffer_store_dword v4, off, s[0:3], 0 offset:188
	buffer_store_dword v3, off, s[0:3], 0 offset:184
.LBB33_179:
	s_or_b32 exec_lo, exec_lo, s6
	v_mov_b32_e32 v4, s31
	v_cmp_lt_u32_e64 s4, 10, v0
	s_clause 0x3
	buffer_load_dword v1, v4, s[0:3], 0 offen
	buffer_load_dword v2, v4, s[0:3], 0 offen offset:4
	buffer_load_dword v3, v4, s[0:3], 0 offen offset:8
	;; [unrolled: 1-line block ×3, first 2 shown]
	s_waitcnt vmcnt(0)
	ds_write_b128 v6, v[1:4]
	s_waitcnt lgkmcnt(0)
	s_waitcnt_vscnt null, 0x0
	s_barrier
	buffer_gl0_inv
	s_and_saveexec_b32 s6, s4
	s_cbranch_execz .LBB33_187
; %bb.180:
	ds_read_b128 v[1:4], v6
	s_andn2_b32 vcc_lo, exec_lo, s42
	s_cbranch_vccnz .LBB33_182
; %bb.181:
	s_clause 0x3
	buffer_load_dword v7, v5, s[0:3], 0 offen offset:8
	buffer_load_dword v8, v5, s[0:3], 0 offen offset:12
	buffer_load_dword v77, v5, s[0:3], 0 offen
	buffer_load_dword v78, v5, s[0:3], 0 offen offset:4
	s_waitcnt vmcnt(2) lgkmcnt(0)
	v_mul_f64 v[80:81], v[3:4], v[7:8]
	v_mul_f64 v[7:8], v[1:2], v[7:8]
	s_waitcnt vmcnt(0)
	v_fma_f64 v[1:2], v[1:2], v[77:78], -v[80:81]
	v_fma_f64 v[3:4], v[3:4], v[77:78], v[7:8]
.LBB33_182:
	s_and_saveexec_b32 s8, s5
	s_cbranch_execz .LBB33_186
; %bb.183:
	v_add_nc_u32_e32 v7, -11, v0
	s_movk_i32 s43, 0x2d0
	s_mov_b32 s5, 0
	s_mov_b32 s44, s30
	.p2align	6
.LBB33_184:                             ; =>This Inner Loop Header: Depth=1
	v_mov_b32_e32 v8, s44
	v_add_nc_u32_e32 v7, -1, v7
	s_add_i32 s44, s44, 16
	s_clause 0x3
	buffer_load_dword v77, v8, s[0:3], 0 offen offset:8
	buffer_load_dword v78, v8, s[0:3], 0 offen offset:12
	buffer_load_dword v84, v8, s[0:3], 0 offen
	buffer_load_dword v85, v8, s[0:3], 0 offen offset:4
	v_mov_b32_e32 v8, s43
	v_cmp_eq_u32_e32 vcc_lo, 0, v7
	s_add_i32 s43, s43, 16
	ds_read_b128 v[80:83], v8
	s_or_b32 s5, vcc_lo, s5
	s_waitcnt vmcnt(2) lgkmcnt(0)
	v_mul_f64 v[86:87], v[82:83], v[77:78]
	v_mul_f64 v[77:78], v[80:81], v[77:78]
	s_waitcnt vmcnt(0)
	v_fma_f64 v[80:81], v[80:81], v[84:85], -v[86:87]
	v_fma_f64 v[77:78], v[82:83], v[84:85], v[77:78]
	v_add_f64 v[1:2], v[1:2], v[80:81]
	v_add_f64 v[3:4], v[3:4], v[77:78]
	s_andn2_b32 exec_lo, exec_lo, s5
	s_cbranch_execnz .LBB33_184
; %bb.185:
	s_or_b32 exec_lo, exec_lo, s5
.LBB33_186:
	s_or_b32 exec_lo, exec_lo, s8
	v_mov_b32_e32 v7, 0
	ds_read_b128 v[80:83], v7 offset:160
	s_waitcnt lgkmcnt(0)
	v_mul_f64 v[7:8], v[3:4], v[82:83]
	v_mul_f64 v[77:78], v[1:2], v[82:83]
	v_fma_f64 v[1:2], v[1:2], v[80:81], -v[7:8]
	v_fma_f64 v[3:4], v[3:4], v[80:81], v[77:78]
	buffer_store_dword v2, off, s[0:3], 0 offset:164
	buffer_store_dword v1, off, s[0:3], 0 offset:160
	;; [unrolled: 1-line block ×4, first 2 shown]
.LBB33_187:
	s_or_b32 exec_lo, exec_lo, s6
	v_mov_b32_e32 v4, s33
	v_cmp_lt_u32_e64 s5, 9, v0
	s_clause 0x3
	buffer_load_dword v1, v4, s[0:3], 0 offen
	buffer_load_dword v2, v4, s[0:3], 0 offen offset:4
	buffer_load_dword v3, v4, s[0:3], 0 offen offset:8
	;; [unrolled: 1-line block ×3, first 2 shown]
	s_waitcnt vmcnt(0)
	ds_write_b128 v6, v[1:4]
	s_waitcnt lgkmcnt(0)
	s_waitcnt_vscnt null, 0x0
	s_barrier
	buffer_gl0_inv
	s_and_saveexec_b32 s6, s5
	s_cbranch_execz .LBB33_195
; %bb.188:
	ds_read_b128 v[1:4], v6
	s_andn2_b32 vcc_lo, exec_lo, s42
	s_cbranch_vccnz .LBB33_190
; %bb.189:
	s_clause 0x3
	buffer_load_dword v7, v5, s[0:3], 0 offen offset:8
	buffer_load_dword v8, v5, s[0:3], 0 offen offset:12
	buffer_load_dword v77, v5, s[0:3], 0 offen
	buffer_load_dword v78, v5, s[0:3], 0 offen offset:4
	s_waitcnt vmcnt(2) lgkmcnt(0)
	v_mul_f64 v[80:81], v[3:4], v[7:8]
	v_mul_f64 v[7:8], v[1:2], v[7:8]
	s_waitcnt vmcnt(0)
	v_fma_f64 v[1:2], v[1:2], v[77:78], -v[80:81]
	v_fma_f64 v[3:4], v[3:4], v[77:78], v[7:8]
.LBB33_190:
	s_and_saveexec_b32 s8, s4
	s_cbranch_execz .LBB33_194
; %bb.191:
	v_add_nc_u32_e32 v7, -10, v0
	s_movk_i32 s43, 0x2c0
	s_mov_b32 s4, 0
	s_mov_b32 s44, s31
	.p2align	6
.LBB33_192:                             ; =>This Inner Loop Header: Depth=1
	v_mov_b32_e32 v8, s44
	v_add_nc_u32_e32 v7, -1, v7
	s_add_i32 s44, s44, 16
	s_clause 0x3
	buffer_load_dword v77, v8, s[0:3], 0 offen offset:8
	buffer_load_dword v78, v8, s[0:3], 0 offen offset:12
	buffer_load_dword v84, v8, s[0:3], 0 offen
	buffer_load_dword v85, v8, s[0:3], 0 offen offset:4
	v_mov_b32_e32 v8, s43
	v_cmp_eq_u32_e32 vcc_lo, 0, v7
	s_add_i32 s43, s43, 16
	ds_read_b128 v[80:83], v8
	s_or_b32 s4, vcc_lo, s4
	s_waitcnt vmcnt(2) lgkmcnt(0)
	v_mul_f64 v[86:87], v[82:83], v[77:78]
	v_mul_f64 v[77:78], v[80:81], v[77:78]
	s_waitcnt vmcnt(0)
	v_fma_f64 v[80:81], v[80:81], v[84:85], -v[86:87]
	v_fma_f64 v[77:78], v[82:83], v[84:85], v[77:78]
	v_add_f64 v[1:2], v[1:2], v[80:81]
	v_add_f64 v[3:4], v[3:4], v[77:78]
	s_andn2_b32 exec_lo, exec_lo, s4
	s_cbranch_execnz .LBB33_192
; %bb.193:
	s_or_b32 exec_lo, exec_lo, s4
.LBB33_194:
	s_or_b32 exec_lo, exec_lo, s8
	v_mov_b32_e32 v7, 0
	ds_read_b128 v[80:83], v7 offset:144
	s_waitcnt lgkmcnt(0)
	v_mul_f64 v[7:8], v[3:4], v[82:83]
	v_mul_f64 v[77:78], v[1:2], v[82:83]
	v_fma_f64 v[1:2], v[1:2], v[80:81], -v[7:8]
	v_fma_f64 v[3:4], v[3:4], v[80:81], v[77:78]
	buffer_store_dword v2, off, s[0:3], 0 offset:148
	buffer_store_dword v1, off, s[0:3], 0 offset:144
	;; [unrolled: 1-line block ×4, first 2 shown]
.LBB33_195:
	s_or_b32 exec_lo, exec_lo, s6
	v_mov_b32_e32 v4, s34
	v_cmp_lt_u32_e64 s4, 8, v0
	s_clause 0x3
	buffer_load_dword v1, v4, s[0:3], 0 offen
	buffer_load_dword v2, v4, s[0:3], 0 offen offset:4
	buffer_load_dword v3, v4, s[0:3], 0 offen offset:8
	;; [unrolled: 1-line block ×3, first 2 shown]
	s_waitcnt vmcnt(0)
	ds_write_b128 v6, v[1:4]
	s_waitcnt lgkmcnt(0)
	s_waitcnt_vscnt null, 0x0
	s_barrier
	buffer_gl0_inv
	s_and_saveexec_b32 s6, s4
	s_cbranch_execz .LBB33_203
; %bb.196:
	ds_read_b128 v[1:4], v6
	s_andn2_b32 vcc_lo, exec_lo, s42
	s_cbranch_vccnz .LBB33_198
; %bb.197:
	s_clause 0x3
	buffer_load_dword v7, v5, s[0:3], 0 offen offset:8
	buffer_load_dword v8, v5, s[0:3], 0 offen offset:12
	buffer_load_dword v77, v5, s[0:3], 0 offen
	buffer_load_dword v78, v5, s[0:3], 0 offen offset:4
	s_waitcnt vmcnt(2) lgkmcnt(0)
	v_mul_f64 v[80:81], v[3:4], v[7:8]
	v_mul_f64 v[7:8], v[1:2], v[7:8]
	s_waitcnt vmcnt(0)
	v_fma_f64 v[1:2], v[1:2], v[77:78], -v[80:81]
	v_fma_f64 v[3:4], v[3:4], v[77:78], v[7:8]
.LBB33_198:
	s_and_saveexec_b32 s8, s5
	s_cbranch_execz .LBB33_202
; %bb.199:
	v_add_nc_u32_e32 v7, -9, v0
	s_movk_i32 s43, 0x2b0
	s_mov_b32 s5, 0
	s_mov_b32 s44, s33
	.p2align	6
.LBB33_200:                             ; =>This Inner Loop Header: Depth=1
	v_mov_b32_e32 v8, s44
	v_add_nc_u32_e32 v7, -1, v7
	s_add_i32 s44, s44, 16
	s_clause 0x3
	buffer_load_dword v77, v8, s[0:3], 0 offen offset:8
	buffer_load_dword v78, v8, s[0:3], 0 offen offset:12
	buffer_load_dword v84, v8, s[0:3], 0 offen
	buffer_load_dword v85, v8, s[0:3], 0 offen offset:4
	v_mov_b32_e32 v8, s43
	v_cmp_eq_u32_e32 vcc_lo, 0, v7
	s_add_i32 s43, s43, 16
	ds_read_b128 v[80:83], v8
	s_or_b32 s5, vcc_lo, s5
	s_waitcnt vmcnt(2) lgkmcnt(0)
	v_mul_f64 v[86:87], v[82:83], v[77:78]
	v_mul_f64 v[77:78], v[80:81], v[77:78]
	s_waitcnt vmcnt(0)
	v_fma_f64 v[80:81], v[80:81], v[84:85], -v[86:87]
	v_fma_f64 v[77:78], v[82:83], v[84:85], v[77:78]
	v_add_f64 v[1:2], v[1:2], v[80:81]
	v_add_f64 v[3:4], v[3:4], v[77:78]
	s_andn2_b32 exec_lo, exec_lo, s5
	s_cbranch_execnz .LBB33_200
; %bb.201:
	s_or_b32 exec_lo, exec_lo, s5
.LBB33_202:
	s_or_b32 exec_lo, exec_lo, s8
	v_mov_b32_e32 v7, 0
	ds_read_b128 v[80:83], v7 offset:128
	s_waitcnt lgkmcnt(0)
	v_mul_f64 v[7:8], v[3:4], v[82:83]
	v_mul_f64 v[77:78], v[1:2], v[82:83]
	v_fma_f64 v[1:2], v[1:2], v[80:81], -v[7:8]
	v_fma_f64 v[3:4], v[3:4], v[80:81], v[77:78]
	buffer_store_dword v2, off, s[0:3], 0 offset:132
	buffer_store_dword v1, off, s[0:3], 0 offset:128
	;; [unrolled: 1-line block ×4, first 2 shown]
.LBB33_203:
	s_or_b32 exec_lo, exec_lo, s6
	v_mov_b32_e32 v4, s35
	v_cmp_lt_u32_e64 s5, 7, v0
	s_clause 0x3
	buffer_load_dword v1, v4, s[0:3], 0 offen
	buffer_load_dword v2, v4, s[0:3], 0 offen offset:4
	buffer_load_dword v3, v4, s[0:3], 0 offen offset:8
	;; [unrolled: 1-line block ×3, first 2 shown]
	s_waitcnt vmcnt(0)
	ds_write_b128 v6, v[1:4]
	s_waitcnt lgkmcnt(0)
	s_waitcnt_vscnt null, 0x0
	s_barrier
	buffer_gl0_inv
	s_and_saveexec_b32 s6, s5
	s_cbranch_execz .LBB33_211
; %bb.204:
	ds_read_b128 v[1:4], v6
	s_andn2_b32 vcc_lo, exec_lo, s42
	s_cbranch_vccnz .LBB33_206
; %bb.205:
	s_clause 0x3
	buffer_load_dword v7, v5, s[0:3], 0 offen offset:8
	buffer_load_dword v8, v5, s[0:3], 0 offen offset:12
	buffer_load_dword v77, v5, s[0:3], 0 offen
	buffer_load_dword v78, v5, s[0:3], 0 offen offset:4
	s_waitcnt vmcnt(2) lgkmcnt(0)
	v_mul_f64 v[80:81], v[3:4], v[7:8]
	v_mul_f64 v[7:8], v[1:2], v[7:8]
	s_waitcnt vmcnt(0)
	v_fma_f64 v[1:2], v[1:2], v[77:78], -v[80:81]
	v_fma_f64 v[3:4], v[3:4], v[77:78], v[7:8]
.LBB33_206:
	s_and_saveexec_b32 s8, s4
	s_cbranch_execz .LBB33_210
; %bb.207:
	v_add_nc_u32_e32 v7, -8, v0
	s_movk_i32 s43, 0x2a0
	s_mov_b32 s4, 0
	s_mov_b32 s44, s34
	.p2align	6
.LBB33_208:                             ; =>This Inner Loop Header: Depth=1
	v_mov_b32_e32 v8, s44
	v_add_nc_u32_e32 v7, -1, v7
	s_add_i32 s44, s44, 16
	s_clause 0x3
	buffer_load_dword v77, v8, s[0:3], 0 offen offset:8
	buffer_load_dword v78, v8, s[0:3], 0 offen offset:12
	buffer_load_dword v84, v8, s[0:3], 0 offen
	buffer_load_dword v85, v8, s[0:3], 0 offen offset:4
	v_mov_b32_e32 v8, s43
	v_cmp_eq_u32_e32 vcc_lo, 0, v7
	s_add_i32 s43, s43, 16
	ds_read_b128 v[80:83], v8
	s_or_b32 s4, vcc_lo, s4
	s_waitcnt vmcnt(2) lgkmcnt(0)
	v_mul_f64 v[86:87], v[82:83], v[77:78]
	v_mul_f64 v[77:78], v[80:81], v[77:78]
	s_waitcnt vmcnt(0)
	v_fma_f64 v[80:81], v[80:81], v[84:85], -v[86:87]
	v_fma_f64 v[77:78], v[82:83], v[84:85], v[77:78]
	v_add_f64 v[1:2], v[1:2], v[80:81]
	v_add_f64 v[3:4], v[3:4], v[77:78]
	s_andn2_b32 exec_lo, exec_lo, s4
	s_cbranch_execnz .LBB33_208
; %bb.209:
	s_or_b32 exec_lo, exec_lo, s4
.LBB33_210:
	s_or_b32 exec_lo, exec_lo, s8
	v_mov_b32_e32 v7, 0
	ds_read_b128 v[80:83], v7 offset:112
	s_waitcnt lgkmcnt(0)
	v_mul_f64 v[7:8], v[3:4], v[82:83]
	v_mul_f64 v[77:78], v[1:2], v[82:83]
	v_fma_f64 v[1:2], v[1:2], v[80:81], -v[7:8]
	v_fma_f64 v[3:4], v[3:4], v[80:81], v[77:78]
	buffer_store_dword v2, off, s[0:3], 0 offset:116
	buffer_store_dword v1, off, s[0:3], 0 offset:112
	;; [unrolled: 1-line block ×4, first 2 shown]
.LBB33_211:
	s_or_b32 exec_lo, exec_lo, s6
	v_mov_b32_e32 v4, s36
	v_cmp_lt_u32_e64 s4, 6, v0
	s_clause 0x3
	buffer_load_dword v1, v4, s[0:3], 0 offen
	buffer_load_dword v2, v4, s[0:3], 0 offen offset:4
	buffer_load_dword v3, v4, s[0:3], 0 offen offset:8
	;; [unrolled: 1-line block ×3, first 2 shown]
	s_waitcnt vmcnt(0)
	ds_write_b128 v6, v[1:4]
	s_waitcnt lgkmcnt(0)
	s_waitcnt_vscnt null, 0x0
	s_barrier
	buffer_gl0_inv
	s_and_saveexec_b32 s6, s4
	s_cbranch_execz .LBB33_219
; %bb.212:
	ds_read_b128 v[1:4], v6
	s_andn2_b32 vcc_lo, exec_lo, s42
	s_cbranch_vccnz .LBB33_214
; %bb.213:
	s_clause 0x3
	buffer_load_dword v7, v5, s[0:3], 0 offen offset:8
	buffer_load_dword v8, v5, s[0:3], 0 offen offset:12
	buffer_load_dword v77, v5, s[0:3], 0 offen
	buffer_load_dword v78, v5, s[0:3], 0 offen offset:4
	s_waitcnt vmcnt(2) lgkmcnt(0)
	v_mul_f64 v[80:81], v[3:4], v[7:8]
	v_mul_f64 v[7:8], v[1:2], v[7:8]
	s_waitcnt vmcnt(0)
	v_fma_f64 v[1:2], v[1:2], v[77:78], -v[80:81]
	v_fma_f64 v[3:4], v[3:4], v[77:78], v[7:8]
.LBB33_214:
	s_and_saveexec_b32 s8, s5
	s_cbranch_execz .LBB33_218
; %bb.215:
	v_add_nc_u32_e32 v7, -7, v0
	s_movk_i32 s43, 0x290
	s_mov_b32 s5, 0
	s_mov_b32 s44, s35
	.p2align	6
.LBB33_216:                             ; =>This Inner Loop Header: Depth=1
	v_mov_b32_e32 v8, s44
	v_add_nc_u32_e32 v7, -1, v7
	s_add_i32 s44, s44, 16
	s_clause 0x3
	buffer_load_dword v77, v8, s[0:3], 0 offen offset:8
	buffer_load_dword v78, v8, s[0:3], 0 offen offset:12
	buffer_load_dword v84, v8, s[0:3], 0 offen
	buffer_load_dword v85, v8, s[0:3], 0 offen offset:4
	v_mov_b32_e32 v8, s43
	v_cmp_eq_u32_e32 vcc_lo, 0, v7
	s_add_i32 s43, s43, 16
	ds_read_b128 v[80:83], v8
	s_or_b32 s5, vcc_lo, s5
	s_waitcnt vmcnt(2) lgkmcnt(0)
	v_mul_f64 v[86:87], v[82:83], v[77:78]
	v_mul_f64 v[77:78], v[80:81], v[77:78]
	s_waitcnt vmcnt(0)
	v_fma_f64 v[80:81], v[80:81], v[84:85], -v[86:87]
	v_fma_f64 v[77:78], v[82:83], v[84:85], v[77:78]
	v_add_f64 v[1:2], v[1:2], v[80:81]
	v_add_f64 v[3:4], v[3:4], v[77:78]
	s_andn2_b32 exec_lo, exec_lo, s5
	s_cbranch_execnz .LBB33_216
; %bb.217:
	s_or_b32 exec_lo, exec_lo, s5
.LBB33_218:
	s_or_b32 exec_lo, exec_lo, s8
	v_mov_b32_e32 v7, 0
	ds_read_b128 v[80:83], v7 offset:96
	s_waitcnt lgkmcnt(0)
	v_mul_f64 v[7:8], v[3:4], v[82:83]
	v_mul_f64 v[77:78], v[1:2], v[82:83]
	v_fma_f64 v[1:2], v[1:2], v[80:81], -v[7:8]
	v_fma_f64 v[3:4], v[3:4], v[80:81], v[77:78]
	buffer_store_dword v2, off, s[0:3], 0 offset:100
	buffer_store_dword v1, off, s[0:3], 0 offset:96
	;; [unrolled: 1-line block ×4, first 2 shown]
.LBB33_219:
	s_or_b32 exec_lo, exec_lo, s6
	v_mov_b32_e32 v4, s37
	v_cmp_lt_u32_e64 s5, 5, v0
	s_clause 0x3
	buffer_load_dword v1, v4, s[0:3], 0 offen
	buffer_load_dword v2, v4, s[0:3], 0 offen offset:4
	buffer_load_dword v3, v4, s[0:3], 0 offen offset:8
	;; [unrolled: 1-line block ×3, first 2 shown]
	s_waitcnt vmcnt(0)
	ds_write_b128 v6, v[1:4]
	s_waitcnt lgkmcnt(0)
	s_waitcnt_vscnt null, 0x0
	s_barrier
	buffer_gl0_inv
	s_and_saveexec_b32 s6, s5
	s_cbranch_execz .LBB33_227
; %bb.220:
	ds_read_b128 v[1:4], v6
	s_andn2_b32 vcc_lo, exec_lo, s42
	s_cbranch_vccnz .LBB33_222
; %bb.221:
	s_clause 0x3
	buffer_load_dword v7, v5, s[0:3], 0 offen offset:8
	buffer_load_dword v8, v5, s[0:3], 0 offen offset:12
	buffer_load_dword v77, v5, s[0:3], 0 offen
	buffer_load_dword v78, v5, s[0:3], 0 offen offset:4
	s_waitcnt vmcnt(2) lgkmcnt(0)
	v_mul_f64 v[80:81], v[3:4], v[7:8]
	v_mul_f64 v[7:8], v[1:2], v[7:8]
	s_waitcnt vmcnt(0)
	v_fma_f64 v[1:2], v[1:2], v[77:78], -v[80:81]
	v_fma_f64 v[3:4], v[3:4], v[77:78], v[7:8]
.LBB33_222:
	s_and_saveexec_b32 s8, s4
	s_cbranch_execz .LBB33_226
; %bb.223:
	v_add_nc_u32_e32 v7, -6, v0
	s_movk_i32 s43, 0x280
	s_mov_b32 s4, 0
	s_mov_b32 s44, s36
	.p2align	6
.LBB33_224:                             ; =>This Inner Loop Header: Depth=1
	v_mov_b32_e32 v8, s44
	v_add_nc_u32_e32 v7, -1, v7
	s_add_i32 s44, s44, 16
	s_clause 0x3
	buffer_load_dword v77, v8, s[0:3], 0 offen offset:8
	buffer_load_dword v78, v8, s[0:3], 0 offen offset:12
	buffer_load_dword v84, v8, s[0:3], 0 offen
	buffer_load_dword v85, v8, s[0:3], 0 offen offset:4
	v_mov_b32_e32 v8, s43
	v_cmp_eq_u32_e32 vcc_lo, 0, v7
	s_add_i32 s43, s43, 16
	ds_read_b128 v[80:83], v8
	s_or_b32 s4, vcc_lo, s4
	s_waitcnt vmcnt(2) lgkmcnt(0)
	v_mul_f64 v[86:87], v[82:83], v[77:78]
	v_mul_f64 v[77:78], v[80:81], v[77:78]
	s_waitcnt vmcnt(0)
	v_fma_f64 v[80:81], v[80:81], v[84:85], -v[86:87]
	v_fma_f64 v[77:78], v[82:83], v[84:85], v[77:78]
	v_add_f64 v[1:2], v[1:2], v[80:81]
	v_add_f64 v[3:4], v[3:4], v[77:78]
	s_andn2_b32 exec_lo, exec_lo, s4
	s_cbranch_execnz .LBB33_224
; %bb.225:
	s_or_b32 exec_lo, exec_lo, s4
.LBB33_226:
	s_or_b32 exec_lo, exec_lo, s8
	v_mov_b32_e32 v7, 0
	ds_read_b128 v[80:83], v7 offset:80
	s_waitcnt lgkmcnt(0)
	v_mul_f64 v[7:8], v[3:4], v[82:83]
	v_mul_f64 v[77:78], v[1:2], v[82:83]
	v_fma_f64 v[1:2], v[1:2], v[80:81], -v[7:8]
	v_fma_f64 v[3:4], v[3:4], v[80:81], v[77:78]
	buffer_store_dword v2, off, s[0:3], 0 offset:84
	buffer_store_dword v1, off, s[0:3], 0 offset:80
	;; [unrolled: 1-line block ×4, first 2 shown]
.LBB33_227:
	s_or_b32 exec_lo, exec_lo, s6
	v_mov_b32_e32 v4, s38
	v_cmp_lt_u32_e64 s4, 4, v0
	s_clause 0x3
	buffer_load_dword v1, v4, s[0:3], 0 offen
	buffer_load_dword v2, v4, s[0:3], 0 offen offset:4
	buffer_load_dword v3, v4, s[0:3], 0 offen offset:8
	;; [unrolled: 1-line block ×3, first 2 shown]
	s_waitcnt vmcnt(0)
	ds_write_b128 v6, v[1:4]
	s_waitcnt lgkmcnt(0)
	s_waitcnt_vscnt null, 0x0
	s_barrier
	buffer_gl0_inv
	s_and_saveexec_b32 s6, s4
	s_cbranch_execz .LBB33_235
; %bb.228:
	ds_read_b128 v[1:4], v6
	s_andn2_b32 vcc_lo, exec_lo, s42
	s_cbranch_vccnz .LBB33_230
; %bb.229:
	s_clause 0x3
	buffer_load_dword v7, v5, s[0:3], 0 offen offset:8
	buffer_load_dword v8, v5, s[0:3], 0 offen offset:12
	buffer_load_dword v77, v5, s[0:3], 0 offen
	buffer_load_dword v78, v5, s[0:3], 0 offen offset:4
	s_waitcnt vmcnt(2) lgkmcnt(0)
	v_mul_f64 v[80:81], v[3:4], v[7:8]
	v_mul_f64 v[7:8], v[1:2], v[7:8]
	s_waitcnt vmcnt(0)
	v_fma_f64 v[1:2], v[1:2], v[77:78], -v[80:81]
	v_fma_f64 v[3:4], v[3:4], v[77:78], v[7:8]
.LBB33_230:
	s_and_saveexec_b32 s8, s5
	s_cbranch_execz .LBB33_234
; %bb.231:
	v_add_nc_u32_e32 v7, -5, v0
	s_movk_i32 s43, 0x270
	s_mov_b32 s5, 0
	s_mov_b32 s44, s37
	.p2align	6
.LBB33_232:                             ; =>This Inner Loop Header: Depth=1
	v_mov_b32_e32 v8, s44
	v_add_nc_u32_e32 v7, -1, v7
	s_add_i32 s44, s44, 16
	s_clause 0x3
	buffer_load_dword v77, v8, s[0:3], 0 offen offset:8
	buffer_load_dword v78, v8, s[0:3], 0 offen offset:12
	buffer_load_dword v84, v8, s[0:3], 0 offen
	buffer_load_dword v85, v8, s[0:3], 0 offen offset:4
	v_mov_b32_e32 v8, s43
	v_cmp_eq_u32_e32 vcc_lo, 0, v7
	s_add_i32 s43, s43, 16
	ds_read_b128 v[80:83], v8
	s_or_b32 s5, vcc_lo, s5
	s_waitcnt vmcnt(2) lgkmcnt(0)
	v_mul_f64 v[86:87], v[82:83], v[77:78]
	v_mul_f64 v[77:78], v[80:81], v[77:78]
	s_waitcnt vmcnt(0)
	v_fma_f64 v[80:81], v[80:81], v[84:85], -v[86:87]
	v_fma_f64 v[77:78], v[82:83], v[84:85], v[77:78]
	v_add_f64 v[1:2], v[1:2], v[80:81]
	v_add_f64 v[3:4], v[3:4], v[77:78]
	s_andn2_b32 exec_lo, exec_lo, s5
	s_cbranch_execnz .LBB33_232
; %bb.233:
	s_or_b32 exec_lo, exec_lo, s5
.LBB33_234:
	s_or_b32 exec_lo, exec_lo, s8
	v_mov_b32_e32 v7, 0
	ds_read_b128 v[80:83], v7 offset:64
	s_waitcnt lgkmcnt(0)
	v_mul_f64 v[7:8], v[3:4], v[82:83]
	v_mul_f64 v[77:78], v[1:2], v[82:83]
	v_fma_f64 v[1:2], v[1:2], v[80:81], -v[7:8]
	v_fma_f64 v[3:4], v[3:4], v[80:81], v[77:78]
	buffer_store_dword v2, off, s[0:3], 0 offset:68
	buffer_store_dword v1, off, s[0:3], 0 offset:64
	;; [unrolled: 1-line block ×4, first 2 shown]
.LBB33_235:
	s_or_b32 exec_lo, exec_lo, s6
	v_mov_b32_e32 v4, s39
	v_cmp_lt_u32_e64 s5, 3, v0
	s_clause 0x3
	buffer_load_dword v1, v4, s[0:3], 0 offen
	buffer_load_dword v2, v4, s[0:3], 0 offen offset:4
	buffer_load_dword v3, v4, s[0:3], 0 offen offset:8
	;; [unrolled: 1-line block ×3, first 2 shown]
	s_waitcnt vmcnt(0)
	ds_write_b128 v6, v[1:4]
	s_waitcnt lgkmcnt(0)
	s_waitcnt_vscnt null, 0x0
	s_barrier
	buffer_gl0_inv
	s_and_saveexec_b32 s6, s5
	s_cbranch_execz .LBB33_243
; %bb.236:
	ds_read_b128 v[1:4], v6
	s_andn2_b32 vcc_lo, exec_lo, s42
	s_cbranch_vccnz .LBB33_238
; %bb.237:
	s_clause 0x3
	buffer_load_dword v7, v5, s[0:3], 0 offen offset:8
	buffer_load_dword v8, v5, s[0:3], 0 offen offset:12
	buffer_load_dword v77, v5, s[0:3], 0 offen
	buffer_load_dword v78, v5, s[0:3], 0 offen offset:4
	s_waitcnt vmcnt(2) lgkmcnt(0)
	v_mul_f64 v[80:81], v[3:4], v[7:8]
	v_mul_f64 v[7:8], v[1:2], v[7:8]
	s_waitcnt vmcnt(0)
	v_fma_f64 v[1:2], v[1:2], v[77:78], -v[80:81]
	v_fma_f64 v[3:4], v[3:4], v[77:78], v[7:8]
.LBB33_238:
	s_and_saveexec_b32 s8, s4
	s_cbranch_execz .LBB33_242
; %bb.239:
	v_add_nc_u32_e32 v7, -4, v0
	s_movk_i32 s43, 0x260
	s_mov_b32 s4, 0
	s_mov_b32 s44, s38
	.p2align	6
.LBB33_240:                             ; =>This Inner Loop Header: Depth=1
	v_mov_b32_e32 v8, s44
	v_add_nc_u32_e32 v7, -1, v7
	s_add_i32 s44, s44, 16
	s_clause 0x3
	buffer_load_dword v77, v8, s[0:3], 0 offen offset:8
	buffer_load_dword v78, v8, s[0:3], 0 offen offset:12
	buffer_load_dword v84, v8, s[0:3], 0 offen
	buffer_load_dword v85, v8, s[0:3], 0 offen offset:4
	v_mov_b32_e32 v8, s43
	v_cmp_eq_u32_e32 vcc_lo, 0, v7
	s_add_i32 s43, s43, 16
	ds_read_b128 v[80:83], v8
	s_or_b32 s4, vcc_lo, s4
	s_waitcnt vmcnt(2) lgkmcnt(0)
	v_mul_f64 v[86:87], v[82:83], v[77:78]
	v_mul_f64 v[77:78], v[80:81], v[77:78]
	s_waitcnt vmcnt(0)
	v_fma_f64 v[80:81], v[80:81], v[84:85], -v[86:87]
	v_fma_f64 v[77:78], v[82:83], v[84:85], v[77:78]
	v_add_f64 v[1:2], v[1:2], v[80:81]
	v_add_f64 v[3:4], v[3:4], v[77:78]
	s_andn2_b32 exec_lo, exec_lo, s4
	s_cbranch_execnz .LBB33_240
; %bb.241:
	s_or_b32 exec_lo, exec_lo, s4
.LBB33_242:
	s_or_b32 exec_lo, exec_lo, s8
	v_mov_b32_e32 v7, 0
	ds_read_b128 v[80:83], v7 offset:48
	s_waitcnt lgkmcnt(0)
	v_mul_f64 v[7:8], v[3:4], v[82:83]
	v_mul_f64 v[77:78], v[1:2], v[82:83]
	v_fma_f64 v[1:2], v[1:2], v[80:81], -v[7:8]
	v_fma_f64 v[3:4], v[3:4], v[80:81], v[77:78]
	buffer_store_dword v2, off, s[0:3], 0 offset:52
	buffer_store_dword v1, off, s[0:3], 0 offset:48
	;; [unrolled: 1-line block ×4, first 2 shown]
.LBB33_243:
	s_or_b32 exec_lo, exec_lo, s6
	v_mov_b32_e32 v4, s41
	v_cmp_lt_u32_e64 s6, 2, v0
	s_clause 0x3
	buffer_load_dword v1, v4, s[0:3], 0 offen
	buffer_load_dword v2, v4, s[0:3], 0 offen offset:4
	buffer_load_dword v3, v4, s[0:3], 0 offen offset:8
	;; [unrolled: 1-line block ×3, first 2 shown]
	s_waitcnt vmcnt(0)
	ds_write_b128 v6, v[1:4]
	s_waitcnt lgkmcnt(0)
	s_waitcnt_vscnt null, 0x0
	s_barrier
	buffer_gl0_inv
	s_and_saveexec_b32 s4, s6
	s_cbranch_execz .LBB33_251
; %bb.244:
	ds_read_b128 v[1:4], v6
	s_andn2_b32 vcc_lo, exec_lo, s42
	s_cbranch_vccnz .LBB33_246
; %bb.245:
	s_clause 0x3
	buffer_load_dword v7, v5, s[0:3], 0 offen offset:8
	buffer_load_dword v8, v5, s[0:3], 0 offen offset:12
	buffer_load_dword v77, v5, s[0:3], 0 offen
	buffer_load_dword v78, v5, s[0:3], 0 offen offset:4
	s_waitcnt vmcnt(2) lgkmcnt(0)
	v_mul_f64 v[80:81], v[3:4], v[7:8]
	v_mul_f64 v[7:8], v[1:2], v[7:8]
	s_waitcnt vmcnt(0)
	v_fma_f64 v[1:2], v[1:2], v[77:78], -v[80:81]
	v_fma_f64 v[3:4], v[3:4], v[77:78], v[7:8]
.LBB33_246:
	s_and_saveexec_b32 s8, s5
	s_cbranch_execz .LBB33_250
; %bb.247:
	v_add_nc_u32_e32 v7, -3, v0
	s_movk_i32 s43, 0x250
	s_mov_b32 s5, 0
	s_mov_b32 s44, s39
	.p2align	6
.LBB33_248:                             ; =>This Inner Loop Header: Depth=1
	v_mov_b32_e32 v8, s44
	v_add_nc_u32_e32 v7, -1, v7
	s_add_i32 s44, s44, 16
	s_clause 0x3
	buffer_load_dword v77, v8, s[0:3], 0 offen offset:8
	buffer_load_dword v78, v8, s[0:3], 0 offen offset:12
	buffer_load_dword v84, v8, s[0:3], 0 offen
	buffer_load_dword v85, v8, s[0:3], 0 offen offset:4
	v_mov_b32_e32 v8, s43
	v_cmp_eq_u32_e32 vcc_lo, 0, v7
	s_add_i32 s43, s43, 16
	ds_read_b128 v[80:83], v8
	s_or_b32 s5, vcc_lo, s5
	s_waitcnt vmcnt(2) lgkmcnt(0)
	v_mul_f64 v[86:87], v[82:83], v[77:78]
	v_mul_f64 v[77:78], v[80:81], v[77:78]
	s_waitcnt vmcnt(0)
	v_fma_f64 v[80:81], v[80:81], v[84:85], -v[86:87]
	v_fma_f64 v[77:78], v[82:83], v[84:85], v[77:78]
	v_add_f64 v[1:2], v[1:2], v[80:81]
	v_add_f64 v[3:4], v[3:4], v[77:78]
	s_andn2_b32 exec_lo, exec_lo, s5
	s_cbranch_execnz .LBB33_248
; %bb.249:
	s_or_b32 exec_lo, exec_lo, s5
.LBB33_250:
	s_or_b32 exec_lo, exec_lo, s8
	v_mov_b32_e32 v7, 0
	ds_read_b128 v[80:83], v7 offset:32
	s_waitcnt lgkmcnt(0)
	v_mul_f64 v[7:8], v[3:4], v[82:83]
	v_mul_f64 v[77:78], v[1:2], v[82:83]
	v_fma_f64 v[1:2], v[1:2], v[80:81], -v[7:8]
	v_fma_f64 v[3:4], v[3:4], v[80:81], v[77:78]
	buffer_store_dword v2, off, s[0:3], 0 offset:36
	buffer_store_dword v1, off, s[0:3], 0 offset:32
	buffer_store_dword v4, off, s[0:3], 0 offset:44
	buffer_store_dword v3, off, s[0:3], 0 offset:40
.LBB33_251:
	s_or_b32 exec_lo, exec_lo, s4
	v_mov_b32_e32 v4, s40
	v_cmp_lt_u32_e64 s4, 1, v0
	s_clause 0x3
	buffer_load_dword v1, v4, s[0:3], 0 offen
	buffer_load_dword v2, v4, s[0:3], 0 offen offset:4
	buffer_load_dword v3, v4, s[0:3], 0 offen offset:8
	;; [unrolled: 1-line block ×3, first 2 shown]
	s_waitcnt vmcnt(0)
	ds_write_b128 v6, v[1:4]
	s_waitcnt lgkmcnt(0)
	s_waitcnt_vscnt null, 0x0
	s_barrier
	buffer_gl0_inv
	s_and_saveexec_b32 s5, s4
	s_cbranch_execz .LBB33_259
; %bb.252:
	ds_read_b128 v[1:4], v6
	s_andn2_b32 vcc_lo, exec_lo, s42
	s_cbranch_vccnz .LBB33_254
; %bb.253:
	s_clause 0x3
	buffer_load_dword v7, v5, s[0:3], 0 offen offset:8
	buffer_load_dword v8, v5, s[0:3], 0 offen offset:12
	buffer_load_dword v77, v5, s[0:3], 0 offen
	buffer_load_dword v78, v5, s[0:3], 0 offen offset:4
	s_waitcnt vmcnt(2) lgkmcnt(0)
	v_mul_f64 v[80:81], v[3:4], v[7:8]
	v_mul_f64 v[7:8], v[1:2], v[7:8]
	s_waitcnt vmcnt(0)
	v_fma_f64 v[1:2], v[1:2], v[77:78], -v[80:81]
	v_fma_f64 v[3:4], v[3:4], v[77:78], v[7:8]
.LBB33_254:
	s_and_saveexec_b32 s8, s6
	s_cbranch_execz .LBB33_258
; %bb.255:
	v_add_nc_u32_e32 v7, -2, v0
	s_movk_i32 s43, 0x240
	s_mov_b32 s6, 0
	s_mov_b32 s44, s41
	.p2align	6
.LBB33_256:                             ; =>This Inner Loop Header: Depth=1
	v_mov_b32_e32 v8, s44
	v_add_nc_u32_e32 v7, -1, v7
	s_add_i32 s44, s44, 16
	s_clause 0x3
	buffer_load_dword v77, v8, s[0:3], 0 offen offset:8
	buffer_load_dword v78, v8, s[0:3], 0 offen offset:12
	buffer_load_dword v84, v8, s[0:3], 0 offen
	buffer_load_dword v85, v8, s[0:3], 0 offen offset:4
	v_mov_b32_e32 v8, s43
	v_cmp_eq_u32_e32 vcc_lo, 0, v7
	s_add_i32 s43, s43, 16
	ds_read_b128 v[80:83], v8
	s_or_b32 s6, vcc_lo, s6
	s_waitcnt vmcnt(2) lgkmcnt(0)
	v_mul_f64 v[86:87], v[82:83], v[77:78]
	v_mul_f64 v[77:78], v[80:81], v[77:78]
	s_waitcnt vmcnt(0)
	v_fma_f64 v[80:81], v[80:81], v[84:85], -v[86:87]
	v_fma_f64 v[77:78], v[82:83], v[84:85], v[77:78]
	v_add_f64 v[1:2], v[1:2], v[80:81]
	v_add_f64 v[3:4], v[3:4], v[77:78]
	s_andn2_b32 exec_lo, exec_lo, s6
	s_cbranch_execnz .LBB33_256
; %bb.257:
	s_or_b32 exec_lo, exec_lo, s6
.LBB33_258:
	s_or_b32 exec_lo, exec_lo, s8
	v_mov_b32_e32 v7, 0
	ds_read_b128 v[80:83], v7 offset:16
	s_waitcnt lgkmcnt(0)
	v_mul_f64 v[7:8], v[3:4], v[82:83]
	v_mul_f64 v[77:78], v[1:2], v[82:83]
	v_fma_f64 v[1:2], v[1:2], v[80:81], -v[7:8]
	v_fma_f64 v[3:4], v[3:4], v[80:81], v[77:78]
	buffer_store_dword v2, off, s[0:3], 0 offset:20
	buffer_store_dword v1, off, s[0:3], 0 offset:16
	;; [unrolled: 1-line block ×4, first 2 shown]
.LBB33_259:
	s_or_b32 exec_lo, exec_lo, s5
	s_clause 0x3
	buffer_load_dword v1, off, s[0:3], 0
	buffer_load_dword v2, off, s[0:3], 0 offset:4
	buffer_load_dword v3, off, s[0:3], 0 offset:8
	;; [unrolled: 1-line block ×3, first 2 shown]
	s_mov_b32 s6, 0
	s_mov_b32 s5, 0
	s_mov_b32 s8, exec_lo
                                        ; implicit-def: $sgpr43
	s_waitcnt vmcnt(0)
	ds_write_b128 v6, v[1:4]
	s_waitcnt lgkmcnt(0)
	s_waitcnt_vscnt null, 0x0
	s_barrier
	buffer_gl0_inv
                                        ; implicit-def: $vgpr1_vgpr2
	v_cmpx_ne_u32_e32 0, v0
	s_cbranch_execz .LBB33_267
; %bb.260:
	ds_read_b128 v[1:4], v6
	s_andn2_b32 vcc_lo, exec_lo, s42
	s_cbranch_vccnz .LBB33_262
; %bb.261:
	s_clause 0x3
	buffer_load_dword v7, v5, s[0:3], 0 offen offset:8
	buffer_load_dword v8, v5, s[0:3], 0 offen offset:12
	buffer_load_dword v77, v5, s[0:3], 0 offen
	buffer_load_dword v78, v5, s[0:3], 0 offen offset:4
	s_waitcnt vmcnt(2) lgkmcnt(0)
	v_mul_f64 v[80:81], v[3:4], v[7:8]
	v_mul_f64 v[7:8], v[1:2], v[7:8]
	s_waitcnt vmcnt(0)
	v_fma_f64 v[1:2], v[1:2], v[77:78], -v[80:81]
	v_fma_f64 v[3:4], v[3:4], v[77:78], v[7:8]
.LBB33_262:
	s_and_saveexec_b32 s5, s4
	s_cbranch_execz .LBB33_266
; %bb.263:
	v_add_nc_u32_e32 v7, -1, v0
	s_movk_i32 s43, 0x230
	s_mov_b32 s4, 0
	s_mov_b32 s44, s40
	.p2align	6
.LBB33_264:                             ; =>This Inner Loop Header: Depth=1
	v_mov_b32_e32 v8, s44
	v_add_nc_u32_e32 v7, -1, v7
	s_add_i32 s44, s44, 16
	s_clause 0x3
	buffer_load_dword v77, v8, s[0:3], 0 offen offset:8
	buffer_load_dword v78, v8, s[0:3], 0 offen offset:12
	buffer_load_dword v84, v8, s[0:3], 0 offen
	buffer_load_dword v85, v8, s[0:3], 0 offen offset:4
	v_mov_b32_e32 v8, s43
	v_cmp_eq_u32_e32 vcc_lo, 0, v7
	s_add_i32 s43, s43, 16
	ds_read_b128 v[80:83], v8
	s_or_b32 s4, vcc_lo, s4
	s_waitcnt vmcnt(2) lgkmcnt(0)
	v_mul_f64 v[86:87], v[82:83], v[77:78]
	v_mul_f64 v[77:78], v[80:81], v[77:78]
	s_waitcnt vmcnt(0)
	v_fma_f64 v[80:81], v[80:81], v[84:85], -v[86:87]
	v_fma_f64 v[77:78], v[82:83], v[84:85], v[77:78]
	v_add_f64 v[1:2], v[1:2], v[80:81]
	v_add_f64 v[3:4], v[3:4], v[77:78]
	s_andn2_b32 exec_lo, exec_lo, s4
	s_cbranch_execnz .LBB33_264
; %bb.265:
	s_or_b32 exec_lo, exec_lo, s4
.LBB33_266:
	s_or_b32 exec_lo, exec_lo, s5
	v_mov_b32_e32 v7, 0
	s_mov_b32 s5, exec_lo
	s_or_b32 s43, 0, 8
	ds_read_b128 v[80:83], v7
	s_waitcnt lgkmcnt(0)
	v_mul_f64 v[7:8], v[3:4], v[82:83]
	v_mul_f64 v[77:78], v[1:2], v[82:83]
	v_fma_f64 v[7:8], v[1:2], v[80:81], -v[7:8]
	v_fma_f64 v[1:2], v[3:4], v[80:81], v[77:78]
	buffer_store_dword v8, off, s[0:3], 0 offset:4
	buffer_store_dword v7, off, s[0:3], 0
.LBB33_267:
	s_or_b32 exec_lo, exec_lo, s8
	s_and_b32 vcc_lo, exec_lo, s6
	s_cbranch_vccnz .LBB33_269
	s_branch .LBB33_528
.LBB33_268:
	s_mov_b32 s5, 0
                                        ; implicit-def: $vgpr1_vgpr2
                                        ; implicit-def: $sgpr43
	s_cbranch_execz .LBB33_528
.LBB33_269:
	v_mov_b32_e32 v4, s40
	v_cmp_eq_u32_e64 s4, 0, v0
	v_cndmask_b32_e64 v7, 0, 1, s42
	s_clause 0x3
	buffer_load_dword v1, v4, s[0:3], 0 offen
	buffer_load_dword v2, v4, s[0:3], 0 offen offset:4
	buffer_load_dword v3, v4, s[0:3], 0 offen offset:8
	;; [unrolled: 1-line block ×3, first 2 shown]
	s_waitcnt vmcnt(0)
	ds_write_b128 v6, v[1:4]
	s_waitcnt lgkmcnt(0)
	s_waitcnt_vscnt null, 0x0
	s_barrier
	buffer_gl0_inv
	s_and_saveexec_b32 s6, s4
	s_cbranch_execz .LBB33_273
; %bb.270:
	ds_read_b128 v[1:4], v6
	s_andn2_b32 vcc_lo, exec_lo, s42
	s_cbranch_vccnz .LBB33_272
; %bb.271:
	s_clause 0x3
	buffer_load_dword v77, v5, s[0:3], 0 offen offset:8
	buffer_load_dword v78, v5, s[0:3], 0 offen offset:12
	buffer_load_dword v80, v5, s[0:3], 0 offen
	buffer_load_dword v81, v5, s[0:3], 0 offen offset:4
	s_waitcnt vmcnt(2) lgkmcnt(0)
	v_mul_f64 v[82:83], v[3:4], v[77:78]
	v_mul_f64 v[77:78], v[1:2], v[77:78]
	s_waitcnt vmcnt(0)
	v_fma_f64 v[1:2], v[1:2], v[80:81], -v[82:83]
	v_fma_f64 v[3:4], v[3:4], v[80:81], v[77:78]
.LBB33_272:
	v_mov_b32_e32 v8, 0
	ds_read_b128 v[80:83], v8 offset:16
	s_waitcnt lgkmcnt(0)
	v_mul_f64 v[77:78], v[3:4], v[82:83]
	v_mul_f64 v[82:83], v[1:2], v[82:83]
	v_fma_f64 v[1:2], v[1:2], v[80:81], -v[77:78]
	v_fma_f64 v[3:4], v[3:4], v[80:81], v[82:83]
	buffer_store_dword v2, off, s[0:3], 0 offset:20
	buffer_store_dword v1, off, s[0:3], 0 offset:16
	;; [unrolled: 1-line block ×4, first 2 shown]
.LBB33_273:
	s_or_b32 exec_lo, exec_lo, s6
	v_mov_b32_e32 v4, s41
	s_mov_b32 s6, exec_lo
	s_clause 0x3
	buffer_load_dword v1, v4, s[0:3], 0 offen
	buffer_load_dword v2, v4, s[0:3], 0 offen offset:4
	buffer_load_dword v3, v4, s[0:3], 0 offen offset:8
	;; [unrolled: 1-line block ×3, first 2 shown]
	s_waitcnt vmcnt(0)
	ds_write_b128 v6, v[1:4]
	s_waitcnt lgkmcnt(0)
	s_waitcnt_vscnt null, 0x0
	s_barrier
	buffer_gl0_inv
	v_cmpx_gt_u32_e32 2, v0
	s_cbranch_execz .LBB33_279
; %bb.274:
	ds_read_b128 v[1:4], v6
	v_cmp_ne_u32_e32 vcc_lo, 1, v7
	s_cbranch_vccnz .LBB33_276
; %bb.275:
	s_clause 0x3
	buffer_load_dword v77, v5, s[0:3], 0 offen offset:8
	buffer_load_dword v78, v5, s[0:3], 0 offen offset:12
	buffer_load_dword v80, v5, s[0:3], 0 offen
	buffer_load_dword v81, v5, s[0:3], 0 offen offset:4
	s_waitcnt vmcnt(2) lgkmcnt(0)
	v_mul_f64 v[82:83], v[3:4], v[77:78]
	v_mul_f64 v[77:78], v[1:2], v[77:78]
	s_waitcnt vmcnt(0)
	v_fma_f64 v[1:2], v[1:2], v[80:81], -v[82:83]
	v_fma_f64 v[3:4], v[3:4], v[80:81], v[77:78]
.LBB33_276:
	s_and_saveexec_b32 s8, s4
	s_cbranch_execz .LBB33_278
; %bb.277:
	s_clause 0x3
	buffer_load_dword v77, off, s[0:3], 0 offset:24
	buffer_load_dword v78, off, s[0:3], 0 offset:28
	;; [unrolled: 1-line block ×4, first 2 shown]
	v_mov_b32_e32 v8, 0
	ds_read_b128 v[80:83], v8 offset:560
	s_waitcnt vmcnt(2) lgkmcnt(0)
	v_mul_f64 v[86:87], v[82:83], v[77:78]
	v_mul_f64 v[77:78], v[80:81], v[77:78]
	s_waitcnt vmcnt(0)
	v_fma_f64 v[80:81], v[80:81], v[84:85], -v[86:87]
	v_fma_f64 v[77:78], v[82:83], v[84:85], v[77:78]
	v_add_f64 v[1:2], v[1:2], v[80:81]
	v_add_f64 v[3:4], v[3:4], v[77:78]
.LBB33_278:
	s_or_b32 exec_lo, exec_lo, s8
	v_mov_b32_e32 v8, 0
	ds_read_b128 v[80:83], v8 offset:32
	s_waitcnt lgkmcnt(0)
	v_mul_f64 v[77:78], v[3:4], v[82:83]
	v_mul_f64 v[82:83], v[1:2], v[82:83]
	v_fma_f64 v[1:2], v[1:2], v[80:81], -v[77:78]
	v_fma_f64 v[3:4], v[3:4], v[80:81], v[82:83]
	buffer_store_dword v2, off, s[0:3], 0 offset:36
	buffer_store_dword v1, off, s[0:3], 0 offset:32
	;; [unrolled: 1-line block ×4, first 2 shown]
.LBB33_279:
	s_or_b32 exec_lo, exec_lo, s6
	v_mov_b32_e32 v4, s39
	s_mov_b32 s6, exec_lo
	s_clause 0x3
	buffer_load_dword v1, v4, s[0:3], 0 offen
	buffer_load_dword v2, v4, s[0:3], 0 offen offset:4
	buffer_load_dword v3, v4, s[0:3], 0 offen offset:8
	;; [unrolled: 1-line block ×3, first 2 shown]
	s_waitcnt vmcnt(0)
	ds_write_b128 v6, v[1:4]
	s_waitcnt lgkmcnt(0)
	s_waitcnt_vscnt null, 0x0
	s_barrier
	buffer_gl0_inv
	v_cmpx_gt_u32_e32 3, v0
	s_cbranch_execz .LBB33_287
; %bb.280:
	ds_read_b128 v[1:4], v6
	v_cmp_ne_u32_e32 vcc_lo, 1, v7
	s_cbranch_vccnz .LBB33_282
; %bb.281:
	s_clause 0x3
	buffer_load_dword v77, v5, s[0:3], 0 offen offset:8
	buffer_load_dword v78, v5, s[0:3], 0 offen offset:12
	buffer_load_dword v80, v5, s[0:3], 0 offen
	buffer_load_dword v81, v5, s[0:3], 0 offen offset:4
	s_waitcnt vmcnt(2) lgkmcnt(0)
	v_mul_f64 v[82:83], v[3:4], v[77:78]
	v_mul_f64 v[77:78], v[1:2], v[77:78]
	s_waitcnt vmcnt(0)
	v_fma_f64 v[1:2], v[1:2], v[80:81], -v[82:83]
	v_fma_f64 v[3:4], v[3:4], v[80:81], v[77:78]
.LBB33_282:
	s_mov_b32 s8, exec_lo
	v_cmpx_ne_u32_e32 2, v0
	s_cbranch_execz .LBB33_286
; %bb.283:
	s_clause 0x3
	buffer_load_dword v77, v5, s[0:3], 0 offen offset:24
	buffer_load_dword v78, v5, s[0:3], 0 offen offset:28
	;; [unrolled: 1-line block ×4, first 2 shown]
	ds_read_b128 v[80:83], v6 offset:16
	s_waitcnt vmcnt(2) lgkmcnt(0)
	v_mul_f64 v[86:87], v[82:83], v[77:78]
	v_mul_f64 v[77:78], v[80:81], v[77:78]
	s_waitcnt vmcnt(0)
	v_fma_f64 v[80:81], v[80:81], v[84:85], -v[86:87]
	v_fma_f64 v[77:78], v[82:83], v[84:85], v[77:78]
	v_add_f64 v[1:2], v[1:2], v[80:81]
	v_add_f64 v[3:4], v[3:4], v[77:78]
	s_and_saveexec_b32 s42, s4
	s_cbranch_execz .LBB33_285
; %bb.284:
	s_clause 0x3
	buffer_load_dword v77, off, s[0:3], 0 offset:40
	buffer_load_dword v78, off, s[0:3], 0 offset:44
	;; [unrolled: 1-line block ×4, first 2 shown]
	v_mov_b32_e32 v8, 0
	ds_read_b128 v[80:83], v8 offset:576
	s_waitcnt vmcnt(2) lgkmcnt(0)
	v_mul_f64 v[86:87], v[80:81], v[77:78]
	v_mul_f64 v[77:78], v[82:83], v[77:78]
	s_waitcnt vmcnt(0)
	v_fma_f64 v[82:83], v[82:83], v[84:85], v[86:87]
	v_fma_f64 v[77:78], v[80:81], v[84:85], -v[77:78]
	v_add_f64 v[3:4], v[3:4], v[82:83]
	v_add_f64 v[1:2], v[1:2], v[77:78]
.LBB33_285:
	s_or_b32 exec_lo, exec_lo, s42
.LBB33_286:
	s_or_b32 exec_lo, exec_lo, s8
	v_mov_b32_e32 v8, 0
	ds_read_b128 v[80:83], v8 offset:48
	s_waitcnt lgkmcnt(0)
	v_mul_f64 v[77:78], v[3:4], v[82:83]
	v_mul_f64 v[82:83], v[1:2], v[82:83]
	v_fma_f64 v[1:2], v[1:2], v[80:81], -v[77:78]
	v_fma_f64 v[3:4], v[3:4], v[80:81], v[82:83]
	buffer_store_dword v2, off, s[0:3], 0 offset:52
	buffer_store_dword v1, off, s[0:3], 0 offset:48
	;; [unrolled: 1-line block ×4, first 2 shown]
.LBB33_287:
	s_or_b32 exec_lo, exec_lo, s6
	v_mov_b32_e32 v4, s38
	s_mov_b32 s4, exec_lo
	s_clause 0x3
	buffer_load_dword v1, v4, s[0:3], 0 offen
	buffer_load_dword v2, v4, s[0:3], 0 offen offset:4
	buffer_load_dword v3, v4, s[0:3], 0 offen offset:8
	;; [unrolled: 1-line block ×3, first 2 shown]
	s_waitcnt vmcnt(0)
	ds_write_b128 v6, v[1:4]
	s_waitcnt lgkmcnt(0)
	s_waitcnt_vscnt null, 0x0
	s_barrier
	buffer_gl0_inv
	v_cmpx_gt_u32_e32 4, v0
	s_cbranch_execz .LBB33_295
; %bb.288:
	ds_read_b128 v[1:4], v6
	v_cmp_ne_u32_e32 vcc_lo, 1, v7
	s_cbranch_vccnz .LBB33_290
; %bb.289:
	s_clause 0x3
	buffer_load_dword v77, v5, s[0:3], 0 offen offset:8
	buffer_load_dword v78, v5, s[0:3], 0 offen offset:12
	buffer_load_dword v80, v5, s[0:3], 0 offen
	buffer_load_dword v81, v5, s[0:3], 0 offen offset:4
	s_waitcnt vmcnt(2) lgkmcnt(0)
	v_mul_f64 v[82:83], v[3:4], v[77:78]
	v_mul_f64 v[77:78], v[1:2], v[77:78]
	s_waitcnt vmcnt(0)
	v_fma_f64 v[1:2], v[1:2], v[80:81], -v[82:83]
	v_fma_f64 v[3:4], v[3:4], v[80:81], v[77:78]
.LBB33_290:
	s_mov_b32 s6, exec_lo
	v_cmpx_ne_u32_e32 3, v0
	s_cbranch_execz .LBB33_294
; %bb.291:
	v_add_nc_u32_e32 v8, 0x230, v79
	v_add3_u32 v77, 0, v79, 16
	v_mov_b32_e32 v78, v0
	s_mov_b32 s8, 0
	.p2align	6
.LBB33_292:                             ; =>This Inner Loop Header: Depth=1
	s_clause 0x3
	buffer_load_dword v84, v77, s[0:3], 0 offen offset:8
	buffer_load_dword v85, v77, s[0:3], 0 offen offset:12
	buffer_load_dword v86, v77, s[0:3], 0 offen
	buffer_load_dword v87, v77, s[0:3], 0 offen offset:4
	ds_read_b128 v[80:83], v8
	v_add_nc_u32_e32 v78, 1, v78
	v_add_nc_u32_e32 v8, 16, v8
	;; [unrolled: 1-line block ×3, first 2 shown]
	v_cmp_lt_u32_e32 vcc_lo, 2, v78
	s_or_b32 s8, vcc_lo, s8
	s_waitcnt vmcnt(2) lgkmcnt(0)
	v_mul_f64 v[88:89], v[82:83], v[84:85]
	v_mul_f64 v[84:85], v[80:81], v[84:85]
	s_waitcnt vmcnt(0)
	v_fma_f64 v[80:81], v[80:81], v[86:87], -v[88:89]
	v_fma_f64 v[82:83], v[82:83], v[86:87], v[84:85]
	v_add_f64 v[1:2], v[1:2], v[80:81]
	v_add_f64 v[3:4], v[3:4], v[82:83]
	s_andn2_b32 exec_lo, exec_lo, s8
	s_cbranch_execnz .LBB33_292
; %bb.293:
	s_or_b32 exec_lo, exec_lo, s8
.LBB33_294:
	s_or_b32 exec_lo, exec_lo, s6
	v_mov_b32_e32 v8, 0
	ds_read_b128 v[80:83], v8 offset:64
	s_waitcnt lgkmcnt(0)
	v_mul_f64 v[77:78], v[3:4], v[82:83]
	v_mul_f64 v[82:83], v[1:2], v[82:83]
	v_fma_f64 v[1:2], v[1:2], v[80:81], -v[77:78]
	v_fma_f64 v[3:4], v[3:4], v[80:81], v[82:83]
	buffer_store_dword v2, off, s[0:3], 0 offset:68
	buffer_store_dword v1, off, s[0:3], 0 offset:64
	buffer_store_dword v4, off, s[0:3], 0 offset:76
	buffer_store_dword v3, off, s[0:3], 0 offset:72
.LBB33_295:
	s_or_b32 exec_lo, exec_lo, s4
	v_mov_b32_e32 v4, s37
	s_mov_b32 s4, exec_lo
	s_clause 0x3
	buffer_load_dword v1, v4, s[0:3], 0 offen
	buffer_load_dword v2, v4, s[0:3], 0 offen offset:4
	buffer_load_dword v3, v4, s[0:3], 0 offen offset:8
	;; [unrolled: 1-line block ×3, first 2 shown]
	s_waitcnt vmcnt(0)
	ds_write_b128 v6, v[1:4]
	s_waitcnt lgkmcnt(0)
	s_waitcnt_vscnt null, 0x0
	s_barrier
	buffer_gl0_inv
	v_cmpx_gt_u32_e32 5, v0
	s_cbranch_execz .LBB33_303
; %bb.296:
	ds_read_b128 v[1:4], v6
	v_cmp_ne_u32_e32 vcc_lo, 1, v7
	s_cbranch_vccnz .LBB33_298
; %bb.297:
	s_clause 0x3
	buffer_load_dword v77, v5, s[0:3], 0 offen offset:8
	buffer_load_dword v78, v5, s[0:3], 0 offen offset:12
	buffer_load_dword v80, v5, s[0:3], 0 offen
	buffer_load_dword v81, v5, s[0:3], 0 offen offset:4
	s_waitcnt vmcnt(2) lgkmcnt(0)
	v_mul_f64 v[82:83], v[3:4], v[77:78]
	v_mul_f64 v[77:78], v[1:2], v[77:78]
	s_waitcnt vmcnt(0)
	v_fma_f64 v[1:2], v[1:2], v[80:81], -v[82:83]
	v_fma_f64 v[3:4], v[3:4], v[80:81], v[77:78]
.LBB33_298:
	s_mov_b32 s6, exec_lo
	v_cmpx_ne_u32_e32 4, v0
	s_cbranch_execz .LBB33_302
; %bb.299:
	v_add_nc_u32_e32 v8, 0x230, v79
	v_add3_u32 v77, 0, v79, 16
	v_mov_b32_e32 v78, v0
	s_mov_b32 s8, 0
	.p2align	6
.LBB33_300:                             ; =>This Inner Loop Header: Depth=1
	s_clause 0x3
	buffer_load_dword v84, v77, s[0:3], 0 offen offset:8
	buffer_load_dword v85, v77, s[0:3], 0 offen offset:12
	buffer_load_dword v86, v77, s[0:3], 0 offen
	buffer_load_dword v87, v77, s[0:3], 0 offen offset:4
	ds_read_b128 v[80:83], v8
	v_add_nc_u32_e32 v78, 1, v78
	v_add_nc_u32_e32 v8, 16, v8
	v_add_nc_u32_e32 v77, 16, v77
	v_cmp_lt_u32_e32 vcc_lo, 3, v78
	s_or_b32 s8, vcc_lo, s8
	s_waitcnt vmcnt(2) lgkmcnt(0)
	v_mul_f64 v[88:89], v[82:83], v[84:85]
	v_mul_f64 v[84:85], v[80:81], v[84:85]
	s_waitcnt vmcnt(0)
	v_fma_f64 v[80:81], v[80:81], v[86:87], -v[88:89]
	v_fma_f64 v[82:83], v[82:83], v[86:87], v[84:85]
	v_add_f64 v[1:2], v[1:2], v[80:81]
	v_add_f64 v[3:4], v[3:4], v[82:83]
	s_andn2_b32 exec_lo, exec_lo, s8
	s_cbranch_execnz .LBB33_300
; %bb.301:
	s_or_b32 exec_lo, exec_lo, s8
.LBB33_302:
	s_or_b32 exec_lo, exec_lo, s6
	v_mov_b32_e32 v8, 0
	ds_read_b128 v[80:83], v8 offset:80
	s_waitcnt lgkmcnt(0)
	v_mul_f64 v[77:78], v[3:4], v[82:83]
	v_mul_f64 v[82:83], v[1:2], v[82:83]
	v_fma_f64 v[1:2], v[1:2], v[80:81], -v[77:78]
	v_fma_f64 v[3:4], v[3:4], v[80:81], v[82:83]
	buffer_store_dword v2, off, s[0:3], 0 offset:84
	buffer_store_dword v1, off, s[0:3], 0 offset:80
	;; [unrolled: 1-line block ×4, first 2 shown]
.LBB33_303:
	s_or_b32 exec_lo, exec_lo, s4
	v_mov_b32_e32 v4, s36
	s_mov_b32 s4, exec_lo
	s_clause 0x3
	buffer_load_dword v1, v4, s[0:3], 0 offen
	buffer_load_dword v2, v4, s[0:3], 0 offen offset:4
	buffer_load_dword v3, v4, s[0:3], 0 offen offset:8
	;; [unrolled: 1-line block ×3, first 2 shown]
	s_waitcnt vmcnt(0)
	ds_write_b128 v6, v[1:4]
	s_waitcnt lgkmcnt(0)
	s_waitcnt_vscnt null, 0x0
	s_barrier
	buffer_gl0_inv
	v_cmpx_gt_u32_e32 6, v0
	s_cbranch_execz .LBB33_311
; %bb.304:
	ds_read_b128 v[1:4], v6
	v_cmp_ne_u32_e32 vcc_lo, 1, v7
	s_cbranch_vccnz .LBB33_306
; %bb.305:
	s_clause 0x3
	buffer_load_dword v77, v5, s[0:3], 0 offen offset:8
	buffer_load_dword v78, v5, s[0:3], 0 offen offset:12
	buffer_load_dword v80, v5, s[0:3], 0 offen
	buffer_load_dword v81, v5, s[0:3], 0 offen offset:4
	s_waitcnt vmcnt(2) lgkmcnt(0)
	v_mul_f64 v[82:83], v[3:4], v[77:78]
	v_mul_f64 v[77:78], v[1:2], v[77:78]
	s_waitcnt vmcnt(0)
	v_fma_f64 v[1:2], v[1:2], v[80:81], -v[82:83]
	v_fma_f64 v[3:4], v[3:4], v[80:81], v[77:78]
.LBB33_306:
	s_mov_b32 s6, exec_lo
	v_cmpx_ne_u32_e32 5, v0
	s_cbranch_execz .LBB33_310
; %bb.307:
	v_add_nc_u32_e32 v8, 0x230, v79
	v_add3_u32 v77, 0, v79, 16
	v_mov_b32_e32 v78, v0
	s_mov_b32 s8, 0
	.p2align	6
.LBB33_308:                             ; =>This Inner Loop Header: Depth=1
	s_clause 0x3
	buffer_load_dword v84, v77, s[0:3], 0 offen offset:8
	buffer_load_dword v85, v77, s[0:3], 0 offen offset:12
	buffer_load_dword v86, v77, s[0:3], 0 offen
	buffer_load_dword v87, v77, s[0:3], 0 offen offset:4
	ds_read_b128 v[80:83], v8
	v_add_nc_u32_e32 v78, 1, v78
	v_add_nc_u32_e32 v8, 16, v8
	;; [unrolled: 1-line block ×3, first 2 shown]
	v_cmp_lt_u32_e32 vcc_lo, 4, v78
	s_or_b32 s8, vcc_lo, s8
	s_waitcnt vmcnt(2) lgkmcnt(0)
	v_mul_f64 v[88:89], v[82:83], v[84:85]
	v_mul_f64 v[84:85], v[80:81], v[84:85]
	s_waitcnt vmcnt(0)
	v_fma_f64 v[80:81], v[80:81], v[86:87], -v[88:89]
	v_fma_f64 v[82:83], v[82:83], v[86:87], v[84:85]
	v_add_f64 v[1:2], v[1:2], v[80:81]
	v_add_f64 v[3:4], v[3:4], v[82:83]
	s_andn2_b32 exec_lo, exec_lo, s8
	s_cbranch_execnz .LBB33_308
; %bb.309:
	s_or_b32 exec_lo, exec_lo, s8
.LBB33_310:
	s_or_b32 exec_lo, exec_lo, s6
	v_mov_b32_e32 v8, 0
	ds_read_b128 v[80:83], v8 offset:96
	s_waitcnt lgkmcnt(0)
	v_mul_f64 v[77:78], v[3:4], v[82:83]
	v_mul_f64 v[82:83], v[1:2], v[82:83]
	v_fma_f64 v[1:2], v[1:2], v[80:81], -v[77:78]
	v_fma_f64 v[3:4], v[3:4], v[80:81], v[82:83]
	buffer_store_dword v2, off, s[0:3], 0 offset:100
	buffer_store_dword v1, off, s[0:3], 0 offset:96
	;; [unrolled: 1-line block ×4, first 2 shown]
.LBB33_311:
	s_or_b32 exec_lo, exec_lo, s4
	v_mov_b32_e32 v4, s35
	s_mov_b32 s4, exec_lo
	s_clause 0x3
	buffer_load_dword v1, v4, s[0:3], 0 offen
	buffer_load_dword v2, v4, s[0:3], 0 offen offset:4
	buffer_load_dword v3, v4, s[0:3], 0 offen offset:8
	;; [unrolled: 1-line block ×3, first 2 shown]
	s_waitcnt vmcnt(0)
	ds_write_b128 v6, v[1:4]
	s_waitcnt lgkmcnt(0)
	s_waitcnt_vscnt null, 0x0
	s_barrier
	buffer_gl0_inv
	v_cmpx_gt_u32_e32 7, v0
	s_cbranch_execz .LBB33_319
; %bb.312:
	ds_read_b128 v[1:4], v6
	v_cmp_ne_u32_e32 vcc_lo, 1, v7
	s_cbranch_vccnz .LBB33_314
; %bb.313:
	s_clause 0x3
	buffer_load_dword v77, v5, s[0:3], 0 offen offset:8
	buffer_load_dword v78, v5, s[0:3], 0 offen offset:12
	buffer_load_dword v80, v5, s[0:3], 0 offen
	buffer_load_dword v81, v5, s[0:3], 0 offen offset:4
	s_waitcnt vmcnt(2) lgkmcnt(0)
	v_mul_f64 v[82:83], v[3:4], v[77:78]
	v_mul_f64 v[77:78], v[1:2], v[77:78]
	s_waitcnt vmcnt(0)
	v_fma_f64 v[1:2], v[1:2], v[80:81], -v[82:83]
	v_fma_f64 v[3:4], v[3:4], v[80:81], v[77:78]
.LBB33_314:
	s_mov_b32 s6, exec_lo
	v_cmpx_ne_u32_e32 6, v0
	s_cbranch_execz .LBB33_318
; %bb.315:
	v_add_nc_u32_e32 v8, 0x230, v79
	v_add3_u32 v77, 0, v79, 16
	v_mov_b32_e32 v78, v0
	s_mov_b32 s8, 0
	.p2align	6
.LBB33_316:                             ; =>This Inner Loop Header: Depth=1
	s_clause 0x3
	buffer_load_dword v84, v77, s[0:3], 0 offen offset:8
	buffer_load_dword v85, v77, s[0:3], 0 offen offset:12
	buffer_load_dword v86, v77, s[0:3], 0 offen
	buffer_load_dword v87, v77, s[0:3], 0 offen offset:4
	ds_read_b128 v[80:83], v8
	v_add_nc_u32_e32 v78, 1, v78
	v_add_nc_u32_e32 v8, 16, v8
	;; [unrolled: 1-line block ×3, first 2 shown]
	v_cmp_lt_u32_e32 vcc_lo, 5, v78
	s_or_b32 s8, vcc_lo, s8
	s_waitcnt vmcnt(2) lgkmcnt(0)
	v_mul_f64 v[88:89], v[82:83], v[84:85]
	v_mul_f64 v[84:85], v[80:81], v[84:85]
	s_waitcnt vmcnt(0)
	v_fma_f64 v[80:81], v[80:81], v[86:87], -v[88:89]
	v_fma_f64 v[82:83], v[82:83], v[86:87], v[84:85]
	v_add_f64 v[1:2], v[1:2], v[80:81]
	v_add_f64 v[3:4], v[3:4], v[82:83]
	s_andn2_b32 exec_lo, exec_lo, s8
	s_cbranch_execnz .LBB33_316
; %bb.317:
	s_or_b32 exec_lo, exec_lo, s8
.LBB33_318:
	s_or_b32 exec_lo, exec_lo, s6
	v_mov_b32_e32 v8, 0
	ds_read_b128 v[80:83], v8 offset:112
	s_waitcnt lgkmcnt(0)
	v_mul_f64 v[77:78], v[3:4], v[82:83]
	v_mul_f64 v[82:83], v[1:2], v[82:83]
	v_fma_f64 v[1:2], v[1:2], v[80:81], -v[77:78]
	v_fma_f64 v[3:4], v[3:4], v[80:81], v[82:83]
	buffer_store_dword v2, off, s[0:3], 0 offset:116
	buffer_store_dword v1, off, s[0:3], 0 offset:112
	;; [unrolled: 1-line block ×4, first 2 shown]
.LBB33_319:
	s_or_b32 exec_lo, exec_lo, s4
	v_mov_b32_e32 v4, s34
	s_mov_b32 s4, exec_lo
	s_clause 0x3
	buffer_load_dword v1, v4, s[0:3], 0 offen
	buffer_load_dword v2, v4, s[0:3], 0 offen offset:4
	buffer_load_dword v3, v4, s[0:3], 0 offen offset:8
	;; [unrolled: 1-line block ×3, first 2 shown]
	s_waitcnt vmcnt(0)
	ds_write_b128 v6, v[1:4]
	s_waitcnt lgkmcnt(0)
	s_waitcnt_vscnt null, 0x0
	s_barrier
	buffer_gl0_inv
	v_cmpx_gt_u32_e32 8, v0
	s_cbranch_execz .LBB33_327
; %bb.320:
	ds_read_b128 v[1:4], v6
	v_cmp_ne_u32_e32 vcc_lo, 1, v7
	s_cbranch_vccnz .LBB33_322
; %bb.321:
	s_clause 0x3
	buffer_load_dword v77, v5, s[0:3], 0 offen offset:8
	buffer_load_dword v78, v5, s[0:3], 0 offen offset:12
	buffer_load_dword v80, v5, s[0:3], 0 offen
	buffer_load_dword v81, v5, s[0:3], 0 offen offset:4
	s_waitcnt vmcnt(2) lgkmcnt(0)
	v_mul_f64 v[82:83], v[3:4], v[77:78]
	v_mul_f64 v[77:78], v[1:2], v[77:78]
	s_waitcnt vmcnt(0)
	v_fma_f64 v[1:2], v[1:2], v[80:81], -v[82:83]
	v_fma_f64 v[3:4], v[3:4], v[80:81], v[77:78]
.LBB33_322:
	s_mov_b32 s6, exec_lo
	v_cmpx_ne_u32_e32 7, v0
	s_cbranch_execz .LBB33_326
; %bb.323:
	v_add_nc_u32_e32 v8, 0x230, v79
	v_add3_u32 v77, 0, v79, 16
	v_mov_b32_e32 v78, v0
	s_mov_b32 s8, 0
	.p2align	6
.LBB33_324:                             ; =>This Inner Loop Header: Depth=1
	s_clause 0x3
	buffer_load_dword v84, v77, s[0:3], 0 offen offset:8
	buffer_load_dword v85, v77, s[0:3], 0 offen offset:12
	buffer_load_dword v86, v77, s[0:3], 0 offen
	buffer_load_dword v87, v77, s[0:3], 0 offen offset:4
	ds_read_b128 v[80:83], v8
	v_add_nc_u32_e32 v78, 1, v78
	v_add_nc_u32_e32 v8, 16, v8
	;; [unrolled: 1-line block ×3, first 2 shown]
	v_cmp_lt_u32_e32 vcc_lo, 6, v78
	s_or_b32 s8, vcc_lo, s8
	s_waitcnt vmcnt(2) lgkmcnt(0)
	v_mul_f64 v[88:89], v[82:83], v[84:85]
	v_mul_f64 v[84:85], v[80:81], v[84:85]
	s_waitcnt vmcnt(0)
	v_fma_f64 v[80:81], v[80:81], v[86:87], -v[88:89]
	v_fma_f64 v[82:83], v[82:83], v[86:87], v[84:85]
	v_add_f64 v[1:2], v[1:2], v[80:81]
	v_add_f64 v[3:4], v[3:4], v[82:83]
	s_andn2_b32 exec_lo, exec_lo, s8
	s_cbranch_execnz .LBB33_324
; %bb.325:
	s_or_b32 exec_lo, exec_lo, s8
.LBB33_326:
	s_or_b32 exec_lo, exec_lo, s6
	v_mov_b32_e32 v8, 0
	ds_read_b128 v[80:83], v8 offset:128
	s_waitcnt lgkmcnt(0)
	v_mul_f64 v[77:78], v[3:4], v[82:83]
	v_mul_f64 v[82:83], v[1:2], v[82:83]
	v_fma_f64 v[1:2], v[1:2], v[80:81], -v[77:78]
	v_fma_f64 v[3:4], v[3:4], v[80:81], v[82:83]
	buffer_store_dword v2, off, s[0:3], 0 offset:132
	buffer_store_dword v1, off, s[0:3], 0 offset:128
	;; [unrolled: 1-line block ×4, first 2 shown]
.LBB33_327:
	s_or_b32 exec_lo, exec_lo, s4
	v_mov_b32_e32 v4, s33
	s_mov_b32 s4, exec_lo
	s_clause 0x3
	buffer_load_dword v1, v4, s[0:3], 0 offen
	buffer_load_dword v2, v4, s[0:3], 0 offen offset:4
	buffer_load_dword v3, v4, s[0:3], 0 offen offset:8
	;; [unrolled: 1-line block ×3, first 2 shown]
	s_waitcnt vmcnt(0)
	ds_write_b128 v6, v[1:4]
	s_waitcnt lgkmcnt(0)
	s_waitcnt_vscnt null, 0x0
	s_barrier
	buffer_gl0_inv
	v_cmpx_gt_u32_e32 9, v0
	s_cbranch_execz .LBB33_335
; %bb.328:
	ds_read_b128 v[1:4], v6
	v_cmp_ne_u32_e32 vcc_lo, 1, v7
	s_cbranch_vccnz .LBB33_330
; %bb.329:
	s_clause 0x3
	buffer_load_dword v77, v5, s[0:3], 0 offen offset:8
	buffer_load_dword v78, v5, s[0:3], 0 offen offset:12
	buffer_load_dword v80, v5, s[0:3], 0 offen
	buffer_load_dword v81, v5, s[0:3], 0 offen offset:4
	s_waitcnt vmcnt(2) lgkmcnt(0)
	v_mul_f64 v[82:83], v[3:4], v[77:78]
	v_mul_f64 v[77:78], v[1:2], v[77:78]
	s_waitcnt vmcnt(0)
	v_fma_f64 v[1:2], v[1:2], v[80:81], -v[82:83]
	v_fma_f64 v[3:4], v[3:4], v[80:81], v[77:78]
.LBB33_330:
	s_mov_b32 s6, exec_lo
	v_cmpx_ne_u32_e32 8, v0
	s_cbranch_execz .LBB33_334
; %bb.331:
	v_add_nc_u32_e32 v8, 0x230, v79
	v_add3_u32 v77, 0, v79, 16
	v_mov_b32_e32 v78, v0
	s_mov_b32 s8, 0
	.p2align	6
.LBB33_332:                             ; =>This Inner Loop Header: Depth=1
	s_clause 0x3
	buffer_load_dword v84, v77, s[0:3], 0 offen offset:8
	buffer_load_dword v85, v77, s[0:3], 0 offen offset:12
	buffer_load_dword v86, v77, s[0:3], 0 offen
	buffer_load_dword v87, v77, s[0:3], 0 offen offset:4
	ds_read_b128 v[80:83], v8
	v_add_nc_u32_e32 v78, 1, v78
	v_add_nc_u32_e32 v8, 16, v8
	;; [unrolled: 1-line block ×3, first 2 shown]
	v_cmp_lt_u32_e32 vcc_lo, 7, v78
	s_or_b32 s8, vcc_lo, s8
	s_waitcnt vmcnt(2) lgkmcnt(0)
	v_mul_f64 v[88:89], v[82:83], v[84:85]
	v_mul_f64 v[84:85], v[80:81], v[84:85]
	s_waitcnt vmcnt(0)
	v_fma_f64 v[80:81], v[80:81], v[86:87], -v[88:89]
	v_fma_f64 v[82:83], v[82:83], v[86:87], v[84:85]
	v_add_f64 v[1:2], v[1:2], v[80:81]
	v_add_f64 v[3:4], v[3:4], v[82:83]
	s_andn2_b32 exec_lo, exec_lo, s8
	s_cbranch_execnz .LBB33_332
; %bb.333:
	s_or_b32 exec_lo, exec_lo, s8
.LBB33_334:
	s_or_b32 exec_lo, exec_lo, s6
	v_mov_b32_e32 v8, 0
	ds_read_b128 v[80:83], v8 offset:144
	s_waitcnt lgkmcnt(0)
	v_mul_f64 v[77:78], v[3:4], v[82:83]
	v_mul_f64 v[82:83], v[1:2], v[82:83]
	v_fma_f64 v[1:2], v[1:2], v[80:81], -v[77:78]
	v_fma_f64 v[3:4], v[3:4], v[80:81], v[82:83]
	buffer_store_dword v2, off, s[0:3], 0 offset:148
	buffer_store_dword v1, off, s[0:3], 0 offset:144
	;; [unrolled: 1-line block ×4, first 2 shown]
.LBB33_335:
	s_or_b32 exec_lo, exec_lo, s4
	v_mov_b32_e32 v4, s31
	s_mov_b32 s4, exec_lo
	s_clause 0x3
	buffer_load_dword v1, v4, s[0:3], 0 offen
	buffer_load_dword v2, v4, s[0:3], 0 offen offset:4
	buffer_load_dword v3, v4, s[0:3], 0 offen offset:8
	;; [unrolled: 1-line block ×3, first 2 shown]
	s_waitcnt vmcnt(0)
	ds_write_b128 v6, v[1:4]
	s_waitcnt lgkmcnt(0)
	s_waitcnt_vscnt null, 0x0
	s_barrier
	buffer_gl0_inv
	v_cmpx_gt_u32_e32 10, v0
	s_cbranch_execz .LBB33_343
; %bb.336:
	ds_read_b128 v[1:4], v6
	v_cmp_ne_u32_e32 vcc_lo, 1, v7
	s_cbranch_vccnz .LBB33_338
; %bb.337:
	s_clause 0x3
	buffer_load_dword v77, v5, s[0:3], 0 offen offset:8
	buffer_load_dword v78, v5, s[0:3], 0 offen offset:12
	buffer_load_dword v80, v5, s[0:3], 0 offen
	buffer_load_dword v81, v5, s[0:3], 0 offen offset:4
	s_waitcnt vmcnt(2) lgkmcnt(0)
	v_mul_f64 v[82:83], v[3:4], v[77:78]
	v_mul_f64 v[77:78], v[1:2], v[77:78]
	s_waitcnt vmcnt(0)
	v_fma_f64 v[1:2], v[1:2], v[80:81], -v[82:83]
	v_fma_f64 v[3:4], v[3:4], v[80:81], v[77:78]
.LBB33_338:
	s_mov_b32 s6, exec_lo
	v_cmpx_ne_u32_e32 9, v0
	s_cbranch_execz .LBB33_342
; %bb.339:
	v_add_nc_u32_e32 v8, 0x230, v79
	v_add3_u32 v77, 0, v79, 16
	v_mov_b32_e32 v78, v0
	s_mov_b32 s8, 0
	.p2align	6
.LBB33_340:                             ; =>This Inner Loop Header: Depth=1
	s_clause 0x3
	buffer_load_dword v84, v77, s[0:3], 0 offen offset:8
	buffer_load_dword v85, v77, s[0:3], 0 offen offset:12
	buffer_load_dword v86, v77, s[0:3], 0 offen
	buffer_load_dword v87, v77, s[0:3], 0 offen offset:4
	ds_read_b128 v[80:83], v8
	v_add_nc_u32_e32 v78, 1, v78
	v_add_nc_u32_e32 v8, 16, v8
	;; [unrolled: 1-line block ×3, first 2 shown]
	v_cmp_lt_u32_e32 vcc_lo, 8, v78
	s_or_b32 s8, vcc_lo, s8
	s_waitcnt vmcnt(2) lgkmcnt(0)
	v_mul_f64 v[88:89], v[82:83], v[84:85]
	v_mul_f64 v[84:85], v[80:81], v[84:85]
	s_waitcnt vmcnt(0)
	v_fma_f64 v[80:81], v[80:81], v[86:87], -v[88:89]
	v_fma_f64 v[82:83], v[82:83], v[86:87], v[84:85]
	v_add_f64 v[1:2], v[1:2], v[80:81]
	v_add_f64 v[3:4], v[3:4], v[82:83]
	s_andn2_b32 exec_lo, exec_lo, s8
	s_cbranch_execnz .LBB33_340
; %bb.341:
	s_or_b32 exec_lo, exec_lo, s8
.LBB33_342:
	s_or_b32 exec_lo, exec_lo, s6
	v_mov_b32_e32 v8, 0
	ds_read_b128 v[80:83], v8 offset:160
	s_waitcnt lgkmcnt(0)
	v_mul_f64 v[77:78], v[3:4], v[82:83]
	v_mul_f64 v[82:83], v[1:2], v[82:83]
	v_fma_f64 v[1:2], v[1:2], v[80:81], -v[77:78]
	v_fma_f64 v[3:4], v[3:4], v[80:81], v[82:83]
	buffer_store_dword v2, off, s[0:3], 0 offset:164
	buffer_store_dword v1, off, s[0:3], 0 offset:160
	;; [unrolled: 1-line block ×4, first 2 shown]
.LBB33_343:
	s_or_b32 exec_lo, exec_lo, s4
	v_mov_b32_e32 v4, s30
	s_mov_b32 s4, exec_lo
	s_clause 0x3
	buffer_load_dword v1, v4, s[0:3], 0 offen
	buffer_load_dword v2, v4, s[0:3], 0 offen offset:4
	buffer_load_dword v3, v4, s[0:3], 0 offen offset:8
	;; [unrolled: 1-line block ×3, first 2 shown]
	s_waitcnt vmcnt(0)
	ds_write_b128 v6, v[1:4]
	s_waitcnt lgkmcnt(0)
	s_waitcnt_vscnt null, 0x0
	s_barrier
	buffer_gl0_inv
	v_cmpx_gt_u32_e32 11, v0
	s_cbranch_execz .LBB33_351
; %bb.344:
	ds_read_b128 v[1:4], v6
	v_cmp_ne_u32_e32 vcc_lo, 1, v7
	s_cbranch_vccnz .LBB33_346
; %bb.345:
	s_clause 0x3
	buffer_load_dword v77, v5, s[0:3], 0 offen offset:8
	buffer_load_dword v78, v5, s[0:3], 0 offen offset:12
	buffer_load_dword v80, v5, s[0:3], 0 offen
	buffer_load_dword v81, v5, s[0:3], 0 offen offset:4
	s_waitcnt vmcnt(2) lgkmcnt(0)
	v_mul_f64 v[82:83], v[3:4], v[77:78]
	v_mul_f64 v[77:78], v[1:2], v[77:78]
	s_waitcnt vmcnt(0)
	v_fma_f64 v[1:2], v[1:2], v[80:81], -v[82:83]
	v_fma_f64 v[3:4], v[3:4], v[80:81], v[77:78]
.LBB33_346:
	s_mov_b32 s6, exec_lo
	v_cmpx_ne_u32_e32 10, v0
	s_cbranch_execz .LBB33_350
; %bb.347:
	v_add_nc_u32_e32 v8, 0x230, v79
	v_add3_u32 v77, 0, v79, 16
	v_mov_b32_e32 v78, v0
	s_mov_b32 s8, 0
	.p2align	6
.LBB33_348:                             ; =>This Inner Loop Header: Depth=1
	s_clause 0x3
	buffer_load_dword v84, v77, s[0:3], 0 offen offset:8
	buffer_load_dword v85, v77, s[0:3], 0 offen offset:12
	buffer_load_dword v86, v77, s[0:3], 0 offen
	buffer_load_dword v87, v77, s[0:3], 0 offen offset:4
	ds_read_b128 v[80:83], v8
	v_add_nc_u32_e32 v78, 1, v78
	v_add_nc_u32_e32 v8, 16, v8
	;; [unrolled: 1-line block ×3, first 2 shown]
	v_cmp_lt_u32_e32 vcc_lo, 9, v78
	s_or_b32 s8, vcc_lo, s8
	s_waitcnt vmcnt(2) lgkmcnt(0)
	v_mul_f64 v[88:89], v[82:83], v[84:85]
	v_mul_f64 v[84:85], v[80:81], v[84:85]
	s_waitcnt vmcnt(0)
	v_fma_f64 v[80:81], v[80:81], v[86:87], -v[88:89]
	v_fma_f64 v[82:83], v[82:83], v[86:87], v[84:85]
	v_add_f64 v[1:2], v[1:2], v[80:81]
	v_add_f64 v[3:4], v[3:4], v[82:83]
	s_andn2_b32 exec_lo, exec_lo, s8
	s_cbranch_execnz .LBB33_348
; %bb.349:
	s_or_b32 exec_lo, exec_lo, s8
.LBB33_350:
	s_or_b32 exec_lo, exec_lo, s6
	v_mov_b32_e32 v8, 0
	ds_read_b128 v[80:83], v8 offset:176
	s_waitcnt lgkmcnt(0)
	v_mul_f64 v[77:78], v[3:4], v[82:83]
	v_mul_f64 v[82:83], v[1:2], v[82:83]
	v_fma_f64 v[1:2], v[1:2], v[80:81], -v[77:78]
	v_fma_f64 v[3:4], v[3:4], v[80:81], v[82:83]
	buffer_store_dword v2, off, s[0:3], 0 offset:180
	buffer_store_dword v1, off, s[0:3], 0 offset:176
	;; [unrolled: 1-line block ×4, first 2 shown]
.LBB33_351:
	s_or_b32 exec_lo, exec_lo, s4
	v_mov_b32_e32 v4, s29
	s_mov_b32 s4, exec_lo
	s_clause 0x3
	buffer_load_dword v1, v4, s[0:3], 0 offen
	buffer_load_dword v2, v4, s[0:3], 0 offen offset:4
	buffer_load_dword v3, v4, s[0:3], 0 offen offset:8
	;; [unrolled: 1-line block ×3, first 2 shown]
	s_waitcnt vmcnt(0)
	ds_write_b128 v6, v[1:4]
	s_waitcnt lgkmcnt(0)
	s_waitcnt_vscnt null, 0x0
	s_barrier
	buffer_gl0_inv
	v_cmpx_gt_u32_e32 12, v0
	s_cbranch_execz .LBB33_359
; %bb.352:
	ds_read_b128 v[1:4], v6
	v_cmp_ne_u32_e32 vcc_lo, 1, v7
	s_cbranch_vccnz .LBB33_354
; %bb.353:
	s_clause 0x3
	buffer_load_dword v77, v5, s[0:3], 0 offen offset:8
	buffer_load_dword v78, v5, s[0:3], 0 offen offset:12
	buffer_load_dword v80, v5, s[0:3], 0 offen
	buffer_load_dword v81, v5, s[0:3], 0 offen offset:4
	s_waitcnt vmcnt(2) lgkmcnt(0)
	v_mul_f64 v[82:83], v[3:4], v[77:78]
	v_mul_f64 v[77:78], v[1:2], v[77:78]
	s_waitcnt vmcnt(0)
	v_fma_f64 v[1:2], v[1:2], v[80:81], -v[82:83]
	v_fma_f64 v[3:4], v[3:4], v[80:81], v[77:78]
.LBB33_354:
	s_mov_b32 s6, exec_lo
	v_cmpx_ne_u32_e32 11, v0
	s_cbranch_execz .LBB33_358
; %bb.355:
	v_add_nc_u32_e32 v8, 0x230, v79
	v_add3_u32 v77, 0, v79, 16
	v_mov_b32_e32 v78, v0
	s_mov_b32 s8, 0
	.p2align	6
.LBB33_356:                             ; =>This Inner Loop Header: Depth=1
	s_clause 0x3
	buffer_load_dword v84, v77, s[0:3], 0 offen offset:8
	buffer_load_dword v85, v77, s[0:3], 0 offen offset:12
	buffer_load_dword v86, v77, s[0:3], 0 offen
	buffer_load_dword v87, v77, s[0:3], 0 offen offset:4
	ds_read_b128 v[80:83], v8
	v_add_nc_u32_e32 v78, 1, v78
	v_add_nc_u32_e32 v8, 16, v8
	v_add_nc_u32_e32 v77, 16, v77
	v_cmp_lt_u32_e32 vcc_lo, 10, v78
	s_or_b32 s8, vcc_lo, s8
	s_waitcnt vmcnt(2) lgkmcnt(0)
	v_mul_f64 v[88:89], v[82:83], v[84:85]
	v_mul_f64 v[84:85], v[80:81], v[84:85]
	s_waitcnt vmcnt(0)
	v_fma_f64 v[80:81], v[80:81], v[86:87], -v[88:89]
	v_fma_f64 v[82:83], v[82:83], v[86:87], v[84:85]
	v_add_f64 v[1:2], v[1:2], v[80:81]
	v_add_f64 v[3:4], v[3:4], v[82:83]
	s_andn2_b32 exec_lo, exec_lo, s8
	s_cbranch_execnz .LBB33_356
; %bb.357:
	s_or_b32 exec_lo, exec_lo, s8
.LBB33_358:
	s_or_b32 exec_lo, exec_lo, s6
	v_mov_b32_e32 v8, 0
	ds_read_b128 v[80:83], v8 offset:192
	s_waitcnt lgkmcnt(0)
	v_mul_f64 v[77:78], v[3:4], v[82:83]
	v_mul_f64 v[82:83], v[1:2], v[82:83]
	v_fma_f64 v[1:2], v[1:2], v[80:81], -v[77:78]
	v_fma_f64 v[3:4], v[3:4], v[80:81], v[82:83]
	buffer_store_dword v2, off, s[0:3], 0 offset:196
	buffer_store_dword v1, off, s[0:3], 0 offset:192
	;; [unrolled: 1-line block ×4, first 2 shown]
.LBB33_359:
	s_or_b32 exec_lo, exec_lo, s4
	v_mov_b32_e32 v4, s28
	s_mov_b32 s4, exec_lo
	s_clause 0x3
	buffer_load_dword v1, v4, s[0:3], 0 offen
	buffer_load_dword v2, v4, s[0:3], 0 offen offset:4
	buffer_load_dword v3, v4, s[0:3], 0 offen offset:8
	;; [unrolled: 1-line block ×3, first 2 shown]
	s_waitcnt vmcnt(0)
	ds_write_b128 v6, v[1:4]
	s_waitcnt lgkmcnt(0)
	s_waitcnt_vscnt null, 0x0
	s_barrier
	buffer_gl0_inv
	v_cmpx_gt_u32_e32 13, v0
	s_cbranch_execz .LBB33_367
; %bb.360:
	ds_read_b128 v[1:4], v6
	v_cmp_ne_u32_e32 vcc_lo, 1, v7
	s_cbranch_vccnz .LBB33_362
; %bb.361:
	s_clause 0x3
	buffer_load_dword v77, v5, s[0:3], 0 offen offset:8
	buffer_load_dword v78, v5, s[0:3], 0 offen offset:12
	buffer_load_dword v80, v5, s[0:3], 0 offen
	buffer_load_dword v81, v5, s[0:3], 0 offen offset:4
	s_waitcnt vmcnt(2) lgkmcnt(0)
	v_mul_f64 v[82:83], v[3:4], v[77:78]
	v_mul_f64 v[77:78], v[1:2], v[77:78]
	s_waitcnt vmcnt(0)
	v_fma_f64 v[1:2], v[1:2], v[80:81], -v[82:83]
	v_fma_f64 v[3:4], v[3:4], v[80:81], v[77:78]
.LBB33_362:
	s_mov_b32 s6, exec_lo
	v_cmpx_ne_u32_e32 12, v0
	s_cbranch_execz .LBB33_366
; %bb.363:
	v_add_nc_u32_e32 v8, 0x230, v79
	v_add3_u32 v77, 0, v79, 16
	v_mov_b32_e32 v78, v0
	s_mov_b32 s8, 0
	.p2align	6
.LBB33_364:                             ; =>This Inner Loop Header: Depth=1
	s_clause 0x3
	buffer_load_dword v84, v77, s[0:3], 0 offen offset:8
	buffer_load_dword v85, v77, s[0:3], 0 offen offset:12
	buffer_load_dword v86, v77, s[0:3], 0 offen
	buffer_load_dword v87, v77, s[0:3], 0 offen offset:4
	ds_read_b128 v[80:83], v8
	v_add_nc_u32_e32 v78, 1, v78
	v_add_nc_u32_e32 v8, 16, v8
	;; [unrolled: 1-line block ×3, first 2 shown]
	v_cmp_lt_u32_e32 vcc_lo, 11, v78
	s_or_b32 s8, vcc_lo, s8
	s_waitcnt vmcnt(2) lgkmcnt(0)
	v_mul_f64 v[88:89], v[82:83], v[84:85]
	v_mul_f64 v[84:85], v[80:81], v[84:85]
	s_waitcnt vmcnt(0)
	v_fma_f64 v[80:81], v[80:81], v[86:87], -v[88:89]
	v_fma_f64 v[82:83], v[82:83], v[86:87], v[84:85]
	v_add_f64 v[1:2], v[1:2], v[80:81]
	v_add_f64 v[3:4], v[3:4], v[82:83]
	s_andn2_b32 exec_lo, exec_lo, s8
	s_cbranch_execnz .LBB33_364
; %bb.365:
	s_or_b32 exec_lo, exec_lo, s8
.LBB33_366:
	s_or_b32 exec_lo, exec_lo, s6
	v_mov_b32_e32 v8, 0
	ds_read_b128 v[80:83], v8 offset:208
	s_waitcnt lgkmcnt(0)
	v_mul_f64 v[77:78], v[3:4], v[82:83]
	v_mul_f64 v[82:83], v[1:2], v[82:83]
	v_fma_f64 v[1:2], v[1:2], v[80:81], -v[77:78]
	v_fma_f64 v[3:4], v[3:4], v[80:81], v[82:83]
	buffer_store_dword v2, off, s[0:3], 0 offset:212
	buffer_store_dword v1, off, s[0:3], 0 offset:208
	;; [unrolled: 1-line block ×4, first 2 shown]
.LBB33_367:
	s_or_b32 exec_lo, exec_lo, s4
	v_mov_b32_e32 v4, s27
	s_mov_b32 s4, exec_lo
	s_clause 0x3
	buffer_load_dword v1, v4, s[0:3], 0 offen
	buffer_load_dword v2, v4, s[0:3], 0 offen offset:4
	buffer_load_dword v3, v4, s[0:3], 0 offen offset:8
	;; [unrolled: 1-line block ×3, first 2 shown]
	s_waitcnt vmcnt(0)
	ds_write_b128 v6, v[1:4]
	s_waitcnt lgkmcnt(0)
	s_waitcnt_vscnt null, 0x0
	s_barrier
	buffer_gl0_inv
	v_cmpx_gt_u32_e32 14, v0
	s_cbranch_execz .LBB33_375
; %bb.368:
	ds_read_b128 v[1:4], v6
	v_cmp_ne_u32_e32 vcc_lo, 1, v7
	s_cbranch_vccnz .LBB33_370
; %bb.369:
	s_clause 0x3
	buffer_load_dword v77, v5, s[0:3], 0 offen offset:8
	buffer_load_dword v78, v5, s[0:3], 0 offen offset:12
	buffer_load_dword v80, v5, s[0:3], 0 offen
	buffer_load_dword v81, v5, s[0:3], 0 offen offset:4
	s_waitcnt vmcnt(2) lgkmcnt(0)
	v_mul_f64 v[82:83], v[3:4], v[77:78]
	v_mul_f64 v[77:78], v[1:2], v[77:78]
	s_waitcnt vmcnt(0)
	v_fma_f64 v[1:2], v[1:2], v[80:81], -v[82:83]
	v_fma_f64 v[3:4], v[3:4], v[80:81], v[77:78]
.LBB33_370:
	s_mov_b32 s6, exec_lo
	v_cmpx_ne_u32_e32 13, v0
	s_cbranch_execz .LBB33_374
; %bb.371:
	v_add_nc_u32_e32 v8, 0x230, v79
	v_add3_u32 v77, 0, v79, 16
	v_mov_b32_e32 v78, v0
	s_mov_b32 s8, 0
	.p2align	6
.LBB33_372:                             ; =>This Inner Loop Header: Depth=1
	s_clause 0x3
	buffer_load_dword v84, v77, s[0:3], 0 offen offset:8
	buffer_load_dword v85, v77, s[0:3], 0 offen offset:12
	buffer_load_dword v86, v77, s[0:3], 0 offen
	buffer_load_dword v87, v77, s[0:3], 0 offen offset:4
	ds_read_b128 v[80:83], v8
	v_add_nc_u32_e32 v78, 1, v78
	v_add_nc_u32_e32 v8, 16, v8
	;; [unrolled: 1-line block ×3, first 2 shown]
	v_cmp_lt_u32_e32 vcc_lo, 12, v78
	s_or_b32 s8, vcc_lo, s8
	s_waitcnt vmcnt(2) lgkmcnt(0)
	v_mul_f64 v[88:89], v[82:83], v[84:85]
	v_mul_f64 v[84:85], v[80:81], v[84:85]
	s_waitcnt vmcnt(0)
	v_fma_f64 v[80:81], v[80:81], v[86:87], -v[88:89]
	v_fma_f64 v[82:83], v[82:83], v[86:87], v[84:85]
	v_add_f64 v[1:2], v[1:2], v[80:81]
	v_add_f64 v[3:4], v[3:4], v[82:83]
	s_andn2_b32 exec_lo, exec_lo, s8
	s_cbranch_execnz .LBB33_372
; %bb.373:
	s_or_b32 exec_lo, exec_lo, s8
.LBB33_374:
	s_or_b32 exec_lo, exec_lo, s6
	v_mov_b32_e32 v8, 0
	ds_read_b128 v[80:83], v8 offset:224
	s_waitcnt lgkmcnt(0)
	v_mul_f64 v[77:78], v[3:4], v[82:83]
	v_mul_f64 v[82:83], v[1:2], v[82:83]
	v_fma_f64 v[1:2], v[1:2], v[80:81], -v[77:78]
	v_fma_f64 v[3:4], v[3:4], v[80:81], v[82:83]
	buffer_store_dword v2, off, s[0:3], 0 offset:228
	buffer_store_dword v1, off, s[0:3], 0 offset:224
	;; [unrolled: 1-line block ×4, first 2 shown]
.LBB33_375:
	s_or_b32 exec_lo, exec_lo, s4
	v_mov_b32_e32 v4, s26
	s_mov_b32 s4, exec_lo
	s_clause 0x3
	buffer_load_dword v1, v4, s[0:3], 0 offen
	buffer_load_dword v2, v4, s[0:3], 0 offen offset:4
	buffer_load_dword v3, v4, s[0:3], 0 offen offset:8
	;; [unrolled: 1-line block ×3, first 2 shown]
	s_waitcnt vmcnt(0)
	ds_write_b128 v6, v[1:4]
	s_waitcnt lgkmcnt(0)
	s_waitcnt_vscnt null, 0x0
	s_barrier
	buffer_gl0_inv
	v_cmpx_gt_u32_e32 15, v0
	s_cbranch_execz .LBB33_383
; %bb.376:
	ds_read_b128 v[1:4], v6
	v_cmp_ne_u32_e32 vcc_lo, 1, v7
	s_cbranch_vccnz .LBB33_378
; %bb.377:
	s_clause 0x3
	buffer_load_dword v77, v5, s[0:3], 0 offen offset:8
	buffer_load_dword v78, v5, s[0:3], 0 offen offset:12
	buffer_load_dword v80, v5, s[0:3], 0 offen
	buffer_load_dword v81, v5, s[0:3], 0 offen offset:4
	s_waitcnt vmcnt(2) lgkmcnt(0)
	v_mul_f64 v[82:83], v[3:4], v[77:78]
	v_mul_f64 v[77:78], v[1:2], v[77:78]
	s_waitcnt vmcnt(0)
	v_fma_f64 v[1:2], v[1:2], v[80:81], -v[82:83]
	v_fma_f64 v[3:4], v[3:4], v[80:81], v[77:78]
.LBB33_378:
	s_mov_b32 s6, exec_lo
	v_cmpx_ne_u32_e32 14, v0
	s_cbranch_execz .LBB33_382
; %bb.379:
	v_add_nc_u32_e32 v8, 0x230, v79
	v_add3_u32 v77, 0, v79, 16
	v_mov_b32_e32 v78, v0
	s_mov_b32 s8, 0
	.p2align	6
.LBB33_380:                             ; =>This Inner Loop Header: Depth=1
	s_clause 0x3
	buffer_load_dword v84, v77, s[0:3], 0 offen offset:8
	buffer_load_dword v85, v77, s[0:3], 0 offen offset:12
	buffer_load_dword v86, v77, s[0:3], 0 offen
	buffer_load_dword v87, v77, s[0:3], 0 offen offset:4
	ds_read_b128 v[80:83], v8
	v_add_nc_u32_e32 v78, 1, v78
	v_add_nc_u32_e32 v8, 16, v8
	;; [unrolled: 1-line block ×3, first 2 shown]
	v_cmp_lt_u32_e32 vcc_lo, 13, v78
	s_or_b32 s8, vcc_lo, s8
	s_waitcnt vmcnt(2) lgkmcnt(0)
	v_mul_f64 v[88:89], v[82:83], v[84:85]
	v_mul_f64 v[84:85], v[80:81], v[84:85]
	s_waitcnt vmcnt(0)
	v_fma_f64 v[80:81], v[80:81], v[86:87], -v[88:89]
	v_fma_f64 v[82:83], v[82:83], v[86:87], v[84:85]
	v_add_f64 v[1:2], v[1:2], v[80:81]
	v_add_f64 v[3:4], v[3:4], v[82:83]
	s_andn2_b32 exec_lo, exec_lo, s8
	s_cbranch_execnz .LBB33_380
; %bb.381:
	s_or_b32 exec_lo, exec_lo, s8
.LBB33_382:
	s_or_b32 exec_lo, exec_lo, s6
	v_mov_b32_e32 v8, 0
	ds_read_b128 v[80:83], v8 offset:240
	s_waitcnt lgkmcnt(0)
	v_mul_f64 v[77:78], v[3:4], v[82:83]
	v_mul_f64 v[82:83], v[1:2], v[82:83]
	v_fma_f64 v[1:2], v[1:2], v[80:81], -v[77:78]
	v_fma_f64 v[3:4], v[3:4], v[80:81], v[82:83]
	buffer_store_dword v2, off, s[0:3], 0 offset:244
	buffer_store_dword v1, off, s[0:3], 0 offset:240
	;; [unrolled: 1-line block ×4, first 2 shown]
.LBB33_383:
	s_or_b32 exec_lo, exec_lo, s4
	v_mov_b32_e32 v4, s25
	s_mov_b32 s4, exec_lo
	s_clause 0x3
	buffer_load_dword v1, v4, s[0:3], 0 offen
	buffer_load_dword v2, v4, s[0:3], 0 offen offset:4
	buffer_load_dword v3, v4, s[0:3], 0 offen offset:8
	;; [unrolled: 1-line block ×3, first 2 shown]
	s_waitcnt vmcnt(0)
	ds_write_b128 v6, v[1:4]
	s_waitcnt lgkmcnt(0)
	s_waitcnt_vscnt null, 0x0
	s_barrier
	buffer_gl0_inv
	v_cmpx_gt_u32_e32 16, v0
	s_cbranch_execz .LBB33_391
; %bb.384:
	ds_read_b128 v[1:4], v6
	v_cmp_ne_u32_e32 vcc_lo, 1, v7
	s_cbranch_vccnz .LBB33_386
; %bb.385:
	s_clause 0x3
	buffer_load_dword v77, v5, s[0:3], 0 offen offset:8
	buffer_load_dword v78, v5, s[0:3], 0 offen offset:12
	buffer_load_dword v80, v5, s[0:3], 0 offen
	buffer_load_dword v81, v5, s[0:3], 0 offen offset:4
	s_waitcnt vmcnt(2) lgkmcnt(0)
	v_mul_f64 v[82:83], v[3:4], v[77:78]
	v_mul_f64 v[77:78], v[1:2], v[77:78]
	s_waitcnt vmcnt(0)
	v_fma_f64 v[1:2], v[1:2], v[80:81], -v[82:83]
	v_fma_f64 v[3:4], v[3:4], v[80:81], v[77:78]
.LBB33_386:
	s_mov_b32 s6, exec_lo
	v_cmpx_ne_u32_e32 15, v0
	s_cbranch_execz .LBB33_390
; %bb.387:
	v_add_nc_u32_e32 v8, 0x230, v79
	v_add3_u32 v77, 0, v79, 16
	v_mov_b32_e32 v78, v0
	s_mov_b32 s8, 0
	.p2align	6
.LBB33_388:                             ; =>This Inner Loop Header: Depth=1
	s_clause 0x3
	buffer_load_dword v84, v77, s[0:3], 0 offen offset:8
	buffer_load_dword v85, v77, s[0:3], 0 offen offset:12
	buffer_load_dword v86, v77, s[0:3], 0 offen
	buffer_load_dword v87, v77, s[0:3], 0 offen offset:4
	ds_read_b128 v[80:83], v8
	v_add_nc_u32_e32 v78, 1, v78
	v_add_nc_u32_e32 v8, 16, v8
	;; [unrolled: 1-line block ×3, first 2 shown]
	v_cmp_lt_u32_e32 vcc_lo, 14, v78
	s_or_b32 s8, vcc_lo, s8
	s_waitcnt vmcnt(2) lgkmcnt(0)
	v_mul_f64 v[88:89], v[82:83], v[84:85]
	v_mul_f64 v[84:85], v[80:81], v[84:85]
	s_waitcnt vmcnt(0)
	v_fma_f64 v[80:81], v[80:81], v[86:87], -v[88:89]
	v_fma_f64 v[82:83], v[82:83], v[86:87], v[84:85]
	v_add_f64 v[1:2], v[1:2], v[80:81]
	v_add_f64 v[3:4], v[3:4], v[82:83]
	s_andn2_b32 exec_lo, exec_lo, s8
	s_cbranch_execnz .LBB33_388
; %bb.389:
	s_or_b32 exec_lo, exec_lo, s8
.LBB33_390:
	s_or_b32 exec_lo, exec_lo, s6
	v_mov_b32_e32 v8, 0
	ds_read_b128 v[80:83], v8 offset:256
	s_waitcnt lgkmcnt(0)
	v_mul_f64 v[77:78], v[3:4], v[82:83]
	v_mul_f64 v[82:83], v[1:2], v[82:83]
	v_fma_f64 v[1:2], v[1:2], v[80:81], -v[77:78]
	v_fma_f64 v[3:4], v[3:4], v[80:81], v[82:83]
	buffer_store_dword v2, off, s[0:3], 0 offset:260
	buffer_store_dword v1, off, s[0:3], 0 offset:256
	;; [unrolled: 1-line block ×4, first 2 shown]
.LBB33_391:
	s_or_b32 exec_lo, exec_lo, s4
	v_mov_b32_e32 v4, s24
	s_mov_b32 s4, exec_lo
	s_clause 0x3
	buffer_load_dword v1, v4, s[0:3], 0 offen
	buffer_load_dword v2, v4, s[0:3], 0 offen offset:4
	buffer_load_dword v3, v4, s[0:3], 0 offen offset:8
	;; [unrolled: 1-line block ×3, first 2 shown]
	s_waitcnt vmcnt(0)
	ds_write_b128 v6, v[1:4]
	s_waitcnt lgkmcnt(0)
	s_waitcnt_vscnt null, 0x0
	s_barrier
	buffer_gl0_inv
	v_cmpx_gt_u32_e32 17, v0
	s_cbranch_execz .LBB33_399
; %bb.392:
	ds_read_b128 v[1:4], v6
	v_cmp_ne_u32_e32 vcc_lo, 1, v7
	s_cbranch_vccnz .LBB33_394
; %bb.393:
	s_clause 0x3
	buffer_load_dword v77, v5, s[0:3], 0 offen offset:8
	buffer_load_dword v78, v5, s[0:3], 0 offen offset:12
	buffer_load_dword v80, v5, s[0:3], 0 offen
	buffer_load_dword v81, v5, s[0:3], 0 offen offset:4
	s_waitcnt vmcnt(2) lgkmcnt(0)
	v_mul_f64 v[82:83], v[3:4], v[77:78]
	v_mul_f64 v[77:78], v[1:2], v[77:78]
	s_waitcnt vmcnt(0)
	v_fma_f64 v[1:2], v[1:2], v[80:81], -v[82:83]
	v_fma_f64 v[3:4], v[3:4], v[80:81], v[77:78]
.LBB33_394:
	s_mov_b32 s6, exec_lo
	v_cmpx_ne_u32_e32 16, v0
	s_cbranch_execz .LBB33_398
; %bb.395:
	v_add_nc_u32_e32 v8, 0x230, v79
	v_add3_u32 v77, 0, v79, 16
	v_mov_b32_e32 v78, v0
	s_mov_b32 s8, 0
	.p2align	6
.LBB33_396:                             ; =>This Inner Loop Header: Depth=1
	s_clause 0x3
	buffer_load_dword v84, v77, s[0:3], 0 offen offset:8
	buffer_load_dword v85, v77, s[0:3], 0 offen offset:12
	buffer_load_dword v86, v77, s[0:3], 0 offen
	buffer_load_dword v87, v77, s[0:3], 0 offen offset:4
	ds_read_b128 v[80:83], v8
	v_add_nc_u32_e32 v78, 1, v78
	v_add_nc_u32_e32 v8, 16, v8
	;; [unrolled: 1-line block ×3, first 2 shown]
	v_cmp_lt_u32_e32 vcc_lo, 15, v78
	s_or_b32 s8, vcc_lo, s8
	s_waitcnt vmcnt(2) lgkmcnt(0)
	v_mul_f64 v[88:89], v[82:83], v[84:85]
	v_mul_f64 v[84:85], v[80:81], v[84:85]
	s_waitcnt vmcnt(0)
	v_fma_f64 v[80:81], v[80:81], v[86:87], -v[88:89]
	v_fma_f64 v[82:83], v[82:83], v[86:87], v[84:85]
	v_add_f64 v[1:2], v[1:2], v[80:81]
	v_add_f64 v[3:4], v[3:4], v[82:83]
	s_andn2_b32 exec_lo, exec_lo, s8
	s_cbranch_execnz .LBB33_396
; %bb.397:
	s_or_b32 exec_lo, exec_lo, s8
.LBB33_398:
	s_or_b32 exec_lo, exec_lo, s6
	v_mov_b32_e32 v8, 0
	ds_read_b128 v[80:83], v8 offset:272
	s_waitcnt lgkmcnt(0)
	v_mul_f64 v[77:78], v[3:4], v[82:83]
	v_mul_f64 v[82:83], v[1:2], v[82:83]
	v_fma_f64 v[1:2], v[1:2], v[80:81], -v[77:78]
	v_fma_f64 v[3:4], v[3:4], v[80:81], v[82:83]
	buffer_store_dword v2, off, s[0:3], 0 offset:276
	buffer_store_dword v1, off, s[0:3], 0 offset:272
	;; [unrolled: 1-line block ×4, first 2 shown]
.LBB33_399:
	s_or_b32 exec_lo, exec_lo, s4
	v_mov_b32_e32 v4, s23
	s_mov_b32 s4, exec_lo
	s_clause 0x3
	buffer_load_dword v1, v4, s[0:3], 0 offen
	buffer_load_dword v2, v4, s[0:3], 0 offen offset:4
	buffer_load_dword v3, v4, s[0:3], 0 offen offset:8
	;; [unrolled: 1-line block ×3, first 2 shown]
	s_waitcnt vmcnt(0)
	ds_write_b128 v6, v[1:4]
	s_waitcnt lgkmcnt(0)
	s_waitcnt_vscnt null, 0x0
	s_barrier
	buffer_gl0_inv
	v_cmpx_gt_u32_e32 18, v0
	s_cbranch_execz .LBB33_407
; %bb.400:
	ds_read_b128 v[1:4], v6
	v_cmp_ne_u32_e32 vcc_lo, 1, v7
	s_cbranch_vccnz .LBB33_402
; %bb.401:
	s_clause 0x3
	buffer_load_dword v77, v5, s[0:3], 0 offen offset:8
	buffer_load_dword v78, v5, s[0:3], 0 offen offset:12
	buffer_load_dword v80, v5, s[0:3], 0 offen
	buffer_load_dword v81, v5, s[0:3], 0 offen offset:4
	s_waitcnt vmcnt(2) lgkmcnt(0)
	v_mul_f64 v[82:83], v[3:4], v[77:78]
	v_mul_f64 v[77:78], v[1:2], v[77:78]
	s_waitcnt vmcnt(0)
	v_fma_f64 v[1:2], v[1:2], v[80:81], -v[82:83]
	v_fma_f64 v[3:4], v[3:4], v[80:81], v[77:78]
.LBB33_402:
	s_mov_b32 s6, exec_lo
	v_cmpx_ne_u32_e32 17, v0
	s_cbranch_execz .LBB33_406
; %bb.403:
	v_add_nc_u32_e32 v8, 0x230, v79
	v_add3_u32 v77, 0, v79, 16
	v_mov_b32_e32 v78, v0
	s_mov_b32 s8, 0
	.p2align	6
.LBB33_404:                             ; =>This Inner Loop Header: Depth=1
	s_clause 0x3
	buffer_load_dword v84, v77, s[0:3], 0 offen offset:8
	buffer_load_dword v85, v77, s[0:3], 0 offen offset:12
	buffer_load_dword v86, v77, s[0:3], 0 offen
	buffer_load_dword v87, v77, s[0:3], 0 offen offset:4
	ds_read_b128 v[80:83], v8
	v_add_nc_u32_e32 v78, 1, v78
	v_add_nc_u32_e32 v8, 16, v8
	;; [unrolled: 1-line block ×3, first 2 shown]
	v_cmp_lt_u32_e32 vcc_lo, 16, v78
	s_or_b32 s8, vcc_lo, s8
	s_waitcnt vmcnt(2) lgkmcnt(0)
	v_mul_f64 v[88:89], v[82:83], v[84:85]
	v_mul_f64 v[84:85], v[80:81], v[84:85]
	s_waitcnt vmcnt(0)
	v_fma_f64 v[80:81], v[80:81], v[86:87], -v[88:89]
	v_fma_f64 v[82:83], v[82:83], v[86:87], v[84:85]
	v_add_f64 v[1:2], v[1:2], v[80:81]
	v_add_f64 v[3:4], v[3:4], v[82:83]
	s_andn2_b32 exec_lo, exec_lo, s8
	s_cbranch_execnz .LBB33_404
; %bb.405:
	s_or_b32 exec_lo, exec_lo, s8
.LBB33_406:
	s_or_b32 exec_lo, exec_lo, s6
	v_mov_b32_e32 v8, 0
	ds_read_b128 v[80:83], v8 offset:288
	s_waitcnt lgkmcnt(0)
	v_mul_f64 v[77:78], v[3:4], v[82:83]
	v_mul_f64 v[82:83], v[1:2], v[82:83]
	v_fma_f64 v[1:2], v[1:2], v[80:81], -v[77:78]
	v_fma_f64 v[3:4], v[3:4], v[80:81], v[82:83]
	buffer_store_dword v2, off, s[0:3], 0 offset:292
	buffer_store_dword v1, off, s[0:3], 0 offset:288
	;; [unrolled: 1-line block ×4, first 2 shown]
.LBB33_407:
	s_or_b32 exec_lo, exec_lo, s4
	v_mov_b32_e32 v4, s22
	s_mov_b32 s4, exec_lo
	s_clause 0x3
	buffer_load_dword v1, v4, s[0:3], 0 offen
	buffer_load_dword v2, v4, s[0:3], 0 offen offset:4
	buffer_load_dword v3, v4, s[0:3], 0 offen offset:8
	;; [unrolled: 1-line block ×3, first 2 shown]
	s_waitcnt vmcnt(0)
	ds_write_b128 v6, v[1:4]
	s_waitcnt lgkmcnt(0)
	s_waitcnt_vscnt null, 0x0
	s_barrier
	buffer_gl0_inv
	v_cmpx_gt_u32_e32 19, v0
	s_cbranch_execz .LBB33_415
; %bb.408:
	ds_read_b128 v[1:4], v6
	v_cmp_ne_u32_e32 vcc_lo, 1, v7
	s_cbranch_vccnz .LBB33_410
; %bb.409:
	s_clause 0x3
	buffer_load_dword v77, v5, s[0:3], 0 offen offset:8
	buffer_load_dword v78, v5, s[0:3], 0 offen offset:12
	buffer_load_dword v80, v5, s[0:3], 0 offen
	buffer_load_dword v81, v5, s[0:3], 0 offen offset:4
	s_waitcnt vmcnt(2) lgkmcnt(0)
	v_mul_f64 v[82:83], v[3:4], v[77:78]
	v_mul_f64 v[77:78], v[1:2], v[77:78]
	s_waitcnt vmcnt(0)
	v_fma_f64 v[1:2], v[1:2], v[80:81], -v[82:83]
	v_fma_f64 v[3:4], v[3:4], v[80:81], v[77:78]
.LBB33_410:
	s_mov_b32 s6, exec_lo
	v_cmpx_ne_u32_e32 18, v0
	s_cbranch_execz .LBB33_414
; %bb.411:
	v_add_nc_u32_e32 v8, 0x230, v79
	v_add3_u32 v77, 0, v79, 16
	v_mov_b32_e32 v78, v0
	s_mov_b32 s8, 0
	.p2align	6
.LBB33_412:                             ; =>This Inner Loop Header: Depth=1
	s_clause 0x3
	buffer_load_dword v84, v77, s[0:3], 0 offen offset:8
	buffer_load_dword v85, v77, s[0:3], 0 offen offset:12
	buffer_load_dword v86, v77, s[0:3], 0 offen
	buffer_load_dword v87, v77, s[0:3], 0 offen offset:4
	ds_read_b128 v[80:83], v8
	v_add_nc_u32_e32 v78, 1, v78
	v_add_nc_u32_e32 v8, 16, v8
	;; [unrolled: 1-line block ×3, first 2 shown]
	v_cmp_lt_u32_e32 vcc_lo, 17, v78
	s_or_b32 s8, vcc_lo, s8
	s_waitcnt vmcnt(2) lgkmcnt(0)
	v_mul_f64 v[88:89], v[82:83], v[84:85]
	v_mul_f64 v[84:85], v[80:81], v[84:85]
	s_waitcnt vmcnt(0)
	v_fma_f64 v[80:81], v[80:81], v[86:87], -v[88:89]
	v_fma_f64 v[82:83], v[82:83], v[86:87], v[84:85]
	v_add_f64 v[1:2], v[1:2], v[80:81]
	v_add_f64 v[3:4], v[3:4], v[82:83]
	s_andn2_b32 exec_lo, exec_lo, s8
	s_cbranch_execnz .LBB33_412
; %bb.413:
	s_or_b32 exec_lo, exec_lo, s8
.LBB33_414:
	s_or_b32 exec_lo, exec_lo, s6
	v_mov_b32_e32 v8, 0
	ds_read_b128 v[80:83], v8 offset:304
	s_waitcnt lgkmcnt(0)
	v_mul_f64 v[77:78], v[3:4], v[82:83]
	v_mul_f64 v[82:83], v[1:2], v[82:83]
	v_fma_f64 v[1:2], v[1:2], v[80:81], -v[77:78]
	v_fma_f64 v[3:4], v[3:4], v[80:81], v[82:83]
	buffer_store_dword v2, off, s[0:3], 0 offset:308
	buffer_store_dword v1, off, s[0:3], 0 offset:304
	;; [unrolled: 1-line block ×4, first 2 shown]
.LBB33_415:
	s_or_b32 exec_lo, exec_lo, s4
	v_mov_b32_e32 v4, s21
	s_mov_b32 s4, exec_lo
	s_clause 0x3
	buffer_load_dword v1, v4, s[0:3], 0 offen
	buffer_load_dword v2, v4, s[0:3], 0 offen offset:4
	buffer_load_dword v3, v4, s[0:3], 0 offen offset:8
	;; [unrolled: 1-line block ×3, first 2 shown]
	s_waitcnt vmcnt(0)
	ds_write_b128 v6, v[1:4]
	s_waitcnt lgkmcnt(0)
	s_waitcnt_vscnt null, 0x0
	s_barrier
	buffer_gl0_inv
	v_cmpx_gt_u32_e32 20, v0
	s_cbranch_execz .LBB33_423
; %bb.416:
	ds_read_b128 v[1:4], v6
	v_cmp_ne_u32_e32 vcc_lo, 1, v7
	s_cbranch_vccnz .LBB33_418
; %bb.417:
	s_clause 0x3
	buffer_load_dword v77, v5, s[0:3], 0 offen offset:8
	buffer_load_dword v78, v5, s[0:3], 0 offen offset:12
	buffer_load_dword v80, v5, s[0:3], 0 offen
	buffer_load_dword v81, v5, s[0:3], 0 offen offset:4
	s_waitcnt vmcnt(2) lgkmcnt(0)
	v_mul_f64 v[82:83], v[3:4], v[77:78]
	v_mul_f64 v[77:78], v[1:2], v[77:78]
	s_waitcnt vmcnt(0)
	v_fma_f64 v[1:2], v[1:2], v[80:81], -v[82:83]
	v_fma_f64 v[3:4], v[3:4], v[80:81], v[77:78]
.LBB33_418:
	s_mov_b32 s6, exec_lo
	v_cmpx_ne_u32_e32 19, v0
	s_cbranch_execz .LBB33_422
; %bb.419:
	v_add_nc_u32_e32 v8, 0x230, v79
	v_add3_u32 v77, 0, v79, 16
	v_mov_b32_e32 v78, v0
	s_mov_b32 s8, 0
	.p2align	6
.LBB33_420:                             ; =>This Inner Loop Header: Depth=1
	s_clause 0x3
	buffer_load_dword v84, v77, s[0:3], 0 offen offset:8
	buffer_load_dword v85, v77, s[0:3], 0 offen offset:12
	buffer_load_dword v86, v77, s[0:3], 0 offen
	buffer_load_dword v87, v77, s[0:3], 0 offen offset:4
	ds_read_b128 v[80:83], v8
	v_add_nc_u32_e32 v78, 1, v78
	v_add_nc_u32_e32 v8, 16, v8
	;; [unrolled: 1-line block ×3, first 2 shown]
	v_cmp_lt_u32_e32 vcc_lo, 18, v78
	s_or_b32 s8, vcc_lo, s8
	s_waitcnt vmcnt(2) lgkmcnt(0)
	v_mul_f64 v[88:89], v[82:83], v[84:85]
	v_mul_f64 v[84:85], v[80:81], v[84:85]
	s_waitcnt vmcnt(0)
	v_fma_f64 v[80:81], v[80:81], v[86:87], -v[88:89]
	v_fma_f64 v[82:83], v[82:83], v[86:87], v[84:85]
	v_add_f64 v[1:2], v[1:2], v[80:81]
	v_add_f64 v[3:4], v[3:4], v[82:83]
	s_andn2_b32 exec_lo, exec_lo, s8
	s_cbranch_execnz .LBB33_420
; %bb.421:
	s_or_b32 exec_lo, exec_lo, s8
.LBB33_422:
	s_or_b32 exec_lo, exec_lo, s6
	v_mov_b32_e32 v8, 0
	ds_read_b128 v[80:83], v8 offset:320
	s_waitcnt lgkmcnt(0)
	v_mul_f64 v[77:78], v[3:4], v[82:83]
	v_mul_f64 v[82:83], v[1:2], v[82:83]
	v_fma_f64 v[1:2], v[1:2], v[80:81], -v[77:78]
	v_fma_f64 v[3:4], v[3:4], v[80:81], v[82:83]
	buffer_store_dword v2, off, s[0:3], 0 offset:324
	buffer_store_dword v1, off, s[0:3], 0 offset:320
	;; [unrolled: 1-line block ×4, first 2 shown]
.LBB33_423:
	s_or_b32 exec_lo, exec_lo, s4
	v_mov_b32_e32 v4, s20
	s_mov_b32 s4, exec_lo
	s_clause 0x3
	buffer_load_dword v1, v4, s[0:3], 0 offen
	buffer_load_dword v2, v4, s[0:3], 0 offen offset:4
	buffer_load_dword v3, v4, s[0:3], 0 offen offset:8
	;; [unrolled: 1-line block ×3, first 2 shown]
	s_waitcnt vmcnt(0)
	ds_write_b128 v6, v[1:4]
	s_waitcnt lgkmcnt(0)
	s_waitcnt_vscnt null, 0x0
	s_barrier
	buffer_gl0_inv
	v_cmpx_gt_u32_e32 21, v0
	s_cbranch_execz .LBB33_431
; %bb.424:
	ds_read_b128 v[1:4], v6
	v_cmp_ne_u32_e32 vcc_lo, 1, v7
	s_cbranch_vccnz .LBB33_426
; %bb.425:
	s_clause 0x3
	buffer_load_dword v77, v5, s[0:3], 0 offen offset:8
	buffer_load_dword v78, v5, s[0:3], 0 offen offset:12
	buffer_load_dword v80, v5, s[0:3], 0 offen
	buffer_load_dword v81, v5, s[0:3], 0 offen offset:4
	s_waitcnt vmcnt(2) lgkmcnt(0)
	v_mul_f64 v[82:83], v[3:4], v[77:78]
	v_mul_f64 v[77:78], v[1:2], v[77:78]
	s_waitcnt vmcnt(0)
	v_fma_f64 v[1:2], v[1:2], v[80:81], -v[82:83]
	v_fma_f64 v[3:4], v[3:4], v[80:81], v[77:78]
.LBB33_426:
	s_mov_b32 s6, exec_lo
	v_cmpx_ne_u32_e32 20, v0
	s_cbranch_execz .LBB33_430
; %bb.427:
	v_add_nc_u32_e32 v8, 0x230, v79
	v_add3_u32 v77, 0, v79, 16
	v_mov_b32_e32 v78, v0
	s_mov_b32 s8, 0
	.p2align	6
.LBB33_428:                             ; =>This Inner Loop Header: Depth=1
	s_clause 0x3
	buffer_load_dword v84, v77, s[0:3], 0 offen offset:8
	buffer_load_dword v85, v77, s[0:3], 0 offen offset:12
	buffer_load_dword v86, v77, s[0:3], 0 offen
	buffer_load_dword v87, v77, s[0:3], 0 offen offset:4
	ds_read_b128 v[80:83], v8
	v_add_nc_u32_e32 v78, 1, v78
	v_add_nc_u32_e32 v8, 16, v8
	v_add_nc_u32_e32 v77, 16, v77
	v_cmp_lt_u32_e32 vcc_lo, 19, v78
	s_or_b32 s8, vcc_lo, s8
	s_waitcnt vmcnt(2) lgkmcnt(0)
	v_mul_f64 v[88:89], v[82:83], v[84:85]
	v_mul_f64 v[84:85], v[80:81], v[84:85]
	s_waitcnt vmcnt(0)
	v_fma_f64 v[80:81], v[80:81], v[86:87], -v[88:89]
	v_fma_f64 v[82:83], v[82:83], v[86:87], v[84:85]
	v_add_f64 v[1:2], v[1:2], v[80:81]
	v_add_f64 v[3:4], v[3:4], v[82:83]
	s_andn2_b32 exec_lo, exec_lo, s8
	s_cbranch_execnz .LBB33_428
; %bb.429:
	s_or_b32 exec_lo, exec_lo, s8
.LBB33_430:
	s_or_b32 exec_lo, exec_lo, s6
	v_mov_b32_e32 v8, 0
	ds_read_b128 v[80:83], v8 offset:336
	s_waitcnt lgkmcnt(0)
	v_mul_f64 v[77:78], v[3:4], v[82:83]
	v_mul_f64 v[82:83], v[1:2], v[82:83]
	v_fma_f64 v[1:2], v[1:2], v[80:81], -v[77:78]
	v_fma_f64 v[3:4], v[3:4], v[80:81], v[82:83]
	buffer_store_dword v2, off, s[0:3], 0 offset:340
	buffer_store_dword v1, off, s[0:3], 0 offset:336
	;; [unrolled: 1-line block ×4, first 2 shown]
.LBB33_431:
	s_or_b32 exec_lo, exec_lo, s4
	v_mov_b32_e32 v4, s19
	s_mov_b32 s4, exec_lo
	s_clause 0x3
	buffer_load_dword v1, v4, s[0:3], 0 offen
	buffer_load_dword v2, v4, s[0:3], 0 offen offset:4
	buffer_load_dword v3, v4, s[0:3], 0 offen offset:8
	;; [unrolled: 1-line block ×3, first 2 shown]
	s_waitcnt vmcnt(0)
	ds_write_b128 v6, v[1:4]
	s_waitcnt lgkmcnt(0)
	s_waitcnt_vscnt null, 0x0
	s_barrier
	buffer_gl0_inv
	v_cmpx_gt_u32_e32 22, v0
	s_cbranch_execz .LBB33_439
; %bb.432:
	ds_read_b128 v[1:4], v6
	v_cmp_ne_u32_e32 vcc_lo, 1, v7
	s_cbranch_vccnz .LBB33_434
; %bb.433:
	s_clause 0x3
	buffer_load_dword v77, v5, s[0:3], 0 offen offset:8
	buffer_load_dword v78, v5, s[0:3], 0 offen offset:12
	buffer_load_dword v80, v5, s[0:3], 0 offen
	buffer_load_dword v81, v5, s[0:3], 0 offen offset:4
	s_waitcnt vmcnt(2) lgkmcnt(0)
	v_mul_f64 v[82:83], v[3:4], v[77:78]
	v_mul_f64 v[77:78], v[1:2], v[77:78]
	s_waitcnt vmcnt(0)
	v_fma_f64 v[1:2], v[1:2], v[80:81], -v[82:83]
	v_fma_f64 v[3:4], v[3:4], v[80:81], v[77:78]
.LBB33_434:
	s_mov_b32 s6, exec_lo
	v_cmpx_ne_u32_e32 21, v0
	s_cbranch_execz .LBB33_438
; %bb.435:
	v_add_nc_u32_e32 v8, 0x230, v79
	v_add3_u32 v77, 0, v79, 16
	v_mov_b32_e32 v78, v0
	s_mov_b32 s8, 0
	.p2align	6
.LBB33_436:                             ; =>This Inner Loop Header: Depth=1
	s_clause 0x3
	buffer_load_dword v84, v77, s[0:3], 0 offen offset:8
	buffer_load_dword v85, v77, s[0:3], 0 offen offset:12
	buffer_load_dword v86, v77, s[0:3], 0 offen
	buffer_load_dword v87, v77, s[0:3], 0 offen offset:4
	ds_read_b128 v[80:83], v8
	v_add_nc_u32_e32 v78, 1, v78
	v_add_nc_u32_e32 v8, 16, v8
	v_add_nc_u32_e32 v77, 16, v77
	v_cmp_lt_u32_e32 vcc_lo, 20, v78
	s_or_b32 s8, vcc_lo, s8
	s_waitcnt vmcnt(2) lgkmcnt(0)
	v_mul_f64 v[88:89], v[82:83], v[84:85]
	v_mul_f64 v[84:85], v[80:81], v[84:85]
	s_waitcnt vmcnt(0)
	v_fma_f64 v[80:81], v[80:81], v[86:87], -v[88:89]
	v_fma_f64 v[82:83], v[82:83], v[86:87], v[84:85]
	v_add_f64 v[1:2], v[1:2], v[80:81]
	v_add_f64 v[3:4], v[3:4], v[82:83]
	s_andn2_b32 exec_lo, exec_lo, s8
	s_cbranch_execnz .LBB33_436
; %bb.437:
	s_or_b32 exec_lo, exec_lo, s8
.LBB33_438:
	s_or_b32 exec_lo, exec_lo, s6
	v_mov_b32_e32 v8, 0
	ds_read_b128 v[80:83], v8 offset:352
	s_waitcnt lgkmcnt(0)
	v_mul_f64 v[77:78], v[3:4], v[82:83]
	v_mul_f64 v[82:83], v[1:2], v[82:83]
	v_fma_f64 v[1:2], v[1:2], v[80:81], -v[77:78]
	v_fma_f64 v[3:4], v[3:4], v[80:81], v[82:83]
	buffer_store_dword v2, off, s[0:3], 0 offset:356
	buffer_store_dword v1, off, s[0:3], 0 offset:352
	;; [unrolled: 1-line block ×4, first 2 shown]
.LBB33_439:
	s_or_b32 exec_lo, exec_lo, s4
	v_mov_b32_e32 v4, s18
	s_mov_b32 s4, exec_lo
	s_clause 0x3
	buffer_load_dword v1, v4, s[0:3], 0 offen
	buffer_load_dword v2, v4, s[0:3], 0 offen offset:4
	buffer_load_dword v3, v4, s[0:3], 0 offen offset:8
	;; [unrolled: 1-line block ×3, first 2 shown]
	s_waitcnt vmcnt(0)
	ds_write_b128 v6, v[1:4]
	s_waitcnt lgkmcnt(0)
	s_waitcnt_vscnt null, 0x0
	s_barrier
	buffer_gl0_inv
	v_cmpx_gt_u32_e32 23, v0
	s_cbranch_execz .LBB33_447
; %bb.440:
	ds_read_b128 v[1:4], v6
	v_cmp_ne_u32_e32 vcc_lo, 1, v7
	s_cbranch_vccnz .LBB33_442
; %bb.441:
	s_clause 0x3
	buffer_load_dword v77, v5, s[0:3], 0 offen offset:8
	buffer_load_dword v78, v5, s[0:3], 0 offen offset:12
	buffer_load_dword v80, v5, s[0:3], 0 offen
	buffer_load_dword v81, v5, s[0:3], 0 offen offset:4
	s_waitcnt vmcnt(2) lgkmcnt(0)
	v_mul_f64 v[82:83], v[3:4], v[77:78]
	v_mul_f64 v[77:78], v[1:2], v[77:78]
	s_waitcnt vmcnt(0)
	v_fma_f64 v[1:2], v[1:2], v[80:81], -v[82:83]
	v_fma_f64 v[3:4], v[3:4], v[80:81], v[77:78]
.LBB33_442:
	s_mov_b32 s6, exec_lo
	v_cmpx_ne_u32_e32 22, v0
	s_cbranch_execz .LBB33_446
; %bb.443:
	v_add_nc_u32_e32 v8, 0x230, v79
	v_add3_u32 v77, 0, v79, 16
	v_mov_b32_e32 v78, v0
	s_mov_b32 s8, 0
	.p2align	6
.LBB33_444:                             ; =>This Inner Loop Header: Depth=1
	s_clause 0x3
	buffer_load_dword v84, v77, s[0:3], 0 offen offset:8
	buffer_load_dword v85, v77, s[0:3], 0 offen offset:12
	buffer_load_dword v86, v77, s[0:3], 0 offen
	buffer_load_dword v87, v77, s[0:3], 0 offen offset:4
	ds_read_b128 v[80:83], v8
	v_add_nc_u32_e32 v78, 1, v78
	v_add_nc_u32_e32 v8, 16, v8
	;; [unrolled: 1-line block ×3, first 2 shown]
	v_cmp_lt_u32_e32 vcc_lo, 21, v78
	s_or_b32 s8, vcc_lo, s8
	s_waitcnt vmcnt(2) lgkmcnt(0)
	v_mul_f64 v[88:89], v[82:83], v[84:85]
	v_mul_f64 v[84:85], v[80:81], v[84:85]
	s_waitcnt vmcnt(0)
	v_fma_f64 v[80:81], v[80:81], v[86:87], -v[88:89]
	v_fma_f64 v[82:83], v[82:83], v[86:87], v[84:85]
	v_add_f64 v[1:2], v[1:2], v[80:81]
	v_add_f64 v[3:4], v[3:4], v[82:83]
	s_andn2_b32 exec_lo, exec_lo, s8
	s_cbranch_execnz .LBB33_444
; %bb.445:
	s_or_b32 exec_lo, exec_lo, s8
.LBB33_446:
	s_or_b32 exec_lo, exec_lo, s6
	v_mov_b32_e32 v8, 0
	ds_read_b128 v[80:83], v8 offset:368
	s_waitcnt lgkmcnt(0)
	v_mul_f64 v[77:78], v[3:4], v[82:83]
	v_mul_f64 v[82:83], v[1:2], v[82:83]
	v_fma_f64 v[1:2], v[1:2], v[80:81], -v[77:78]
	v_fma_f64 v[3:4], v[3:4], v[80:81], v[82:83]
	buffer_store_dword v2, off, s[0:3], 0 offset:372
	buffer_store_dword v1, off, s[0:3], 0 offset:368
	;; [unrolled: 1-line block ×4, first 2 shown]
.LBB33_447:
	s_or_b32 exec_lo, exec_lo, s4
	v_mov_b32_e32 v4, s17
	s_mov_b32 s4, exec_lo
	s_clause 0x3
	buffer_load_dword v1, v4, s[0:3], 0 offen
	buffer_load_dword v2, v4, s[0:3], 0 offen offset:4
	buffer_load_dword v3, v4, s[0:3], 0 offen offset:8
	buffer_load_dword v4, v4, s[0:3], 0 offen offset:12
	s_waitcnt vmcnt(0)
	ds_write_b128 v6, v[1:4]
	s_waitcnt lgkmcnt(0)
	s_waitcnt_vscnt null, 0x0
	s_barrier
	buffer_gl0_inv
	v_cmpx_gt_u32_e32 24, v0
	s_cbranch_execz .LBB33_455
; %bb.448:
	ds_read_b128 v[1:4], v6
	v_cmp_ne_u32_e32 vcc_lo, 1, v7
	s_cbranch_vccnz .LBB33_450
; %bb.449:
	s_clause 0x3
	buffer_load_dword v77, v5, s[0:3], 0 offen offset:8
	buffer_load_dword v78, v5, s[0:3], 0 offen offset:12
	buffer_load_dword v80, v5, s[0:3], 0 offen
	buffer_load_dword v81, v5, s[0:3], 0 offen offset:4
	s_waitcnt vmcnt(2) lgkmcnt(0)
	v_mul_f64 v[82:83], v[3:4], v[77:78]
	v_mul_f64 v[77:78], v[1:2], v[77:78]
	s_waitcnt vmcnt(0)
	v_fma_f64 v[1:2], v[1:2], v[80:81], -v[82:83]
	v_fma_f64 v[3:4], v[3:4], v[80:81], v[77:78]
.LBB33_450:
	s_mov_b32 s6, exec_lo
	v_cmpx_ne_u32_e32 23, v0
	s_cbranch_execz .LBB33_454
; %bb.451:
	v_add_nc_u32_e32 v8, 0x230, v79
	v_add3_u32 v77, 0, v79, 16
	v_mov_b32_e32 v78, v0
	s_mov_b32 s8, 0
	.p2align	6
.LBB33_452:                             ; =>This Inner Loop Header: Depth=1
	s_clause 0x3
	buffer_load_dword v84, v77, s[0:3], 0 offen offset:8
	buffer_load_dword v85, v77, s[0:3], 0 offen offset:12
	buffer_load_dword v86, v77, s[0:3], 0 offen
	buffer_load_dword v87, v77, s[0:3], 0 offen offset:4
	ds_read_b128 v[80:83], v8
	v_add_nc_u32_e32 v78, 1, v78
	v_add_nc_u32_e32 v8, 16, v8
	;; [unrolled: 1-line block ×3, first 2 shown]
	v_cmp_lt_u32_e32 vcc_lo, 22, v78
	s_or_b32 s8, vcc_lo, s8
	s_waitcnt vmcnt(2) lgkmcnt(0)
	v_mul_f64 v[88:89], v[82:83], v[84:85]
	v_mul_f64 v[84:85], v[80:81], v[84:85]
	s_waitcnt vmcnt(0)
	v_fma_f64 v[80:81], v[80:81], v[86:87], -v[88:89]
	v_fma_f64 v[82:83], v[82:83], v[86:87], v[84:85]
	v_add_f64 v[1:2], v[1:2], v[80:81]
	v_add_f64 v[3:4], v[3:4], v[82:83]
	s_andn2_b32 exec_lo, exec_lo, s8
	s_cbranch_execnz .LBB33_452
; %bb.453:
	s_or_b32 exec_lo, exec_lo, s8
.LBB33_454:
	s_or_b32 exec_lo, exec_lo, s6
	v_mov_b32_e32 v8, 0
	ds_read_b128 v[80:83], v8 offset:384
	s_waitcnt lgkmcnt(0)
	v_mul_f64 v[77:78], v[3:4], v[82:83]
	v_mul_f64 v[82:83], v[1:2], v[82:83]
	v_fma_f64 v[1:2], v[1:2], v[80:81], -v[77:78]
	v_fma_f64 v[3:4], v[3:4], v[80:81], v[82:83]
	buffer_store_dword v2, off, s[0:3], 0 offset:388
	buffer_store_dword v1, off, s[0:3], 0 offset:384
	;; [unrolled: 1-line block ×4, first 2 shown]
.LBB33_455:
	s_or_b32 exec_lo, exec_lo, s4
	v_mov_b32_e32 v4, s16
	s_mov_b32 s4, exec_lo
	s_clause 0x3
	buffer_load_dword v1, v4, s[0:3], 0 offen
	buffer_load_dword v2, v4, s[0:3], 0 offen offset:4
	buffer_load_dword v3, v4, s[0:3], 0 offen offset:8
	;; [unrolled: 1-line block ×3, first 2 shown]
	s_waitcnt vmcnt(0)
	ds_write_b128 v6, v[1:4]
	s_waitcnt lgkmcnt(0)
	s_waitcnt_vscnt null, 0x0
	s_barrier
	buffer_gl0_inv
	v_cmpx_gt_u32_e32 25, v0
	s_cbranch_execz .LBB33_463
; %bb.456:
	ds_read_b128 v[1:4], v6
	v_cmp_ne_u32_e32 vcc_lo, 1, v7
	s_cbranch_vccnz .LBB33_458
; %bb.457:
	s_clause 0x3
	buffer_load_dword v77, v5, s[0:3], 0 offen offset:8
	buffer_load_dword v78, v5, s[0:3], 0 offen offset:12
	buffer_load_dword v80, v5, s[0:3], 0 offen
	buffer_load_dword v81, v5, s[0:3], 0 offen offset:4
	s_waitcnt vmcnt(2) lgkmcnt(0)
	v_mul_f64 v[82:83], v[3:4], v[77:78]
	v_mul_f64 v[77:78], v[1:2], v[77:78]
	s_waitcnt vmcnt(0)
	v_fma_f64 v[1:2], v[1:2], v[80:81], -v[82:83]
	v_fma_f64 v[3:4], v[3:4], v[80:81], v[77:78]
.LBB33_458:
	s_mov_b32 s6, exec_lo
	v_cmpx_ne_u32_e32 24, v0
	s_cbranch_execz .LBB33_462
; %bb.459:
	v_add_nc_u32_e32 v8, 0x230, v79
	v_add3_u32 v77, 0, v79, 16
	v_mov_b32_e32 v78, v0
	s_mov_b32 s8, 0
	.p2align	6
.LBB33_460:                             ; =>This Inner Loop Header: Depth=1
	s_clause 0x3
	buffer_load_dword v84, v77, s[0:3], 0 offen offset:8
	buffer_load_dword v85, v77, s[0:3], 0 offen offset:12
	buffer_load_dword v86, v77, s[0:3], 0 offen
	buffer_load_dword v87, v77, s[0:3], 0 offen offset:4
	ds_read_b128 v[80:83], v8
	v_add_nc_u32_e32 v78, 1, v78
	v_add_nc_u32_e32 v8, 16, v8
	;; [unrolled: 1-line block ×3, first 2 shown]
	v_cmp_lt_u32_e32 vcc_lo, 23, v78
	s_or_b32 s8, vcc_lo, s8
	s_waitcnt vmcnt(2) lgkmcnt(0)
	v_mul_f64 v[88:89], v[82:83], v[84:85]
	v_mul_f64 v[84:85], v[80:81], v[84:85]
	s_waitcnt vmcnt(0)
	v_fma_f64 v[80:81], v[80:81], v[86:87], -v[88:89]
	v_fma_f64 v[82:83], v[82:83], v[86:87], v[84:85]
	v_add_f64 v[1:2], v[1:2], v[80:81]
	v_add_f64 v[3:4], v[3:4], v[82:83]
	s_andn2_b32 exec_lo, exec_lo, s8
	s_cbranch_execnz .LBB33_460
; %bb.461:
	s_or_b32 exec_lo, exec_lo, s8
.LBB33_462:
	s_or_b32 exec_lo, exec_lo, s6
	v_mov_b32_e32 v8, 0
	ds_read_b128 v[80:83], v8 offset:400
	s_waitcnt lgkmcnt(0)
	v_mul_f64 v[77:78], v[3:4], v[82:83]
	v_mul_f64 v[82:83], v[1:2], v[82:83]
	v_fma_f64 v[1:2], v[1:2], v[80:81], -v[77:78]
	v_fma_f64 v[3:4], v[3:4], v[80:81], v[82:83]
	buffer_store_dword v2, off, s[0:3], 0 offset:404
	buffer_store_dword v1, off, s[0:3], 0 offset:400
	;; [unrolled: 1-line block ×4, first 2 shown]
.LBB33_463:
	s_or_b32 exec_lo, exec_lo, s4
	v_mov_b32_e32 v4, s15
	s_mov_b32 s4, exec_lo
	s_clause 0x3
	buffer_load_dword v1, v4, s[0:3], 0 offen
	buffer_load_dword v2, v4, s[0:3], 0 offen offset:4
	buffer_load_dword v3, v4, s[0:3], 0 offen offset:8
	;; [unrolled: 1-line block ×3, first 2 shown]
	s_waitcnt vmcnt(0)
	ds_write_b128 v6, v[1:4]
	s_waitcnt lgkmcnt(0)
	s_waitcnt_vscnt null, 0x0
	s_barrier
	buffer_gl0_inv
	v_cmpx_gt_u32_e32 26, v0
	s_cbranch_execz .LBB33_471
; %bb.464:
	ds_read_b128 v[1:4], v6
	v_cmp_ne_u32_e32 vcc_lo, 1, v7
	s_cbranch_vccnz .LBB33_466
; %bb.465:
	s_clause 0x3
	buffer_load_dword v77, v5, s[0:3], 0 offen offset:8
	buffer_load_dword v78, v5, s[0:3], 0 offen offset:12
	buffer_load_dword v80, v5, s[0:3], 0 offen
	buffer_load_dword v81, v5, s[0:3], 0 offen offset:4
	s_waitcnt vmcnt(2) lgkmcnt(0)
	v_mul_f64 v[82:83], v[3:4], v[77:78]
	v_mul_f64 v[77:78], v[1:2], v[77:78]
	s_waitcnt vmcnt(0)
	v_fma_f64 v[1:2], v[1:2], v[80:81], -v[82:83]
	v_fma_f64 v[3:4], v[3:4], v[80:81], v[77:78]
.LBB33_466:
	s_mov_b32 s6, exec_lo
	v_cmpx_ne_u32_e32 25, v0
	s_cbranch_execz .LBB33_470
; %bb.467:
	v_add_nc_u32_e32 v8, 0x230, v79
	v_add3_u32 v77, 0, v79, 16
	v_mov_b32_e32 v78, v0
	s_mov_b32 s8, 0
	.p2align	6
.LBB33_468:                             ; =>This Inner Loop Header: Depth=1
	s_clause 0x3
	buffer_load_dword v84, v77, s[0:3], 0 offen offset:8
	buffer_load_dword v85, v77, s[0:3], 0 offen offset:12
	buffer_load_dword v86, v77, s[0:3], 0 offen
	buffer_load_dword v87, v77, s[0:3], 0 offen offset:4
	ds_read_b128 v[80:83], v8
	v_add_nc_u32_e32 v78, 1, v78
	v_add_nc_u32_e32 v8, 16, v8
	;; [unrolled: 1-line block ×3, first 2 shown]
	v_cmp_lt_u32_e32 vcc_lo, 24, v78
	s_or_b32 s8, vcc_lo, s8
	s_waitcnt vmcnt(2) lgkmcnt(0)
	v_mul_f64 v[88:89], v[82:83], v[84:85]
	v_mul_f64 v[84:85], v[80:81], v[84:85]
	s_waitcnt vmcnt(0)
	v_fma_f64 v[80:81], v[80:81], v[86:87], -v[88:89]
	v_fma_f64 v[82:83], v[82:83], v[86:87], v[84:85]
	v_add_f64 v[1:2], v[1:2], v[80:81]
	v_add_f64 v[3:4], v[3:4], v[82:83]
	s_andn2_b32 exec_lo, exec_lo, s8
	s_cbranch_execnz .LBB33_468
; %bb.469:
	s_or_b32 exec_lo, exec_lo, s8
.LBB33_470:
	s_or_b32 exec_lo, exec_lo, s6
	v_mov_b32_e32 v8, 0
	ds_read_b128 v[80:83], v8 offset:416
	s_waitcnt lgkmcnt(0)
	v_mul_f64 v[77:78], v[3:4], v[82:83]
	v_mul_f64 v[82:83], v[1:2], v[82:83]
	v_fma_f64 v[1:2], v[1:2], v[80:81], -v[77:78]
	v_fma_f64 v[3:4], v[3:4], v[80:81], v[82:83]
	buffer_store_dword v2, off, s[0:3], 0 offset:420
	buffer_store_dword v1, off, s[0:3], 0 offset:416
	;; [unrolled: 1-line block ×4, first 2 shown]
.LBB33_471:
	s_or_b32 exec_lo, exec_lo, s4
	v_mov_b32_e32 v4, s14
	s_mov_b32 s4, exec_lo
	s_clause 0x3
	buffer_load_dword v1, v4, s[0:3], 0 offen
	buffer_load_dword v2, v4, s[0:3], 0 offen offset:4
	buffer_load_dword v3, v4, s[0:3], 0 offen offset:8
	;; [unrolled: 1-line block ×3, first 2 shown]
	s_waitcnt vmcnt(0)
	ds_write_b128 v6, v[1:4]
	s_waitcnt lgkmcnt(0)
	s_waitcnt_vscnt null, 0x0
	s_barrier
	buffer_gl0_inv
	v_cmpx_gt_u32_e32 27, v0
	s_cbranch_execz .LBB33_479
; %bb.472:
	ds_read_b128 v[1:4], v6
	v_cmp_ne_u32_e32 vcc_lo, 1, v7
	s_cbranch_vccnz .LBB33_474
; %bb.473:
	s_clause 0x3
	buffer_load_dword v77, v5, s[0:3], 0 offen offset:8
	buffer_load_dword v78, v5, s[0:3], 0 offen offset:12
	buffer_load_dword v80, v5, s[0:3], 0 offen
	buffer_load_dword v81, v5, s[0:3], 0 offen offset:4
	s_waitcnt vmcnt(2) lgkmcnt(0)
	v_mul_f64 v[82:83], v[3:4], v[77:78]
	v_mul_f64 v[77:78], v[1:2], v[77:78]
	s_waitcnt vmcnt(0)
	v_fma_f64 v[1:2], v[1:2], v[80:81], -v[82:83]
	v_fma_f64 v[3:4], v[3:4], v[80:81], v[77:78]
.LBB33_474:
	s_mov_b32 s6, exec_lo
	v_cmpx_ne_u32_e32 26, v0
	s_cbranch_execz .LBB33_478
; %bb.475:
	v_add_nc_u32_e32 v8, 0x230, v79
	v_add3_u32 v77, 0, v79, 16
	v_mov_b32_e32 v78, v0
	s_mov_b32 s8, 0
	.p2align	6
.LBB33_476:                             ; =>This Inner Loop Header: Depth=1
	s_clause 0x3
	buffer_load_dword v84, v77, s[0:3], 0 offen offset:8
	buffer_load_dword v85, v77, s[0:3], 0 offen offset:12
	buffer_load_dword v86, v77, s[0:3], 0 offen
	buffer_load_dword v87, v77, s[0:3], 0 offen offset:4
	ds_read_b128 v[80:83], v8
	v_add_nc_u32_e32 v78, 1, v78
	v_add_nc_u32_e32 v8, 16, v8
	;; [unrolled: 1-line block ×3, first 2 shown]
	v_cmp_lt_u32_e32 vcc_lo, 25, v78
	s_or_b32 s8, vcc_lo, s8
	s_waitcnt vmcnt(2) lgkmcnt(0)
	v_mul_f64 v[88:89], v[82:83], v[84:85]
	v_mul_f64 v[84:85], v[80:81], v[84:85]
	s_waitcnt vmcnt(0)
	v_fma_f64 v[80:81], v[80:81], v[86:87], -v[88:89]
	v_fma_f64 v[82:83], v[82:83], v[86:87], v[84:85]
	v_add_f64 v[1:2], v[1:2], v[80:81]
	v_add_f64 v[3:4], v[3:4], v[82:83]
	s_andn2_b32 exec_lo, exec_lo, s8
	s_cbranch_execnz .LBB33_476
; %bb.477:
	s_or_b32 exec_lo, exec_lo, s8
.LBB33_478:
	s_or_b32 exec_lo, exec_lo, s6
	v_mov_b32_e32 v8, 0
	ds_read_b128 v[80:83], v8 offset:432
	s_waitcnt lgkmcnt(0)
	v_mul_f64 v[77:78], v[3:4], v[82:83]
	v_mul_f64 v[82:83], v[1:2], v[82:83]
	v_fma_f64 v[1:2], v[1:2], v[80:81], -v[77:78]
	v_fma_f64 v[3:4], v[3:4], v[80:81], v[82:83]
	buffer_store_dword v2, off, s[0:3], 0 offset:436
	buffer_store_dword v1, off, s[0:3], 0 offset:432
	;; [unrolled: 1-line block ×4, first 2 shown]
.LBB33_479:
	s_or_b32 exec_lo, exec_lo, s4
	v_mov_b32_e32 v4, s13
	s_mov_b32 s4, exec_lo
	s_clause 0x3
	buffer_load_dword v1, v4, s[0:3], 0 offen
	buffer_load_dword v2, v4, s[0:3], 0 offen offset:4
	buffer_load_dword v3, v4, s[0:3], 0 offen offset:8
	;; [unrolled: 1-line block ×3, first 2 shown]
	s_waitcnt vmcnt(0)
	ds_write_b128 v6, v[1:4]
	s_waitcnt lgkmcnt(0)
	s_waitcnt_vscnt null, 0x0
	s_barrier
	buffer_gl0_inv
	v_cmpx_gt_u32_e32 28, v0
	s_cbranch_execz .LBB33_487
; %bb.480:
	ds_read_b128 v[1:4], v6
	v_cmp_ne_u32_e32 vcc_lo, 1, v7
	s_cbranch_vccnz .LBB33_482
; %bb.481:
	s_clause 0x3
	buffer_load_dword v77, v5, s[0:3], 0 offen offset:8
	buffer_load_dword v78, v5, s[0:3], 0 offen offset:12
	buffer_load_dword v80, v5, s[0:3], 0 offen
	buffer_load_dword v81, v5, s[0:3], 0 offen offset:4
	s_waitcnt vmcnt(2) lgkmcnt(0)
	v_mul_f64 v[82:83], v[3:4], v[77:78]
	v_mul_f64 v[77:78], v[1:2], v[77:78]
	s_waitcnt vmcnt(0)
	v_fma_f64 v[1:2], v[1:2], v[80:81], -v[82:83]
	v_fma_f64 v[3:4], v[3:4], v[80:81], v[77:78]
.LBB33_482:
	s_mov_b32 s6, exec_lo
	v_cmpx_ne_u32_e32 27, v0
	s_cbranch_execz .LBB33_486
; %bb.483:
	v_add_nc_u32_e32 v8, 0x230, v79
	v_add3_u32 v77, 0, v79, 16
	v_mov_b32_e32 v78, v0
	s_mov_b32 s8, 0
	.p2align	6
.LBB33_484:                             ; =>This Inner Loop Header: Depth=1
	s_clause 0x3
	buffer_load_dword v84, v77, s[0:3], 0 offen offset:8
	buffer_load_dword v85, v77, s[0:3], 0 offen offset:12
	buffer_load_dword v86, v77, s[0:3], 0 offen
	buffer_load_dword v87, v77, s[0:3], 0 offen offset:4
	ds_read_b128 v[80:83], v8
	v_add_nc_u32_e32 v78, 1, v78
	v_add_nc_u32_e32 v8, 16, v8
	;; [unrolled: 1-line block ×3, first 2 shown]
	v_cmp_lt_u32_e32 vcc_lo, 26, v78
	s_or_b32 s8, vcc_lo, s8
	s_waitcnt vmcnt(2) lgkmcnt(0)
	v_mul_f64 v[88:89], v[82:83], v[84:85]
	v_mul_f64 v[84:85], v[80:81], v[84:85]
	s_waitcnt vmcnt(0)
	v_fma_f64 v[80:81], v[80:81], v[86:87], -v[88:89]
	v_fma_f64 v[82:83], v[82:83], v[86:87], v[84:85]
	v_add_f64 v[1:2], v[1:2], v[80:81]
	v_add_f64 v[3:4], v[3:4], v[82:83]
	s_andn2_b32 exec_lo, exec_lo, s8
	s_cbranch_execnz .LBB33_484
; %bb.485:
	s_or_b32 exec_lo, exec_lo, s8
.LBB33_486:
	s_or_b32 exec_lo, exec_lo, s6
	v_mov_b32_e32 v8, 0
	ds_read_b128 v[80:83], v8 offset:448
	s_waitcnt lgkmcnt(0)
	v_mul_f64 v[77:78], v[3:4], v[82:83]
	v_mul_f64 v[82:83], v[1:2], v[82:83]
	v_fma_f64 v[1:2], v[1:2], v[80:81], -v[77:78]
	v_fma_f64 v[3:4], v[3:4], v[80:81], v[82:83]
	buffer_store_dword v2, off, s[0:3], 0 offset:452
	buffer_store_dword v1, off, s[0:3], 0 offset:448
	;; [unrolled: 1-line block ×4, first 2 shown]
.LBB33_487:
	s_or_b32 exec_lo, exec_lo, s4
	v_mov_b32_e32 v4, s12
	s_mov_b32 s4, exec_lo
	s_clause 0x3
	buffer_load_dword v1, v4, s[0:3], 0 offen
	buffer_load_dword v2, v4, s[0:3], 0 offen offset:4
	buffer_load_dword v3, v4, s[0:3], 0 offen offset:8
	;; [unrolled: 1-line block ×3, first 2 shown]
	s_waitcnt vmcnt(0)
	ds_write_b128 v6, v[1:4]
	s_waitcnt lgkmcnt(0)
	s_waitcnt_vscnt null, 0x0
	s_barrier
	buffer_gl0_inv
	v_cmpx_gt_u32_e32 29, v0
	s_cbranch_execz .LBB33_495
; %bb.488:
	ds_read_b128 v[1:4], v6
	v_cmp_ne_u32_e32 vcc_lo, 1, v7
	s_cbranch_vccnz .LBB33_490
; %bb.489:
	s_clause 0x3
	buffer_load_dword v77, v5, s[0:3], 0 offen offset:8
	buffer_load_dword v78, v5, s[0:3], 0 offen offset:12
	buffer_load_dword v80, v5, s[0:3], 0 offen
	buffer_load_dword v81, v5, s[0:3], 0 offen offset:4
	s_waitcnt vmcnt(2) lgkmcnt(0)
	v_mul_f64 v[82:83], v[3:4], v[77:78]
	v_mul_f64 v[77:78], v[1:2], v[77:78]
	s_waitcnt vmcnt(0)
	v_fma_f64 v[1:2], v[1:2], v[80:81], -v[82:83]
	v_fma_f64 v[3:4], v[3:4], v[80:81], v[77:78]
.LBB33_490:
	s_mov_b32 s6, exec_lo
	v_cmpx_ne_u32_e32 28, v0
	s_cbranch_execz .LBB33_494
; %bb.491:
	v_add_nc_u32_e32 v8, 0x230, v79
	v_add3_u32 v77, 0, v79, 16
	v_mov_b32_e32 v78, v0
	s_mov_b32 s8, 0
	.p2align	6
.LBB33_492:                             ; =>This Inner Loop Header: Depth=1
	s_clause 0x3
	buffer_load_dword v84, v77, s[0:3], 0 offen offset:8
	buffer_load_dword v85, v77, s[0:3], 0 offen offset:12
	buffer_load_dword v86, v77, s[0:3], 0 offen
	buffer_load_dword v87, v77, s[0:3], 0 offen offset:4
	ds_read_b128 v[80:83], v8
	v_add_nc_u32_e32 v78, 1, v78
	v_add_nc_u32_e32 v8, 16, v8
	;; [unrolled: 1-line block ×3, first 2 shown]
	v_cmp_lt_u32_e32 vcc_lo, 27, v78
	s_or_b32 s8, vcc_lo, s8
	s_waitcnt vmcnt(2) lgkmcnt(0)
	v_mul_f64 v[88:89], v[82:83], v[84:85]
	v_mul_f64 v[84:85], v[80:81], v[84:85]
	s_waitcnt vmcnt(0)
	v_fma_f64 v[80:81], v[80:81], v[86:87], -v[88:89]
	v_fma_f64 v[82:83], v[82:83], v[86:87], v[84:85]
	v_add_f64 v[1:2], v[1:2], v[80:81]
	v_add_f64 v[3:4], v[3:4], v[82:83]
	s_andn2_b32 exec_lo, exec_lo, s8
	s_cbranch_execnz .LBB33_492
; %bb.493:
	s_or_b32 exec_lo, exec_lo, s8
.LBB33_494:
	s_or_b32 exec_lo, exec_lo, s6
	v_mov_b32_e32 v8, 0
	ds_read_b128 v[80:83], v8 offset:464
	s_waitcnt lgkmcnt(0)
	v_mul_f64 v[77:78], v[3:4], v[82:83]
	v_mul_f64 v[82:83], v[1:2], v[82:83]
	v_fma_f64 v[1:2], v[1:2], v[80:81], -v[77:78]
	v_fma_f64 v[3:4], v[3:4], v[80:81], v[82:83]
	buffer_store_dword v2, off, s[0:3], 0 offset:468
	buffer_store_dword v1, off, s[0:3], 0 offset:464
	;; [unrolled: 1-line block ×4, first 2 shown]
.LBB33_495:
	s_or_b32 exec_lo, exec_lo, s4
	v_mov_b32_e32 v4, s11
	s_mov_b32 s4, exec_lo
	s_clause 0x3
	buffer_load_dword v1, v4, s[0:3], 0 offen
	buffer_load_dword v2, v4, s[0:3], 0 offen offset:4
	buffer_load_dword v3, v4, s[0:3], 0 offen offset:8
	;; [unrolled: 1-line block ×3, first 2 shown]
	s_waitcnt vmcnt(0)
	ds_write_b128 v6, v[1:4]
	s_waitcnt lgkmcnt(0)
	s_waitcnt_vscnt null, 0x0
	s_barrier
	buffer_gl0_inv
	v_cmpx_gt_u32_e32 30, v0
	s_cbranch_execz .LBB33_503
; %bb.496:
	ds_read_b128 v[1:4], v6
	v_cmp_ne_u32_e32 vcc_lo, 1, v7
	s_cbranch_vccnz .LBB33_498
; %bb.497:
	s_clause 0x3
	buffer_load_dword v77, v5, s[0:3], 0 offen offset:8
	buffer_load_dword v78, v5, s[0:3], 0 offen offset:12
	buffer_load_dword v80, v5, s[0:3], 0 offen
	buffer_load_dword v81, v5, s[0:3], 0 offen offset:4
	s_waitcnt vmcnt(2) lgkmcnt(0)
	v_mul_f64 v[82:83], v[3:4], v[77:78]
	v_mul_f64 v[77:78], v[1:2], v[77:78]
	s_waitcnt vmcnt(0)
	v_fma_f64 v[1:2], v[1:2], v[80:81], -v[82:83]
	v_fma_f64 v[3:4], v[3:4], v[80:81], v[77:78]
.LBB33_498:
	s_mov_b32 s6, exec_lo
	v_cmpx_ne_u32_e32 29, v0
	s_cbranch_execz .LBB33_502
; %bb.499:
	v_add_nc_u32_e32 v8, 0x230, v79
	v_add3_u32 v77, 0, v79, 16
	v_mov_b32_e32 v78, v0
	s_mov_b32 s8, 0
	.p2align	6
.LBB33_500:                             ; =>This Inner Loop Header: Depth=1
	s_clause 0x3
	buffer_load_dword v84, v77, s[0:3], 0 offen offset:8
	buffer_load_dword v85, v77, s[0:3], 0 offen offset:12
	buffer_load_dword v86, v77, s[0:3], 0 offen
	buffer_load_dword v87, v77, s[0:3], 0 offen offset:4
	ds_read_b128 v[80:83], v8
	v_add_nc_u32_e32 v78, 1, v78
	v_add_nc_u32_e32 v8, 16, v8
	;; [unrolled: 1-line block ×3, first 2 shown]
	v_cmp_lt_u32_e32 vcc_lo, 28, v78
	s_or_b32 s8, vcc_lo, s8
	s_waitcnt vmcnt(2) lgkmcnt(0)
	v_mul_f64 v[88:89], v[82:83], v[84:85]
	v_mul_f64 v[84:85], v[80:81], v[84:85]
	s_waitcnt vmcnt(0)
	v_fma_f64 v[80:81], v[80:81], v[86:87], -v[88:89]
	v_fma_f64 v[82:83], v[82:83], v[86:87], v[84:85]
	v_add_f64 v[1:2], v[1:2], v[80:81]
	v_add_f64 v[3:4], v[3:4], v[82:83]
	s_andn2_b32 exec_lo, exec_lo, s8
	s_cbranch_execnz .LBB33_500
; %bb.501:
	s_or_b32 exec_lo, exec_lo, s8
.LBB33_502:
	s_or_b32 exec_lo, exec_lo, s6
	v_mov_b32_e32 v8, 0
	ds_read_b128 v[80:83], v8 offset:480
	s_waitcnt lgkmcnt(0)
	v_mul_f64 v[77:78], v[3:4], v[82:83]
	v_mul_f64 v[82:83], v[1:2], v[82:83]
	v_fma_f64 v[1:2], v[1:2], v[80:81], -v[77:78]
	v_fma_f64 v[3:4], v[3:4], v[80:81], v[82:83]
	buffer_store_dword v2, off, s[0:3], 0 offset:484
	buffer_store_dword v1, off, s[0:3], 0 offset:480
	;; [unrolled: 1-line block ×4, first 2 shown]
.LBB33_503:
	s_or_b32 exec_lo, exec_lo, s4
	v_mov_b32_e32 v4, s10
	s_mov_b32 s4, exec_lo
	s_clause 0x3
	buffer_load_dword v1, v4, s[0:3], 0 offen
	buffer_load_dword v2, v4, s[0:3], 0 offen offset:4
	buffer_load_dword v3, v4, s[0:3], 0 offen offset:8
	;; [unrolled: 1-line block ×3, first 2 shown]
	s_waitcnt vmcnt(0)
	ds_write_b128 v6, v[1:4]
	s_waitcnt lgkmcnt(0)
	s_waitcnt_vscnt null, 0x0
	s_barrier
	buffer_gl0_inv
	v_cmpx_gt_u32_e32 31, v0
	s_cbranch_execz .LBB33_511
; %bb.504:
	ds_read_b128 v[1:4], v6
	v_cmp_ne_u32_e32 vcc_lo, 1, v7
	s_cbranch_vccnz .LBB33_506
; %bb.505:
	s_clause 0x3
	buffer_load_dword v77, v5, s[0:3], 0 offen offset:8
	buffer_load_dword v78, v5, s[0:3], 0 offen offset:12
	buffer_load_dword v80, v5, s[0:3], 0 offen
	buffer_load_dword v81, v5, s[0:3], 0 offen offset:4
	s_waitcnt vmcnt(2) lgkmcnt(0)
	v_mul_f64 v[82:83], v[3:4], v[77:78]
	v_mul_f64 v[77:78], v[1:2], v[77:78]
	s_waitcnt vmcnt(0)
	v_fma_f64 v[1:2], v[1:2], v[80:81], -v[82:83]
	v_fma_f64 v[3:4], v[3:4], v[80:81], v[77:78]
.LBB33_506:
	s_mov_b32 s6, exec_lo
	v_cmpx_ne_u32_e32 30, v0
	s_cbranch_execz .LBB33_510
; %bb.507:
	v_add_nc_u32_e32 v8, 0x230, v79
	v_add3_u32 v77, 0, v79, 16
	v_mov_b32_e32 v78, v0
	s_mov_b32 s8, 0
	.p2align	6
.LBB33_508:                             ; =>This Inner Loop Header: Depth=1
	s_clause 0x3
	buffer_load_dword v84, v77, s[0:3], 0 offen offset:8
	buffer_load_dword v85, v77, s[0:3], 0 offen offset:12
	buffer_load_dword v86, v77, s[0:3], 0 offen
	buffer_load_dword v87, v77, s[0:3], 0 offen offset:4
	ds_read_b128 v[80:83], v8
	v_add_nc_u32_e32 v78, 1, v78
	v_add_nc_u32_e32 v8, 16, v8
	;; [unrolled: 1-line block ×3, first 2 shown]
	v_cmp_lt_u32_e32 vcc_lo, 29, v78
	s_or_b32 s8, vcc_lo, s8
	s_waitcnt vmcnt(2) lgkmcnt(0)
	v_mul_f64 v[88:89], v[82:83], v[84:85]
	v_mul_f64 v[84:85], v[80:81], v[84:85]
	s_waitcnt vmcnt(0)
	v_fma_f64 v[80:81], v[80:81], v[86:87], -v[88:89]
	v_fma_f64 v[82:83], v[82:83], v[86:87], v[84:85]
	v_add_f64 v[1:2], v[1:2], v[80:81]
	v_add_f64 v[3:4], v[3:4], v[82:83]
	s_andn2_b32 exec_lo, exec_lo, s8
	s_cbranch_execnz .LBB33_508
; %bb.509:
	s_or_b32 exec_lo, exec_lo, s8
.LBB33_510:
	s_or_b32 exec_lo, exec_lo, s6
	v_mov_b32_e32 v8, 0
	ds_read_b128 v[80:83], v8 offset:496
	s_waitcnt lgkmcnt(0)
	v_mul_f64 v[77:78], v[3:4], v[82:83]
	v_mul_f64 v[82:83], v[1:2], v[82:83]
	v_fma_f64 v[1:2], v[1:2], v[80:81], -v[77:78]
	v_fma_f64 v[3:4], v[3:4], v[80:81], v[82:83]
	buffer_store_dword v2, off, s[0:3], 0 offset:500
	buffer_store_dword v1, off, s[0:3], 0 offset:496
	;; [unrolled: 1-line block ×4, first 2 shown]
.LBB33_511:
	s_or_b32 exec_lo, exec_lo, s4
	v_mov_b32_e32 v4, s9
	v_cmp_gt_u32_e64 s4, 32, v0
	s_clause 0x3
	buffer_load_dword v1, v4, s[0:3], 0 offen
	buffer_load_dword v2, v4, s[0:3], 0 offen offset:4
	buffer_load_dword v3, v4, s[0:3], 0 offen offset:8
	;; [unrolled: 1-line block ×3, first 2 shown]
	s_waitcnt vmcnt(0)
	ds_write_b128 v6, v[1:4]
	s_waitcnt lgkmcnt(0)
	s_waitcnt_vscnt null, 0x0
	s_barrier
	buffer_gl0_inv
	s_and_saveexec_b32 s6, s4
	s_cbranch_execz .LBB33_519
; %bb.512:
	ds_read_b128 v[1:4], v6
	v_cmp_ne_u32_e32 vcc_lo, 1, v7
	s_cbranch_vccnz .LBB33_514
; %bb.513:
	s_clause 0x3
	buffer_load_dword v77, v5, s[0:3], 0 offen offset:8
	buffer_load_dword v78, v5, s[0:3], 0 offen offset:12
	buffer_load_dword v80, v5, s[0:3], 0 offen
	buffer_load_dword v81, v5, s[0:3], 0 offen offset:4
	s_waitcnt vmcnt(2) lgkmcnt(0)
	v_mul_f64 v[82:83], v[3:4], v[77:78]
	v_mul_f64 v[77:78], v[1:2], v[77:78]
	s_waitcnt vmcnt(0)
	v_fma_f64 v[1:2], v[1:2], v[80:81], -v[82:83]
	v_fma_f64 v[3:4], v[3:4], v[80:81], v[77:78]
.LBB33_514:
	s_mov_b32 s8, exec_lo
	v_cmpx_ne_u32_e32 31, v0
	s_cbranch_execz .LBB33_518
; %bb.515:
	v_add_nc_u32_e32 v8, 0x230, v79
	v_add3_u32 v77, 0, v79, 16
	v_mov_b32_e32 v78, v0
	s_mov_b32 s42, 0
	.p2align	6
.LBB33_516:                             ; =>This Inner Loop Header: Depth=1
	s_clause 0x3
	buffer_load_dword v84, v77, s[0:3], 0 offen offset:8
	buffer_load_dword v85, v77, s[0:3], 0 offen offset:12
	buffer_load_dword v86, v77, s[0:3], 0 offen
	buffer_load_dword v87, v77, s[0:3], 0 offen offset:4
	ds_read_b128 v[80:83], v8
	v_add_nc_u32_e32 v78, 1, v78
	v_add_nc_u32_e32 v8, 16, v8
	;; [unrolled: 1-line block ×3, first 2 shown]
	v_cmp_lt_u32_e32 vcc_lo, 30, v78
	s_or_b32 s42, vcc_lo, s42
	s_waitcnt vmcnt(2) lgkmcnt(0)
	v_mul_f64 v[88:89], v[82:83], v[84:85]
	v_mul_f64 v[84:85], v[80:81], v[84:85]
	s_waitcnt vmcnt(0)
	v_fma_f64 v[80:81], v[80:81], v[86:87], -v[88:89]
	v_fma_f64 v[82:83], v[82:83], v[86:87], v[84:85]
	v_add_f64 v[1:2], v[1:2], v[80:81]
	v_add_f64 v[3:4], v[3:4], v[82:83]
	s_andn2_b32 exec_lo, exec_lo, s42
	s_cbranch_execnz .LBB33_516
; %bb.517:
	s_or_b32 exec_lo, exec_lo, s42
.LBB33_518:
	s_or_b32 exec_lo, exec_lo, s8
	v_mov_b32_e32 v8, 0
	ds_read_b128 v[80:83], v8 offset:512
	s_waitcnt lgkmcnt(0)
	v_mul_f64 v[77:78], v[3:4], v[82:83]
	v_mul_f64 v[82:83], v[1:2], v[82:83]
	v_fma_f64 v[1:2], v[1:2], v[80:81], -v[77:78]
	v_fma_f64 v[3:4], v[3:4], v[80:81], v[82:83]
	buffer_store_dword v2, off, s[0:3], 0 offset:516
	buffer_store_dword v1, off, s[0:3], 0 offset:512
	buffer_store_dword v4, off, s[0:3], 0 offset:524
	buffer_store_dword v3, off, s[0:3], 0 offset:520
.LBB33_519:
	s_or_b32 exec_lo, exec_lo, s6
	v_mov_b32_e32 v4, s7
	s_mov_b32 s6, exec_lo
                                        ; implicit-def: $sgpr43
	s_clause 0x3
	buffer_load_dword v1, v4, s[0:3], 0 offen
	buffer_load_dword v2, v4, s[0:3], 0 offen offset:4
	buffer_load_dword v3, v4, s[0:3], 0 offen offset:8
	;; [unrolled: 1-line block ×3, first 2 shown]
	s_waitcnt vmcnt(0)
	ds_write_b128 v6, v[1:4]
	s_waitcnt lgkmcnt(0)
	s_waitcnt_vscnt null, 0x0
	s_barrier
	buffer_gl0_inv
                                        ; implicit-def: $vgpr1_vgpr2
	v_cmpx_ne_u32_e32 33, v0
	s_cbranch_execz .LBB33_527
; %bb.520:
	ds_read_b128 v[1:4], v6
	v_cmp_ne_u32_e32 vcc_lo, 1, v7
	s_cbranch_vccnz .LBB33_522
; %bb.521:
	s_clause 0x3
	buffer_load_dword v6, v5, s[0:3], 0 offen offset:8
	buffer_load_dword v7, v5, s[0:3], 0 offen offset:12
	buffer_load_dword v77, v5, s[0:3], 0 offen
	buffer_load_dword v78, v5, s[0:3], 0 offen offset:4
	s_waitcnt vmcnt(2) lgkmcnt(0)
	v_mul_f64 v[80:81], v[3:4], v[6:7]
	v_mul_f64 v[5:6], v[1:2], v[6:7]
	s_waitcnt vmcnt(0)
	v_fma_f64 v[1:2], v[1:2], v[77:78], -v[80:81]
	v_fma_f64 v[3:4], v[3:4], v[77:78], v[5:6]
.LBB33_522:
	s_and_saveexec_b32 s8, s4
	s_cbranch_execz .LBB33_526
; %bb.523:
	v_add_nc_u32_e32 v5, 0x230, v79
	v_add3_u32 v6, 0, v79, 16
	s_mov_b32 s4, 0
	.p2align	6
.LBB33_524:                             ; =>This Inner Loop Header: Depth=1
	s_clause 0x3
	buffer_load_dword v7, v6, s[0:3], 0 offen offset:8
	buffer_load_dword v8, v6, s[0:3], 0 offen offset:12
	buffer_load_dword v81, v6, s[0:3], 0 offen
	buffer_load_dword v82, v6, s[0:3], 0 offen offset:4
	ds_read_b128 v[77:80], v5
	v_add_nc_u32_e32 v0, 1, v0
	v_add_nc_u32_e32 v5, 16, v5
	v_add_nc_u32_e32 v6, 16, v6
	v_cmp_lt_u32_e32 vcc_lo, 31, v0
	s_or_b32 s4, vcc_lo, s4
	s_waitcnt vmcnt(2) lgkmcnt(0)
	v_mul_f64 v[83:84], v[79:80], v[7:8]
	v_mul_f64 v[7:8], v[77:78], v[7:8]
	s_waitcnt vmcnt(0)
	v_fma_f64 v[77:78], v[77:78], v[81:82], -v[83:84]
	v_fma_f64 v[7:8], v[79:80], v[81:82], v[7:8]
	v_add_f64 v[1:2], v[1:2], v[77:78]
	v_add_f64 v[3:4], v[3:4], v[7:8]
	s_andn2_b32 exec_lo, exec_lo, s4
	s_cbranch_execnz .LBB33_524
; %bb.525:
	s_or_b32 exec_lo, exec_lo, s4
.LBB33_526:
	s_or_b32 exec_lo, exec_lo, s8
	v_mov_b32_e32 v0, 0
	s_movk_i32 s43, 0x218
	s_or_b32 s5, s5, exec_lo
	ds_read_b128 v[5:8], v0 offset:528
	s_waitcnt lgkmcnt(0)
	v_mul_f64 v[77:78], v[3:4], v[7:8]
	v_mul_f64 v[7:8], v[1:2], v[7:8]
	v_fma_f64 v[77:78], v[1:2], v[5:6], -v[77:78]
	v_fma_f64 v[1:2], v[3:4], v[5:6], v[7:8]
	buffer_store_dword v78, off, s[0:3], 0 offset:532
	buffer_store_dword v77, off, s[0:3], 0 offset:528
.LBB33_527:
	s_or_b32 exec_lo, exec_lo, s6
.LBB33_528:
	s_and_saveexec_b32 s4, s5
	s_cbranch_execz .LBB33_530
; %bb.529:
	v_mov_b32_e32 v0, s43
	buffer_store_dword v2, v0, s[0:3], 0 offen offset:4
	buffer_store_dword v1, v0, s[0:3], 0 offen
.LBB33_530:
	s_or_b32 exec_lo, exec_lo, s4
	v_mov_b32_e32 v3, s41
	v_mov_b32_e32 v80, s38
	;; [unrolled: 1-line block ×5, first 2 shown]
	s_clause 0x17
	buffer_load_dword v0, v3, s[0:3], 0 offen
	buffer_load_dword v1, v3, s[0:3], 0 offen offset:4
	buffer_load_dword v2, v3, s[0:3], 0 offen offset:8
	buffer_load_dword v3, v3, s[0:3], 0 offen offset:12
	buffer_load_dword v4, v7, s[0:3], 0 offen
	buffer_load_dword v5, v7, s[0:3], 0 offen offset:4
	buffer_load_dword v6, v7, s[0:3], 0 offen offset:8
	buffer_load_dword v7, v7, s[0:3], 0 offen offset:12
	;; [unrolled: 4-line block ×5, first 2 shown]
	buffer_load_dword v89, off, s[0:3], 0
	buffer_load_dword v90, off, s[0:3], 0 offset:4
	buffer_load_dword v91, off, s[0:3], 0 offset:8
	;; [unrolled: 1-line block ×3, first 2 shown]
	v_mov_b32_e32 v8, s36
	v_mov_b32_e32 v101, s11
	;; [unrolled: 1-line block ×4, first 2 shown]
	s_waitcnt vmcnt(0)
	global_store_dwordx4 v[59:60], v[89:92], off
	s_clause 0x3
	buffer_load_dword v89, v8, s[0:3], 0 offen
	buffer_load_dword v90, v8, s[0:3], 0 offen offset:4
	buffer_load_dword v91, v8, s[0:3], 0 offen offset:8
	;; [unrolled: 1-line block ×3, first 2 shown]
	v_mov_b32_e32 v8, s35
	global_store_dwordx4 v[65:66], v[85:88], off
	v_mov_b32_e32 v59, s30
	s_clause 0x3
	buffer_load_dword v85, v8, s[0:3], 0 offen
	buffer_load_dword v86, v8, s[0:3], 0 offen offset:4
	buffer_load_dword v87, v8, s[0:3], 0 offen offset:8
	;; [unrolled: 1-line block ×3, first 2 shown]
	v_mov_b32_e32 v8, s34
	s_clause 0x3
	buffer_load_dword v93, v8, s[0:3], 0 offen
	buffer_load_dword v94, v8, s[0:3], 0 offen offset:4
	buffer_load_dword v95, v8, s[0:3], 0 offen offset:8
	;; [unrolled: 1-line block ×3, first 2 shown]
	global_store_dwordx4 v[75:76], v[0:3], off
	v_mov_b32_e32 v3, s33
	v_mov_b32_e32 v8, s31
	s_clause 0x3
	buffer_load_dword v0, v3, s[0:3], 0 offen
	buffer_load_dword v1, v3, s[0:3], 0 offen offset:4
	buffer_load_dword v2, v3, s[0:3], 0 offen offset:8
	;; [unrolled: 1-line block ×3, first 2 shown]
	global_store_dwordx4 v[71:72], v[4:7], off
	s_clause 0x3
	buffer_load_dword v4, v8, s[0:3], 0 offen
	buffer_load_dword v5, v8, s[0:3], 0 offen offset:4
	buffer_load_dword v6, v8, s[0:3], 0 offen offset:8
	;; [unrolled: 1-line block ×3, first 2 shown]
	v_mov_b32_e32 v8, s29
	global_store_dwordx4 v[73:74], v[77:80], off
	s_clause 0x7
	buffer_load_dword v71, v59, s[0:3], 0 offen
	buffer_load_dword v72, v59, s[0:3], 0 offen offset:4
	buffer_load_dword v73, v59, s[0:3], 0 offen offset:8
	;; [unrolled: 1-line block ×3, first 2 shown]
	buffer_load_dword v75, v8, s[0:3], 0 offen
	buffer_load_dword v76, v8, s[0:3], 0 offen offset:4
	buffer_load_dword v77, v8, s[0:3], 0 offen offset:8
	;; [unrolled: 1-line block ×3, first 2 shown]
	v_mov_b32_e32 v8, s28
	v_mov_b32_e32 v59, s27
	global_store_dwordx4 v[67:68], v[81:84], off
	s_clause 0x7
	buffer_load_dword v65, v8, s[0:3], 0 offen
	buffer_load_dword v66, v8, s[0:3], 0 offen offset:4
	buffer_load_dword v67, v8, s[0:3], 0 offen offset:8
	;; [unrolled: 1-line block ×3, first 2 shown]
	buffer_load_dword v79, v59, s[0:3], 0 offen
	buffer_load_dword v80, v59, s[0:3], 0 offen offset:4
	buffer_load_dword v81, v59, s[0:3], 0 offen offset:8
	buffer_load_dword v82, v59, s[0:3], 0 offen offset:12
	v_mov_b32_e32 v8, s26
	v_mov_b32_e32 v59, s24
	s_waitcnt vmcnt(32)
	global_store_dwordx4 v[69:70], v[89:92], off
	s_clause 0x3
	buffer_load_dword v89, v8, s[0:3], 0 offen
	buffer_load_dword v90, v8, s[0:3], 0 offen offset:4
	buffer_load_dword v91, v8, s[0:3], 0 offen offset:8
	;; [unrolled: 1-line block ×3, first 2 shown]
	v_mov_b32_e32 v8, s25
	s_waitcnt vmcnt(32)
	global_store_dwordx4 v[63:64], v[85:88], off
	s_clause 0x7
	buffer_load_dword v83, v8, s[0:3], 0 offen
	buffer_load_dword v84, v8, s[0:3], 0 offen offset:4
	buffer_load_dword v85, v8, s[0:3], 0 offen offset:8
	;; [unrolled: 1-line block ×3, first 2 shown]
	buffer_load_dword v97, v59, s[0:3], 0 offen
	buffer_load_dword v98, v59, s[0:3], 0 offen offset:4
	buffer_load_dword v99, v59, s[0:3], 0 offen offset:8
	;; [unrolled: 1-line block ×3, first 2 shown]
	v_mov_b32_e32 v8, s23
	v_mov_b32_e32 v63, s21
	;; [unrolled: 1-line block ×4, first 2 shown]
	s_waitcnt vmcnt(36)
	global_store_dwordx4 v[61:62], v[93:96], off
	s_clause 0x3
	buffer_load_dword v59, v8, s[0:3], 0 offen
	buffer_load_dword v60, v8, s[0:3], 0 offen offset:4
	buffer_load_dword v61, v8, s[0:3], 0 offen offset:8
	buffer_load_dword v62, v8, s[0:3], 0 offen offset:12
	v_mov_b32_e32 v8, s22
	v_mov_b32_e32 v94, s15
	v_mov_b32_e32 v93, s16
	v_mov_b32_e32 v95, s12
	s_waitcnt vmcnt(36)
	global_store_dwordx4 v[57:58], v[0:3], off
	v_mov_b32_e32 v58, s19
	s_waitcnt vmcnt(32)
	global_store_dwordx4 v[43:44], v[4:7], off
	s_waitcnt vmcnt(28)
	global_store_dwordx4 v[27:28], v[71:74], off
	v_mov_b32_e32 v57, s20
	v_mov_b32_e32 v44, s13
	s_clause 0x3
	buffer_load_dword v0, v8, s[0:3], 0 offen
	buffer_load_dword v1, v8, s[0:3], 0 offen offset:4
	buffer_load_dword v2, v8, s[0:3], 0 offen offset:8
	;; [unrolled: 1-line block ×3, first 2 shown]
	s_waitcnt vmcnt(28)
	global_store_dwordx4 v[11:12], v[75:78], off
	s_clause 0x7
	buffer_load_dword v4, v63, s[0:3], 0 offen
	buffer_load_dword v5, v63, s[0:3], 0 offen offset:4
	buffer_load_dword v6, v63, s[0:3], 0 offen offset:8
	;; [unrolled: 1-line block ×3, first 2 shown]
	buffer_load_dword v69, v57, s[0:3], 0 offen
	buffer_load_dword v70, v57, s[0:3], 0 offen offset:4
	buffer_load_dword v71, v57, s[0:3], 0 offen offset:8
	;; [unrolled: 1-line block ×3, first 2 shown]
	s_waitcnt vmcnt(32)
	global_store_dwordx4 v[19:20], v[65:68], off
	s_clause 0x7
	buffer_load_dword v63, v58, s[0:3], 0 offen
	buffer_load_dword v64, v58, s[0:3], 0 offen offset:4
	buffer_load_dword v65, v58, s[0:3], 0 offen offset:8
	buffer_load_dword v66, v58, s[0:3], 0 offen offset:12
	buffer_load_dword v73, v87, s[0:3], 0 offen
	buffer_load_dword v74, v87, s[0:3], 0 offen offset:4
	buffer_load_dword v75, v87, s[0:3], 0 offen offset:8
	;; [unrolled: 1-line block ×3, first 2 shown]
	s_waitcnt vmcnt(36)
	global_store_dwordx4 v[21:22], v[79:82], off
	v_mov_b32_e32 v43, s14
	s_clause 0x7
	buffer_load_dword v19, v88, s[0:3], 0 offen
	buffer_load_dword v20, v88, s[0:3], 0 offen offset:4
	buffer_load_dword v21, v88, s[0:3], 0 offen offset:8
	;; [unrolled: 1-line block ×3, first 2 shown]
	buffer_load_dword v77, v93, s[0:3], 0 offen
	buffer_load_dword v78, v93, s[0:3], 0 offen offset:4
	buffer_load_dword v79, v93, s[0:3], 0 offen offset:8
	;; [unrolled: 1-line block ×3, first 2 shown]
	v_mov_b32_e32 v27, s7
	s_waitcnt vmcnt(40)
	global_store_dwordx4 v[15:16], v[89:92], off
	s_clause 0x7
	buffer_load_dword v87, v94, s[0:3], 0 offen
	buffer_load_dword v88, v94, s[0:3], 0 offen offset:4
	buffer_load_dword v89, v94, s[0:3], 0 offen offset:8
	buffer_load_dword v90, v94, s[0:3], 0 offen offset:12
	buffer_load_dword v91, v43, s[0:3], 0 offen
	buffer_load_dword v92, v43, s[0:3], 0 offen offset:4
	buffer_load_dword v93, v43, s[0:3], 0 offen offset:8
	buffer_load_dword v94, v43, s[0:3], 0 offen offset:12
	s_waitcnt vmcnt(44)
	global_store_dwordx4 v[13:14], v[83:86], off
	s_clause 0x7
	buffer_load_dword v11, v44, s[0:3], 0 offen
	buffer_load_dword v12, v44, s[0:3], 0 offen offset:4
	buffer_load_dword v13, v44, s[0:3], 0 offen offset:8
	buffer_load_dword v14, v44, s[0:3], 0 offen offset:12
	buffer_load_dword v81, v95, s[0:3], 0 offen
	buffer_load_dword v82, v95, s[0:3], 0 offen offset:4
	buffer_load_dword v83, v95, s[0:3], 0 offen offset:8
	buffer_load_dword v84, v95, s[0:3], 0 offen offset:12
	;; [unrolled: 11-line block ×4, first 2 shown]
	s_waitcnt vmcnt(56)
	global_store_dwordx4 v[17:18], v[0:3], off
	s_waitcnt vmcnt(52)
	global_store_dwordx4 v[29:30], v[4:7], off
	;; [unrolled: 2-line block ×15, first 2 shown]
.LBB33_531:
	s_endpgm
	.section	.rodata,"a",@progbits
	.p2align	6, 0x0
	.amdhsa_kernel _ZN9rocsolver6v33100L18trti2_kernel_smallILi34E19rocblas_complex_numIdEPS3_EEv13rocblas_fill_17rocblas_diagonal_T1_iil
		.amdhsa_group_segment_fixed_size 1088
		.amdhsa_private_segment_fixed_size 560
		.amdhsa_kernarg_size 32
		.amdhsa_user_sgpr_count 6
		.amdhsa_user_sgpr_private_segment_buffer 1
		.amdhsa_user_sgpr_dispatch_ptr 0
		.amdhsa_user_sgpr_queue_ptr 0
		.amdhsa_user_sgpr_kernarg_segment_ptr 1
		.amdhsa_user_sgpr_dispatch_id 0
		.amdhsa_user_sgpr_flat_scratch_init 0
		.amdhsa_user_sgpr_private_segment_size 0
		.amdhsa_wavefront_size32 1
		.amdhsa_uses_dynamic_stack 0
		.amdhsa_system_sgpr_private_segment_wavefront_offset 1
		.amdhsa_system_sgpr_workgroup_id_x 1
		.amdhsa_system_sgpr_workgroup_id_y 0
		.amdhsa_system_sgpr_workgroup_id_z 0
		.amdhsa_system_sgpr_workgroup_info 0
		.amdhsa_system_vgpr_workitem_id 0
		.amdhsa_next_free_vgpr 104
		.amdhsa_next_free_sgpr 56
		.amdhsa_reserve_vcc 1
		.amdhsa_reserve_flat_scratch 0
		.amdhsa_float_round_mode_32 0
		.amdhsa_float_round_mode_16_64 0
		.amdhsa_float_denorm_mode_32 3
		.amdhsa_float_denorm_mode_16_64 3
		.amdhsa_dx10_clamp 1
		.amdhsa_ieee_mode 1
		.amdhsa_fp16_overflow 0
		.amdhsa_workgroup_processor_mode 1
		.amdhsa_memory_ordered 1
		.amdhsa_forward_progress 1
		.amdhsa_shared_vgpr_count 0
		.amdhsa_exception_fp_ieee_invalid_op 0
		.amdhsa_exception_fp_denorm_src 0
		.amdhsa_exception_fp_ieee_div_zero 0
		.amdhsa_exception_fp_ieee_overflow 0
		.amdhsa_exception_fp_ieee_underflow 0
		.amdhsa_exception_fp_ieee_inexact 0
		.amdhsa_exception_int_div_zero 0
	.end_amdhsa_kernel
	.section	.text._ZN9rocsolver6v33100L18trti2_kernel_smallILi34E19rocblas_complex_numIdEPS3_EEv13rocblas_fill_17rocblas_diagonal_T1_iil,"axG",@progbits,_ZN9rocsolver6v33100L18trti2_kernel_smallILi34E19rocblas_complex_numIdEPS3_EEv13rocblas_fill_17rocblas_diagonal_T1_iil,comdat
.Lfunc_end33:
	.size	_ZN9rocsolver6v33100L18trti2_kernel_smallILi34E19rocblas_complex_numIdEPS3_EEv13rocblas_fill_17rocblas_diagonal_T1_iil, .Lfunc_end33-_ZN9rocsolver6v33100L18trti2_kernel_smallILi34E19rocblas_complex_numIdEPS3_EEv13rocblas_fill_17rocblas_diagonal_T1_iil
                                        ; -- End function
	.set _ZN9rocsolver6v33100L18trti2_kernel_smallILi34E19rocblas_complex_numIdEPS3_EEv13rocblas_fill_17rocblas_diagonal_T1_iil.num_vgpr, 104
	.set _ZN9rocsolver6v33100L18trti2_kernel_smallILi34E19rocblas_complex_numIdEPS3_EEv13rocblas_fill_17rocblas_diagonal_T1_iil.num_agpr, 0
	.set _ZN9rocsolver6v33100L18trti2_kernel_smallILi34E19rocblas_complex_numIdEPS3_EEv13rocblas_fill_17rocblas_diagonal_T1_iil.numbered_sgpr, 56
	.set _ZN9rocsolver6v33100L18trti2_kernel_smallILi34E19rocblas_complex_numIdEPS3_EEv13rocblas_fill_17rocblas_diagonal_T1_iil.num_named_barrier, 0
	.set _ZN9rocsolver6v33100L18trti2_kernel_smallILi34E19rocblas_complex_numIdEPS3_EEv13rocblas_fill_17rocblas_diagonal_T1_iil.private_seg_size, 560
	.set _ZN9rocsolver6v33100L18trti2_kernel_smallILi34E19rocblas_complex_numIdEPS3_EEv13rocblas_fill_17rocblas_diagonal_T1_iil.uses_vcc, 1
	.set _ZN9rocsolver6v33100L18trti2_kernel_smallILi34E19rocblas_complex_numIdEPS3_EEv13rocblas_fill_17rocblas_diagonal_T1_iil.uses_flat_scratch, 0
	.set _ZN9rocsolver6v33100L18trti2_kernel_smallILi34E19rocblas_complex_numIdEPS3_EEv13rocblas_fill_17rocblas_diagonal_T1_iil.has_dyn_sized_stack, 0
	.set _ZN9rocsolver6v33100L18trti2_kernel_smallILi34E19rocblas_complex_numIdEPS3_EEv13rocblas_fill_17rocblas_diagonal_T1_iil.has_recursion, 0
	.set _ZN9rocsolver6v33100L18trti2_kernel_smallILi34E19rocblas_complex_numIdEPS3_EEv13rocblas_fill_17rocblas_diagonal_T1_iil.has_indirect_call, 0
	.section	.AMDGPU.csdata,"",@progbits
; Kernel info:
; codeLenInByte = 34316
; TotalNumSgprs: 58
; NumVgprs: 104
; ScratchSize: 560
; MemoryBound: 0
; FloatMode: 240
; IeeeMode: 1
; LDSByteSize: 1088 bytes/workgroup (compile time only)
; SGPRBlocks: 0
; VGPRBlocks: 12
; NumSGPRsForWavesPerEU: 58
; NumVGPRsForWavesPerEU: 104
; Occupancy: 9
; WaveLimiterHint : 0
; COMPUTE_PGM_RSRC2:SCRATCH_EN: 1
; COMPUTE_PGM_RSRC2:USER_SGPR: 6
; COMPUTE_PGM_RSRC2:TRAP_HANDLER: 0
; COMPUTE_PGM_RSRC2:TGID_X_EN: 1
; COMPUTE_PGM_RSRC2:TGID_Y_EN: 0
; COMPUTE_PGM_RSRC2:TGID_Z_EN: 0
; COMPUTE_PGM_RSRC2:TIDIG_COMP_CNT: 0
	.section	.text._ZN9rocsolver6v33100L18trti2_kernel_smallILi35E19rocblas_complex_numIdEPS3_EEv13rocblas_fill_17rocblas_diagonal_T1_iil,"axG",@progbits,_ZN9rocsolver6v33100L18trti2_kernel_smallILi35E19rocblas_complex_numIdEPS3_EEv13rocblas_fill_17rocblas_diagonal_T1_iil,comdat
	.globl	_ZN9rocsolver6v33100L18trti2_kernel_smallILi35E19rocblas_complex_numIdEPS3_EEv13rocblas_fill_17rocblas_diagonal_T1_iil ; -- Begin function _ZN9rocsolver6v33100L18trti2_kernel_smallILi35E19rocblas_complex_numIdEPS3_EEv13rocblas_fill_17rocblas_diagonal_T1_iil
	.p2align	8
	.type	_ZN9rocsolver6v33100L18trti2_kernel_smallILi35E19rocblas_complex_numIdEPS3_EEv13rocblas_fill_17rocblas_diagonal_T1_iil,@function
_ZN9rocsolver6v33100L18trti2_kernel_smallILi35E19rocblas_complex_numIdEPS3_EEv13rocblas_fill_17rocblas_diagonal_T1_iil: ; @_ZN9rocsolver6v33100L18trti2_kernel_smallILi35E19rocblas_complex_numIdEPS3_EEv13rocblas_fill_17rocblas_diagonal_T1_iil
; %bb.0:
	s_add_u32 s0, s0, s7
	s_addc_u32 s1, s1, 0
	s_mov_b32 s7, exec_lo
	v_cmpx_gt_u32_e32 35, v0
	s_cbranch_execz .LBB34_547
; %bb.1:
	s_load_dwordx8 s[8:15], s[4:5], 0x0
	s_ashr_i32 s4, s6, 31
	v_lshlrev_b32_e32 v81, 4, v0
	s_movk_i32 s17, 0x100
	s_movk_i32 s18, 0x110
	;; [unrolled: 1-line block ×17, first 2 shown]
	s_waitcnt lgkmcnt(0)
	s_mul_hi_u32 s5, s14, s6
	s_mul_i32 s16, s14, s4
	v_add3_u32 v1, s13, s13, v0
	s_mul_i32 s15, s15, s6
	s_add_i32 s5, s5, s16
	s_mul_i32 s4, s14, s6
	s_add_i32 s5, s5, s15
	v_ashrrev_i32_e32 v2, 31, v1
	s_lshl_b64 s[4:5], s[4:5], 4
	s_ashr_i32 s7, s12, 31
	s_mov_b32 s6, s12
	v_add_nc_u32_e32 v5, s13, v1
	s_add_u32 s10, s10, s4
	s_addc_u32 s11, s11, s5
	s_lshl_b64 s[4:5], s[6:7], 4
	v_lshlrev_b64 v[7:8], 4, v[1:2]
	s_add_u32 s4, s10, s4
	v_add_nc_u32_e32 v9, s13, v5
	s_addc_u32 s5, s11, s5
	v_add_co_u32 v45, s6, s4, v81
	s_mov_b32 s14, s13
	v_ashrrev_i32_e32 v6, 31, v5
	s_ashr_i32 s15, s13, 31
	v_add_co_ci_u32_e64 v46, null, s5, 0, s6
	s_lshl_b64 s[6:7], s[14:15], 4
	v_add_co_u32 v41, vcc_lo, s4, v7
	v_ashrrev_i32_e32 v10, 31, v9
	v_add_co_ci_u32_e64 v42, null, s5, v8, vcc_lo
	v_add_co_u32 v47, vcc_lo, v45, s6
	v_lshlrev_b64 v[5:6], 4, v[5:6]
	global_load_dwordx4 v[1:4], v81, s[4:5]
	v_add_co_ci_u32_e64 v48, null, s7, v46, vcc_lo
	v_lshlrev_b64 v[7:8], 4, v[9:10]
	s_clause 0x1
	global_load_dwordx4 v[75:78], v[47:48], off
	global_load_dwordx4 v[82:85], v[41:42], off
	v_add_co_u32 v43, vcc_lo, s4, v5
	v_add_co_ci_u32_e64 v44, null, s5, v6, vcc_lo
	v_add_co_u32 v33, vcc_lo, s4, v7
	v_add_co_ci_u32_e64 v34, null, s5, v8, vcc_lo
	global_load_dwordx4 v[86:89], v[43:44], off
	v_add_nc_u32_e32 v11, s13, v9
	s_cmpk_lg_i32 s9, 0x84
	global_load_dwordx4 v[90:93], v[33:34], off
	s_movk_i32 s6, 0x70
	s_movk_i32 s7, 0x80
	v_ashrrev_i32_e32 v12, 31, v11
	v_add_nc_u32_e32 v9, s13, v11
	s_movk_i32 s10, 0x90
	s_movk_i32 s11, 0xa0
	;; [unrolled: 1-line block ×3, first 2 shown]
	v_lshlrev_b64 v[5:6], 4, v[11:12]
	v_ashrrev_i32_e32 v10, 31, v9
	v_add_nc_u32_e32 v11, s13, v9
	s_movk_i32 s14, 0xd0
	s_movk_i32 s15, 0xe0
	;; [unrolled: 1-line block ×3, first 2 shown]
	v_lshlrev_b64 v[7:8], 4, v[9:10]
	v_ashrrev_i32_e32 v12, 31, v11
	v_add_nc_u32_e32 v9, s13, v11
	v_add_co_u32 v35, vcc_lo, s4, v5
	v_add_co_ci_u32_e64 v36, null, s5, v6, vcc_lo
	v_lshlrev_b64 v[5:6], 4, v[11:12]
	v_add_nc_u32_e32 v11, s13, v9
	v_ashrrev_i32_e32 v10, 31, v9
	v_add_co_u32 v27, vcc_lo, s4, v7
	v_add_co_ci_u32_e64 v28, null, s5, v8, vcc_lo
	v_ashrrev_i32_e32 v12, 31, v11
	v_lshlrev_b64 v[7:8], 4, v[9:10]
	v_add_co_u32 v37, vcc_lo, s4, v5
	v_add_co_ci_u32_e64 v38, null, s5, v6, vcc_lo
	v_lshlrev_b64 v[5:6], 4, v[11:12]
	v_add_co_u32 v29, vcc_lo, s4, v7
	v_add_co_ci_u32_e64 v30, null, s5, v8, vcc_lo
	v_add_nc_u32_e32 v9, s13, v11
	v_add_co_u32 v39, vcc_lo, s4, v5
	v_add_co_ci_u32_e64 v40, null, s5, v6, vcc_lo
	v_ashrrev_i32_e32 v10, 31, v9
	v_add_nc_u32_e32 v11, s13, v9
	s_movk_i32 s55, 0x210
	s_movk_i32 s56, 0x220
	s_cselect_b32 s42, -1, 0
	v_lshlrev_b64 v[7:8], 4, v[9:10]
	v_ashrrev_i32_e32 v12, 31, v11
	v_add_nc_u32_e32 v9, s13, v11
	s_cmpk_eq_i32 s9, 0x84
	s_waitcnt vmcnt(4)
	buffer_store_dword v4, off, s[0:3], 0 offset:12
	buffer_store_dword v3, off, s[0:3], 0 offset:8
	;; [unrolled: 1-line block ×3, first 2 shown]
	buffer_store_dword v1, off, s[0:3], 0
	global_load_dwordx4 v[1:4], v[35:36], off
	s_waitcnt vmcnt(4)
	buffer_store_dword v78, off, s[0:3], 0 offset:28
	buffer_store_dword v77, off, s[0:3], 0 offset:24
	buffer_store_dword v76, off, s[0:3], 0 offset:20
	buffer_store_dword v75, off, s[0:3], 0 offset:16
	global_load_dwordx4 v[75:78], v[27:28], off
	s_waitcnt vmcnt(4)
	buffer_store_dword v85, off, s[0:3], 0 offset:44
	buffer_store_dword v84, off, s[0:3], 0 offset:40
	buffer_store_dword v83, off, s[0:3], 0 offset:36
	buffer_store_dword v82, off, s[0:3], 0 offset:32
	;; [unrolled: 6-line block ×4, first 2 shown]
	global_load_dwordx4 v[90:93], v[39:40], off
	v_lshlrev_b64 v[5:6], 4, v[11:12]
	v_ashrrev_i32_e32 v10, 31, v9
	v_add_nc_u32_e32 v11, s13, v9
	v_add_co_u32 v31, vcc_lo, s4, v7
	v_add_co_ci_u32_e64 v32, null, s5, v8, vcc_lo
	v_lshlrev_b64 v[7:8], 4, v[9:10]
	v_add_nc_u32_e32 v9, s13, v11
	v_ashrrev_i32_e32 v12, 31, v11
	v_add_co_u32 v15, vcc_lo, s4, v5
	v_add_co_ci_u32_e64 v16, null, s5, v6, vcc_lo
	v_ashrrev_i32_e32 v10, 31, v9
	v_lshlrev_b64 v[11:12], 4, v[11:12]
	v_add_co_u32 v5, vcc_lo, s4, v7
	v_add_nc_u32_e32 v13, s13, v9
	v_add_co_ci_u32_e64 v6, null, s5, v8, vcc_lo
	v_lshlrev_b64 v[9:10], 4, v[9:10]
	v_add_co_u32 v7, vcc_lo, s4, v11
	v_add_co_ci_u32_e64 v8, null, s5, v12, vcc_lo
	v_ashrrev_i32_e32 v14, 31, v13
	v_add_co_u32 v9, vcc_lo, s4, v9
	v_add_co_ci_u32_e64 v10, null, s5, v10, vcc_lo
	v_add_nc_u32_e32 v17, s13, v13
	v_lshlrev_b64 v[11:12], 4, v[13:14]
	s_waitcnt vmcnt(4)
	buffer_store_dword v4, off, s[0:3], 0 offset:92
	buffer_store_dword v3, off, s[0:3], 0 offset:88
	buffer_store_dword v2, off, s[0:3], 0 offset:84
	buffer_store_dword v1, off, s[0:3], 0 offset:80
	global_load_dwordx4 v[1:4], v[31:32], off
	s_waitcnt vmcnt(4)
	buffer_store_dword v78, off, s[0:3], 0 offset:108
	buffer_store_dword v77, off, s[0:3], 0 offset:104
	buffer_store_dword v76, off, s[0:3], 0 offset:100
	buffer_store_dword v75, off, s[0:3], 0 offset:96
	global_load_dwordx4 v[75:78], v[15:16], off
	s_waitcnt vmcnt(4)
	buffer_store_dword v85, off, s[0:3], 0 offset:124
	buffer_store_dword v84, off, s[0:3], 0 offset:120
	buffer_store_dword v83, off, s[0:3], 0 offset:116
	buffer_store_dword v82, off, s[0:3], 0 offset:112
	global_load_dwordx4 v[82:85], v[5:6], off
	s_waitcnt vmcnt(4)
	buffer_store_dword v89, off, s[0:3], 0 offset:140
	buffer_store_dword v88, off, s[0:3], 0 offset:136
	buffer_store_dword v87, off, s[0:3], 0 offset:132
	buffer_store_dword v86, off, s[0:3], 0 offset:128
	global_load_dwordx4 v[86:89], v[7:8], off
	s_waitcnt vmcnt(4)
	buffer_store_dword v90, off, s[0:3], 0 offset:144
	buffer_store_dword v91, off, s[0:3], 0 offset:148
	buffer_store_dword v92, off, s[0:3], 0 offset:152
	buffer_store_dword v93, off, s[0:3], 0 offset:156
	global_load_dwordx4 v[90:93], v[9:10], off
	v_add_nc_u32_e32 v13, s13, v17
	v_ashrrev_i32_e32 v18, 31, v17
	v_add_co_u32 v11, vcc_lo, s4, v11
	v_add_co_ci_u32_e64 v12, null, s5, v12, vcc_lo
	v_add_nc_u32_e32 v19, s13, v13
	v_ashrrev_i32_e32 v14, 31, v13
	v_lshlrev_b64 v[17:18], 4, v[17:18]
	s_waitcnt vmcnt(4)
	buffer_store_dword v1, off, s[0:3], 0 offset:160
	buffer_store_dword v2, off, s[0:3], 0 offset:164
	buffer_store_dword v3, off, s[0:3], 0 offset:168
	buffer_store_dword v4, off, s[0:3], 0 offset:172
	v_add_nc_u32_e32 v23, s13, v19
	v_ashrrev_i32_e32 v20, 31, v19
	v_lshlrev_b64 v[21:22], 4, v[13:14]
	v_add_co_u32 v13, vcc_lo, s4, v17
	v_ashrrev_i32_e32 v24, 31, v23
	v_add_co_ci_u32_e64 v14, null, s5, v18, vcc_lo
	v_lshlrev_b64 v[19:20], 4, v[19:20]
	global_load_dwordx4 v[1:4], v[11:12], off
	v_add_co_u32 v17, vcc_lo, s4, v21
	v_add_co_ci_u32_e64 v18, null, s5, v22, vcc_lo
	v_lshlrev_b64 v[21:22], 4, v[23:24]
	s_waitcnt vmcnt(4)
	buffer_store_dword v75, off, s[0:3], 0 offset:176
	buffer_store_dword v76, off, s[0:3], 0 offset:180
	buffer_store_dword v77, off, s[0:3], 0 offset:184
	buffer_store_dword v78, off, s[0:3], 0 offset:188
	global_load_dwordx4 v[75:78], v[13:14], off
	v_add_co_u32 v19, vcc_lo, s4, v19
	v_add_co_ci_u32_e64 v20, null, s5, v20, vcc_lo
	s_waitcnt vmcnt(4)
	buffer_store_dword v85, off, s[0:3], 0 offset:204
	buffer_store_dword v84, off, s[0:3], 0 offset:200
	;; [unrolled: 1-line block ×4, first 2 shown]
	global_load_dwordx4 v[82:85], v[17:18], off
	v_add_co_u32 v21, vcc_lo, s4, v21
	v_add_co_ci_u32_e64 v22, null, s5, v22, vcc_lo
	s_waitcnt vmcnt(4)
	buffer_store_dword v89, off, s[0:3], 0 offset:220
	buffer_store_dword v88, off, s[0:3], 0 offset:216
	;; [unrolled: 1-line block ×4, first 2 shown]
	global_load_dwordx4 v[86:89], v[19:20], off
	s_waitcnt vmcnt(4)
	buffer_store_dword v93, off, s[0:3], 0 offset:236
	buffer_store_dword v92, off, s[0:3], 0 offset:232
	buffer_store_dword v91, off, s[0:3], 0 offset:228
	buffer_store_dword v90, off, s[0:3], 0 offset:224
	global_load_dwordx4 v[90:93], v[21:22], off
	v_add_nc_u32_e32 v25, s13, v23
	s_waitcnt vmcnt(4)
	buffer_store_dword v4, off, s[0:3], 0 offset:252
	buffer_store_dword v3, off, s[0:3], 0 offset:248
	;; [unrolled: 1-line block ×4, first 2 shown]
	v_add_nc_u32_e32 v23, s13, v25
	v_ashrrev_i32_e32 v26, 31, v25
	v_add_nc_u32_e32 v49, s13, v23
	v_ashrrev_i32_e32 v24, 31, v23
	v_lshlrev_b64 v[25:26], 4, v[25:26]
	v_add_nc_u32_e32 v53, s13, v49
	v_lshlrev_b64 v[51:52], 4, v[23:24]
	v_ashrrev_i32_e32 v50, 31, v49
	v_add_co_u32 v23, vcc_lo, s4, v25
	v_ashrrev_i32_e32 v54, 31, v53
	v_add_co_ci_u32_e64 v24, null, s5, v26, vcc_lo
	v_add_co_u32 v25, vcc_lo, s4, v51
	v_add_co_ci_u32_e64 v26, null, s5, v52, vcc_lo
	v_lshlrev_b64 v[51:52], 4, v[53:54]
	v_add_nc_u32_e32 v53, s13, v53
	v_lshlrev_b64 v[49:50], 4, v[49:50]
	global_load_dwordx4 v[1:4], v[23:24], off
	s_waitcnt vmcnt(4)
	buffer_store_dword v78, off, s[0:3], 0 offset:268
	buffer_store_dword v77, off, s[0:3], 0 offset:264
	;; [unrolled: 1-line block ×4, first 2 shown]
	global_load_dwordx4 v[75:78], v[25:26], off
	v_ashrrev_i32_e32 v54, 31, v53
	v_add_nc_u32_e32 v55, s13, v53
	v_add_co_u32 v49, vcc_lo, s4, v49
	v_add_co_ci_u32_e64 v50, null, s5, v50, vcc_lo
	v_lshlrev_b64 v[53:54], 4, v[53:54]
	v_add_co_u32 v51, vcc_lo, s4, v51
	v_add_co_ci_u32_e64 v52, null, s5, v52, vcc_lo
	s_waitcnt vmcnt(4)
	buffer_store_dword v85, off, s[0:3], 0 offset:284
	buffer_store_dword v84, off, s[0:3], 0 offset:280
	;; [unrolled: 1-line block ×4, first 2 shown]
	global_load_dwordx4 v[82:85], v[49:50], off
	v_add_co_u32 v53, vcc_lo, s4, v53
	v_add_co_ci_u32_e64 v54, null, s5, v54, vcc_lo
	s_waitcnt vmcnt(4)
	buffer_store_dword v89, off, s[0:3], 0 offset:300
	buffer_store_dword v88, off, s[0:3], 0 offset:296
	;; [unrolled: 1-line block ×4, first 2 shown]
	global_load_dwordx4 v[86:89], v[51:52], off
	s_waitcnt vmcnt(4)
	buffer_store_dword v93, off, s[0:3], 0 offset:316
	buffer_store_dword v92, off, s[0:3], 0 offset:312
	;; [unrolled: 1-line block ×4, first 2 shown]
	global_load_dwordx4 v[90:93], v[53:54], off
	v_add_nc_u32_e32 v57, s13, v55
	v_ashrrev_i32_e32 v56, 31, v55
	s_waitcnt vmcnt(4)
	buffer_store_dword v4, off, s[0:3], 0 offset:332
	buffer_store_dword v3, off, s[0:3], 0 offset:328
	;; [unrolled: 1-line block ×4, first 2 shown]
	v_add_nc_u32_e32 v59, s13, v57
	v_ashrrev_i32_e32 v58, 31, v57
	v_lshlrev_b64 v[55:56], 4, v[55:56]
	v_add_nc_u32_e32 v61, s13, v59
	v_ashrrev_i32_e32 v60, 31, v59
	v_lshlrev_b64 v[57:58], 4, v[57:58]
	v_add_co_u32 v55, vcc_lo, s4, v55
	v_add_nc_u32_e32 v63, s13, v61
	v_ashrrev_i32_e32 v62, 31, v61
	v_add_co_ci_u32_e64 v56, null, s5, v56, vcc_lo
	v_lshlrev_b64 v[59:60], 4, v[59:60]
	v_add_co_u32 v57, vcc_lo, s4, v57
	v_ashrrev_i32_e32 v64, 31, v63
	v_add_co_ci_u32_e64 v58, null, s5, v58, vcc_lo
	v_lshlrev_b64 v[61:62], 4, v[61:62]
	global_load_dwordx4 v[1:4], v[55:56], off
	v_add_co_u32 v59, vcc_lo, s4, v59
	v_add_nc_u32_e32 v65, s13, v63
	v_add_co_ci_u32_e64 v60, null, s5, v60, vcc_lo
	v_lshlrev_b64 v[63:64], 4, v[63:64]
	s_waitcnt vmcnt(4)
	buffer_store_dword v78, off, s[0:3], 0 offset:348
	buffer_store_dword v77, off, s[0:3], 0 offset:344
	;; [unrolled: 1-line block ×4, first 2 shown]
	global_load_dwordx4 v[75:78], v[57:58], off
	v_add_co_u32 v61, vcc_lo, s4, v61
	v_add_co_ci_u32_e64 v62, null, s5, v62, vcc_lo
	s_waitcnt vmcnt(4)
	buffer_store_dword v85, off, s[0:3], 0 offset:364
	buffer_store_dword v84, off, s[0:3], 0 offset:360
	;; [unrolled: 1-line block ×4, first 2 shown]
	global_load_dwordx4 v[82:85], v[59:60], off
	v_add_co_u32 v63, vcc_lo, s4, v63
	v_add_co_ci_u32_e64 v64, null, s5, v64, vcc_lo
	s_waitcnt vmcnt(4)
	buffer_store_dword v89, off, s[0:3], 0 offset:380
	buffer_store_dword v88, off, s[0:3], 0 offset:376
	;; [unrolled: 1-line block ×4, first 2 shown]
	global_load_dwordx4 v[86:89], v[61:62], off
	s_waitcnt vmcnt(4)
	buffer_store_dword v93, off, s[0:3], 0 offset:396
	buffer_store_dword v92, off, s[0:3], 0 offset:392
	;; [unrolled: 1-line block ×4, first 2 shown]
	global_load_dwordx4 v[90:93], v[63:64], off
	v_add_nc_u32_e32 v67, s13, v65
	v_ashrrev_i32_e32 v66, 31, v65
	s_waitcnt vmcnt(4)
	buffer_store_dword v4, off, s[0:3], 0 offset:412
	buffer_store_dword v3, off, s[0:3], 0 offset:408
	;; [unrolled: 1-line block ×4, first 2 shown]
	v_add_nc_u32_e32 v69, s13, v67
	v_ashrrev_i32_e32 v68, 31, v67
	v_lshlrev_b64 v[65:66], 4, v[65:66]
	v_add_nc_u32_e32 v71, s13, v69
	v_ashrrev_i32_e32 v70, 31, v69
	v_lshlrev_b64 v[67:68], 4, v[67:68]
	v_add_co_u32 v65, vcc_lo, s4, v65
	v_add_nc_u32_e32 v73, s13, v71
	v_ashrrev_i32_e32 v72, 31, v71
	v_add_co_ci_u32_e64 v66, null, s5, v66, vcc_lo
	v_lshlrev_b64 v[69:70], 4, v[69:70]
	v_add_co_u32 v67, vcc_lo, s4, v67
	v_ashrrev_i32_e32 v74, 31, v73
	v_add_co_ci_u32_e64 v68, null, s5, v68, vcc_lo
	v_lshlrev_b64 v[71:72], 4, v[71:72]
	global_load_dwordx4 v[1:4], v[65:66], off
	v_add_co_u32 v69, vcc_lo, s4, v69
	v_add_co_ci_u32_e64 v70, null, s5, v70, vcc_lo
	v_lshlrev_b64 v[79:80], 4, v[73:74]
	s_waitcnt vmcnt(4)
	buffer_store_dword v78, off, s[0:3], 0 offset:428
	buffer_store_dword v77, off, s[0:3], 0 offset:424
	;; [unrolled: 1-line block ×4, first 2 shown]
	global_load_dwordx4 v[75:78], v[67:68], off
	v_add_co_u32 v73, vcc_lo, s4, v71
	v_add_co_ci_u32_e64 v74, null, s5, v72, vcc_lo
	s_waitcnt vmcnt(4)
	buffer_store_dword v85, off, s[0:3], 0 offset:444
	buffer_store_dword v84, off, s[0:3], 0 offset:440
	;; [unrolled: 1-line block ×4, first 2 shown]
	global_load_dwordx4 v[82:85], v[69:70], off
	v_add_co_u32 v71, vcc_lo, s4, v79
	v_add_co_ci_u32_e64 v72, null, s5, v80, vcc_lo
	s_waitcnt vmcnt(4)
	buffer_store_dword v89, off, s[0:3], 0 offset:460
	buffer_store_dword v88, off, s[0:3], 0 offset:456
	;; [unrolled: 1-line block ×4, first 2 shown]
	global_load_dwordx4 v[86:89], v[73:74], off
	s_waitcnt vmcnt(4)
	buffer_store_dword v93, off, s[0:3], 0 offset:476
	buffer_store_dword v92, off, s[0:3], 0 offset:472
	;; [unrolled: 1-line block ×4, first 2 shown]
	global_load_dwordx4 v[90:93], v[71:72], off
	s_movk_i32 s4, 0x50
	s_movk_i32 s5, 0x60
	;; [unrolled: 1-line block ×3, first 2 shown]
	s_waitcnt vmcnt(4)
	buffer_store_dword v4, off, s[0:3], 0 offset:492
	buffer_store_dword v3, off, s[0:3], 0 offset:488
	buffer_store_dword v2, off, s[0:3], 0 offset:484
	buffer_store_dword v1, off, s[0:3], 0 offset:480
	s_waitcnt vmcnt(3)
	buffer_store_dword v78, off, s[0:3], 0 offset:508
	buffer_store_dword v77, off, s[0:3], 0 offset:504
	buffer_store_dword v76, off, s[0:3], 0 offset:500
	buffer_store_dword v75, off, s[0:3], 0 offset:496
	;; [unrolled: 5-line block ×5, first 2 shown]
	s_cbranch_scc1 .LBB34_7
; %bb.2:
	v_lshl_add_u32 v82, v0, 4, 0
                                        ; implicit-def: $vgpr77_vgpr78
                                        ; implicit-def: $vgpr3_vgpr4
	s_clause 0x3
	buffer_load_dword v75, v82, s[0:3], 0 offen
	buffer_load_dword v76, v82, s[0:3], 0 offen offset:4
	buffer_load_dword v79, v82, s[0:3], 0 offen offset:8
	;; [unrolled: 1-line block ×3, first 2 shown]
	s_waitcnt vmcnt(0)
	v_cmp_ngt_f64_e64 s9, |v[75:76]|, |v[79:80]|
	s_and_saveexec_b32 s22, s9
	s_xor_b32 s9, exec_lo, s22
	s_cbranch_execz .LBB34_4
; %bb.3:
	v_div_scale_f64 v[1:2], null, v[79:80], v[79:80], v[75:76]
	v_div_scale_f64 v[83:84], vcc_lo, v[75:76], v[79:80], v[75:76]
	v_rcp_f64_e32 v[3:4], v[1:2]
	v_fma_f64 v[77:78], -v[1:2], v[3:4], 1.0
	v_fma_f64 v[3:4], v[3:4], v[77:78], v[3:4]
	v_fma_f64 v[77:78], -v[1:2], v[3:4], 1.0
	v_fma_f64 v[3:4], v[3:4], v[77:78], v[3:4]
	v_mul_f64 v[77:78], v[83:84], v[3:4]
	v_fma_f64 v[1:2], -v[1:2], v[77:78], v[83:84]
	v_div_fmas_f64 v[1:2], v[1:2], v[3:4], v[77:78]
	v_div_fixup_f64 v[1:2], v[1:2], v[79:80], v[75:76]
	v_fma_f64 v[3:4], v[75:76], v[1:2], v[79:80]
	v_div_scale_f64 v[75:76], null, v[3:4], v[3:4], 1.0
	v_div_scale_f64 v[83:84], vcc_lo, 1.0, v[3:4], 1.0
	v_rcp_f64_e32 v[77:78], v[75:76]
	v_fma_f64 v[79:80], -v[75:76], v[77:78], 1.0
	v_fma_f64 v[77:78], v[77:78], v[79:80], v[77:78]
	v_fma_f64 v[79:80], -v[75:76], v[77:78], 1.0
	v_fma_f64 v[77:78], v[77:78], v[79:80], v[77:78]
	v_mul_f64 v[79:80], v[83:84], v[77:78]
	v_fma_f64 v[75:76], -v[75:76], v[79:80], v[83:84]
	v_div_fmas_f64 v[75:76], v[75:76], v[77:78], v[79:80]
                                        ; implicit-def: $vgpr79_vgpr80
	v_div_fixup_f64 v[3:4], v[75:76], v[3:4], 1.0
                                        ; implicit-def: $vgpr75_vgpr76
	v_mul_f64 v[77:78], v[1:2], v[3:4]
	v_xor_b32_e32 v4, 0x80000000, v4
	v_xor_b32_e32 v2, 0x80000000, v78
	v_mov_b32_e32 v1, v77
.LBB34_4:
	s_andn2_saveexec_b32 s9, s9
	s_cbranch_execz .LBB34_6
; %bb.5:
	v_div_scale_f64 v[1:2], null, v[75:76], v[75:76], v[79:80]
	v_div_scale_f64 v[83:84], vcc_lo, v[79:80], v[75:76], v[79:80]
	v_rcp_f64_e32 v[3:4], v[1:2]
	v_fma_f64 v[77:78], -v[1:2], v[3:4], 1.0
	v_fma_f64 v[3:4], v[3:4], v[77:78], v[3:4]
	v_fma_f64 v[77:78], -v[1:2], v[3:4], 1.0
	v_fma_f64 v[3:4], v[3:4], v[77:78], v[3:4]
	v_mul_f64 v[77:78], v[83:84], v[3:4]
	v_fma_f64 v[1:2], -v[1:2], v[77:78], v[83:84]
	v_div_fmas_f64 v[1:2], v[1:2], v[3:4], v[77:78]
	v_div_fixup_f64 v[1:2], v[1:2], v[75:76], v[79:80]
	v_fma_f64 v[3:4], v[79:80], v[1:2], v[75:76]
	v_div_scale_f64 v[75:76], null, v[3:4], v[3:4], 1.0
	v_rcp_f64_e32 v[77:78], v[75:76]
	v_fma_f64 v[79:80], -v[75:76], v[77:78], 1.0
	v_fma_f64 v[77:78], v[77:78], v[79:80], v[77:78]
	v_fma_f64 v[79:80], -v[75:76], v[77:78], 1.0
	v_fma_f64 v[77:78], v[77:78], v[79:80], v[77:78]
	v_div_scale_f64 v[79:80], vcc_lo, 1.0, v[3:4], 1.0
	v_mul_f64 v[83:84], v[79:80], v[77:78]
	v_fma_f64 v[75:76], -v[75:76], v[83:84], v[79:80]
	v_div_fmas_f64 v[75:76], v[75:76], v[77:78], v[83:84]
	v_div_fixup_f64 v[77:78], v[75:76], v[3:4], 1.0
	v_mul_f64 v[3:4], v[1:2], -v[77:78]
	v_xor_b32_e32 v2, 0x80000000, v78
	v_mov_b32_e32 v1, v77
.LBB34_6:
	s_or_b32 exec_lo, exec_lo, s9
	buffer_store_dword v4, v82, s[0:3], 0 offen offset:12
	v_xor_b32_e32 v4, 0x80000000, v4
	buffer_store_dword v78, v82, s[0:3], 0 offen offset:4
	buffer_store_dword v77, v82, s[0:3], 0 offen
	buffer_store_dword v3, v82, s[0:3], 0 offen offset:8
	s_branch .LBB34_8
.LBB34_7:
	v_mov_b32_e32 v1, 0
	v_mov_b32_e32 v3, 0
	;; [unrolled: 1-line block ×4, first 2 shown]
.LBB34_8:
	v_add_nc_u32_e32 v76, 0x230, v81
	v_mov_b32_e32 v75, v81
	s_mov_b32 s41, 16
	s_mov_b32 s40, 32
	;; [unrolled: 1-line block ×33, first 2 shown]
	s_cmpk_eq_i32 s8, 0x79
	ds_write_b128 v81, v[1:4]
	s_cbranch_scc1 .LBB34_276
; %bb.9:
	v_mov_b32_e32 v4, s7
	v_cmp_eq_u32_e64 s4, 34, v0
	s_clause 0x3
	buffer_load_dword v1, v4, s[0:3], 0 offen
	buffer_load_dword v2, v4, s[0:3], 0 offen offset:4
	buffer_load_dword v3, v4, s[0:3], 0 offen offset:8
	;; [unrolled: 1-line block ×3, first 2 shown]
	s_waitcnt vmcnt(0)
	ds_write_b128 v76, v[1:4]
	s_waitcnt lgkmcnt(0)
	s_waitcnt_vscnt null, 0x0
	s_barrier
	buffer_gl0_inv
	s_and_saveexec_b32 s5, s4
	s_cbranch_execz .LBB34_13
; %bb.10:
	ds_read_b128 v[1:4], v76
	s_andn2_b32 vcc_lo, exec_lo, s42
	s_cbranch_vccnz .LBB34_12
; %bb.11:
	s_clause 0x3
	buffer_load_dword v77, v75, s[0:3], 0 offen offset:8
	buffer_load_dword v78, v75, s[0:3], 0 offen offset:12
	buffer_load_dword v79, v75, s[0:3], 0 offen
	buffer_load_dword v80, v75, s[0:3], 0 offen offset:4
	s_waitcnt vmcnt(2) lgkmcnt(0)
	v_mul_f64 v[82:83], v[3:4], v[77:78]
	v_mul_f64 v[77:78], v[1:2], v[77:78]
	s_waitcnt vmcnt(0)
	v_fma_f64 v[1:2], v[1:2], v[79:80], -v[82:83]
	v_fma_f64 v[3:4], v[3:4], v[79:80], v[77:78]
.LBB34_12:
	v_mov_b32_e32 v77, 0
	ds_read_b128 v[77:80], v77 offset:528
	s_waitcnt lgkmcnt(0)
	v_mul_f64 v[82:83], v[3:4], v[79:80]
	v_mul_f64 v[79:80], v[1:2], v[79:80]
	v_fma_f64 v[1:2], v[1:2], v[77:78], -v[82:83]
	v_fma_f64 v[3:4], v[3:4], v[77:78], v[79:80]
	buffer_store_dword v2, off, s[0:3], 0 offset:532
	buffer_store_dword v1, off, s[0:3], 0 offset:528
	;; [unrolled: 1-line block ×4, first 2 shown]
.LBB34_13:
	s_or_b32 exec_lo, exec_lo, s5
	v_mov_b32_e32 v4, s9
	v_cmp_lt_u32_e64 s5, 32, v0
	s_clause 0x3
	buffer_load_dword v1, v4, s[0:3], 0 offen
	buffer_load_dword v2, v4, s[0:3], 0 offen offset:4
	buffer_load_dword v3, v4, s[0:3], 0 offen offset:8
	;; [unrolled: 1-line block ×3, first 2 shown]
	s_waitcnt vmcnt(0)
	ds_write_b128 v76, v[1:4]
	s_waitcnt lgkmcnt(0)
	s_waitcnt_vscnt null, 0x0
	s_barrier
	buffer_gl0_inv
	s_and_saveexec_b32 s8, s5
	s_cbranch_execz .LBB34_19
; %bb.14:
	ds_read_b128 v[1:4], v76
	s_andn2_b32 vcc_lo, exec_lo, s42
	s_cbranch_vccnz .LBB34_16
; %bb.15:
	s_clause 0x3
	buffer_load_dword v77, v75, s[0:3], 0 offen offset:8
	buffer_load_dword v78, v75, s[0:3], 0 offen offset:12
	buffer_load_dword v79, v75, s[0:3], 0 offen
	buffer_load_dword v80, v75, s[0:3], 0 offen offset:4
	s_waitcnt vmcnt(2) lgkmcnt(0)
	v_mul_f64 v[82:83], v[3:4], v[77:78]
	v_mul_f64 v[77:78], v[1:2], v[77:78]
	s_waitcnt vmcnt(0)
	v_fma_f64 v[1:2], v[1:2], v[79:80], -v[82:83]
	v_fma_f64 v[3:4], v[3:4], v[79:80], v[77:78]
.LBB34_16:
	s_and_saveexec_b32 s43, s4
	s_cbranch_execz .LBB34_18
; %bb.17:
	s_clause 0x3
	buffer_load_dword v82, off, s[0:3], 0 offset:536
	buffer_load_dword v83, off, s[0:3], 0 offset:540
	;; [unrolled: 1-line block ×4, first 2 shown]
	v_mov_b32_e32 v77, 0
	ds_read_b128 v[77:80], v77 offset:1088
	s_waitcnt vmcnt(2) lgkmcnt(0)
	v_mul_f64 v[86:87], v[77:78], v[82:83]
	v_mul_f64 v[82:83], v[79:80], v[82:83]
	s_waitcnt vmcnt(0)
	v_fma_f64 v[79:80], v[79:80], v[84:85], v[86:87]
	v_fma_f64 v[77:78], v[77:78], v[84:85], -v[82:83]
	v_add_f64 v[3:4], v[3:4], v[79:80]
	v_add_f64 v[1:2], v[1:2], v[77:78]
.LBB34_18:
	s_or_b32 exec_lo, exec_lo, s43
	v_mov_b32_e32 v77, 0
	ds_read_b128 v[77:80], v77 offset:512
	s_waitcnt lgkmcnt(0)
	v_mul_f64 v[82:83], v[3:4], v[79:80]
	v_mul_f64 v[79:80], v[1:2], v[79:80]
	v_fma_f64 v[1:2], v[1:2], v[77:78], -v[82:83]
	v_fma_f64 v[3:4], v[3:4], v[77:78], v[79:80]
	buffer_store_dword v2, off, s[0:3], 0 offset:516
	buffer_store_dword v1, off, s[0:3], 0 offset:512
	;; [unrolled: 1-line block ×4, first 2 shown]
.LBB34_19:
	s_or_b32 exec_lo, exec_lo, s8
	v_mov_b32_e32 v4, s10
	v_cmp_lt_u32_e64 s4, 31, v0
	s_clause 0x3
	buffer_load_dword v1, v4, s[0:3], 0 offen
	buffer_load_dword v2, v4, s[0:3], 0 offen offset:4
	buffer_load_dword v3, v4, s[0:3], 0 offen offset:8
	;; [unrolled: 1-line block ×3, first 2 shown]
	s_waitcnt vmcnt(0)
	ds_write_b128 v76, v[1:4]
	s_waitcnt lgkmcnt(0)
	s_waitcnt_vscnt null, 0x0
	s_barrier
	buffer_gl0_inv
	s_and_saveexec_b32 s8, s4
	s_cbranch_execz .LBB34_27
; %bb.20:
	ds_read_b128 v[1:4], v76
	s_andn2_b32 vcc_lo, exec_lo, s42
	s_cbranch_vccnz .LBB34_22
; %bb.21:
	s_clause 0x3
	buffer_load_dword v77, v75, s[0:3], 0 offen offset:8
	buffer_load_dword v78, v75, s[0:3], 0 offen offset:12
	buffer_load_dword v79, v75, s[0:3], 0 offen
	buffer_load_dword v80, v75, s[0:3], 0 offen offset:4
	s_waitcnt vmcnt(2) lgkmcnt(0)
	v_mul_f64 v[82:83], v[3:4], v[77:78]
	v_mul_f64 v[77:78], v[1:2], v[77:78]
	s_waitcnt vmcnt(0)
	v_fma_f64 v[1:2], v[1:2], v[79:80], -v[82:83]
	v_fma_f64 v[3:4], v[3:4], v[79:80], v[77:78]
.LBB34_22:
	s_and_saveexec_b32 s43, s5
	s_cbranch_execz .LBB34_26
; %bb.23:
	v_subrev_nc_u32_e32 v77, 32, v0
	s_movk_i32 s44, 0x430
	s_mov_b32 s5, 0
	s_mov_b32 s45, s9
	.p2align	6
.LBB34_24:                              ; =>This Inner Loop Header: Depth=1
	v_mov_b32_e32 v80, s45
	v_add_nc_u32_e32 v77, -1, v77
	s_add_i32 s45, s45, 16
	s_clause 0x3
	buffer_load_dword v78, v80, s[0:3], 0 offen offset:8
	buffer_load_dword v79, v80, s[0:3], 0 offen offset:12
	buffer_load_dword v86, v80, s[0:3], 0 offen
	buffer_load_dword v87, v80, s[0:3], 0 offen offset:4
	v_mov_b32_e32 v80, s44
	v_cmp_eq_u32_e32 vcc_lo, 0, v77
	s_add_i32 s44, s44, 16
	ds_read_b128 v[82:85], v80
	s_or_b32 s5, vcc_lo, s5
	s_waitcnt vmcnt(2) lgkmcnt(0)
	v_mul_f64 v[88:89], v[84:85], v[78:79]
	v_mul_f64 v[78:79], v[82:83], v[78:79]
	s_waitcnt vmcnt(0)
	v_fma_f64 v[82:83], v[82:83], v[86:87], -v[88:89]
	v_fma_f64 v[78:79], v[84:85], v[86:87], v[78:79]
	v_add_f64 v[1:2], v[1:2], v[82:83]
	v_add_f64 v[3:4], v[3:4], v[78:79]
	s_andn2_b32 exec_lo, exec_lo, s5
	s_cbranch_execnz .LBB34_24
; %bb.25:
	s_or_b32 exec_lo, exec_lo, s5
.LBB34_26:
	s_or_b32 exec_lo, exec_lo, s43
	v_mov_b32_e32 v77, 0
	ds_read_b128 v[77:80], v77 offset:496
	s_waitcnt lgkmcnt(0)
	v_mul_f64 v[82:83], v[3:4], v[79:80]
	v_mul_f64 v[79:80], v[1:2], v[79:80]
	v_fma_f64 v[1:2], v[1:2], v[77:78], -v[82:83]
	v_fma_f64 v[3:4], v[3:4], v[77:78], v[79:80]
	buffer_store_dword v2, off, s[0:3], 0 offset:500
	buffer_store_dword v1, off, s[0:3], 0 offset:496
	;; [unrolled: 1-line block ×4, first 2 shown]
.LBB34_27:
	s_or_b32 exec_lo, exec_lo, s8
	v_mov_b32_e32 v4, s11
	v_cmp_lt_u32_e64 s5, 30, v0
	s_clause 0x3
	buffer_load_dword v1, v4, s[0:3], 0 offen
	buffer_load_dword v2, v4, s[0:3], 0 offen offset:4
	buffer_load_dword v3, v4, s[0:3], 0 offen offset:8
	;; [unrolled: 1-line block ×3, first 2 shown]
	s_waitcnt vmcnt(0)
	ds_write_b128 v76, v[1:4]
	s_waitcnt lgkmcnt(0)
	s_waitcnt_vscnt null, 0x0
	s_barrier
	buffer_gl0_inv
	s_and_saveexec_b32 s8, s5
	s_cbranch_execz .LBB34_35
; %bb.28:
	ds_read_b128 v[1:4], v76
	s_andn2_b32 vcc_lo, exec_lo, s42
	s_cbranch_vccnz .LBB34_30
; %bb.29:
	s_clause 0x3
	buffer_load_dword v77, v75, s[0:3], 0 offen offset:8
	buffer_load_dword v78, v75, s[0:3], 0 offen offset:12
	buffer_load_dword v79, v75, s[0:3], 0 offen
	buffer_load_dword v80, v75, s[0:3], 0 offen offset:4
	s_waitcnt vmcnt(2) lgkmcnt(0)
	v_mul_f64 v[82:83], v[3:4], v[77:78]
	v_mul_f64 v[77:78], v[1:2], v[77:78]
	s_waitcnt vmcnt(0)
	v_fma_f64 v[1:2], v[1:2], v[79:80], -v[82:83]
	v_fma_f64 v[3:4], v[3:4], v[79:80], v[77:78]
.LBB34_30:
	s_and_saveexec_b32 s43, s4
	s_cbranch_execz .LBB34_34
; %bb.31:
	v_subrev_nc_u32_e32 v77, 31, v0
	s_movk_i32 s44, 0x420
	s_mov_b32 s4, 0
	s_mov_b32 s45, s10
	.p2align	6
.LBB34_32:                              ; =>This Inner Loop Header: Depth=1
	v_mov_b32_e32 v80, s45
	v_add_nc_u32_e32 v77, -1, v77
	s_add_i32 s45, s45, 16
	s_clause 0x3
	buffer_load_dword v78, v80, s[0:3], 0 offen offset:8
	buffer_load_dword v79, v80, s[0:3], 0 offen offset:12
	buffer_load_dword v86, v80, s[0:3], 0 offen
	buffer_load_dword v87, v80, s[0:3], 0 offen offset:4
	v_mov_b32_e32 v80, s44
	v_cmp_eq_u32_e32 vcc_lo, 0, v77
	s_add_i32 s44, s44, 16
	ds_read_b128 v[82:85], v80
	s_or_b32 s4, vcc_lo, s4
	s_waitcnt vmcnt(2) lgkmcnt(0)
	v_mul_f64 v[88:89], v[84:85], v[78:79]
	v_mul_f64 v[78:79], v[82:83], v[78:79]
	s_waitcnt vmcnt(0)
	v_fma_f64 v[82:83], v[82:83], v[86:87], -v[88:89]
	v_fma_f64 v[78:79], v[84:85], v[86:87], v[78:79]
	v_add_f64 v[1:2], v[1:2], v[82:83]
	v_add_f64 v[3:4], v[3:4], v[78:79]
	s_andn2_b32 exec_lo, exec_lo, s4
	s_cbranch_execnz .LBB34_32
; %bb.33:
	s_or_b32 exec_lo, exec_lo, s4
.LBB34_34:
	s_or_b32 exec_lo, exec_lo, s43
	v_mov_b32_e32 v77, 0
	ds_read_b128 v[77:80], v77 offset:480
	s_waitcnt lgkmcnt(0)
	v_mul_f64 v[82:83], v[3:4], v[79:80]
	v_mul_f64 v[79:80], v[1:2], v[79:80]
	v_fma_f64 v[1:2], v[1:2], v[77:78], -v[82:83]
	v_fma_f64 v[3:4], v[3:4], v[77:78], v[79:80]
	buffer_store_dword v2, off, s[0:3], 0 offset:484
	buffer_store_dword v1, off, s[0:3], 0 offset:480
	;; [unrolled: 1-line block ×4, first 2 shown]
.LBB34_35:
	s_or_b32 exec_lo, exec_lo, s8
	v_mov_b32_e32 v4, s12
	v_cmp_lt_u32_e64 s4, 29, v0
	s_clause 0x3
	buffer_load_dword v1, v4, s[0:3], 0 offen
	buffer_load_dword v2, v4, s[0:3], 0 offen offset:4
	buffer_load_dword v3, v4, s[0:3], 0 offen offset:8
	;; [unrolled: 1-line block ×3, first 2 shown]
	s_waitcnt vmcnt(0)
	ds_write_b128 v76, v[1:4]
	s_waitcnt lgkmcnt(0)
	s_waitcnt_vscnt null, 0x0
	s_barrier
	buffer_gl0_inv
	s_and_saveexec_b32 s8, s4
	s_cbranch_execz .LBB34_43
; %bb.36:
	ds_read_b128 v[1:4], v76
	s_andn2_b32 vcc_lo, exec_lo, s42
	s_cbranch_vccnz .LBB34_38
; %bb.37:
	s_clause 0x3
	buffer_load_dword v77, v75, s[0:3], 0 offen offset:8
	buffer_load_dword v78, v75, s[0:3], 0 offen offset:12
	buffer_load_dword v79, v75, s[0:3], 0 offen
	buffer_load_dword v80, v75, s[0:3], 0 offen offset:4
	s_waitcnt vmcnt(2) lgkmcnt(0)
	v_mul_f64 v[82:83], v[3:4], v[77:78]
	v_mul_f64 v[77:78], v[1:2], v[77:78]
	s_waitcnt vmcnt(0)
	v_fma_f64 v[1:2], v[1:2], v[79:80], -v[82:83]
	v_fma_f64 v[3:4], v[3:4], v[79:80], v[77:78]
.LBB34_38:
	s_and_saveexec_b32 s43, s5
	s_cbranch_execz .LBB34_42
; %bb.39:
	v_subrev_nc_u32_e32 v77, 30, v0
	s_movk_i32 s44, 0x410
	s_mov_b32 s5, 0
	s_mov_b32 s45, s11
	.p2align	6
.LBB34_40:                              ; =>This Inner Loop Header: Depth=1
	v_mov_b32_e32 v80, s45
	v_add_nc_u32_e32 v77, -1, v77
	s_add_i32 s45, s45, 16
	s_clause 0x3
	buffer_load_dword v78, v80, s[0:3], 0 offen offset:8
	buffer_load_dword v79, v80, s[0:3], 0 offen offset:12
	buffer_load_dword v86, v80, s[0:3], 0 offen
	buffer_load_dword v87, v80, s[0:3], 0 offen offset:4
	v_mov_b32_e32 v80, s44
	v_cmp_eq_u32_e32 vcc_lo, 0, v77
	s_add_i32 s44, s44, 16
	ds_read_b128 v[82:85], v80
	s_or_b32 s5, vcc_lo, s5
	s_waitcnt vmcnt(2) lgkmcnt(0)
	v_mul_f64 v[88:89], v[84:85], v[78:79]
	v_mul_f64 v[78:79], v[82:83], v[78:79]
	s_waitcnt vmcnt(0)
	v_fma_f64 v[82:83], v[82:83], v[86:87], -v[88:89]
	v_fma_f64 v[78:79], v[84:85], v[86:87], v[78:79]
	v_add_f64 v[1:2], v[1:2], v[82:83]
	v_add_f64 v[3:4], v[3:4], v[78:79]
	s_andn2_b32 exec_lo, exec_lo, s5
	s_cbranch_execnz .LBB34_40
; %bb.41:
	s_or_b32 exec_lo, exec_lo, s5
.LBB34_42:
	s_or_b32 exec_lo, exec_lo, s43
	v_mov_b32_e32 v77, 0
	ds_read_b128 v[77:80], v77 offset:464
	s_waitcnt lgkmcnt(0)
	v_mul_f64 v[82:83], v[3:4], v[79:80]
	v_mul_f64 v[79:80], v[1:2], v[79:80]
	v_fma_f64 v[1:2], v[1:2], v[77:78], -v[82:83]
	v_fma_f64 v[3:4], v[3:4], v[77:78], v[79:80]
	buffer_store_dword v2, off, s[0:3], 0 offset:468
	buffer_store_dword v1, off, s[0:3], 0 offset:464
	;; [unrolled: 1-line block ×4, first 2 shown]
.LBB34_43:
	s_or_b32 exec_lo, exec_lo, s8
	v_mov_b32_e32 v4, s13
	v_cmp_lt_u32_e64 s5, 28, v0
	s_clause 0x3
	buffer_load_dword v1, v4, s[0:3], 0 offen
	buffer_load_dword v2, v4, s[0:3], 0 offen offset:4
	buffer_load_dword v3, v4, s[0:3], 0 offen offset:8
	;; [unrolled: 1-line block ×3, first 2 shown]
	s_waitcnt vmcnt(0)
	ds_write_b128 v76, v[1:4]
	s_waitcnt lgkmcnt(0)
	s_waitcnt_vscnt null, 0x0
	s_barrier
	buffer_gl0_inv
	s_and_saveexec_b32 s8, s5
	s_cbranch_execz .LBB34_51
; %bb.44:
	ds_read_b128 v[1:4], v76
	s_andn2_b32 vcc_lo, exec_lo, s42
	s_cbranch_vccnz .LBB34_46
; %bb.45:
	s_clause 0x3
	buffer_load_dword v77, v75, s[0:3], 0 offen offset:8
	buffer_load_dword v78, v75, s[0:3], 0 offen offset:12
	buffer_load_dword v79, v75, s[0:3], 0 offen
	buffer_load_dword v80, v75, s[0:3], 0 offen offset:4
	s_waitcnt vmcnt(2) lgkmcnt(0)
	v_mul_f64 v[82:83], v[3:4], v[77:78]
	v_mul_f64 v[77:78], v[1:2], v[77:78]
	s_waitcnt vmcnt(0)
	v_fma_f64 v[1:2], v[1:2], v[79:80], -v[82:83]
	v_fma_f64 v[3:4], v[3:4], v[79:80], v[77:78]
.LBB34_46:
	s_and_saveexec_b32 s43, s4
	s_cbranch_execz .LBB34_50
; %bb.47:
	v_subrev_nc_u32_e32 v77, 29, v0
	s_movk_i32 s44, 0x400
	s_mov_b32 s4, 0
	s_mov_b32 s45, s12
	.p2align	6
.LBB34_48:                              ; =>This Inner Loop Header: Depth=1
	v_mov_b32_e32 v80, s45
	v_add_nc_u32_e32 v77, -1, v77
	s_add_i32 s45, s45, 16
	s_clause 0x3
	buffer_load_dword v78, v80, s[0:3], 0 offen offset:8
	buffer_load_dword v79, v80, s[0:3], 0 offen offset:12
	buffer_load_dword v86, v80, s[0:3], 0 offen
	buffer_load_dword v87, v80, s[0:3], 0 offen offset:4
	v_mov_b32_e32 v80, s44
	v_cmp_eq_u32_e32 vcc_lo, 0, v77
	s_add_i32 s44, s44, 16
	ds_read_b128 v[82:85], v80
	s_or_b32 s4, vcc_lo, s4
	s_waitcnt vmcnt(2) lgkmcnt(0)
	v_mul_f64 v[88:89], v[84:85], v[78:79]
	v_mul_f64 v[78:79], v[82:83], v[78:79]
	s_waitcnt vmcnt(0)
	v_fma_f64 v[82:83], v[82:83], v[86:87], -v[88:89]
	v_fma_f64 v[78:79], v[84:85], v[86:87], v[78:79]
	v_add_f64 v[1:2], v[1:2], v[82:83]
	v_add_f64 v[3:4], v[3:4], v[78:79]
	s_andn2_b32 exec_lo, exec_lo, s4
	s_cbranch_execnz .LBB34_48
; %bb.49:
	s_or_b32 exec_lo, exec_lo, s4
.LBB34_50:
	s_or_b32 exec_lo, exec_lo, s43
	v_mov_b32_e32 v77, 0
	ds_read_b128 v[77:80], v77 offset:448
	s_waitcnt lgkmcnt(0)
	v_mul_f64 v[82:83], v[3:4], v[79:80]
	v_mul_f64 v[79:80], v[1:2], v[79:80]
	v_fma_f64 v[1:2], v[1:2], v[77:78], -v[82:83]
	v_fma_f64 v[3:4], v[3:4], v[77:78], v[79:80]
	buffer_store_dword v2, off, s[0:3], 0 offset:452
	buffer_store_dword v1, off, s[0:3], 0 offset:448
	;; [unrolled: 1-line block ×4, first 2 shown]
.LBB34_51:
	s_or_b32 exec_lo, exec_lo, s8
	v_mov_b32_e32 v4, s14
	v_cmp_lt_u32_e64 s4, 27, v0
	s_clause 0x3
	buffer_load_dword v1, v4, s[0:3], 0 offen
	buffer_load_dword v2, v4, s[0:3], 0 offen offset:4
	buffer_load_dword v3, v4, s[0:3], 0 offen offset:8
	;; [unrolled: 1-line block ×3, first 2 shown]
	s_waitcnt vmcnt(0)
	ds_write_b128 v76, v[1:4]
	s_waitcnt lgkmcnt(0)
	s_waitcnt_vscnt null, 0x0
	s_barrier
	buffer_gl0_inv
	s_and_saveexec_b32 s8, s4
	s_cbranch_execz .LBB34_59
; %bb.52:
	ds_read_b128 v[1:4], v76
	s_andn2_b32 vcc_lo, exec_lo, s42
	s_cbranch_vccnz .LBB34_54
; %bb.53:
	s_clause 0x3
	buffer_load_dword v77, v75, s[0:3], 0 offen offset:8
	buffer_load_dword v78, v75, s[0:3], 0 offen offset:12
	buffer_load_dword v79, v75, s[0:3], 0 offen
	buffer_load_dword v80, v75, s[0:3], 0 offen offset:4
	s_waitcnt vmcnt(2) lgkmcnt(0)
	v_mul_f64 v[82:83], v[3:4], v[77:78]
	v_mul_f64 v[77:78], v[1:2], v[77:78]
	s_waitcnt vmcnt(0)
	v_fma_f64 v[1:2], v[1:2], v[79:80], -v[82:83]
	v_fma_f64 v[3:4], v[3:4], v[79:80], v[77:78]
.LBB34_54:
	s_and_saveexec_b32 s43, s5
	s_cbranch_execz .LBB34_58
; %bb.55:
	v_subrev_nc_u32_e32 v77, 28, v0
	s_movk_i32 s44, 0x3f0
	s_mov_b32 s5, 0
	s_mov_b32 s45, s13
	.p2align	6
.LBB34_56:                              ; =>This Inner Loop Header: Depth=1
	v_mov_b32_e32 v80, s45
	v_add_nc_u32_e32 v77, -1, v77
	s_add_i32 s45, s45, 16
	s_clause 0x3
	buffer_load_dword v78, v80, s[0:3], 0 offen offset:8
	buffer_load_dword v79, v80, s[0:3], 0 offen offset:12
	buffer_load_dword v86, v80, s[0:3], 0 offen
	buffer_load_dword v87, v80, s[0:3], 0 offen offset:4
	v_mov_b32_e32 v80, s44
	v_cmp_eq_u32_e32 vcc_lo, 0, v77
	s_add_i32 s44, s44, 16
	ds_read_b128 v[82:85], v80
	s_or_b32 s5, vcc_lo, s5
	s_waitcnt vmcnt(2) lgkmcnt(0)
	v_mul_f64 v[88:89], v[84:85], v[78:79]
	v_mul_f64 v[78:79], v[82:83], v[78:79]
	s_waitcnt vmcnt(0)
	v_fma_f64 v[82:83], v[82:83], v[86:87], -v[88:89]
	v_fma_f64 v[78:79], v[84:85], v[86:87], v[78:79]
	v_add_f64 v[1:2], v[1:2], v[82:83]
	v_add_f64 v[3:4], v[3:4], v[78:79]
	s_andn2_b32 exec_lo, exec_lo, s5
	s_cbranch_execnz .LBB34_56
; %bb.57:
	s_or_b32 exec_lo, exec_lo, s5
.LBB34_58:
	s_or_b32 exec_lo, exec_lo, s43
	v_mov_b32_e32 v77, 0
	ds_read_b128 v[77:80], v77 offset:432
	s_waitcnt lgkmcnt(0)
	v_mul_f64 v[82:83], v[3:4], v[79:80]
	v_mul_f64 v[79:80], v[1:2], v[79:80]
	v_fma_f64 v[1:2], v[1:2], v[77:78], -v[82:83]
	v_fma_f64 v[3:4], v[3:4], v[77:78], v[79:80]
	buffer_store_dword v2, off, s[0:3], 0 offset:436
	buffer_store_dword v1, off, s[0:3], 0 offset:432
	;; [unrolled: 1-line block ×4, first 2 shown]
.LBB34_59:
	s_or_b32 exec_lo, exec_lo, s8
	v_mov_b32_e32 v4, s15
	v_cmp_lt_u32_e64 s5, 26, v0
	s_clause 0x3
	buffer_load_dword v1, v4, s[0:3], 0 offen
	buffer_load_dword v2, v4, s[0:3], 0 offen offset:4
	buffer_load_dword v3, v4, s[0:3], 0 offen offset:8
	buffer_load_dword v4, v4, s[0:3], 0 offen offset:12
	s_waitcnt vmcnt(0)
	ds_write_b128 v76, v[1:4]
	s_waitcnt lgkmcnt(0)
	s_waitcnt_vscnt null, 0x0
	s_barrier
	buffer_gl0_inv
	s_and_saveexec_b32 s8, s5
	s_cbranch_execz .LBB34_67
; %bb.60:
	ds_read_b128 v[1:4], v76
	s_andn2_b32 vcc_lo, exec_lo, s42
	s_cbranch_vccnz .LBB34_62
; %bb.61:
	s_clause 0x3
	buffer_load_dword v77, v75, s[0:3], 0 offen offset:8
	buffer_load_dword v78, v75, s[0:3], 0 offen offset:12
	buffer_load_dword v79, v75, s[0:3], 0 offen
	buffer_load_dword v80, v75, s[0:3], 0 offen offset:4
	s_waitcnt vmcnt(2) lgkmcnt(0)
	v_mul_f64 v[82:83], v[3:4], v[77:78]
	v_mul_f64 v[77:78], v[1:2], v[77:78]
	s_waitcnt vmcnt(0)
	v_fma_f64 v[1:2], v[1:2], v[79:80], -v[82:83]
	v_fma_f64 v[3:4], v[3:4], v[79:80], v[77:78]
.LBB34_62:
	s_and_saveexec_b32 s43, s4
	s_cbranch_execz .LBB34_66
; %bb.63:
	v_subrev_nc_u32_e32 v77, 27, v0
	s_movk_i32 s44, 0x3e0
	s_mov_b32 s4, 0
	s_mov_b32 s45, s14
	.p2align	6
.LBB34_64:                              ; =>This Inner Loop Header: Depth=1
	v_mov_b32_e32 v80, s45
	v_add_nc_u32_e32 v77, -1, v77
	s_add_i32 s45, s45, 16
	s_clause 0x3
	buffer_load_dword v78, v80, s[0:3], 0 offen offset:8
	buffer_load_dword v79, v80, s[0:3], 0 offen offset:12
	buffer_load_dword v86, v80, s[0:3], 0 offen
	buffer_load_dword v87, v80, s[0:3], 0 offen offset:4
	v_mov_b32_e32 v80, s44
	v_cmp_eq_u32_e32 vcc_lo, 0, v77
	s_add_i32 s44, s44, 16
	ds_read_b128 v[82:85], v80
	s_or_b32 s4, vcc_lo, s4
	s_waitcnt vmcnt(2) lgkmcnt(0)
	v_mul_f64 v[88:89], v[84:85], v[78:79]
	v_mul_f64 v[78:79], v[82:83], v[78:79]
	s_waitcnt vmcnt(0)
	v_fma_f64 v[82:83], v[82:83], v[86:87], -v[88:89]
	v_fma_f64 v[78:79], v[84:85], v[86:87], v[78:79]
	v_add_f64 v[1:2], v[1:2], v[82:83]
	v_add_f64 v[3:4], v[3:4], v[78:79]
	s_andn2_b32 exec_lo, exec_lo, s4
	s_cbranch_execnz .LBB34_64
; %bb.65:
	s_or_b32 exec_lo, exec_lo, s4
.LBB34_66:
	s_or_b32 exec_lo, exec_lo, s43
	v_mov_b32_e32 v77, 0
	ds_read_b128 v[77:80], v77 offset:416
	s_waitcnt lgkmcnt(0)
	v_mul_f64 v[82:83], v[3:4], v[79:80]
	v_mul_f64 v[79:80], v[1:2], v[79:80]
	v_fma_f64 v[1:2], v[1:2], v[77:78], -v[82:83]
	v_fma_f64 v[3:4], v[3:4], v[77:78], v[79:80]
	buffer_store_dword v2, off, s[0:3], 0 offset:420
	buffer_store_dword v1, off, s[0:3], 0 offset:416
	;; [unrolled: 1-line block ×4, first 2 shown]
.LBB34_67:
	s_or_b32 exec_lo, exec_lo, s8
	v_mov_b32_e32 v4, s16
	v_cmp_lt_u32_e64 s4, 25, v0
	s_clause 0x3
	buffer_load_dword v1, v4, s[0:3], 0 offen
	buffer_load_dword v2, v4, s[0:3], 0 offen offset:4
	buffer_load_dword v3, v4, s[0:3], 0 offen offset:8
	;; [unrolled: 1-line block ×3, first 2 shown]
	s_waitcnt vmcnt(0)
	ds_write_b128 v76, v[1:4]
	s_waitcnt lgkmcnt(0)
	s_waitcnt_vscnt null, 0x0
	s_barrier
	buffer_gl0_inv
	s_and_saveexec_b32 s8, s4
	s_cbranch_execz .LBB34_75
; %bb.68:
	ds_read_b128 v[1:4], v76
	s_andn2_b32 vcc_lo, exec_lo, s42
	s_cbranch_vccnz .LBB34_70
; %bb.69:
	s_clause 0x3
	buffer_load_dword v77, v75, s[0:3], 0 offen offset:8
	buffer_load_dword v78, v75, s[0:3], 0 offen offset:12
	buffer_load_dword v79, v75, s[0:3], 0 offen
	buffer_load_dword v80, v75, s[0:3], 0 offen offset:4
	s_waitcnt vmcnt(2) lgkmcnt(0)
	v_mul_f64 v[82:83], v[3:4], v[77:78]
	v_mul_f64 v[77:78], v[1:2], v[77:78]
	s_waitcnt vmcnt(0)
	v_fma_f64 v[1:2], v[1:2], v[79:80], -v[82:83]
	v_fma_f64 v[3:4], v[3:4], v[79:80], v[77:78]
.LBB34_70:
	s_and_saveexec_b32 s43, s5
	s_cbranch_execz .LBB34_74
; %bb.71:
	v_subrev_nc_u32_e32 v77, 26, v0
	s_movk_i32 s44, 0x3d0
	s_mov_b32 s5, 0
	s_mov_b32 s45, s15
	.p2align	6
.LBB34_72:                              ; =>This Inner Loop Header: Depth=1
	v_mov_b32_e32 v80, s45
	v_add_nc_u32_e32 v77, -1, v77
	s_add_i32 s45, s45, 16
	s_clause 0x3
	buffer_load_dword v78, v80, s[0:3], 0 offen offset:8
	buffer_load_dword v79, v80, s[0:3], 0 offen offset:12
	buffer_load_dword v86, v80, s[0:3], 0 offen
	buffer_load_dword v87, v80, s[0:3], 0 offen offset:4
	v_mov_b32_e32 v80, s44
	v_cmp_eq_u32_e32 vcc_lo, 0, v77
	s_add_i32 s44, s44, 16
	ds_read_b128 v[82:85], v80
	s_or_b32 s5, vcc_lo, s5
	s_waitcnt vmcnt(2) lgkmcnt(0)
	v_mul_f64 v[88:89], v[84:85], v[78:79]
	v_mul_f64 v[78:79], v[82:83], v[78:79]
	s_waitcnt vmcnt(0)
	v_fma_f64 v[82:83], v[82:83], v[86:87], -v[88:89]
	v_fma_f64 v[78:79], v[84:85], v[86:87], v[78:79]
	v_add_f64 v[1:2], v[1:2], v[82:83]
	v_add_f64 v[3:4], v[3:4], v[78:79]
	s_andn2_b32 exec_lo, exec_lo, s5
	s_cbranch_execnz .LBB34_72
; %bb.73:
	s_or_b32 exec_lo, exec_lo, s5
.LBB34_74:
	s_or_b32 exec_lo, exec_lo, s43
	v_mov_b32_e32 v77, 0
	ds_read_b128 v[77:80], v77 offset:400
	s_waitcnt lgkmcnt(0)
	v_mul_f64 v[82:83], v[3:4], v[79:80]
	v_mul_f64 v[79:80], v[1:2], v[79:80]
	v_fma_f64 v[1:2], v[1:2], v[77:78], -v[82:83]
	v_fma_f64 v[3:4], v[3:4], v[77:78], v[79:80]
	buffer_store_dword v2, off, s[0:3], 0 offset:404
	buffer_store_dword v1, off, s[0:3], 0 offset:400
	;; [unrolled: 1-line block ×4, first 2 shown]
.LBB34_75:
	s_or_b32 exec_lo, exec_lo, s8
	v_mov_b32_e32 v4, s17
	v_cmp_lt_u32_e64 s5, 24, v0
	s_clause 0x3
	buffer_load_dword v1, v4, s[0:3], 0 offen
	buffer_load_dword v2, v4, s[0:3], 0 offen offset:4
	buffer_load_dword v3, v4, s[0:3], 0 offen offset:8
	;; [unrolled: 1-line block ×3, first 2 shown]
	s_waitcnt vmcnt(0)
	ds_write_b128 v76, v[1:4]
	s_waitcnt lgkmcnt(0)
	s_waitcnt_vscnt null, 0x0
	s_barrier
	buffer_gl0_inv
	s_and_saveexec_b32 s8, s5
	s_cbranch_execz .LBB34_83
; %bb.76:
	ds_read_b128 v[1:4], v76
	s_andn2_b32 vcc_lo, exec_lo, s42
	s_cbranch_vccnz .LBB34_78
; %bb.77:
	s_clause 0x3
	buffer_load_dword v77, v75, s[0:3], 0 offen offset:8
	buffer_load_dword v78, v75, s[0:3], 0 offen offset:12
	buffer_load_dword v79, v75, s[0:3], 0 offen
	buffer_load_dword v80, v75, s[0:3], 0 offen offset:4
	s_waitcnt vmcnt(2) lgkmcnt(0)
	v_mul_f64 v[82:83], v[3:4], v[77:78]
	v_mul_f64 v[77:78], v[1:2], v[77:78]
	s_waitcnt vmcnt(0)
	v_fma_f64 v[1:2], v[1:2], v[79:80], -v[82:83]
	v_fma_f64 v[3:4], v[3:4], v[79:80], v[77:78]
.LBB34_78:
	s_and_saveexec_b32 s43, s4
	s_cbranch_execz .LBB34_82
; %bb.79:
	v_subrev_nc_u32_e32 v77, 25, v0
	s_movk_i32 s44, 0x3c0
	s_mov_b32 s4, 0
	s_mov_b32 s45, s16
	.p2align	6
.LBB34_80:                              ; =>This Inner Loop Header: Depth=1
	v_mov_b32_e32 v80, s45
	v_add_nc_u32_e32 v77, -1, v77
	s_add_i32 s45, s45, 16
	s_clause 0x3
	buffer_load_dword v78, v80, s[0:3], 0 offen offset:8
	buffer_load_dword v79, v80, s[0:3], 0 offen offset:12
	buffer_load_dword v86, v80, s[0:3], 0 offen
	buffer_load_dword v87, v80, s[0:3], 0 offen offset:4
	v_mov_b32_e32 v80, s44
	v_cmp_eq_u32_e32 vcc_lo, 0, v77
	s_add_i32 s44, s44, 16
	ds_read_b128 v[82:85], v80
	s_or_b32 s4, vcc_lo, s4
	s_waitcnt vmcnt(2) lgkmcnt(0)
	v_mul_f64 v[88:89], v[84:85], v[78:79]
	v_mul_f64 v[78:79], v[82:83], v[78:79]
	s_waitcnt vmcnt(0)
	v_fma_f64 v[82:83], v[82:83], v[86:87], -v[88:89]
	v_fma_f64 v[78:79], v[84:85], v[86:87], v[78:79]
	v_add_f64 v[1:2], v[1:2], v[82:83]
	v_add_f64 v[3:4], v[3:4], v[78:79]
	s_andn2_b32 exec_lo, exec_lo, s4
	s_cbranch_execnz .LBB34_80
; %bb.81:
	s_or_b32 exec_lo, exec_lo, s4
.LBB34_82:
	s_or_b32 exec_lo, exec_lo, s43
	v_mov_b32_e32 v77, 0
	ds_read_b128 v[77:80], v77 offset:384
	s_waitcnt lgkmcnt(0)
	v_mul_f64 v[82:83], v[3:4], v[79:80]
	v_mul_f64 v[79:80], v[1:2], v[79:80]
	v_fma_f64 v[1:2], v[1:2], v[77:78], -v[82:83]
	v_fma_f64 v[3:4], v[3:4], v[77:78], v[79:80]
	buffer_store_dword v2, off, s[0:3], 0 offset:388
	buffer_store_dword v1, off, s[0:3], 0 offset:384
	;; [unrolled: 1-line block ×4, first 2 shown]
.LBB34_83:
	s_or_b32 exec_lo, exec_lo, s8
	v_mov_b32_e32 v4, s18
	v_cmp_lt_u32_e64 s4, 23, v0
	s_clause 0x3
	buffer_load_dword v1, v4, s[0:3], 0 offen
	buffer_load_dword v2, v4, s[0:3], 0 offen offset:4
	buffer_load_dword v3, v4, s[0:3], 0 offen offset:8
	;; [unrolled: 1-line block ×3, first 2 shown]
	s_waitcnt vmcnt(0)
	ds_write_b128 v76, v[1:4]
	s_waitcnt lgkmcnt(0)
	s_waitcnt_vscnt null, 0x0
	s_barrier
	buffer_gl0_inv
	s_and_saveexec_b32 s8, s4
	s_cbranch_execz .LBB34_91
; %bb.84:
	ds_read_b128 v[1:4], v76
	s_andn2_b32 vcc_lo, exec_lo, s42
	s_cbranch_vccnz .LBB34_86
; %bb.85:
	s_clause 0x3
	buffer_load_dword v77, v75, s[0:3], 0 offen offset:8
	buffer_load_dword v78, v75, s[0:3], 0 offen offset:12
	buffer_load_dword v79, v75, s[0:3], 0 offen
	buffer_load_dword v80, v75, s[0:3], 0 offen offset:4
	s_waitcnt vmcnt(2) lgkmcnt(0)
	v_mul_f64 v[82:83], v[3:4], v[77:78]
	v_mul_f64 v[77:78], v[1:2], v[77:78]
	s_waitcnt vmcnt(0)
	v_fma_f64 v[1:2], v[1:2], v[79:80], -v[82:83]
	v_fma_f64 v[3:4], v[3:4], v[79:80], v[77:78]
.LBB34_86:
	s_and_saveexec_b32 s43, s5
	s_cbranch_execz .LBB34_90
; %bb.87:
	v_subrev_nc_u32_e32 v77, 24, v0
	s_movk_i32 s44, 0x3b0
	s_mov_b32 s5, 0
	s_mov_b32 s45, s17
	.p2align	6
.LBB34_88:                              ; =>This Inner Loop Header: Depth=1
	v_mov_b32_e32 v80, s45
	v_add_nc_u32_e32 v77, -1, v77
	s_add_i32 s45, s45, 16
	s_clause 0x3
	buffer_load_dword v78, v80, s[0:3], 0 offen offset:8
	buffer_load_dword v79, v80, s[0:3], 0 offen offset:12
	buffer_load_dword v86, v80, s[0:3], 0 offen
	buffer_load_dword v87, v80, s[0:3], 0 offen offset:4
	v_mov_b32_e32 v80, s44
	v_cmp_eq_u32_e32 vcc_lo, 0, v77
	s_add_i32 s44, s44, 16
	ds_read_b128 v[82:85], v80
	s_or_b32 s5, vcc_lo, s5
	s_waitcnt vmcnt(2) lgkmcnt(0)
	v_mul_f64 v[88:89], v[84:85], v[78:79]
	v_mul_f64 v[78:79], v[82:83], v[78:79]
	s_waitcnt vmcnt(0)
	v_fma_f64 v[82:83], v[82:83], v[86:87], -v[88:89]
	v_fma_f64 v[78:79], v[84:85], v[86:87], v[78:79]
	v_add_f64 v[1:2], v[1:2], v[82:83]
	v_add_f64 v[3:4], v[3:4], v[78:79]
	s_andn2_b32 exec_lo, exec_lo, s5
	s_cbranch_execnz .LBB34_88
; %bb.89:
	s_or_b32 exec_lo, exec_lo, s5
.LBB34_90:
	s_or_b32 exec_lo, exec_lo, s43
	v_mov_b32_e32 v77, 0
	ds_read_b128 v[77:80], v77 offset:368
	s_waitcnt lgkmcnt(0)
	v_mul_f64 v[82:83], v[3:4], v[79:80]
	v_mul_f64 v[79:80], v[1:2], v[79:80]
	v_fma_f64 v[1:2], v[1:2], v[77:78], -v[82:83]
	v_fma_f64 v[3:4], v[3:4], v[77:78], v[79:80]
	buffer_store_dword v2, off, s[0:3], 0 offset:372
	buffer_store_dword v1, off, s[0:3], 0 offset:368
	;; [unrolled: 1-line block ×4, first 2 shown]
.LBB34_91:
	s_or_b32 exec_lo, exec_lo, s8
	v_mov_b32_e32 v4, s19
	v_cmp_lt_u32_e64 s5, 22, v0
	s_clause 0x3
	buffer_load_dword v1, v4, s[0:3], 0 offen
	buffer_load_dword v2, v4, s[0:3], 0 offen offset:4
	buffer_load_dword v3, v4, s[0:3], 0 offen offset:8
	buffer_load_dword v4, v4, s[0:3], 0 offen offset:12
	s_waitcnt vmcnt(0)
	ds_write_b128 v76, v[1:4]
	s_waitcnt lgkmcnt(0)
	s_waitcnt_vscnt null, 0x0
	s_barrier
	buffer_gl0_inv
	s_and_saveexec_b32 s8, s5
	s_cbranch_execz .LBB34_99
; %bb.92:
	ds_read_b128 v[1:4], v76
	s_andn2_b32 vcc_lo, exec_lo, s42
	s_cbranch_vccnz .LBB34_94
; %bb.93:
	s_clause 0x3
	buffer_load_dword v77, v75, s[0:3], 0 offen offset:8
	buffer_load_dword v78, v75, s[0:3], 0 offen offset:12
	buffer_load_dword v79, v75, s[0:3], 0 offen
	buffer_load_dword v80, v75, s[0:3], 0 offen offset:4
	s_waitcnt vmcnt(2) lgkmcnt(0)
	v_mul_f64 v[82:83], v[3:4], v[77:78]
	v_mul_f64 v[77:78], v[1:2], v[77:78]
	s_waitcnt vmcnt(0)
	v_fma_f64 v[1:2], v[1:2], v[79:80], -v[82:83]
	v_fma_f64 v[3:4], v[3:4], v[79:80], v[77:78]
.LBB34_94:
	s_and_saveexec_b32 s43, s4
	s_cbranch_execz .LBB34_98
; %bb.95:
	v_subrev_nc_u32_e32 v77, 23, v0
	s_movk_i32 s44, 0x3a0
	s_mov_b32 s4, 0
	s_mov_b32 s45, s18
	.p2align	6
.LBB34_96:                              ; =>This Inner Loop Header: Depth=1
	v_mov_b32_e32 v80, s45
	v_add_nc_u32_e32 v77, -1, v77
	s_add_i32 s45, s45, 16
	s_clause 0x3
	buffer_load_dword v78, v80, s[0:3], 0 offen offset:8
	buffer_load_dword v79, v80, s[0:3], 0 offen offset:12
	buffer_load_dword v86, v80, s[0:3], 0 offen
	buffer_load_dword v87, v80, s[0:3], 0 offen offset:4
	v_mov_b32_e32 v80, s44
	v_cmp_eq_u32_e32 vcc_lo, 0, v77
	s_add_i32 s44, s44, 16
	ds_read_b128 v[82:85], v80
	s_or_b32 s4, vcc_lo, s4
	s_waitcnt vmcnt(2) lgkmcnt(0)
	v_mul_f64 v[88:89], v[84:85], v[78:79]
	v_mul_f64 v[78:79], v[82:83], v[78:79]
	s_waitcnt vmcnt(0)
	v_fma_f64 v[82:83], v[82:83], v[86:87], -v[88:89]
	v_fma_f64 v[78:79], v[84:85], v[86:87], v[78:79]
	v_add_f64 v[1:2], v[1:2], v[82:83]
	v_add_f64 v[3:4], v[3:4], v[78:79]
	s_andn2_b32 exec_lo, exec_lo, s4
	s_cbranch_execnz .LBB34_96
; %bb.97:
	s_or_b32 exec_lo, exec_lo, s4
.LBB34_98:
	s_or_b32 exec_lo, exec_lo, s43
	v_mov_b32_e32 v77, 0
	ds_read_b128 v[77:80], v77 offset:352
	s_waitcnt lgkmcnt(0)
	v_mul_f64 v[82:83], v[3:4], v[79:80]
	v_mul_f64 v[79:80], v[1:2], v[79:80]
	v_fma_f64 v[1:2], v[1:2], v[77:78], -v[82:83]
	v_fma_f64 v[3:4], v[3:4], v[77:78], v[79:80]
	buffer_store_dword v2, off, s[0:3], 0 offset:356
	buffer_store_dword v1, off, s[0:3], 0 offset:352
	;; [unrolled: 1-line block ×4, first 2 shown]
.LBB34_99:
	s_or_b32 exec_lo, exec_lo, s8
	v_mov_b32_e32 v4, s20
	v_cmp_lt_u32_e64 s4, 21, v0
	s_clause 0x3
	buffer_load_dword v1, v4, s[0:3], 0 offen
	buffer_load_dword v2, v4, s[0:3], 0 offen offset:4
	buffer_load_dword v3, v4, s[0:3], 0 offen offset:8
	;; [unrolled: 1-line block ×3, first 2 shown]
	s_waitcnt vmcnt(0)
	ds_write_b128 v76, v[1:4]
	s_waitcnt lgkmcnt(0)
	s_waitcnt_vscnt null, 0x0
	s_barrier
	buffer_gl0_inv
	s_and_saveexec_b32 s8, s4
	s_cbranch_execz .LBB34_107
; %bb.100:
	ds_read_b128 v[1:4], v76
	s_andn2_b32 vcc_lo, exec_lo, s42
	s_cbranch_vccnz .LBB34_102
; %bb.101:
	s_clause 0x3
	buffer_load_dword v77, v75, s[0:3], 0 offen offset:8
	buffer_load_dword v78, v75, s[0:3], 0 offen offset:12
	buffer_load_dword v79, v75, s[0:3], 0 offen
	buffer_load_dword v80, v75, s[0:3], 0 offen offset:4
	s_waitcnt vmcnt(2) lgkmcnt(0)
	v_mul_f64 v[82:83], v[3:4], v[77:78]
	v_mul_f64 v[77:78], v[1:2], v[77:78]
	s_waitcnt vmcnt(0)
	v_fma_f64 v[1:2], v[1:2], v[79:80], -v[82:83]
	v_fma_f64 v[3:4], v[3:4], v[79:80], v[77:78]
.LBB34_102:
	s_and_saveexec_b32 s43, s5
	s_cbranch_execz .LBB34_106
; %bb.103:
	v_subrev_nc_u32_e32 v77, 22, v0
	s_movk_i32 s44, 0x390
	s_mov_b32 s5, 0
	s_mov_b32 s45, s19
	.p2align	6
.LBB34_104:                             ; =>This Inner Loop Header: Depth=1
	v_mov_b32_e32 v80, s45
	v_add_nc_u32_e32 v77, -1, v77
	s_add_i32 s45, s45, 16
	s_clause 0x3
	buffer_load_dword v78, v80, s[0:3], 0 offen offset:8
	buffer_load_dword v79, v80, s[0:3], 0 offen offset:12
	buffer_load_dword v86, v80, s[0:3], 0 offen
	buffer_load_dword v87, v80, s[0:3], 0 offen offset:4
	v_mov_b32_e32 v80, s44
	v_cmp_eq_u32_e32 vcc_lo, 0, v77
	s_add_i32 s44, s44, 16
	ds_read_b128 v[82:85], v80
	s_or_b32 s5, vcc_lo, s5
	s_waitcnt vmcnt(2) lgkmcnt(0)
	v_mul_f64 v[88:89], v[84:85], v[78:79]
	v_mul_f64 v[78:79], v[82:83], v[78:79]
	s_waitcnt vmcnt(0)
	v_fma_f64 v[82:83], v[82:83], v[86:87], -v[88:89]
	v_fma_f64 v[78:79], v[84:85], v[86:87], v[78:79]
	v_add_f64 v[1:2], v[1:2], v[82:83]
	v_add_f64 v[3:4], v[3:4], v[78:79]
	s_andn2_b32 exec_lo, exec_lo, s5
	s_cbranch_execnz .LBB34_104
; %bb.105:
	s_or_b32 exec_lo, exec_lo, s5
.LBB34_106:
	s_or_b32 exec_lo, exec_lo, s43
	v_mov_b32_e32 v77, 0
	ds_read_b128 v[77:80], v77 offset:336
	s_waitcnt lgkmcnt(0)
	v_mul_f64 v[82:83], v[3:4], v[79:80]
	v_mul_f64 v[79:80], v[1:2], v[79:80]
	v_fma_f64 v[1:2], v[1:2], v[77:78], -v[82:83]
	v_fma_f64 v[3:4], v[3:4], v[77:78], v[79:80]
	buffer_store_dword v2, off, s[0:3], 0 offset:340
	buffer_store_dword v1, off, s[0:3], 0 offset:336
	;; [unrolled: 1-line block ×4, first 2 shown]
.LBB34_107:
	s_or_b32 exec_lo, exec_lo, s8
	v_mov_b32_e32 v4, s21
	v_cmp_lt_u32_e64 s5, 20, v0
	s_clause 0x3
	buffer_load_dword v1, v4, s[0:3], 0 offen
	buffer_load_dword v2, v4, s[0:3], 0 offen offset:4
	buffer_load_dword v3, v4, s[0:3], 0 offen offset:8
	buffer_load_dword v4, v4, s[0:3], 0 offen offset:12
	s_waitcnt vmcnt(0)
	ds_write_b128 v76, v[1:4]
	s_waitcnt lgkmcnt(0)
	s_waitcnt_vscnt null, 0x0
	s_barrier
	buffer_gl0_inv
	s_and_saveexec_b32 s8, s5
	s_cbranch_execz .LBB34_115
; %bb.108:
	ds_read_b128 v[1:4], v76
	s_andn2_b32 vcc_lo, exec_lo, s42
	s_cbranch_vccnz .LBB34_110
; %bb.109:
	s_clause 0x3
	buffer_load_dword v77, v75, s[0:3], 0 offen offset:8
	buffer_load_dword v78, v75, s[0:3], 0 offen offset:12
	buffer_load_dword v79, v75, s[0:3], 0 offen
	buffer_load_dword v80, v75, s[0:3], 0 offen offset:4
	s_waitcnt vmcnt(2) lgkmcnt(0)
	v_mul_f64 v[82:83], v[3:4], v[77:78]
	v_mul_f64 v[77:78], v[1:2], v[77:78]
	s_waitcnt vmcnt(0)
	v_fma_f64 v[1:2], v[1:2], v[79:80], -v[82:83]
	v_fma_f64 v[3:4], v[3:4], v[79:80], v[77:78]
.LBB34_110:
	s_and_saveexec_b32 s43, s4
	s_cbranch_execz .LBB34_114
; %bb.111:
	v_subrev_nc_u32_e32 v77, 21, v0
	s_movk_i32 s44, 0x380
	s_mov_b32 s4, 0
	s_mov_b32 s45, s20
	.p2align	6
.LBB34_112:                             ; =>This Inner Loop Header: Depth=1
	v_mov_b32_e32 v80, s45
	v_add_nc_u32_e32 v77, -1, v77
	s_add_i32 s45, s45, 16
	s_clause 0x3
	buffer_load_dword v78, v80, s[0:3], 0 offen offset:8
	buffer_load_dword v79, v80, s[0:3], 0 offen offset:12
	buffer_load_dword v86, v80, s[0:3], 0 offen
	buffer_load_dword v87, v80, s[0:3], 0 offen offset:4
	v_mov_b32_e32 v80, s44
	v_cmp_eq_u32_e32 vcc_lo, 0, v77
	s_add_i32 s44, s44, 16
	ds_read_b128 v[82:85], v80
	s_or_b32 s4, vcc_lo, s4
	s_waitcnt vmcnt(2) lgkmcnt(0)
	v_mul_f64 v[88:89], v[84:85], v[78:79]
	v_mul_f64 v[78:79], v[82:83], v[78:79]
	s_waitcnt vmcnt(0)
	v_fma_f64 v[82:83], v[82:83], v[86:87], -v[88:89]
	v_fma_f64 v[78:79], v[84:85], v[86:87], v[78:79]
	v_add_f64 v[1:2], v[1:2], v[82:83]
	v_add_f64 v[3:4], v[3:4], v[78:79]
	s_andn2_b32 exec_lo, exec_lo, s4
	s_cbranch_execnz .LBB34_112
; %bb.113:
	s_or_b32 exec_lo, exec_lo, s4
.LBB34_114:
	s_or_b32 exec_lo, exec_lo, s43
	v_mov_b32_e32 v77, 0
	ds_read_b128 v[77:80], v77 offset:320
	s_waitcnt lgkmcnt(0)
	v_mul_f64 v[82:83], v[3:4], v[79:80]
	v_mul_f64 v[79:80], v[1:2], v[79:80]
	v_fma_f64 v[1:2], v[1:2], v[77:78], -v[82:83]
	v_fma_f64 v[3:4], v[3:4], v[77:78], v[79:80]
	buffer_store_dword v2, off, s[0:3], 0 offset:324
	buffer_store_dword v1, off, s[0:3], 0 offset:320
	;; [unrolled: 1-line block ×4, first 2 shown]
.LBB34_115:
	s_or_b32 exec_lo, exec_lo, s8
	v_mov_b32_e32 v4, s22
	v_cmp_lt_u32_e64 s4, 19, v0
	s_clause 0x3
	buffer_load_dword v1, v4, s[0:3], 0 offen
	buffer_load_dword v2, v4, s[0:3], 0 offen offset:4
	buffer_load_dword v3, v4, s[0:3], 0 offen offset:8
	;; [unrolled: 1-line block ×3, first 2 shown]
	s_waitcnt vmcnt(0)
	ds_write_b128 v76, v[1:4]
	s_waitcnt lgkmcnt(0)
	s_waitcnt_vscnt null, 0x0
	s_barrier
	buffer_gl0_inv
	s_and_saveexec_b32 s8, s4
	s_cbranch_execz .LBB34_123
; %bb.116:
	ds_read_b128 v[1:4], v76
	s_andn2_b32 vcc_lo, exec_lo, s42
	s_cbranch_vccnz .LBB34_118
; %bb.117:
	s_clause 0x3
	buffer_load_dword v77, v75, s[0:3], 0 offen offset:8
	buffer_load_dword v78, v75, s[0:3], 0 offen offset:12
	buffer_load_dword v79, v75, s[0:3], 0 offen
	buffer_load_dword v80, v75, s[0:3], 0 offen offset:4
	s_waitcnt vmcnt(2) lgkmcnt(0)
	v_mul_f64 v[82:83], v[3:4], v[77:78]
	v_mul_f64 v[77:78], v[1:2], v[77:78]
	s_waitcnt vmcnt(0)
	v_fma_f64 v[1:2], v[1:2], v[79:80], -v[82:83]
	v_fma_f64 v[3:4], v[3:4], v[79:80], v[77:78]
.LBB34_118:
	s_and_saveexec_b32 s43, s5
	s_cbranch_execz .LBB34_122
; %bb.119:
	v_subrev_nc_u32_e32 v77, 20, v0
	s_movk_i32 s44, 0x370
	s_mov_b32 s5, 0
	s_mov_b32 s45, s21
	.p2align	6
.LBB34_120:                             ; =>This Inner Loop Header: Depth=1
	v_mov_b32_e32 v80, s45
	v_add_nc_u32_e32 v77, -1, v77
	s_add_i32 s45, s45, 16
	s_clause 0x3
	buffer_load_dword v78, v80, s[0:3], 0 offen offset:8
	buffer_load_dword v79, v80, s[0:3], 0 offen offset:12
	buffer_load_dword v86, v80, s[0:3], 0 offen
	buffer_load_dword v87, v80, s[0:3], 0 offen offset:4
	v_mov_b32_e32 v80, s44
	v_cmp_eq_u32_e32 vcc_lo, 0, v77
	s_add_i32 s44, s44, 16
	ds_read_b128 v[82:85], v80
	s_or_b32 s5, vcc_lo, s5
	s_waitcnt vmcnt(2) lgkmcnt(0)
	v_mul_f64 v[88:89], v[84:85], v[78:79]
	v_mul_f64 v[78:79], v[82:83], v[78:79]
	s_waitcnt vmcnt(0)
	v_fma_f64 v[82:83], v[82:83], v[86:87], -v[88:89]
	v_fma_f64 v[78:79], v[84:85], v[86:87], v[78:79]
	v_add_f64 v[1:2], v[1:2], v[82:83]
	v_add_f64 v[3:4], v[3:4], v[78:79]
	s_andn2_b32 exec_lo, exec_lo, s5
	s_cbranch_execnz .LBB34_120
; %bb.121:
	s_or_b32 exec_lo, exec_lo, s5
.LBB34_122:
	s_or_b32 exec_lo, exec_lo, s43
	v_mov_b32_e32 v77, 0
	ds_read_b128 v[77:80], v77 offset:304
	s_waitcnt lgkmcnt(0)
	v_mul_f64 v[82:83], v[3:4], v[79:80]
	v_mul_f64 v[79:80], v[1:2], v[79:80]
	v_fma_f64 v[1:2], v[1:2], v[77:78], -v[82:83]
	v_fma_f64 v[3:4], v[3:4], v[77:78], v[79:80]
	buffer_store_dword v2, off, s[0:3], 0 offset:308
	buffer_store_dword v1, off, s[0:3], 0 offset:304
	;; [unrolled: 1-line block ×4, first 2 shown]
.LBB34_123:
	s_or_b32 exec_lo, exec_lo, s8
	v_mov_b32_e32 v4, s23
	v_cmp_lt_u32_e64 s5, 18, v0
	s_clause 0x3
	buffer_load_dword v1, v4, s[0:3], 0 offen
	buffer_load_dword v2, v4, s[0:3], 0 offen offset:4
	buffer_load_dword v3, v4, s[0:3], 0 offen offset:8
	buffer_load_dword v4, v4, s[0:3], 0 offen offset:12
	s_waitcnt vmcnt(0)
	ds_write_b128 v76, v[1:4]
	s_waitcnt lgkmcnt(0)
	s_waitcnt_vscnt null, 0x0
	s_barrier
	buffer_gl0_inv
	s_and_saveexec_b32 s8, s5
	s_cbranch_execz .LBB34_131
; %bb.124:
	ds_read_b128 v[1:4], v76
	s_andn2_b32 vcc_lo, exec_lo, s42
	s_cbranch_vccnz .LBB34_126
; %bb.125:
	s_clause 0x3
	buffer_load_dword v77, v75, s[0:3], 0 offen offset:8
	buffer_load_dword v78, v75, s[0:3], 0 offen offset:12
	buffer_load_dword v79, v75, s[0:3], 0 offen
	buffer_load_dword v80, v75, s[0:3], 0 offen offset:4
	s_waitcnt vmcnt(2) lgkmcnt(0)
	v_mul_f64 v[82:83], v[3:4], v[77:78]
	v_mul_f64 v[77:78], v[1:2], v[77:78]
	s_waitcnt vmcnt(0)
	v_fma_f64 v[1:2], v[1:2], v[79:80], -v[82:83]
	v_fma_f64 v[3:4], v[3:4], v[79:80], v[77:78]
.LBB34_126:
	s_and_saveexec_b32 s43, s4
	s_cbranch_execz .LBB34_130
; %bb.127:
	v_subrev_nc_u32_e32 v77, 19, v0
	s_movk_i32 s44, 0x360
	s_mov_b32 s4, 0
	s_mov_b32 s45, s22
	.p2align	6
.LBB34_128:                             ; =>This Inner Loop Header: Depth=1
	v_mov_b32_e32 v80, s45
	v_add_nc_u32_e32 v77, -1, v77
	s_add_i32 s45, s45, 16
	s_clause 0x3
	buffer_load_dword v78, v80, s[0:3], 0 offen offset:8
	buffer_load_dword v79, v80, s[0:3], 0 offen offset:12
	buffer_load_dword v86, v80, s[0:3], 0 offen
	buffer_load_dword v87, v80, s[0:3], 0 offen offset:4
	v_mov_b32_e32 v80, s44
	v_cmp_eq_u32_e32 vcc_lo, 0, v77
	s_add_i32 s44, s44, 16
	ds_read_b128 v[82:85], v80
	s_or_b32 s4, vcc_lo, s4
	s_waitcnt vmcnt(2) lgkmcnt(0)
	v_mul_f64 v[88:89], v[84:85], v[78:79]
	v_mul_f64 v[78:79], v[82:83], v[78:79]
	s_waitcnt vmcnt(0)
	v_fma_f64 v[82:83], v[82:83], v[86:87], -v[88:89]
	v_fma_f64 v[78:79], v[84:85], v[86:87], v[78:79]
	v_add_f64 v[1:2], v[1:2], v[82:83]
	v_add_f64 v[3:4], v[3:4], v[78:79]
	s_andn2_b32 exec_lo, exec_lo, s4
	s_cbranch_execnz .LBB34_128
; %bb.129:
	s_or_b32 exec_lo, exec_lo, s4
.LBB34_130:
	s_or_b32 exec_lo, exec_lo, s43
	v_mov_b32_e32 v77, 0
	ds_read_b128 v[77:80], v77 offset:288
	s_waitcnt lgkmcnt(0)
	v_mul_f64 v[82:83], v[3:4], v[79:80]
	v_mul_f64 v[79:80], v[1:2], v[79:80]
	v_fma_f64 v[1:2], v[1:2], v[77:78], -v[82:83]
	v_fma_f64 v[3:4], v[3:4], v[77:78], v[79:80]
	buffer_store_dword v2, off, s[0:3], 0 offset:292
	buffer_store_dword v1, off, s[0:3], 0 offset:288
	;; [unrolled: 1-line block ×4, first 2 shown]
.LBB34_131:
	s_or_b32 exec_lo, exec_lo, s8
	v_mov_b32_e32 v4, s24
	v_cmp_lt_u32_e64 s4, 17, v0
	s_clause 0x3
	buffer_load_dword v1, v4, s[0:3], 0 offen
	buffer_load_dword v2, v4, s[0:3], 0 offen offset:4
	buffer_load_dword v3, v4, s[0:3], 0 offen offset:8
	;; [unrolled: 1-line block ×3, first 2 shown]
	s_waitcnt vmcnt(0)
	ds_write_b128 v76, v[1:4]
	s_waitcnt lgkmcnt(0)
	s_waitcnt_vscnt null, 0x0
	s_barrier
	buffer_gl0_inv
	s_and_saveexec_b32 s8, s4
	s_cbranch_execz .LBB34_139
; %bb.132:
	ds_read_b128 v[1:4], v76
	s_andn2_b32 vcc_lo, exec_lo, s42
	s_cbranch_vccnz .LBB34_134
; %bb.133:
	s_clause 0x3
	buffer_load_dword v77, v75, s[0:3], 0 offen offset:8
	buffer_load_dword v78, v75, s[0:3], 0 offen offset:12
	buffer_load_dword v79, v75, s[0:3], 0 offen
	buffer_load_dword v80, v75, s[0:3], 0 offen offset:4
	s_waitcnt vmcnt(2) lgkmcnt(0)
	v_mul_f64 v[82:83], v[3:4], v[77:78]
	v_mul_f64 v[77:78], v[1:2], v[77:78]
	s_waitcnt vmcnt(0)
	v_fma_f64 v[1:2], v[1:2], v[79:80], -v[82:83]
	v_fma_f64 v[3:4], v[3:4], v[79:80], v[77:78]
.LBB34_134:
	s_and_saveexec_b32 s43, s5
	s_cbranch_execz .LBB34_138
; %bb.135:
	v_subrev_nc_u32_e32 v77, 18, v0
	s_movk_i32 s44, 0x350
	s_mov_b32 s5, 0
	s_mov_b32 s45, s23
	.p2align	6
.LBB34_136:                             ; =>This Inner Loop Header: Depth=1
	v_mov_b32_e32 v80, s45
	v_add_nc_u32_e32 v77, -1, v77
	s_add_i32 s45, s45, 16
	s_clause 0x3
	buffer_load_dword v78, v80, s[0:3], 0 offen offset:8
	buffer_load_dword v79, v80, s[0:3], 0 offen offset:12
	buffer_load_dword v86, v80, s[0:3], 0 offen
	buffer_load_dword v87, v80, s[0:3], 0 offen offset:4
	v_mov_b32_e32 v80, s44
	v_cmp_eq_u32_e32 vcc_lo, 0, v77
	s_add_i32 s44, s44, 16
	ds_read_b128 v[82:85], v80
	s_or_b32 s5, vcc_lo, s5
	s_waitcnt vmcnt(2) lgkmcnt(0)
	v_mul_f64 v[88:89], v[84:85], v[78:79]
	v_mul_f64 v[78:79], v[82:83], v[78:79]
	s_waitcnt vmcnt(0)
	v_fma_f64 v[82:83], v[82:83], v[86:87], -v[88:89]
	v_fma_f64 v[78:79], v[84:85], v[86:87], v[78:79]
	v_add_f64 v[1:2], v[1:2], v[82:83]
	v_add_f64 v[3:4], v[3:4], v[78:79]
	s_andn2_b32 exec_lo, exec_lo, s5
	s_cbranch_execnz .LBB34_136
; %bb.137:
	s_or_b32 exec_lo, exec_lo, s5
.LBB34_138:
	s_or_b32 exec_lo, exec_lo, s43
	v_mov_b32_e32 v77, 0
	ds_read_b128 v[77:80], v77 offset:272
	s_waitcnt lgkmcnt(0)
	v_mul_f64 v[82:83], v[3:4], v[79:80]
	v_mul_f64 v[79:80], v[1:2], v[79:80]
	v_fma_f64 v[1:2], v[1:2], v[77:78], -v[82:83]
	v_fma_f64 v[3:4], v[3:4], v[77:78], v[79:80]
	buffer_store_dword v2, off, s[0:3], 0 offset:276
	buffer_store_dword v1, off, s[0:3], 0 offset:272
	buffer_store_dword v4, off, s[0:3], 0 offset:284
	buffer_store_dword v3, off, s[0:3], 0 offset:280
.LBB34_139:
	s_or_b32 exec_lo, exec_lo, s8
	v_mov_b32_e32 v4, s25
	v_cmp_lt_u32_e64 s5, 16, v0
	s_clause 0x3
	buffer_load_dword v1, v4, s[0:3], 0 offen
	buffer_load_dword v2, v4, s[0:3], 0 offen offset:4
	buffer_load_dword v3, v4, s[0:3], 0 offen offset:8
	;; [unrolled: 1-line block ×3, first 2 shown]
	s_waitcnt vmcnt(0)
	ds_write_b128 v76, v[1:4]
	s_waitcnt lgkmcnt(0)
	s_waitcnt_vscnt null, 0x0
	s_barrier
	buffer_gl0_inv
	s_and_saveexec_b32 s8, s5
	s_cbranch_execz .LBB34_147
; %bb.140:
	ds_read_b128 v[1:4], v76
	s_andn2_b32 vcc_lo, exec_lo, s42
	s_cbranch_vccnz .LBB34_142
; %bb.141:
	s_clause 0x3
	buffer_load_dword v77, v75, s[0:3], 0 offen offset:8
	buffer_load_dword v78, v75, s[0:3], 0 offen offset:12
	buffer_load_dword v79, v75, s[0:3], 0 offen
	buffer_load_dword v80, v75, s[0:3], 0 offen offset:4
	s_waitcnt vmcnt(2) lgkmcnt(0)
	v_mul_f64 v[82:83], v[3:4], v[77:78]
	v_mul_f64 v[77:78], v[1:2], v[77:78]
	s_waitcnt vmcnt(0)
	v_fma_f64 v[1:2], v[1:2], v[79:80], -v[82:83]
	v_fma_f64 v[3:4], v[3:4], v[79:80], v[77:78]
.LBB34_142:
	s_and_saveexec_b32 s43, s4
	s_cbranch_execz .LBB34_146
; %bb.143:
	v_subrev_nc_u32_e32 v77, 17, v0
	s_movk_i32 s44, 0x340
	s_mov_b32 s4, 0
	s_mov_b32 s45, s24
	.p2align	6
.LBB34_144:                             ; =>This Inner Loop Header: Depth=1
	v_mov_b32_e32 v80, s45
	v_add_nc_u32_e32 v77, -1, v77
	s_add_i32 s45, s45, 16
	s_clause 0x3
	buffer_load_dword v78, v80, s[0:3], 0 offen offset:8
	buffer_load_dword v79, v80, s[0:3], 0 offen offset:12
	buffer_load_dword v86, v80, s[0:3], 0 offen
	buffer_load_dword v87, v80, s[0:3], 0 offen offset:4
	v_mov_b32_e32 v80, s44
	v_cmp_eq_u32_e32 vcc_lo, 0, v77
	s_add_i32 s44, s44, 16
	ds_read_b128 v[82:85], v80
	s_or_b32 s4, vcc_lo, s4
	s_waitcnt vmcnt(2) lgkmcnt(0)
	v_mul_f64 v[88:89], v[84:85], v[78:79]
	v_mul_f64 v[78:79], v[82:83], v[78:79]
	s_waitcnt vmcnt(0)
	v_fma_f64 v[82:83], v[82:83], v[86:87], -v[88:89]
	v_fma_f64 v[78:79], v[84:85], v[86:87], v[78:79]
	v_add_f64 v[1:2], v[1:2], v[82:83]
	v_add_f64 v[3:4], v[3:4], v[78:79]
	s_andn2_b32 exec_lo, exec_lo, s4
	s_cbranch_execnz .LBB34_144
; %bb.145:
	s_or_b32 exec_lo, exec_lo, s4
.LBB34_146:
	s_or_b32 exec_lo, exec_lo, s43
	v_mov_b32_e32 v77, 0
	ds_read_b128 v[77:80], v77 offset:256
	s_waitcnt lgkmcnt(0)
	v_mul_f64 v[82:83], v[3:4], v[79:80]
	v_mul_f64 v[79:80], v[1:2], v[79:80]
	v_fma_f64 v[1:2], v[1:2], v[77:78], -v[82:83]
	v_fma_f64 v[3:4], v[3:4], v[77:78], v[79:80]
	buffer_store_dword v2, off, s[0:3], 0 offset:260
	buffer_store_dword v1, off, s[0:3], 0 offset:256
	;; [unrolled: 1-line block ×4, first 2 shown]
.LBB34_147:
	s_or_b32 exec_lo, exec_lo, s8
	v_mov_b32_e32 v4, s26
	v_cmp_lt_u32_e64 s4, 15, v0
	s_clause 0x3
	buffer_load_dword v1, v4, s[0:3], 0 offen
	buffer_load_dword v2, v4, s[0:3], 0 offen offset:4
	buffer_load_dword v3, v4, s[0:3], 0 offen offset:8
	;; [unrolled: 1-line block ×3, first 2 shown]
	s_waitcnt vmcnt(0)
	ds_write_b128 v76, v[1:4]
	s_waitcnt lgkmcnt(0)
	s_waitcnt_vscnt null, 0x0
	s_barrier
	buffer_gl0_inv
	s_and_saveexec_b32 s8, s4
	s_cbranch_execz .LBB34_155
; %bb.148:
	ds_read_b128 v[1:4], v76
	s_andn2_b32 vcc_lo, exec_lo, s42
	s_cbranch_vccnz .LBB34_150
; %bb.149:
	s_clause 0x3
	buffer_load_dword v77, v75, s[0:3], 0 offen offset:8
	buffer_load_dword v78, v75, s[0:3], 0 offen offset:12
	buffer_load_dword v79, v75, s[0:3], 0 offen
	buffer_load_dword v80, v75, s[0:3], 0 offen offset:4
	s_waitcnt vmcnt(2) lgkmcnt(0)
	v_mul_f64 v[82:83], v[3:4], v[77:78]
	v_mul_f64 v[77:78], v[1:2], v[77:78]
	s_waitcnt vmcnt(0)
	v_fma_f64 v[1:2], v[1:2], v[79:80], -v[82:83]
	v_fma_f64 v[3:4], v[3:4], v[79:80], v[77:78]
.LBB34_150:
	s_and_saveexec_b32 s43, s5
	s_cbranch_execz .LBB34_154
; %bb.151:
	v_add_nc_u32_e32 v77, -16, v0
	s_movk_i32 s44, 0x330
	s_mov_b32 s5, 0
	s_mov_b32 s45, s25
	.p2align	6
.LBB34_152:                             ; =>This Inner Loop Header: Depth=1
	v_mov_b32_e32 v80, s45
	v_add_nc_u32_e32 v77, -1, v77
	s_add_i32 s45, s45, 16
	s_clause 0x3
	buffer_load_dword v78, v80, s[0:3], 0 offen offset:8
	buffer_load_dword v79, v80, s[0:3], 0 offen offset:12
	buffer_load_dword v86, v80, s[0:3], 0 offen
	buffer_load_dword v87, v80, s[0:3], 0 offen offset:4
	v_mov_b32_e32 v80, s44
	v_cmp_eq_u32_e32 vcc_lo, 0, v77
	s_add_i32 s44, s44, 16
	ds_read_b128 v[82:85], v80
	s_or_b32 s5, vcc_lo, s5
	s_waitcnt vmcnt(2) lgkmcnt(0)
	v_mul_f64 v[88:89], v[84:85], v[78:79]
	v_mul_f64 v[78:79], v[82:83], v[78:79]
	s_waitcnt vmcnt(0)
	v_fma_f64 v[82:83], v[82:83], v[86:87], -v[88:89]
	v_fma_f64 v[78:79], v[84:85], v[86:87], v[78:79]
	v_add_f64 v[1:2], v[1:2], v[82:83]
	v_add_f64 v[3:4], v[3:4], v[78:79]
	s_andn2_b32 exec_lo, exec_lo, s5
	s_cbranch_execnz .LBB34_152
; %bb.153:
	s_or_b32 exec_lo, exec_lo, s5
.LBB34_154:
	s_or_b32 exec_lo, exec_lo, s43
	v_mov_b32_e32 v77, 0
	ds_read_b128 v[77:80], v77 offset:240
	s_waitcnt lgkmcnt(0)
	v_mul_f64 v[82:83], v[3:4], v[79:80]
	v_mul_f64 v[79:80], v[1:2], v[79:80]
	v_fma_f64 v[1:2], v[1:2], v[77:78], -v[82:83]
	v_fma_f64 v[3:4], v[3:4], v[77:78], v[79:80]
	buffer_store_dword v2, off, s[0:3], 0 offset:244
	buffer_store_dword v1, off, s[0:3], 0 offset:240
	;; [unrolled: 1-line block ×4, first 2 shown]
.LBB34_155:
	s_or_b32 exec_lo, exec_lo, s8
	v_mov_b32_e32 v4, s27
	v_cmp_lt_u32_e64 s5, 14, v0
	s_clause 0x3
	buffer_load_dword v1, v4, s[0:3], 0 offen
	buffer_load_dword v2, v4, s[0:3], 0 offen offset:4
	buffer_load_dword v3, v4, s[0:3], 0 offen offset:8
	;; [unrolled: 1-line block ×3, first 2 shown]
	s_waitcnt vmcnt(0)
	ds_write_b128 v76, v[1:4]
	s_waitcnt lgkmcnt(0)
	s_waitcnt_vscnt null, 0x0
	s_barrier
	buffer_gl0_inv
	s_and_saveexec_b32 s8, s5
	s_cbranch_execz .LBB34_163
; %bb.156:
	ds_read_b128 v[1:4], v76
	s_andn2_b32 vcc_lo, exec_lo, s42
	s_cbranch_vccnz .LBB34_158
; %bb.157:
	s_clause 0x3
	buffer_load_dword v77, v75, s[0:3], 0 offen offset:8
	buffer_load_dword v78, v75, s[0:3], 0 offen offset:12
	buffer_load_dword v79, v75, s[0:3], 0 offen
	buffer_load_dword v80, v75, s[0:3], 0 offen offset:4
	s_waitcnt vmcnt(2) lgkmcnt(0)
	v_mul_f64 v[82:83], v[3:4], v[77:78]
	v_mul_f64 v[77:78], v[1:2], v[77:78]
	s_waitcnt vmcnt(0)
	v_fma_f64 v[1:2], v[1:2], v[79:80], -v[82:83]
	v_fma_f64 v[3:4], v[3:4], v[79:80], v[77:78]
.LBB34_158:
	s_and_saveexec_b32 s43, s4
	s_cbranch_execz .LBB34_162
; %bb.159:
	v_add_nc_u32_e32 v77, -15, v0
	s_movk_i32 s44, 0x320
	s_mov_b32 s4, 0
	s_mov_b32 s45, s26
	.p2align	6
.LBB34_160:                             ; =>This Inner Loop Header: Depth=1
	v_mov_b32_e32 v80, s45
	v_add_nc_u32_e32 v77, -1, v77
	s_add_i32 s45, s45, 16
	s_clause 0x3
	buffer_load_dword v78, v80, s[0:3], 0 offen offset:8
	buffer_load_dword v79, v80, s[0:3], 0 offen offset:12
	buffer_load_dword v86, v80, s[0:3], 0 offen
	buffer_load_dword v87, v80, s[0:3], 0 offen offset:4
	v_mov_b32_e32 v80, s44
	v_cmp_eq_u32_e32 vcc_lo, 0, v77
	s_add_i32 s44, s44, 16
	ds_read_b128 v[82:85], v80
	s_or_b32 s4, vcc_lo, s4
	s_waitcnt vmcnt(2) lgkmcnt(0)
	v_mul_f64 v[88:89], v[84:85], v[78:79]
	v_mul_f64 v[78:79], v[82:83], v[78:79]
	s_waitcnt vmcnt(0)
	v_fma_f64 v[82:83], v[82:83], v[86:87], -v[88:89]
	v_fma_f64 v[78:79], v[84:85], v[86:87], v[78:79]
	v_add_f64 v[1:2], v[1:2], v[82:83]
	v_add_f64 v[3:4], v[3:4], v[78:79]
	s_andn2_b32 exec_lo, exec_lo, s4
	s_cbranch_execnz .LBB34_160
; %bb.161:
	s_or_b32 exec_lo, exec_lo, s4
.LBB34_162:
	s_or_b32 exec_lo, exec_lo, s43
	v_mov_b32_e32 v77, 0
	ds_read_b128 v[77:80], v77 offset:224
	s_waitcnt lgkmcnt(0)
	v_mul_f64 v[82:83], v[3:4], v[79:80]
	v_mul_f64 v[79:80], v[1:2], v[79:80]
	v_fma_f64 v[1:2], v[1:2], v[77:78], -v[82:83]
	v_fma_f64 v[3:4], v[3:4], v[77:78], v[79:80]
	buffer_store_dword v2, off, s[0:3], 0 offset:228
	buffer_store_dword v1, off, s[0:3], 0 offset:224
	;; [unrolled: 1-line block ×4, first 2 shown]
.LBB34_163:
	s_or_b32 exec_lo, exec_lo, s8
	v_mov_b32_e32 v4, s28
	v_cmp_lt_u32_e64 s4, 13, v0
	s_clause 0x3
	buffer_load_dword v1, v4, s[0:3], 0 offen
	buffer_load_dword v2, v4, s[0:3], 0 offen offset:4
	buffer_load_dword v3, v4, s[0:3], 0 offen offset:8
	;; [unrolled: 1-line block ×3, first 2 shown]
	s_waitcnt vmcnt(0)
	ds_write_b128 v76, v[1:4]
	s_waitcnt lgkmcnt(0)
	s_waitcnt_vscnt null, 0x0
	s_barrier
	buffer_gl0_inv
	s_and_saveexec_b32 s8, s4
	s_cbranch_execz .LBB34_171
; %bb.164:
	ds_read_b128 v[1:4], v76
	s_andn2_b32 vcc_lo, exec_lo, s42
	s_cbranch_vccnz .LBB34_166
; %bb.165:
	s_clause 0x3
	buffer_load_dword v77, v75, s[0:3], 0 offen offset:8
	buffer_load_dword v78, v75, s[0:3], 0 offen offset:12
	buffer_load_dword v79, v75, s[0:3], 0 offen
	buffer_load_dword v80, v75, s[0:3], 0 offen offset:4
	s_waitcnt vmcnt(2) lgkmcnt(0)
	v_mul_f64 v[82:83], v[3:4], v[77:78]
	v_mul_f64 v[77:78], v[1:2], v[77:78]
	s_waitcnt vmcnt(0)
	v_fma_f64 v[1:2], v[1:2], v[79:80], -v[82:83]
	v_fma_f64 v[3:4], v[3:4], v[79:80], v[77:78]
.LBB34_166:
	s_and_saveexec_b32 s43, s5
	s_cbranch_execz .LBB34_170
; %bb.167:
	v_add_nc_u32_e32 v77, -14, v0
	s_movk_i32 s44, 0x310
	s_mov_b32 s5, 0
	s_mov_b32 s45, s27
	.p2align	6
.LBB34_168:                             ; =>This Inner Loop Header: Depth=1
	v_mov_b32_e32 v80, s45
	v_add_nc_u32_e32 v77, -1, v77
	s_add_i32 s45, s45, 16
	s_clause 0x3
	buffer_load_dword v78, v80, s[0:3], 0 offen offset:8
	buffer_load_dword v79, v80, s[0:3], 0 offen offset:12
	buffer_load_dword v86, v80, s[0:3], 0 offen
	buffer_load_dword v87, v80, s[0:3], 0 offen offset:4
	v_mov_b32_e32 v80, s44
	v_cmp_eq_u32_e32 vcc_lo, 0, v77
	s_add_i32 s44, s44, 16
	ds_read_b128 v[82:85], v80
	s_or_b32 s5, vcc_lo, s5
	s_waitcnt vmcnt(2) lgkmcnt(0)
	v_mul_f64 v[88:89], v[84:85], v[78:79]
	v_mul_f64 v[78:79], v[82:83], v[78:79]
	s_waitcnt vmcnt(0)
	v_fma_f64 v[82:83], v[82:83], v[86:87], -v[88:89]
	v_fma_f64 v[78:79], v[84:85], v[86:87], v[78:79]
	v_add_f64 v[1:2], v[1:2], v[82:83]
	v_add_f64 v[3:4], v[3:4], v[78:79]
	s_andn2_b32 exec_lo, exec_lo, s5
	s_cbranch_execnz .LBB34_168
; %bb.169:
	s_or_b32 exec_lo, exec_lo, s5
.LBB34_170:
	s_or_b32 exec_lo, exec_lo, s43
	v_mov_b32_e32 v77, 0
	ds_read_b128 v[77:80], v77 offset:208
	s_waitcnt lgkmcnt(0)
	v_mul_f64 v[82:83], v[3:4], v[79:80]
	v_mul_f64 v[79:80], v[1:2], v[79:80]
	v_fma_f64 v[1:2], v[1:2], v[77:78], -v[82:83]
	v_fma_f64 v[3:4], v[3:4], v[77:78], v[79:80]
	buffer_store_dword v2, off, s[0:3], 0 offset:212
	buffer_store_dword v1, off, s[0:3], 0 offset:208
	;; [unrolled: 1-line block ×4, first 2 shown]
.LBB34_171:
	s_or_b32 exec_lo, exec_lo, s8
	v_mov_b32_e32 v4, s29
	v_cmp_lt_u32_e64 s5, 12, v0
	s_clause 0x3
	buffer_load_dword v1, v4, s[0:3], 0 offen
	buffer_load_dword v2, v4, s[0:3], 0 offen offset:4
	buffer_load_dword v3, v4, s[0:3], 0 offen offset:8
	;; [unrolled: 1-line block ×3, first 2 shown]
	s_waitcnt vmcnt(0)
	ds_write_b128 v76, v[1:4]
	s_waitcnt lgkmcnt(0)
	s_waitcnt_vscnt null, 0x0
	s_barrier
	buffer_gl0_inv
	s_and_saveexec_b32 s8, s5
	s_cbranch_execz .LBB34_179
; %bb.172:
	ds_read_b128 v[1:4], v76
	s_andn2_b32 vcc_lo, exec_lo, s42
	s_cbranch_vccnz .LBB34_174
; %bb.173:
	s_clause 0x3
	buffer_load_dword v77, v75, s[0:3], 0 offen offset:8
	buffer_load_dword v78, v75, s[0:3], 0 offen offset:12
	buffer_load_dword v79, v75, s[0:3], 0 offen
	buffer_load_dword v80, v75, s[0:3], 0 offen offset:4
	s_waitcnt vmcnt(2) lgkmcnt(0)
	v_mul_f64 v[82:83], v[3:4], v[77:78]
	v_mul_f64 v[77:78], v[1:2], v[77:78]
	s_waitcnt vmcnt(0)
	v_fma_f64 v[1:2], v[1:2], v[79:80], -v[82:83]
	v_fma_f64 v[3:4], v[3:4], v[79:80], v[77:78]
.LBB34_174:
	s_and_saveexec_b32 s43, s4
	s_cbranch_execz .LBB34_178
; %bb.175:
	v_add_nc_u32_e32 v77, -13, v0
	s_movk_i32 s44, 0x300
	s_mov_b32 s4, 0
	s_mov_b32 s45, s28
	.p2align	6
.LBB34_176:                             ; =>This Inner Loop Header: Depth=1
	v_mov_b32_e32 v80, s45
	v_add_nc_u32_e32 v77, -1, v77
	s_add_i32 s45, s45, 16
	s_clause 0x3
	buffer_load_dword v78, v80, s[0:3], 0 offen offset:8
	buffer_load_dword v79, v80, s[0:3], 0 offen offset:12
	buffer_load_dword v86, v80, s[0:3], 0 offen
	buffer_load_dword v87, v80, s[0:3], 0 offen offset:4
	v_mov_b32_e32 v80, s44
	v_cmp_eq_u32_e32 vcc_lo, 0, v77
	s_add_i32 s44, s44, 16
	ds_read_b128 v[82:85], v80
	s_or_b32 s4, vcc_lo, s4
	s_waitcnt vmcnt(2) lgkmcnt(0)
	v_mul_f64 v[88:89], v[84:85], v[78:79]
	v_mul_f64 v[78:79], v[82:83], v[78:79]
	s_waitcnt vmcnt(0)
	v_fma_f64 v[82:83], v[82:83], v[86:87], -v[88:89]
	v_fma_f64 v[78:79], v[84:85], v[86:87], v[78:79]
	v_add_f64 v[1:2], v[1:2], v[82:83]
	v_add_f64 v[3:4], v[3:4], v[78:79]
	s_andn2_b32 exec_lo, exec_lo, s4
	s_cbranch_execnz .LBB34_176
; %bb.177:
	s_or_b32 exec_lo, exec_lo, s4
.LBB34_178:
	s_or_b32 exec_lo, exec_lo, s43
	v_mov_b32_e32 v77, 0
	ds_read_b128 v[77:80], v77 offset:192
	s_waitcnt lgkmcnt(0)
	v_mul_f64 v[82:83], v[3:4], v[79:80]
	v_mul_f64 v[79:80], v[1:2], v[79:80]
	v_fma_f64 v[1:2], v[1:2], v[77:78], -v[82:83]
	v_fma_f64 v[3:4], v[3:4], v[77:78], v[79:80]
	buffer_store_dword v2, off, s[0:3], 0 offset:196
	buffer_store_dword v1, off, s[0:3], 0 offset:192
	;; [unrolled: 1-line block ×4, first 2 shown]
.LBB34_179:
	s_or_b32 exec_lo, exec_lo, s8
	v_mov_b32_e32 v4, s30
	v_cmp_lt_u32_e64 s4, 11, v0
	s_clause 0x3
	buffer_load_dword v1, v4, s[0:3], 0 offen
	buffer_load_dword v2, v4, s[0:3], 0 offen offset:4
	buffer_load_dword v3, v4, s[0:3], 0 offen offset:8
	;; [unrolled: 1-line block ×3, first 2 shown]
	s_waitcnt vmcnt(0)
	ds_write_b128 v76, v[1:4]
	s_waitcnt lgkmcnt(0)
	s_waitcnt_vscnt null, 0x0
	s_barrier
	buffer_gl0_inv
	s_and_saveexec_b32 s8, s4
	s_cbranch_execz .LBB34_187
; %bb.180:
	ds_read_b128 v[1:4], v76
	s_andn2_b32 vcc_lo, exec_lo, s42
	s_cbranch_vccnz .LBB34_182
; %bb.181:
	s_clause 0x3
	buffer_load_dword v77, v75, s[0:3], 0 offen offset:8
	buffer_load_dword v78, v75, s[0:3], 0 offen offset:12
	buffer_load_dword v79, v75, s[0:3], 0 offen
	buffer_load_dword v80, v75, s[0:3], 0 offen offset:4
	s_waitcnt vmcnt(2) lgkmcnt(0)
	v_mul_f64 v[82:83], v[3:4], v[77:78]
	v_mul_f64 v[77:78], v[1:2], v[77:78]
	s_waitcnt vmcnt(0)
	v_fma_f64 v[1:2], v[1:2], v[79:80], -v[82:83]
	v_fma_f64 v[3:4], v[3:4], v[79:80], v[77:78]
.LBB34_182:
	s_and_saveexec_b32 s43, s5
	s_cbranch_execz .LBB34_186
; %bb.183:
	v_add_nc_u32_e32 v77, -12, v0
	s_movk_i32 s44, 0x2f0
	s_mov_b32 s5, 0
	s_mov_b32 s45, s29
	.p2align	6
.LBB34_184:                             ; =>This Inner Loop Header: Depth=1
	v_mov_b32_e32 v80, s45
	v_add_nc_u32_e32 v77, -1, v77
	s_add_i32 s45, s45, 16
	s_clause 0x3
	buffer_load_dword v78, v80, s[0:3], 0 offen offset:8
	buffer_load_dword v79, v80, s[0:3], 0 offen offset:12
	buffer_load_dword v86, v80, s[0:3], 0 offen
	buffer_load_dword v87, v80, s[0:3], 0 offen offset:4
	v_mov_b32_e32 v80, s44
	v_cmp_eq_u32_e32 vcc_lo, 0, v77
	s_add_i32 s44, s44, 16
	ds_read_b128 v[82:85], v80
	s_or_b32 s5, vcc_lo, s5
	s_waitcnt vmcnt(2) lgkmcnt(0)
	v_mul_f64 v[88:89], v[84:85], v[78:79]
	v_mul_f64 v[78:79], v[82:83], v[78:79]
	s_waitcnt vmcnt(0)
	v_fma_f64 v[82:83], v[82:83], v[86:87], -v[88:89]
	v_fma_f64 v[78:79], v[84:85], v[86:87], v[78:79]
	v_add_f64 v[1:2], v[1:2], v[82:83]
	v_add_f64 v[3:4], v[3:4], v[78:79]
	s_andn2_b32 exec_lo, exec_lo, s5
	s_cbranch_execnz .LBB34_184
; %bb.185:
	s_or_b32 exec_lo, exec_lo, s5
.LBB34_186:
	s_or_b32 exec_lo, exec_lo, s43
	v_mov_b32_e32 v77, 0
	ds_read_b128 v[77:80], v77 offset:176
	s_waitcnt lgkmcnt(0)
	v_mul_f64 v[82:83], v[3:4], v[79:80]
	v_mul_f64 v[79:80], v[1:2], v[79:80]
	v_fma_f64 v[1:2], v[1:2], v[77:78], -v[82:83]
	v_fma_f64 v[3:4], v[3:4], v[77:78], v[79:80]
	buffer_store_dword v2, off, s[0:3], 0 offset:180
	buffer_store_dword v1, off, s[0:3], 0 offset:176
	;; [unrolled: 1-line block ×4, first 2 shown]
.LBB34_187:
	s_or_b32 exec_lo, exec_lo, s8
	v_mov_b32_e32 v4, s31
	v_cmp_lt_u32_e64 s5, 10, v0
	s_clause 0x3
	buffer_load_dword v1, v4, s[0:3], 0 offen
	buffer_load_dword v2, v4, s[0:3], 0 offen offset:4
	buffer_load_dword v3, v4, s[0:3], 0 offen offset:8
	;; [unrolled: 1-line block ×3, first 2 shown]
	s_waitcnt vmcnt(0)
	ds_write_b128 v76, v[1:4]
	s_waitcnt lgkmcnt(0)
	s_waitcnt_vscnt null, 0x0
	s_barrier
	buffer_gl0_inv
	s_and_saveexec_b32 s8, s5
	s_cbranch_execz .LBB34_195
; %bb.188:
	ds_read_b128 v[1:4], v76
	s_andn2_b32 vcc_lo, exec_lo, s42
	s_cbranch_vccnz .LBB34_190
; %bb.189:
	s_clause 0x3
	buffer_load_dword v77, v75, s[0:3], 0 offen offset:8
	buffer_load_dword v78, v75, s[0:3], 0 offen offset:12
	buffer_load_dword v79, v75, s[0:3], 0 offen
	buffer_load_dword v80, v75, s[0:3], 0 offen offset:4
	s_waitcnt vmcnt(2) lgkmcnt(0)
	v_mul_f64 v[82:83], v[3:4], v[77:78]
	v_mul_f64 v[77:78], v[1:2], v[77:78]
	s_waitcnt vmcnt(0)
	v_fma_f64 v[1:2], v[1:2], v[79:80], -v[82:83]
	v_fma_f64 v[3:4], v[3:4], v[79:80], v[77:78]
.LBB34_190:
	s_and_saveexec_b32 s43, s4
	s_cbranch_execz .LBB34_194
; %bb.191:
	v_add_nc_u32_e32 v77, -11, v0
	s_movk_i32 s44, 0x2e0
	s_mov_b32 s4, 0
	s_mov_b32 s45, s30
	.p2align	6
.LBB34_192:                             ; =>This Inner Loop Header: Depth=1
	v_mov_b32_e32 v80, s45
	v_add_nc_u32_e32 v77, -1, v77
	s_add_i32 s45, s45, 16
	s_clause 0x3
	buffer_load_dword v78, v80, s[0:3], 0 offen offset:8
	buffer_load_dword v79, v80, s[0:3], 0 offen offset:12
	buffer_load_dword v86, v80, s[0:3], 0 offen
	buffer_load_dword v87, v80, s[0:3], 0 offen offset:4
	v_mov_b32_e32 v80, s44
	v_cmp_eq_u32_e32 vcc_lo, 0, v77
	s_add_i32 s44, s44, 16
	ds_read_b128 v[82:85], v80
	s_or_b32 s4, vcc_lo, s4
	s_waitcnt vmcnt(2) lgkmcnt(0)
	v_mul_f64 v[88:89], v[84:85], v[78:79]
	v_mul_f64 v[78:79], v[82:83], v[78:79]
	s_waitcnt vmcnt(0)
	v_fma_f64 v[82:83], v[82:83], v[86:87], -v[88:89]
	v_fma_f64 v[78:79], v[84:85], v[86:87], v[78:79]
	v_add_f64 v[1:2], v[1:2], v[82:83]
	v_add_f64 v[3:4], v[3:4], v[78:79]
	s_andn2_b32 exec_lo, exec_lo, s4
	s_cbranch_execnz .LBB34_192
; %bb.193:
	s_or_b32 exec_lo, exec_lo, s4
.LBB34_194:
	s_or_b32 exec_lo, exec_lo, s43
	v_mov_b32_e32 v77, 0
	ds_read_b128 v[77:80], v77 offset:160
	s_waitcnt lgkmcnt(0)
	v_mul_f64 v[82:83], v[3:4], v[79:80]
	v_mul_f64 v[79:80], v[1:2], v[79:80]
	v_fma_f64 v[1:2], v[1:2], v[77:78], -v[82:83]
	v_fma_f64 v[3:4], v[3:4], v[77:78], v[79:80]
	buffer_store_dword v2, off, s[0:3], 0 offset:164
	buffer_store_dword v1, off, s[0:3], 0 offset:160
	;; [unrolled: 1-line block ×4, first 2 shown]
.LBB34_195:
	s_or_b32 exec_lo, exec_lo, s8
	v_mov_b32_e32 v4, s33
	v_cmp_lt_u32_e64 s4, 9, v0
	s_clause 0x3
	buffer_load_dword v1, v4, s[0:3], 0 offen
	buffer_load_dword v2, v4, s[0:3], 0 offen offset:4
	buffer_load_dword v3, v4, s[0:3], 0 offen offset:8
	;; [unrolled: 1-line block ×3, first 2 shown]
	s_waitcnt vmcnt(0)
	ds_write_b128 v76, v[1:4]
	s_waitcnt lgkmcnt(0)
	s_waitcnt_vscnt null, 0x0
	s_barrier
	buffer_gl0_inv
	s_and_saveexec_b32 s8, s4
	s_cbranch_execz .LBB34_203
; %bb.196:
	ds_read_b128 v[1:4], v76
	s_andn2_b32 vcc_lo, exec_lo, s42
	s_cbranch_vccnz .LBB34_198
; %bb.197:
	s_clause 0x3
	buffer_load_dword v77, v75, s[0:3], 0 offen offset:8
	buffer_load_dword v78, v75, s[0:3], 0 offen offset:12
	buffer_load_dword v79, v75, s[0:3], 0 offen
	buffer_load_dword v80, v75, s[0:3], 0 offen offset:4
	s_waitcnt vmcnt(2) lgkmcnt(0)
	v_mul_f64 v[82:83], v[3:4], v[77:78]
	v_mul_f64 v[77:78], v[1:2], v[77:78]
	s_waitcnt vmcnt(0)
	v_fma_f64 v[1:2], v[1:2], v[79:80], -v[82:83]
	v_fma_f64 v[3:4], v[3:4], v[79:80], v[77:78]
.LBB34_198:
	s_and_saveexec_b32 s43, s5
	s_cbranch_execz .LBB34_202
; %bb.199:
	v_add_nc_u32_e32 v77, -10, v0
	s_movk_i32 s44, 0x2d0
	s_mov_b32 s5, 0
	s_mov_b32 s45, s31
	.p2align	6
.LBB34_200:                             ; =>This Inner Loop Header: Depth=1
	v_mov_b32_e32 v80, s45
	v_add_nc_u32_e32 v77, -1, v77
	s_add_i32 s45, s45, 16
	s_clause 0x3
	buffer_load_dword v78, v80, s[0:3], 0 offen offset:8
	buffer_load_dword v79, v80, s[0:3], 0 offen offset:12
	buffer_load_dword v86, v80, s[0:3], 0 offen
	buffer_load_dword v87, v80, s[0:3], 0 offen offset:4
	v_mov_b32_e32 v80, s44
	v_cmp_eq_u32_e32 vcc_lo, 0, v77
	s_add_i32 s44, s44, 16
	ds_read_b128 v[82:85], v80
	s_or_b32 s5, vcc_lo, s5
	s_waitcnt vmcnt(2) lgkmcnt(0)
	v_mul_f64 v[88:89], v[84:85], v[78:79]
	v_mul_f64 v[78:79], v[82:83], v[78:79]
	s_waitcnt vmcnt(0)
	v_fma_f64 v[82:83], v[82:83], v[86:87], -v[88:89]
	v_fma_f64 v[78:79], v[84:85], v[86:87], v[78:79]
	v_add_f64 v[1:2], v[1:2], v[82:83]
	v_add_f64 v[3:4], v[3:4], v[78:79]
	s_andn2_b32 exec_lo, exec_lo, s5
	s_cbranch_execnz .LBB34_200
; %bb.201:
	s_or_b32 exec_lo, exec_lo, s5
.LBB34_202:
	s_or_b32 exec_lo, exec_lo, s43
	v_mov_b32_e32 v77, 0
	ds_read_b128 v[77:80], v77 offset:144
	s_waitcnt lgkmcnt(0)
	v_mul_f64 v[82:83], v[3:4], v[79:80]
	v_mul_f64 v[79:80], v[1:2], v[79:80]
	v_fma_f64 v[1:2], v[1:2], v[77:78], -v[82:83]
	v_fma_f64 v[3:4], v[3:4], v[77:78], v[79:80]
	buffer_store_dword v2, off, s[0:3], 0 offset:148
	buffer_store_dword v1, off, s[0:3], 0 offset:144
	;; [unrolled: 1-line block ×4, first 2 shown]
.LBB34_203:
	s_or_b32 exec_lo, exec_lo, s8
	v_mov_b32_e32 v4, s34
	v_cmp_lt_u32_e64 s5, 8, v0
	s_clause 0x3
	buffer_load_dword v1, v4, s[0:3], 0 offen
	buffer_load_dword v2, v4, s[0:3], 0 offen offset:4
	buffer_load_dword v3, v4, s[0:3], 0 offen offset:8
	buffer_load_dword v4, v4, s[0:3], 0 offen offset:12
	s_waitcnt vmcnt(0)
	ds_write_b128 v76, v[1:4]
	s_waitcnt lgkmcnt(0)
	s_waitcnt_vscnt null, 0x0
	s_barrier
	buffer_gl0_inv
	s_and_saveexec_b32 s8, s5
	s_cbranch_execz .LBB34_211
; %bb.204:
	ds_read_b128 v[1:4], v76
	s_andn2_b32 vcc_lo, exec_lo, s42
	s_cbranch_vccnz .LBB34_206
; %bb.205:
	s_clause 0x3
	buffer_load_dword v77, v75, s[0:3], 0 offen offset:8
	buffer_load_dword v78, v75, s[0:3], 0 offen offset:12
	buffer_load_dword v79, v75, s[0:3], 0 offen
	buffer_load_dword v80, v75, s[0:3], 0 offen offset:4
	s_waitcnt vmcnt(2) lgkmcnt(0)
	v_mul_f64 v[82:83], v[3:4], v[77:78]
	v_mul_f64 v[77:78], v[1:2], v[77:78]
	s_waitcnt vmcnt(0)
	v_fma_f64 v[1:2], v[1:2], v[79:80], -v[82:83]
	v_fma_f64 v[3:4], v[3:4], v[79:80], v[77:78]
.LBB34_206:
	s_and_saveexec_b32 s43, s4
	s_cbranch_execz .LBB34_210
; %bb.207:
	v_add_nc_u32_e32 v77, -9, v0
	s_movk_i32 s44, 0x2c0
	s_mov_b32 s4, 0
	s_mov_b32 s45, s33
	.p2align	6
.LBB34_208:                             ; =>This Inner Loop Header: Depth=1
	v_mov_b32_e32 v80, s45
	v_add_nc_u32_e32 v77, -1, v77
	s_add_i32 s45, s45, 16
	s_clause 0x3
	buffer_load_dword v78, v80, s[0:3], 0 offen offset:8
	buffer_load_dword v79, v80, s[0:3], 0 offen offset:12
	buffer_load_dword v86, v80, s[0:3], 0 offen
	buffer_load_dword v87, v80, s[0:3], 0 offen offset:4
	v_mov_b32_e32 v80, s44
	v_cmp_eq_u32_e32 vcc_lo, 0, v77
	s_add_i32 s44, s44, 16
	ds_read_b128 v[82:85], v80
	s_or_b32 s4, vcc_lo, s4
	s_waitcnt vmcnt(2) lgkmcnt(0)
	v_mul_f64 v[88:89], v[84:85], v[78:79]
	v_mul_f64 v[78:79], v[82:83], v[78:79]
	s_waitcnt vmcnt(0)
	v_fma_f64 v[82:83], v[82:83], v[86:87], -v[88:89]
	v_fma_f64 v[78:79], v[84:85], v[86:87], v[78:79]
	v_add_f64 v[1:2], v[1:2], v[82:83]
	v_add_f64 v[3:4], v[3:4], v[78:79]
	s_andn2_b32 exec_lo, exec_lo, s4
	s_cbranch_execnz .LBB34_208
; %bb.209:
	s_or_b32 exec_lo, exec_lo, s4
.LBB34_210:
	s_or_b32 exec_lo, exec_lo, s43
	v_mov_b32_e32 v77, 0
	ds_read_b128 v[77:80], v77 offset:128
	s_waitcnt lgkmcnt(0)
	v_mul_f64 v[82:83], v[3:4], v[79:80]
	v_mul_f64 v[79:80], v[1:2], v[79:80]
	v_fma_f64 v[1:2], v[1:2], v[77:78], -v[82:83]
	v_fma_f64 v[3:4], v[3:4], v[77:78], v[79:80]
	buffer_store_dword v2, off, s[0:3], 0 offset:132
	buffer_store_dword v1, off, s[0:3], 0 offset:128
	;; [unrolled: 1-line block ×4, first 2 shown]
.LBB34_211:
	s_or_b32 exec_lo, exec_lo, s8
	v_mov_b32_e32 v4, s35
	v_cmp_lt_u32_e64 s4, 7, v0
	s_clause 0x3
	buffer_load_dword v1, v4, s[0:3], 0 offen
	buffer_load_dword v2, v4, s[0:3], 0 offen offset:4
	buffer_load_dword v3, v4, s[0:3], 0 offen offset:8
	buffer_load_dword v4, v4, s[0:3], 0 offen offset:12
	s_waitcnt vmcnt(0)
	ds_write_b128 v76, v[1:4]
	s_waitcnt lgkmcnt(0)
	s_waitcnt_vscnt null, 0x0
	s_barrier
	buffer_gl0_inv
	s_and_saveexec_b32 s8, s4
	s_cbranch_execz .LBB34_219
; %bb.212:
	ds_read_b128 v[1:4], v76
	s_andn2_b32 vcc_lo, exec_lo, s42
	s_cbranch_vccnz .LBB34_214
; %bb.213:
	s_clause 0x3
	buffer_load_dword v77, v75, s[0:3], 0 offen offset:8
	buffer_load_dword v78, v75, s[0:3], 0 offen offset:12
	buffer_load_dword v79, v75, s[0:3], 0 offen
	buffer_load_dword v80, v75, s[0:3], 0 offen offset:4
	s_waitcnt vmcnt(2) lgkmcnt(0)
	v_mul_f64 v[82:83], v[3:4], v[77:78]
	v_mul_f64 v[77:78], v[1:2], v[77:78]
	s_waitcnt vmcnt(0)
	v_fma_f64 v[1:2], v[1:2], v[79:80], -v[82:83]
	v_fma_f64 v[3:4], v[3:4], v[79:80], v[77:78]
.LBB34_214:
	s_and_saveexec_b32 s43, s5
	s_cbranch_execz .LBB34_218
; %bb.215:
	v_add_nc_u32_e32 v77, -8, v0
	s_movk_i32 s44, 0x2b0
	s_mov_b32 s5, 0
	s_mov_b32 s45, s34
	.p2align	6
.LBB34_216:                             ; =>This Inner Loop Header: Depth=1
	v_mov_b32_e32 v80, s45
	v_add_nc_u32_e32 v77, -1, v77
	s_add_i32 s45, s45, 16
	s_clause 0x3
	buffer_load_dword v78, v80, s[0:3], 0 offen offset:8
	buffer_load_dword v79, v80, s[0:3], 0 offen offset:12
	buffer_load_dword v86, v80, s[0:3], 0 offen
	buffer_load_dword v87, v80, s[0:3], 0 offen offset:4
	v_mov_b32_e32 v80, s44
	v_cmp_eq_u32_e32 vcc_lo, 0, v77
	s_add_i32 s44, s44, 16
	ds_read_b128 v[82:85], v80
	s_or_b32 s5, vcc_lo, s5
	s_waitcnt vmcnt(2) lgkmcnt(0)
	v_mul_f64 v[88:89], v[84:85], v[78:79]
	v_mul_f64 v[78:79], v[82:83], v[78:79]
	s_waitcnt vmcnt(0)
	v_fma_f64 v[82:83], v[82:83], v[86:87], -v[88:89]
	v_fma_f64 v[78:79], v[84:85], v[86:87], v[78:79]
	v_add_f64 v[1:2], v[1:2], v[82:83]
	v_add_f64 v[3:4], v[3:4], v[78:79]
	s_andn2_b32 exec_lo, exec_lo, s5
	s_cbranch_execnz .LBB34_216
; %bb.217:
	s_or_b32 exec_lo, exec_lo, s5
.LBB34_218:
	s_or_b32 exec_lo, exec_lo, s43
	v_mov_b32_e32 v77, 0
	ds_read_b128 v[77:80], v77 offset:112
	s_waitcnt lgkmcnt(0)
	v_mul_f64 v[82:83], v[3:4], v[79:80]
	v_mul_f64 v[79:80], v[1:2], v[79:80]
	v_fma_f64 v[1:2], v[1:2], v[77:78], -v[82:83]
	v_fma_f64 v[3:4], v[3:4], v[77:78], v[79:80]
	buffer_store_dword v2, off, s[0:3], 0 offset:116
	buffer_store_dword v1, off, s[0:3], 0 offset:112
	;; [unrolled: 1-line block ×4, first 2 shown]
.LBB34_219:
	s_or_b32 exec_lo, exec_lo, s8
	v_mov_b32_e32 v4, s36
	v_cmp_lt_u32_e64 s5, 6, v0
	s_clause 0x3
	buffer_load_dword v1, v4, s[0:3], 0 offen
	buffer_load_dword v2, v4, s[0:3], 0 offen offset:4
	buffer_load_dword v3, v4, s[0:3], 0 offen offset:8
	;; [unrolled: 1-line block ×3, first 2 shown]
	s_waitcnt vmcnt(0)
	ds_write_b128 v76, v[1:4]
	s_waitcnt lgkmcnt(0)
	s_waitcnt_vscnt null, 0x0
	s_barrier
	buffer_gl0_inv
	s_and_saveexec_b32 s8, s5
	s_cbranch_execz .LBB34_227
; %bb.220:
	ds_read_b128 v[1:4], v76
	s_andn2_b32 vcc_lo, exec_lo, s42
	s_cbranch_vccnz .LBB34_222
; %bb.221:
	s_clause 0x3
	buffer_load_dword v77, v75, s[0:3], 0 offen offset:8
	buffer_load_dword v78, v75, s[0:3], 0 offen offset:12
	buffer_load_dword v79, v75, s[0:3], 0 offen
	buffer_load_dword v80, v75, s[0:3], 0 offen offset:4
	s_waitcnt vmcnt(2) lgkmcnt(0)
	v_mul_f64 v[82:83], v[3:4], v[77:78]
	v_mul_f64 v[77:78], v[1:2], v[77:78]
	s_waitcnt vmcnt(0)
	v_fma_f64 v[1:2], v[1:2], v[79:80], -v[82:83]
	v_fma_f64 v[3:4], v[3:4], v[79:80], v[77:78]
.LBB34_222:
	s_and_saveexec_b32 s43, s4
	s_cbranch_execz .LBB34_226
; %bb.223:
	v_add_nc_u32_e32 v77, -7, v0
	s_movk_i32 s44, 0x2a0
	s_mov_b32 s4, 0
	s_mov_b32 s45, s35
	.p2align	6
.LBB34_224:                             ; =>This Inner Loop Header: Depth=1
	v_mov_b32_e32 v80, s45
	v_add_nc_u32_e32 v77, -1, v77
	s_add_i32 s45, s45, 16
	s_clause 0x3
	buffer_load_dword v78, v80, s[0:3], 0 offen offset:8
	buffer_load_dword v79, v80, s[0:3], 0 offen offset:12
	buffer_load_dword v86, v80, s[0:3], 0 offen
	buffer_load_dword v87, v80, s[0:3], 0 offen offset:4
	v_mov_b32_e32 v80, s44
	v_cmp_eq_u32_e32 vcc_lo, 0, v77
	s_add_i32 s44, s44, 16
	ds_read_b128 v[82:85], v80
	s_or_b32 s4, vcc_lo, s4
	s_waitcnt vmcnt(2) lgkmcnt(0)
	v_mul_f64 v[88:89], v[84:85], v[78:79]
	v_mul_f64 v[78:79], v[82:83], v[78:79]
	s_waitcnt vmcnt(0)
	v_fma_f64 v[82:83], v[82:83], v[86:87], -v[88:89]
	v_fma_f64 v[78:79], v[84:85], v[86:87], v[78:79]
	v_add_f64 v[1:2], v[1:2], v[82:83]
	v_add_f64 v[3:4], v[3:4], v[78:79]
	s_andn2_b32 exec_lo, exec_lo, s4
	s_cbranch_execnz .LBB34_224
; %bb.225:
	s_or_b32 exec_lo, exec_lo, s4
.LBB34_226:
	s_or_b32 exec_lo, exec_lo, s43
	v_mov_b32_e32 v77, 0
	ds_read_b128 v[77:80], v77 offset:96
	s_waitcnt lgkmcnt(0)
	v_mul_f64 v[82:83], v[3:4], v[79:80]
	v_mul_f64 v[79:80], v[1:2], v[79:80]
	v_fma_f64 v[1:2], v[1:2], v[77:78], -v[82:83]
	v_fma_f64 v[3:4], v[3:4], v[77:78], v[79:80]
	buffer_store_dword v2, off, s[0:3], 0 offset:100
	buffer_store_dword v1, off, s[0:3], 0 offset:96
	;; [unrolled: 1-line block ×4, first 2 shown]
.LBB34_227:
	s_or_b32 exec_lo, exec_lo, s8
	v_mov_b32_e32 v4, s37
	v_cmp_lt_u32_e64 s4, 5, v0
	s_clause 0x3
	buffer_load_dword v1, v4, s[0:3], 0 offen
	buffer_load_dword v2, v4, s[0:3], 0 offen offset:4
	buffer_load_dword v3, v4, s[0:3], 0 offen offset:8
	;; [unrolled: 1-line block ×3, first 2 shown]
	s_waitcnt vmcnt(0)
	ds_write_b128 v76, v[1:4]
	s_waitcnt lgkmcnt(0)
	s_waitcnt_vscnt null, 0x0
	s_barrier
	buffer_gl0_inv
	s_and_saveexec_b32 s8, s4
	s_cbranch_execz .LBB34_235
; %bb.228:
	ds_read_b128 v[1:4], v76
	s_andn2_b32 vcc_lo, exec_lo, s42
	s_cbranch_vccnz .LBB34_230
; %bb.229:
	s_clause 0x3
	buffer_load_dword v77, v75, s[0:3], 0 offen offset:8
	buffer_load_dword v78, v75, s[0:3], 0 offen offset:12
	buffer_load_dword v79, v75, s[0:3], 0 offen
	buffer_load_dword v80, v75, s[0:3], 0 offen offset:4
	s_waitcnt vmcnt(2) lgkmcnt(0)
	v_mul_f64 v[82:83], v[3:4], v[77:78]
	v_mul_f64 v[77:78], v[1:2], v[77:78]
	s_waitcnt vmcnt(0)
	v_fma_f64 v[1:2], v[1:2], v[79:80], -v[82:83]
	v_fma_f64 v[3:4], v[3:4], v[79:80], v[77:78]
.LBB34_230:
	s_and_saveexec_b32 s43, s5
	s_cbranch_execz .LBB34_234
; %bb.231:
	v_add_nc_u32_e32 v77, -6, v0
	s_movk_i32 s44, 0x290
	s_mov_b32 s5, 0
	s_mov_b32 s45, s36
	.p2align	6
.LBB34_232:                             ; =>This Inner Loop Header: Depth=1
	v_mov_b32_e32 v80, s45
	v_add_nc_u32_e32 v77, -1, v77
	s_add_i32 s45, s45, 16
	s_clause 0x3
	buffer_load_dword v78, v80, s[0:3], 0 offen offset:8
	buffer_load_dword v79, v80, s[0:3], 0 offen offset:12
	buffer_load_dword v86, v80, s[0:3], 0 offen
	buffer_load_dword v87, v80, s[0:3], 0 offen offset:4
	v_mov_b32_e32 v80, s44
	v_cmp_eq_u32_e32 vcc_lo, 0, v77
	s_add_i32 s44, s44, 16
	ds_read_b128 v[82:85], v80
	s_or_b32 s5, vcc_lo, s5
	s_waitcnt vmcnt(2) lgkmcnt(0)
	v_mul_f64 v[88:89], v[84:85], v[78:79]
	v_mul_f64 v[78:79], v[82:83], v[78:79]
	s_waitcnt vmcnt(0)
	v_fma_f64 v[82:83], v[82:83], v[86:87], -v[88:89]
	v_fma_f64 v[78:79], v[84:85], v[86:87], v[78:79]
	v_add_f64 v[1:2], v[1:2], v[82:83]
	v_add_f64 v[3:4], v[3:4], v[78:79]
	s_andn2_b32 exec_lo, exec_lo, s5
	s_cbranch_execnz .LBB34_232
; %bb.233:
	s_or_b32 exec_lo, exec_lo, s5
.LBB34_234:
	s_or_b32 exec_lo, exec_lo, s43
	v_mov_b32_e32 v77, 0
	ds_read_b128 v[77:80], v77 offset:80
	s_waitcnt lgkmcnt(0)
	v_mul_f64 v[82:83], v[3:4], v[79:80]
	v_mul_f64 v[79:80], v[1:2], v[79:80]
	v_fma_f64 v[1:2], v[1:2], v[77:78], -v[82:83]
	v_fma_f64 v[3:4], v[3:4], v[77:78], v[79:80]
	buffer_store_dword v2, off, s[0:3], 0 offset:84
	buffer_store_dword v1, off, s[0:3], 0 offset:80
	;; [unrolled: 1-line block ×4, first 2 shown]
.LBB34_235:
	s_or_b32 exec_lo, exec_lo, s8
	v_mov_b32_e32 v4, s38
	v_cmp_lt_u32_e64 s5, 4, v0
	s_clause 0x3
	buffer_load_dword v1, v4, s[0:3], 0 offen
	buffer_load_dword v2, v4, s[0:3], 0 offen offset:4
	buffer_load_dword v3, v4, s[0:3], 0 offen offset:8
	;; [unrolled: 1-line block ×3, first 2 shown]
	s_waitcnt vmcnt(0)
	ds_write_b128 v76, v[1:4]
	s_waitcnt lgkmcnt(0)
	s_waitcnt_vscnt null, 0x0
	s_barrier
	buffer_gl0_inv
	s_and_saveexec_b32 s8, s5
	s_cbranch_execz .LBB34_243
; %bb.236:
	ds_read_b128 v[1:4], v76
	s_andn2_b32 vcc_lo, exec_lo, s42
	s_cbranch_vccnz .LBB34_238
; %bb.237:
	s_clause 0x3
	buffer_load_dword v77, v75, s[0:3], 0 offen offset:8
	buffer_load_dword v78, v75, s[0:3], 0 offen offset:12
	buffer_load_dword v79, v75, s[0:3], 0 offen
	buffer_load_dword v80, v75, s[0:3], 0 offen offset:4
	s_waitcnt vmcnt(2) lgkmcnt(0)
	v_mul_f64 v[82:83], v[3:4], v[77:78]
	v_mul_f64 v[77:78], v[1:2], v[77:78]
	s_waitcnt vmcnt(0)
	v_fma_f64 v[1:2], v[1:2], v[79:80], -v[82:83]
	v_fma_f64 v[3:4], v[3:4], v[79:80], v[77:78]
.LBB34_238:
	s_and_saveexec_b32 s43, s4
	s_cbranch_execz .LBB34_242
; %bb.239:
	v_add_nc_u32_e32 v77, -5, v0
	s_movk_i32 s44, 0x280
	s_mov_b32 s4, 0
	s_mov_b32 s45, s37
	.p2align	6
.LBB34_240:                             ; =>This Inner Loop Header: Depth=1
	v_mov_b32_e32 v80, s45
	v_add_nc_u32_e32 v77, -1, v77
	s_add_i32 s45, s45, 16
	s_clause 0x3
	buffer_load_dword v78, v80, s[0:3], 0 offen offset:8
	buffer_load_dword v79, v80, s[0:3], 0 offen offset:12
	buffer_load_dword v86, v80, s[0:3], 0 offen
	buffer_load_dword v87, v80, s[0:3], 0 offen offset:4
	v_mov_b32_e32 v80, s44
	v_cmp_eq_u32_e32 vcc_lo, 0, v77
	s_add_i32 s44, s44, 16
	ds_read_b128 v[82:85], v80
	s_or_b32 s4, vcc_lo, s4
	s_waitcnt vmcnt(2) lgkmcnt(0)
	v_mul_f64 v[88:89], v[84:85], v[78:79]
	v_mul_f64 v[78:79], v[82:83], v[78:79]
	s_waitcnt vmcnt(0)
	v_fma_f64 v[82:83], v[82:83], v[86:87], -v[88:89]
	v_fma_f64 v[78:79], v[84:85], v[86:87], v[78:79]
	v_add_f64 v[1:2], v[1:2], v[82:83]
	v_add_f64 v[3:4], v[3:4], v[78:79]
	s_andn2_b32 exec_lo, exec_lo, s4
	s_cbranch_execnz .LBB34_240
; %bb.241:
	s_or_b32 exec_lo, exec_lo, s4
.LBB34_242:
	s_or_b32 exec_lo, exec_lo, s43
	v_mov_b32_e32 v77, 0
	ds_read_b128 v[77:80], v77 offset:64
	s_waitcnt lgkmcnt(0)
	v_mul_f64 v[82:83], v[3:4], v[79:80]
	v_mul_f64 v[79:80], v[1:2], v[79:80]
	v_fma_f64 v[1:2], v[1:2], v[77:78], -v[82:83]
	v_fma_f64 v[3:4], v[3:4], v[77:78], v[79:80]
	buffer_store_dword v2, off, s[0:3], 0 offset:68
	buffer_store_dword v1, off, s[0:3], 0 offset:64
	;; [unrolled: 1-line block ×4, first 2 shown]
.LBB34_243:
	s_or_b32 exec_lo, exec_lo, s8
	v_mov_b32_e32 v4, s39
	v_cmp_lt_u32_e64 s4, 3, v0
	s_clause 0x3
	buffer_load_dword v1, v4, s[0:3], 0 offen
	buffer_load_dword v2, v4, s[0:3], 0 offen offset:4
	buffer_load_dword v3, v4, s[0:3], 0 offen offset:8
	;; [unrolled: 1-line block ×3, first 2 shown]
	s_waitcnt vmcnt(0)
	ds_write_b128 v76, v[1:4]
	s_waitcnt lgkmcnt(0)
	s_waitcnt_vscnt null, 0x0
	s_barrier
	buffer_gl0_inv
	s_and_saveexec_b32 s8, s4
	s_cbranch_execz .LBB34_251
; %bb.244:
	ds_read_b128 v[1:4], v76
	s_andn2_b32 vcc_lo, exec_lo, s42
	s_cbranch_vccnz .LBB34_246
; %bb.245:
	s_clause 0x3
	buffer_load_dword v77, v75, s[0:3], 0 offen offset:8
	buffer_load_dword v78, v75, s[0:3], 0 offen offset:12
	buffer_load_dword v79, v75, s[0:3], 0 offen
	buffer_load_dword v80, v75, s[0:3], 0 offen offset:4
	s_waitcnt vmcnt(2) lgkmcnt(0)
	v_mul_f64 v[82:83], v[3:4], v[77:78]
	v_mul_f64 v[77:78], v[1:2], v[77:78]
	s_waitcnt vmcnt(0)
	v_fma_f64 v[1:2], v[1:2], v[79:80], -v[82:83]
	v_fma_f64 v[3:4], v[3:4], v[79:80], v[77:78]
.LBB34_246:
	s_and_saveexec_b32 s43, s5
	s_cbranch_execz .LBB34_250
; %bb.247:
	v_add_nc_u32_e32 v77, -4, v0
	s_movk_i32 s44, 0x270
	s_mov_b32 s5, 0
	s_mov_b32 s45, s38
	.p2align	6
.LBB34_248:                             ; =>This Inner Loop Header: Depth=1
	v_mov_b32_e32 v80, s45
	v_add_nc_u32_e32 v77, -1, v77
	s_add_i32 s45, s45, 16
	s_clause 0x3
	buffer_load_dword v78, v80, s[0:3], 0 offen offset:8
	buffer_load_dword v79, v80, s[0:3], 0 offen offset:12
	buffer_load_dword v86, v80, s[0:3], 0 offen
	buffer_load_dword v87, v80, s[0:3], 0 offen offset:4
	v_mov_b32_e32 v80, s44
	v_cmp_eq_u32_e32 vcc_lo, 0, v77
	s_add_i32 s44, s44, 16
	ds_read_b128 v[82:85], v80
	s_or_b32 s5, vcc_lo, s5
	s_waitcnt vmcnt(2) lgkmcnt(0)
	v_mul_f64 v[88:89], v[84:85], v[78:79]
	v_mul_f64 v[78:79], v[82:83], v[78:79]
	s_waitcnt vmcnt(0)
	v_fma_f64 v[82:83], v[82:83], v[86:87], -v[88:89]
	v_fma_f64 v[78:79], v[84:85], v[86:87], v[78:79]
	v_add_f64 v[1:2], v[1:2], v[82:83]
	v_add_f64 v[3:4], v[3:4], v[78:79]
	s_andn2_b32 exec_lo, exec_lo, s5
	s_cbranch_execnz .LBB34_248
; %bb.249:
	s_or_b32 exec_lo, exec_lo, s5
.LBB34_250:
	s_or_b32 exec_lo, exec_lo, s43
	v_mov_b32_e32 v77, 0
	ds_read_b128 v[77:80], v77 offset:48
	s_waitcnt lgkmcnt(0)
	v_mul_f64 v[82:83], v[3:4], v[79:80]
	v_mul_f64 v[79:80], v[1:2], v[79:80]
	v_fma_f64 v[1:2], v[1:2], v[77:78], -v[82:83]
	v_fma_f64 v[3:4], v[3:4], v[77:78], v[79:80]
	buffer_store_dword v2, off, s[0:3], 0 offset:52
	buffer_store_dword v1, off, s[0:3], 0 offset:48
	;; [unrolled: 1-line block ×4, first 2 shown]
.LBB34_251:
	s_or_b32 exec_lo, exec_lo, s8
	v_mov_b32_e32 v4, s40
	v_cmp_lt_u32_e64 s5, 2, v0
	s_clause 0x3
	buffer_load_dword v1, v4, s[0:3], 0 offen
	buffer_load_dword v2, v4, s[0:3], 0 offen offset:4
	buffer_load_dword v3, v4, s[0:3], 0 offen offset:8
	;; [unrolled: 1-line block ×3, first 2 shown]
	s_waitcnt vmcnt(0)
	ds_write_b128 v76, v[1:4]
	s_waitcnt lgkmcnt(0)
	s_waitcnt_vscnt null, 0x0
	s_barrier
	buffer_gl0_inv
	s_and_saveexec_b32 s8, s5
	s_cbranch_execz .LBB34_259
; %bb.252:
	ds_read_b128 v[1:4], v76
	s_andn2_b32 vcc_lo, exec_lo, s42
	s_cbranch_vccnz .LBB34_254
; %bb.253:
	s_clause 0x3
	buffer_load_dword v77, v75, s[0:3], 0 offen offset:8
	buffer_load_dword v78, v75, s[0:3], 0 offen offset:12
	buffer_load_dword v79, v75, s[0:3], 0 offen
	buffer_load_dword v80, v75, s[0:3], 0 offen offset:4
	s_waitcnt vmcnt(2) lgkmcnt(0)
	v_mul_f64 v[82:83], v[3:4], v[77:78]
	v_mul_f64 v[77:78], v[1:2], v[77:78]
	s_waitcnt vmcnt(0)
	v_fma_f64 v[1:2], v[1:2], v[79:80], -v[82:83]
	v_fma_f64 v[3:4], v[3:4], v[79:80], v[77:78]
.LBB34_254:
	s_and_saveexec_b32 s43, s4
	s_cbranch_execz .LBB34_258
; %bb.255:
	v_add_nc_u32_e32 v77, -3, v0
	s_movk_i32 s44, 0x260
	s_mov_b32 s4, 0
	s_mov_b32 s45, s39
	.p2align	6
.LBB34_256:                             ; =>This Inner Loop Header: Depth=1
	v_mov_b32_e32 v80, s45
	v_add_nc_u32_e32 v77, -1, v77
	s_add_i32 s45, s45, 16
	s_clause 0x3
	buffer_load_dword v78, v80, s[0:3], 0 offen offset:8
	buffer_load_dword v79, v80, s[0:3], 0 offen offset:12
	buffer_load_dword v86, v80, s[0:3], 0 offen
	buffer_load_dword v87, v80, s[0:3], 0 offen offset:4
	v_mov_b32_e32 v80, s44
	v_cmp_eq_u32_e32 vcc_lo, 0, v77
	s_add_i32 s44, s44, 16
	ds_read_b128 v[82:85], v80
	s_or_b32 s4, vcc_lo, s4
	s_waitcnt vmcnt(2) lgkmcnt(0)
	v_mul_f64 v[88:89], v[84:85], v[78:79]
	v_mul_f64 v[78:79], v[82:83], v[78:79]
	s_waitcnt vmcnt(0)
	v_fma_f64 v[82:83], v[82:83], v[86:87], -v[88:89]
	v_fma_f64 v[78:79], v[84:85], v[86:87], v[78:79]
	v_add_f64 v[1:2], v[1:2], v[82:83]
	v_add_f64 v[3:4], v[3:4], v[78:79]
	s_andn2_b32 exec_lo, exec_lo, s4
	s_cbranch_execnz .LBB34_256
; %bb.257:
	s_or_b32 exec_lo, exec_lo, s4
.LBB34_258:
	s_or_b32 exec_lo, exec_lo, s43
	v_mov_b32_e32 v77, 0
	ds_read_b128 v[77:80], v77 offset:32
	s_waitcnt lgkmcnt(0)
	v_mul_f64 v[82:83], v[3:4], v[79:80]
	v_mul_f64 v[79:80], v[1:2], v[79:80]
	v_fma_f64 v[1:2], v[1:2], v[77:78], -v[82:83]
	v_fma_f64 v[3:4], v[3:4], v[77:78], v[79:80]
	buffer_store_dword v2, off, s[0:3], 0 offset:36
	buffer_store_dword v1, off, s[0:3], 0 offset:32
	;; [unrolled: 1-line block ×4, first 2 shown]
.LBB34_259:
	s_or_b32 exec_lo, exec_lo, s8
	v_mov_b32_e32 v4, s41
	v_cmp_lt_u32_e64 s4, 1, v0
	s_clause 0x3
	buffer_load_dword v1, v4, s[0:3], 0 offen
	buffer_load_dword v2, v4, s[0:3], 0 offen offset:4
	buffer_load_dword v3, v4, s[0:3], 0 offen offset:8
	;; [unrolled: 1-line block ×3, first 2 shown]
	s_waitcnt vmcnt(0)
	ds_write_b128 v76, v[1:4]
	s_waitcnt lgkmcnt(0)
	s_waitcnt_vscnt null, 0x0
	s_barrier
	buffer_gl0_inv
	s_and_saveexec_b32 s8, s4
	s_cbranch_execz .LBB34_267
; %bb.260:
	ds_read_b128 v[1:4], v76
	s_andn2_b32 vcc_lo, exec_lo, s42
	s_cbranch_vccnz .LBB34_262
; %bb.261:
	s_clause 0x3
	buffer_load_dword v77, v75, s[0:3], 0 offen offset:8
	buffer_load_dword v78, v75, s[0:3], 0 offen offset:12
	buffer_load_dword v79, v75, s[0:3], 0 offen
	buffer_load_dword v80, v75, s[0:3], 0 offen offset:4
	s_waitcnt vmcnt(2) lgkmcnt(0)
	v_mul_f64 v[82:83], v[3:4], v[77:78]
	v_mul_f64 v[77:78], v[1:2], v[77:78]
	s_waitcnt vmcnt(0)
	v_fma_f64 v[1:2], v[1:2], v[79:80], -v[82:83]
	v_fma_f64 v[3:4], v[3:4], v[79:80], v[77:78]
.LBB34_262:
	s_and_saveexec_b32 s43, s5
	s_cbranch_execz .LBB34_266
; %bb.263:
	v_add_nc_u32_e32 v77, -2, v0
	s_movk_i32 s44, 0x250
	s_mov_b32 s5, 0
	s_mov_b32 s45, s40
	.p2align	6
.LBB34_264:                             ; =>This Inner Loop Header: Depth=1
	v_mov_b32_e32 v80, s45
	v_add_nc_u32_e32 v77, -1, v77
	s_add_i32 s45, s45, 16
	s_clause 0x3
	buffer_load_dword v78, v80, s[0:3], 0 offen offset:8
	buffer_load_dword v79, v80, s[0:3], 0 offen offset:12
	buffer_load_dword v86, v80, s[0:3], 0 offen
	buffer_load_dword v87, v80, s[0:3], 0 offen offset:4
	v_mov_b32_e32 v80, s44
	v_cmp_eq_u32_e32 vcc_lo, 0, v77
	s_add_i32 s44, s44, 16
	ds_read_b128 v[82:85], v80
	s_or_b32 s5, vcc_lo, s5
	s_waitcnt vmcnt(2) lgkmcnt(0)
	v_mul_f64 v[88:89], v[84:85], v[78:79]
	v_mul_f64 v[78:79], v[82:83], v[78:79]
	s_waitcnt vmcnt(0)
	v_fma_f64 v[82:83], v[82:83], v[86:87], -v[88:89]
	v_fma_f64 v[78:79], v[84:85], v[86:87], v[78:79]
	v_add_f64 v[1:2], v[1:2], v[82:83]
	v_add_f64 v[3:4], v[3:4], v[78:79]
	s_andn2_b32 exec_lo, exec_lo, s5
	s_cbranch_execnz .LBB34_264
; %bb.265:
	s_or_b32 exec_lo, exec_lo, s5
.LBB34_266:
	s_or_b32 exec_lo, exec_lo, s43
	v_mov_b32_e32 v77, 0
	ds_read_b128 v[77:80], v77 offset:16
	s_waitcnt lgkmcnt(0)
	v_mul_f64 v[82:83], v[3:4], v[79:80]
	v_mul_f64 v[79:80], v[1:2], v[79:80]
	v_fma_f64 v[1:2], v[1:2], v[77:78], -v[82:83]
	v_fma_f64 v[3:4], v[3:4], v[77:78], v[79:80]
	buffer_store_dword v2, off, s[0:3], 0 offset:20
	buffer_store_dword v1, off, s[0:3], 0 offset:16
	;; [unrolled: 1-line block ×4, first 2 shown]
.LBB34_267:
	s_or_b32 exec_lo, exec_lo, s8
	s_clause 0x3
	buffer_load_dword v1, off, s[0:3], 0
	buffer_load_dword v2, off, s[0:3], 0 offset:4
	buffer_load_dword v3, off, s[0:3], 0 offset:8
	;; [unrolled: 1-line block ×3, first 2 shown]
	s_mov_b32 s8, 0
	s_mov_b32 s5, 0
	s_mov_b32 s43, exec_lo
                                        ; implicit-def: $sgpr44
	s_waitcnt vmcnt(0)
	ds_write_b128 v76, v[1:4]
	s_waitcnt lgkmcnt(0)
	s_waitcnt_vscnt null, 0x0
	s_barrier
	buffer_gl0_inv
                                        ; implicit-def: $vgpr1_vgpr2
	v_cmpx_ne_u32_e32 0, v0
	s_cbranch_execz .LBB34_275
; %bb.268:
	ds_read_b128 v[1:4], v76
	s_andn2_b32 vcc_lo, exec_lo, s42
	s_cbranch_vccnz .LBB34_270
; %bb.269:
	s_clause 0x3
	buffer_load_dword v77, v75, s[0:3], 0 offen offset:8
	buffer_load_dword v78, v75, s[0:3], 0 offen offset:12
	buffer_load_dword v79, v75, s[0:3], 0 offen
	buffer_load_dword v80, v75, s[0:3], 0 offen offset:4
	s_waitcnt vmcnt(2) lgkmcnt(0)
	v_mul_f64 v[82:83], v[3:4], v[77:78]
	v_mul_f64 v[77:78], v[1:2], v[77:78]
	s_waitcnt vmcnt(0)
	v_fma_f64 v[1:2], v[1:2], v[79:80], -v[82:83]
	v_fma_f64 v[3:4], v[3:4], v[79:80], v[77:78]
.LBB34_270:
	s_and_saveexec_b32 s5, s4
	s_cbranch_execz .LBB34_274
; %bb.271:
	v_add_nc_u32_e32 v77, -1, v0
	s_movk_i32 s44, 0x240
	s_mov_b32 s4, 0
	s_mov_b32 s45, s41
	.p2align	6
.LBB34_272:                             ; =>This Inner Loop Header: Depth=1
	v_mov_b32_e32 v80, s45
	v_add_nc_u32_e32 v77, -1, v77
	s_add_i32 s45, s45, 16
	s_clause 0x3
	buffer_load_dword v78, v80, s[0:3], 0 offen offset:8
	buffer_load_dword v79, v80, s[0:3], 0 offen offset:12
	buffer_load_dword v86, v80, s[0:3], 0 offen
	buffer_load_dword v87, v80, s[0:3], 0 offen offset:4
	v_mov_b32_e32 v80, s44
	v_cmp_eq_u32_e32 vcc_lo, 0, v77
	s_add_i32 s44, s44, 16
	ds_read_b128 v[82:85], v80
	s_or_b32 s4, vcc_lo, s4
	s_waitcnt vmcnt(2) lgkmcnt(0)
	v_mul_f64 v[88:89], v[84:85], v[78:79]
	v_mul_f64 v[78:79], v[82:83], v[78:79]
	s_waitcnt vmcnt(0)
	v_fma_f64 v[82:83], v[82:83], v[86:87], -v[88:89]
	v_fma_f64 v[78:79], v[84:85], v[86:87], v[78:79]
	v_add_f64 v[1:2], v[1:2], v[82:83]
	v_add_f64 v[3:4], v[3:4], v[78:79]
	s_andn2_b32 exec_lo, exec_lo, s4
	s_cbranch_execnz .LBB34_272
; %bb.273:
	s_or_b32 exec_lo, exec_lo, s4
.LBB34_274:
	s_or_b32 exec_lo, exec_lo, s5
	v_mov_b32_e32 v77, 0
	s_mov_b32 s5, exec_lo
	s_or_b32 s44, 0, 8
	ds_read_b128 v[77:80], v77
	s_waitcnt lgkmcnt(0)
	v_mul_f64 v[82:83], v[3:4], v[79:80]
	v_mul_f64 v[79:80], v[1:2], v[79:80]
	v_fma_f64 v[82:83], v[1:2], v[77:78], -v[82:83]
	v_fma_f64 v[1:2], v[3:4], v[77:78], v[79:80]
	buffer_store_dword v83, off, s[0:3], 0 offset:4
	buffer_store_dword v82, off, s[0:3], 0
.LBB34_275:
	s_or_b32 exec_lo, exec_lo, s43
	s_and_b32 vcc_lo, exec_lo, s8
	s_cbranch_vccnz .LBB34_277
	s_branch .LBB34_544
.LBB34_276:
	s_mov_b32 s5, 0
                                        ; implicit-def: $vgpr1_vgpr2
                                        ; implicit-def: $sgpr44
	s_cbranch_execz .LBB34_544
.LBB34_277:
	v_mov_b32_e32 v4, s41
	v_cmp_eq_u32_e64 s4, 0, v0
	v_cndmask_b32_e64 v77, 0, 1, s42
	s_clause 0x3
	buffer_load_dword v1, v4, s[0:3], 0 offen
	buffer_load_dword v2, v4, s[0:3], 0 offen offset:4
	buffer_load_dword v3, v4, s[0:3], 0 offen offset:8
	;; [unrolled: 1-line block ×3, first 2 shown]
	s_waitcnt vmcnt(0)
	ds_write_b128 v76, v[1:4]
	s_waitcnt lgkmcnt(0)
	s_waitcnt_vscnt null, 0x0
	s_barrier
	buffer_gl0_inv
	s_and_saveexec_b32 s8, s4
	s_cbranch_execz .LBB34_281
; %bb.278:
	ds_read_b128 v[1:4], v76
	s_andn2_b32 vcc_lo, exec_lo, s42
	s_cbranch_vccnz .LBB34_280
; %bb.279:
	s_clause 0x3
	buffer_load_dword v78, v75, s[0:3], 0 offen offset:8
	buffer_load_dword v79, v75, s[0:3], 0 offen offset:12
	buffer_load_dword v82, v75, s[0:3], 0 offen
	buffer_load_dword v83, v75, s[0:3], 0 offen offset:4
	s_waitcnt vmcnt(2) lgkmcnt(0)
	v_mul_f64 v[84:85], v[3:4], v[78:79]
	v_mul_f64 v[78:79], v[1:2], v[78:79]
	s_waitcnt vmcnt(0)
	v_fma_f64 v[1:2], v[1:2], v[82:83], -v[84:85]
	v_fma_f64 v[3:4], v[3:4], v[82:83], v[78:79]
.LBB34_280:
	v_mov_b32_e32 v78, 0
	ds_read_b128 v[82:85], v78 offset:16
	s_waitcnt lgkmcnt(0)
	v_mul_f64 v[78:79], v[3:4], v[84:85]
	v_mul_f64 v[84:85], v[1:2], v[84:85]
	v_fma_f64 v[1:2], v[1:2], v[82:83], -v[78:79]
	v_fma_f64 v[3:4], v[3:4], v[82:83], v[84:85]
	buffer_store_dword v2, off, s[0:3], 0 offset:20
	buffer_store_dword v1, off, s[0:3], 0 offset:16
	;; [unrolled: 1-line block ×4, first 2 shown]
.LBB34_281:
	s_or_b32 exec_lo, exec_lo, s8
	v_mov_b32_e32 v4, s40
	s_mov_b32 s8, exec_lo
	s_clause 0x3
	buffer_load_dword v1, v4, s[0:3], 0 offen
	buffer_load_dword v2, v4, s[0:3], 0 offen offset:4
	buffer_load_dword v3, v4, s[0:3], 0 offen offset:8
	;; [unrolled: 1-line block ×3, first 2 shown]
	s_waitcnt vmcnt(0)
	ds_write_b128 v76, v[1:4]
	s_waitcnt lgkmcnt(0)
	s_waitcnt_vscnt null, 0x0
	s_barrier
	buffer_gl0_inv
	v_cmpx_gt_u32_e32 2, v0
	s_cbranch_execz .LBB34_287
; %bb.282:
	ds_read_b128 v[1:4], v76
	v_cmp_ne_u32_e32 vcc_lo, 1, v77
	s_cbranch_vccnz .LBB34_284
; %bb.283:
	s_clause 0x3
	buffer_load_dword v78, v75, s[0:3], 0 offen offset:8
	buffer_load_dword v79, v75, s[0:3], 0 offen offset:12
	buffer_load_dword v82, v75, s[0:3], 0 offen
	buffer_load_dword v83, v75, s[0:3], 0 offen offset:4
	s_waitcnt vmcnt(2) lgkmcnt(0)
	v_mul_f64 v[84:85], v[3:4], v[78:79]
	v_mul_f64 v[78:79], v[1:2], v[78:79]
	s_waitcnt vmcnt(0)
	v_fma_f64 v[1:2], v[1:2], v[82:83], -v[84:85]
	v_fma_f64 v[3:4], v[3:4], v[82:83], v[78:79]
.LBB34_284:
	s_and_saveexec_b32 s42, s4
	s_cbranch_execz .LBB34_286
; %bb.285:
	s_clause 0x3
	buffer_load_dword v78, off, s[0:3], 0 offset:24
	buffer_load_dword v79, off, s[0:3], 0 offset:28
	;; [unrolled: 1-line block ×4, first 2 shown]
	v_mov_b32_e32 v80, 0
	ds_read_b128 v[82:85], v80 offset:576
	s_waitcnt vmcnt(2) lgkmcnt(0)
	v_mul_f64 v[88:89], v[84:85], v[78:79]
	v_mul_f64 v[78:79], v[82:83], v[78:79]
	s_waitcnt vmcnt(0)
	v_fma_f64 v[82:83], v[82:83], v[86:87], -v[88:89]
	v_fma_f64 v[78:79], v[84:85], v[86:87], v[78:79]
	v_add_f64 v[1:2], v[1:2], v[82:83]
	v_add_f64 v[3:4], v[3:4], v[78:79]
.LBB34_286:
	s_or_b32 exec_lo, exec_lo, s42
	v_mov_b32_e32 v78, 0
	ds_read_b128 v[82:85], v78 offset:32
	s_waitcnt lgkmcnt(0)
	v_mul_f64 v[78:79], v[3:4], v[84:85]
	v_mul_f64 v[84:85], v[1:2], v[84:85]
	v_fma_f64 v[1:2], v[1:2], v[82:83], -v[78:79]
	v_fma_f64 v[3:4], v[3:4], v[82:83], v[84:85]
	buffer_store_dword v2, off, s[0:3], 0 offset:36
	buffer_store_dword v1, off, s[0:3], 0 offset:32
	;; [unrolled: 1-line block ×4, first 2 shown]
.LBB34_287:
	s_or_b32 exec_lo, exec_lo, s8
	v_mov_b32_e32 v4, s39
	s_mov_b32 s8, exec_lo
	s_clause 0x3
	buffer_load_dword v1, v4, s[0:3], 0 offen
	buffer_load_dword v2, v4, s[0:3], 0 offen offset:4
	buffer_load_dword v3, v4, s[0:3], 0 offen offset:8
	;; [unrolled: 1-line block ×3, first 2 shown]
	s_waitcnt vmcnt(0)
	ds_write_b128 v76, v[1:4]
	s_waitcnt lgkmcnt(0)
	s_waitcnt_vscnt null, 0x0
	s_barrier
	buffer_gl0_inv
	v_cmpx_gt_u32_e32 3, v0
	s_cbranch_execz .LBB34_295
; %bb.288:
	ds_read_b128 v[1:4], v76
	v_cmp_ne_u32_e32 vcc_lo, 1, v77
	s_cbranch_vccnz .LBB34_290
; %bb.289:
	s_clause 0x3
	buffer_load_dword v78, v75, s[0:3], 0 offen offset:8
	buffer_load_dword v79, v75, s[0:3], 0 offen offset:12
	buffer_load_dword v82, v75, s[0:3], 0 offen
	buffer_load_dword v83, v75, s[0:3], 0 offen offset:4
	s_waitcnt vmcnt(2) lgkmcnt(0)
	v_mul_f64 v[84:85], v[3:4], v[78:79]
	v_mul_f64 v[78:79], v[1:2], v[78:79]
	s_waitcnt vmcnt(0)
	v_fma_f64 v[1:2], v[1:2], v[82:83], -v[84:85]
	v_fma_f64 v[3:4], v[3:4], v[82:83], v[78:79]
.LBB34_290:
	s_mov_b32 s42, exec_lo
	v_cmpx_ne_u32_e32 2, v0
	s_cbranch_execz .LBB34_294
; %bb.291:
	s_clause 0x3
	buffer_load_dword v78, v75, s[0:3], 0 offen offset:24
	buffer_load_dword v79, v75, s[0:3], 0 offen offset:28
	;; [unrolled: 1-line block ×4, first 2 shown]
	ds_read_b128 v[82:85], v76 offset:16
	s_waitcnt vmcnt(2) lgkmcnt(0)
	v_mul_f64 v[88:89], v[84:85], v[78:79]
	v_mul_f64 v[78:79], v[82:83], v[78:79]
	s_waitcnt vmcnt(0)
	v_fma_f64 v[82:83], v[82:83], v[86:87], -v[88:89]
	v_fma_f64 v[78:79], v[84:85], v[86:87], v[78:79]
	v_add_f64 v[1:2], v[1:2], v[82:83]
	v_add_f64 v[3:4], v[3:4], v[78:79]
	s_and_saveexec_b32 s43, s4
	s_cbranch_execz .LBB34_293
; %bb.292:
	s_clause 0x3
	buffer_load_dword v78, off, s[0:3], 0 offset:40
	buffer_load_dword v79, off, s[0:3], 0 offset:44
	;; [unrolled: 1-line block ×4, first 2 shown]
	v_mov_b32_e32 v80, 0
	ds_read_b128 v[82:85], v80 offset:592
	s_waitcnt vmcnt(2) lgkmcnt(0)
	v_mul_f64 v[88:89], v[82:83], v[78:79]
	v_mul_f64 v[78:79], v[84:85], v[78:79]
	s_waitcnt vmcnt(0)
	v_fma_f64 v[84:85], v[84:85], v[86:87], v[88:89]
	v_fma_f64 v[78:79], v[82:83], v[86:87], -v[78:79]
	v_add_f64 v[3:4], v[3:4], v[84:85]
	v_add_f64 v[1:2], v[1:2], v[78:79]
.LBB34_293:
	s_or_b32 exec_lo, exec_lo, s43
.LBB34_294:
	s_or_b32 exec_lo, exec_lo, s42
	v_mov_b32_e32 v78, 0
	ds_read_b128 v[82:85], v78 offset:48
	s_waitcnt lgkmcnt(0)
	v_mul_f64 v[78:79], v[3:4], v[84:85]
	v_mul_f64 v[84:85], v[1:2], v[84:85]
	v_fma_f64 v[1:2], v[1:2], v[82:83], -v[78:79]
	v_fma_f64 v[3:4], v[3:4], v[82:83], v[84:85]
	buffer_store_dword v2, off, s[0:3], 0 offset:52
	buffer_store_dword v1, off, s[0:3], 0 offset:48
	;; [unrolled: 1-line block ×4, first 2 shown]
.LBB34_295:
	s_or_b32 exec_lo, exec_lo, s8
	v_mov_b32_e32 v4, s38
	s_mov_b32 s4, exec_lo
	s_clause 0x3
	buffer_load_dword v1, v4, s[0:3], 0 offen
	buffer_load_dword v2, v4, s[0:3], 0 offen offset:4
	buffer_load_dword v3, v4, s[0:3], 0 offen offset:8
	;; [unrolled: 1-line block ×3, first 2 shown]
	s_waitcnt vmcnt(0)
	ds_write_b128 v76, v[1:4]
	s_waitcnt lgkmcnt(0)
	s_waitcnt_vscnt null, 0x0
	s_barrier
	buffer_gl0_inv
	v_cmpx_gt_u32_e32 4, v0
	s_cbranch_execz .LBB34_303
; %bb.296:
	ds_read_b128 v[1:4], v76
	v_cmp_ne_u32_e32 vcc_lo, 1, v77
	s_cbranch_vccnz .LBB34_298
; %bb.297:
	s_clause 0x3
	buffer_load_dword v78, v75, s[0:3], 0 offen offset:8
	buffer_load_dword v79, v75, s[0:3], 0 offen offset:12
	buffer_load_dword v82, v75, s[0:3], 0 offen
	buffer_load_dword v83, v75, s[0:3], 0 offen offset:4
	s_waitcnt vmcnt(2) lgkmcnt(0)
	v_mul_f64 v[84:85], v[3:4], v[78:79]
	v_mul_f64 v[78:79], v[1:2], v[78:79]
	s_waitcnt vmcnt(0)
	v_fma_f64 v[1:2], v[1:2], v[82:83], -v[84:85]
	v_fma_f64 v[3:4], v[3:4], v[82:83], v[78:79]
.LBB34_298:
	s_mov_b32 s8, exec_lo
	v_cmpx_ne_u32_e32 3, v0
	s_cbranch_execz .LBB34_302
; %bb.299:
	v_add_nc_u32_e32 v78, 0x240, v81
	v_add3_u32 v79, 0, v81, 16
	v_mov_b32_e32 v80, v0
	s_mov_b32 s42, 0
	.p2align	6
.LBB34_300:                             ; =>This Inner Loop Header: Depth=1
	s_clause 0x3
	buffer_load_dword v86, v79, s[0:3], 0 offen offset:8
	buffer_load_dword v87, v79, s[0:3], 0 offen offset:12
	buffer_load_dword v88, v79, s[0:3], 0 offen
	buffer_load_dword v89, v79, s[0:3], 0 offen offset:4
	ds_read_b128 v[82:85], v78
	v_add_nc_u32_e32 v80, 1, v80
	v_add_nc_u32_e32 v78, 16, v78
	;; [unrolled: 1-line block ×3, first 2 shown]
	v_cmp_lt_u32_e32 vcc_lo, 2, v80
	s_or_b32 s42, vcc_lo, s42
	s_waitcnt vmcnt(2) lgkmcnt(0)
	v_mul_f64 v[90:91], v[84:85], v[86:87]
	v_mul_f64 v[86:87], v[82:83], v[86:87]
	s_waitcnt vmcnt(0)
	v_fma_f64 v[82:83], v[82:83], v[88:89], -v[90:91]
	v_fma_f64 v[84:85], v[84:85], v[88:89], v[86:87]
	v_add_f64 v[1:2], v[1:2], v[82:83]
	v_add_f64 v[3:4], v[3:4], v[84:85]
	s_andn2_b32 exec_lo, exec_lo, s42
	s_cbranch_execnz .LBB34_300
; %bb.301:
	s_or_b32 exec_lo, exec_lo, s42
.LBB34_302:
	s_or_b32 exec_lo, exec_lo, s8
	v_mov_b32_e32 v78, 0
	ds_read_b128 v[82:85], v78 offset:64
	s_waitcnt lgkmcnt(0)
	v_mul_f64 v[78:79], v[3:4], v[84:85]
	v_mul_f64 v[84:85], v[1:2], v[84:85]
	v_fma_f64 v[1:2], v[1:2], v[82:83], -v[78:79]
	v_fma_f64 v[3:4], v[3:4], v[82:83], v[84:85]
	buffer_store_dword v2, off, s[0:3], 0 offset:68
	buffer_store_dword v1, off, s[0:3], 0 offset:64
	;; [unrolled: 1-line block ×4, first 2 shown]
.LBB34_303:
	s_or_b32 exec_lo, exec_lo, s4
	v_mov_b32_e32 v4, s37
	s_mov_b32 s4, exec_lo
	s_clause 0x3
	buffer_load_dword v1, v4, s[0:3], 0 offen
	buffer_load_dword v2, v4, s[0:3], 0 offen offset:4
	buffer_load_dword v3, v4, s[0:3], 0 offen offset:8
	;; [unrolled: 1-line block ×3, first 2 shown]
	s_waitcnt vmcnt(0)
	ds_write_b128 v76, v[1:4]
	s_waitcnt lgkmcnt(0)
	s_waitcnt_vscnt null, 0x0
	s_barrier
	buffer_gl0_inv
	v_cmpx_gt_u32_e32 5, v0
	s_cbranch_execz .LBB34_311
; %bb.304:
	ds_read_b128 v[1:4], v76
	v_cmp_ne_u32_e32 vcc_lo, 1, v77
	s_cbranch_vccnz .LBB34_306
; %bb.305:
	s_clause 0x3
	buffer_load_dword v78, v75, s[0:3], 0 offen offset:8
	buffer_load_dword v79, v75, s[0:3], 0 offen offset:12
	buffer_load_dword v82, v75, s[0:3], 0 offen
	buffer_load_dword v83, v75, s[0:3], 0 offen offset:4
	s_waitcnt vmcnt(2) lgkmcnt(0)
	v_mul_f64 v[84:85], v[3:4], v[78:79]
	v_mul_f64 v[78:79], v[1:2], v[78:79]
	s_waitcnt vmcnt(0)
	v_fma_f64 v[1:2], v[1:2], v[82:83], -v[84:85]
	v_fma_f64 v[3:4], v[3:4], v[82:83], v[78:79]
.LBB34_306:
	s_mov_b32 s8, exec_lo
	v_cmpx_ne_u32_e32 4, v0
	s_cbranch_execz .LBB34_310
; %bb.307:
	v_add_nc_u32_e32 v78, 0x240, v81
	v_add3_u32 v79, 0, v81, 16
	v_mov_b32_e32 v80, v0
	s_mov_b32 s42, 0
	.p2align	6
.LBB34_308:                             ; =>This Inner Loop Header: Depth=1
	s_clause 0x3
	buffer_load_dword v86, v79, s[0:3], 0 offen offset:8
	buffer_load_dword v87, v79, s[0:3], 0 offen offset:12
	buffer_load_dword v88, v79, s[0:3], 0 offen
	buffer_load_dword v89, v79, s[0:3], 0 offen offset:4
	ds_read_b128 v[82:85], v78
	v_add_nc_u32_e32 v80, 1, v80
	v_add_nc_u32_e32 v78, 16, v78
	;; [unrolled: 1-line block ×3, first 2 shown]
	v_cmp_lt_u32_e32 vcc_lo, 3, v80
	s_or_b32 s42, vcc_lo, s42
	s_waitcnt vmcnt(2) lgkmcnt(0)
	v_mul_f64 v[90:91], v[84:85], v[86:87]
	v_mul_f64 v[86:87], v[82:83], v[86:87]
	s_waitcnt vmcnt(0)
	v_fma_f64 v[82:83], v[82:83], v[88:89], -v[90:91]
	v_fma_f64 v[84:85], v[84:85], v[88:89], v[86:87]
	v_add_f64 v[1:2], v[1:2], v[82:83]
	v_add_f64 v[3:4], v[3:4], v[84:85]
	s_andn2_b32 exec_lo, exec_lo, s42
	s_cbranch_execnz .LBB34_308
; %bb.309:
	s_or_b32 exec_lo, exec_lo, s42
.LBB34_310:
	s_or_b32 exec_lo, exec_lo, s8
	v_mov_b32_e32 v78, 0
	ds_read_b128 v[82:85], v78 offset:80
	s_waitcnt lgkmcnt(0)
	v_mul_f64 v[78:79], v[3:4], v[84:85]
	v_mul_f64 v[84:85], v[1:2], v[84:85]
	v_fma_f64 v[1:2], v[1:2], v[82:83], -v[78:79]
	v_fma_f64 v[3:4], v[3:4], v[82:83], v[84:85]
	buffer_store_dword v2, off, s[0:3], 0 offset:84
	buffer_store_dword v1, off, s[0:3], 0 offset:80
	buffer_store_dword v4, off, s[0:3], 0 offset:92
	buffer_store_dword v3, off, s[0:3], 0 offset:88
.LBB34_311:
	s_or_b32 exec_lo, exec_lo, s4
	v_mov_b32_e32 v4, s36
	s_mov_b32 s4, exec_lo
	s_clause 0x3
	buffer_load_dword v1, v4, s[0:3], 0 offen
	buffer_load_dword v2, v4, s[0:3], 0 offen offset:4
	buffer_load_dword v3, v4, s[0:3], 0 offen offset:8
	;; [unrolled: 1-line block ×3, first 2 shown]
	s_waitcnt vmcnt(0)
	ds_write_b128 v76, v[1:4]
	s_waitcnt lgkmcnt(0)
	s_waitcnt_vscnt null, 0x0
	s_barrier
	buffer_gl0_inv
	v_cmpx_gt_u32_e32 6, v0
	s_cbranch_execz .LBB34_319
; %bb.312:
	ds_read_b128 v[1:4], v76
	v_cmp_ne_u32_e32 vcc_lo, 1, v77
	s_cbranch_vccnz .LBB34_314
; %bb.313:
	s_clause 0x3
	buffer_load_dword v78, v75, s[0:3], 0 offen offset:8
	buffer_load_dword v79, v75, s[0:3], 0 offen offset:12
	buffer_load_dword v82, v75, s[0:3], 0 offen
	buffer_load_dword v83, v75, s[0:3], 0 offen offset:4
	s_waitcnt vmcnt(2) lgkmcnt(0)
	v_mul_f64 v[84:85], v[3:4], v[78:79]
	v_mul_f64 v[78:79], v[1:2], v[78:79]
	s_waitcnt vmcnt(0)
	v_fma_f64 v[1:2], v[1:2], v[82:83], -v[84:85]
	v_fma_f64 v[3:4], v[3:4], v[82:83], v[78:79]
.LBB34_314:
	s_mov_b32 s8, exec_lo
	v_cmpx_ne_u32_e32 5, v0
	s_cbranch_execz .LBB34_318
; %bb.315:
	v_add_nc_u32_e32 v78, 0x240, v81
	v_add3_u32 v79, 0, v81, 16
	v_mov_b32_e32 v80, v0
	s_mov_b32 s42, 0
	.p2align	6
.LBB34_316:                             ; =>This Inner Loop Header: Depth=1
	s_clause 0x3
	buffer_load_dword v86, v79, s[0:3], 0 offen offset:8
	buffer_load_dword v87, v79, s[0:3], 0 offen offset:12
	buffer_load_dword v88, v79, s[0:3], 0 offen
	buffer_load_dword v89, v79, s[0:3], 0 offen offset:4
	ds_read_b128 v[82:85], v78
	v_add_nc_u32_e32 v80, 1, v80
	v_add_nc_u32_e32 v78, 16, v78
	;; [unrolled: 1-line block ×3, first 2 shown]
	v_cmp_lt_u32_e32 vcc_lo, 4, v80
	s_or_b32 s42, vcc_lo, s42
	s_waitcnt vmcnt(2) lgkmcnt(0)
	v_mul_f64 v[90:91], v[84:85], v[86:87]
	v_mul_f64 v[86:87], v[82:83], v[86:87]
	s_waitcnt vmcnt(0)
	v_fma_f64 v[82:83], v[82:83], v[88:89], -v[90:91]
	v_fma_f64 v[84:85], v[84:85], v[88:89], v[86:87]
	v_add_f64 v[1:2], v[1:2], v[82:83]
	v_add_f64 v[3:4], v[3:4], v[84:85]
	s_andn2_b32 exec_lo, exec_lo, s42
	s_cbranch_execnz .LBB34_316
; %bb.317:
	s_or_b32 exec_lo, exec_lo, s42
.LBB34_318:
	s_or_b32 exec_lo, exec_lo, s8
	v_mov_b32_e32 v78, 0
	ds_read_b128 v[82:85], v78 offset:96
	s_waitcnt lgkmcnt(0)
	v_mul_f64 v[78:79], v[3:4], v[84:85]
	v_mul_f64 v[84:85], v[1:2], v[84:85]
	v_fma_f64 v[1:2], v[1:2], v[82:83], -v[78:79]
	v_fma_f64 v[3:4], v[3:4], v[82:83], v[84:85]
	buffer_store_dword v2, off, s[0:3], 0 offset:100
	buffer_store_dword v1, off, s[0:3], 0 offset:96
	;; [unrolled: 1-line block ×4, first 2 shown]
.LBB34_319:
	s_or_b32 exec_lo, exec_lo, s4
	v_mov_b32_e32 v4, s35
	s_mov_b32 s4, exec_lo
	s_clause 0x3
	buffer_load_dword v1, v4, s[0:3], 0 offen
	buffer_load_dword v2, v4, s[0:3], 0 offen offset:4
	buffer_load_dword v3, v4, s[0:3], 0 offen offset:8
	;; [unrolled: 1-line block ×3, first 2 shown]
	s_waitcnt vmcnt(0)
	ds_write_b128 v76, v[1:4]
	s_waitcnt lgkmcnt(0)
	s_waitcnt_vscnt null, 0x0
	s_barrier
	buffer_gl0_inv
	v_cmpx_gt_u32_e32 7, v0
	s_cbranch_execz .LBB34_327
; %bb.320:
	ds_read_b128 v[1:4], v76
	v_cmp_ne_u32_e32 vcc_lo, 1, v77
	s_cbranch_vccnz .LBB34_322
; %bb.321:
	s_clause 0x3
	buffer_load_dword v78, v75, s[0:3], 0 offen offset:8
	buffer_load_dword v79, v75, s[0:3], 0 offen offset:12
	buffer_load_dword v82, v75, s[0:3], 0 offen
	buffer_load_dword v83, v75, s[0:3], 0 offen offset:4
	s_waitcnt vmcnt(2) lgkmcnt(0)
	v_mul_f64 v[84:85], v[3:4], v[78:79]
	v_mul_f64 v[78:79], v[1:2], v[78:79]
	s_waitcnt vmcnt(0)
	v_fma_f64 v[1:2], v[1:2], v[82:83], -v[84:85]
	v_fma_f64 v[3:4], v[3:4], v[82:83], v[78:79]
.LBB34_322:
	s_mov_b32 s8, exec_lo
	v_cmpx_ne_u32_e32 6, v0
	s_cbranch_execz .LBB34_326
; %bb.323:
	v_add_nc_u32_e32 v78, 0x240, v81
	v_add3_u32 v79, 0, v81, 16
	v_mov_b32_e32 v80, v0
	s_mov_b32 s42, 0
	.p2align	6
.LBB34_324:                             ; =>This Inner Loop Header: Depth=1
	s_clause 0x3
	buffer_load_dword v86, v79, s[0:3], 0 offen offset:8
	buffer_load_dword v87, v79, s[0:3], 0 offen offset:12
	buffer_load_dword v88, v79, s[0:3], 0 offen
	buffer_load_dword v89, v79, s[0:3], 0 offen offset:4
	ds_read_b128 v[82:85], v78
	v_add_nc_u32_e32 v80, 1, v80
	v_add_nc_u32_e32 v78, 16, v78
	;; [unrolled: 1-line block ×3, first 2 shown]
	v_cmp_lt_u32_e32 vcc_lo, 5, v80
	s_or_b32 s42, vcc_lo, s42
	s_waitcnt vmcnt(2) lgkmcnt(0)
	v_mul_f64 v[90:91], v[84:85], v[86:87]
	v_mul_f64 v[86:87], v[82:83], v[86:87]
	s_waitcnt vmcnt(0)
	v_fma_f64 v[82:83], v[82:83], v[88:89], -v[90:91]
	v_fma_f64 v[84:85], v[84:85], v[88:89], v[86:87]
	v_add_f64 v[1:2], v[1:2], v[82:83]
	v_add_f64 v[3:4], v[3:4], v[84:85]
	s_andn2_b32 exec_lo, exec_lo, s42
	s_cbranch_execnz .LBB34_324
; %bb.325:
	s_or_b32 exec_lo, exec_lo, s42
.LBB34_326:
	s_or_b32 exec_lo, exec_lo, s8
	v_mov_b32_e32 v78, 0
	ds_read_b128 v[82:85], v78 offset:112
	s_waitcnt lgkmcnt(0)
	v_mul_f64 v[78:79], v[3:4], v[84:85]
	v_mul_f64 v[84:85], v[1:2], v[84:85]
	v_fma_f64 v[1:2], v[1:2], v[82:83], -v[78:79]
	v_fma_f64 v[3:4], v[3:4], v[82:83], v[84:85]
	buffer_store_dword v2, off, s[0:3], 0 offset:116
	buffer_store_dword v1, off, s[0:3], 0 offset:112
	;; [unrolled: 1-line block ×4, first 2 shown]
.LBB34_327:
	s_or_b32 exec_lo, exec_lo, s4
	v_mov_b32_e32 v4, s34
	s_mov_b32 s4, exec_lo
	s_clause 0x3
	buffer_load_dword v1, v4, s[0:3], 0 offen
	buffer_load_dword v2, v4, s[0:3], 0 offen offset:4
	buffer_load_dword v3, v4, s[0:3], 0 offen offset:8
	;; [unrolled: 1-line block ×3, first 2 shown]
	s_waitcnt vmcnt(0)
	ds_write_b128 v76, v[1:4]
	s_waitcnt lgkmcnt(0)
	s_waitcnt_vscnt null, 0x0
	s_barrier
	buffer_gl0_inv
	v_cmpx_gt_u32_e32 8, v0
	s_cbranch_execz .LBB34_335
; %bb.328:
	ds_read_b128 v[1:4], v76
	v_cmp_ne_u32_e32 vcc_lo, 1, v77
	s_cbranch_vccnz .LBB34_330
; %bb.329:
	s_clause 0x3
	buffer_load_dword v78, v75, s[0:3], 0 offen offset:8
	buffer_load_dword v79, v75, s[0:3], 0 offen offset:12
	buffer_load_dword v82, v75, s[0:3], 0 offen
	buffer_load_dword v83, v75, s[0:3], 0 offen offset:4
	s_waitcnt vmcnt(2) lgkmcnt(0)
	v_mul_f64 v[84:85], v[3:4], v[78:79]
	v_mul_f64 v[78:79], v[1:2], v[78:79]
	s_waitcnt vmcnt(0)
	v_fma_f64 v[1:2], v[1:2], v[82:83], -v[84:85]
	v_fma_f64 v[3:4], v[3:4], v[82:83], v[78:79]
.LBB34_330:
	s_mov_b32 s8, exec_lo
	v_cmpx_ne_u32_e32 7, v0
	s_cbranch_execz .LBB34_334
; %bb.331:
	v_add_nc_u32_e32 v78, 0x240, v81
	v_add3_u32 v79, 0, v81, 16
	v_mov_b32_e32 v80, v0
	s_mov_b32 s42, 0
	.p2align	6
.LBB34_332:                             ; =>This Inner Loop Header: Depth=1
	s_clause 0x3
	buffer_load_dword v86, v79, s[0:3], 0 offen offset:8
	buffer_load_dword v87, v79, s[0:3], 0 offen offset:12
	buffer_load_dword v88, v79, s[0:3], 0 offen
	buffer_load_dword v89, v79, s[0:3], 0 offen offset:4
	ds_read_b128 v[82:85], v78
	v_add_nc_u32_e32 v80, 1, v80
	v_add_nc_u32_e32 v78, 16, v78
	;; [unrolled: 1-line block ×3, first 2 shown]
	v_cmp_lt_u32_e32 vcc_lo, 6, v80
	s_or_b32 s42, vcc_lo, s42
	s_waitcnt vmcnt(2) lgkmcnt(0)
	v_mul_f64 v[90:91], v[84:85], v[86:87]
	v_mul_f64 v[86:87], v[82:83], v[86:87]
	s_waitcnt vmcnt(0)
	v_fma_f64 v[82:83], v[82:83], v[88:89], -v[90:91]
	v_fma_f64 v[84:85], v[84:85], v[88:89], v[86:87]
	v_add_f64 v[1:2], v[1:2], v[82:83]
	v_add_f64 v[3:4], v[3:4], v[84:85]
	s_andn2_b32 exec_lo, exec_lo, s42
	s_cbranch_execnz .LBB34_332
; %bb.333:
	s_or_b32 exec_lo, exec_lo, s42
.LBB34_334:
	s_or_b32 exec_lo, exec_lo, s8
	v_mov_b32_e32 v78, 0
	ds_read_b128 v[82:85], v78 offset:128
	s_waitcnt lgkmcnt(0)
	v_mul_f64 v[78:79], v[3:4], v[84:85]
	v_mul_f64 v[84:85], v[1:2], v[84:85]
	v_fma_f64 v[1:2], v[1:2], v[82:83], -v[78:79]
	v_fma_f64 v[3:4], v[3:4], v[82:83], v[84:85]
	buffer_store_dword v2, off, s[0:3], 0 offset:132
	buffer_store_dword v1, off, s[0:3], 0 offset:128
	;; [unrolled: 1-line block ×4, first 2 shown]
.LBB34_335:
	s_or_b32 exec_lo, exec_lo, s4
	v_mov_b32_e32 v4, s33
	s_mov_b32 s4, exec_lo
	s_clause 0x3
	buffer_load_dword v1, v4, s[0:3], 0 offen
	buffer_load_dword v2, v4, s[0:3], 0 offen offset:4
	buffer_load_dword v3, v4, s[0:3], 0 offen offset:8
	;; [unrolled: 1-line block ×3, first 2 shown]
	s_waitcnt vmcnt(0)
	ds_write_b128 v76, v[1:4]
	s_waitcnt lgkmcnt(0)
	s_waitcnt_vscnt null, 0x0
	s_barrier
	buffer_gl0_inv
	v_cmpx_gt_u32_e32 9, v0
	s_cbranch_execz .LBB34_343
; %bb.336:
	ds_read_b128 v[1:4], v76
	v_cmp_ne_u32_e32 vcc_lo, 1, v77
	s_cbranch_vccnz .LBB34_338
; %bb.337:
	s_clause 0x3
	buffer_load_dword v78, v75, s[0:3], 0 offen offset:8
	buffer_load_dword v79, v75, s[0:3], 0 offen offset:12
	buffer_load_dword v82, v75, s[0:3], 0 offen
	buffer_load_dword v83, v75, s[0:3], 0 offen offset:4
	s_waitcnt vmcnt(2) lgkmcnt(0)
	v_mul_f64 v[84:85], v[3:4], v[78:79]
	v_mul_f64 v[78:79], v[1:2], v[78:79]
	s_waitcnt vmcnt(0)
	v_fma_f64 v[1:2], v[1:2], v[82:83], -v[84:85]
	v_fma_f64 v[3:4], v[3:4], v[82:83], v[78:79]
.LBB34_338:
	s_mov_b32 s8, exec_lo
	v_cmpx_ne_u32_e32 8, v0
	s_cbranch_execz .LBB34_342
; %bb.339:
	v_add_nc_u32_e32 v78, 0x240, v81
	v_add3_u32 v79, 0, v81, 16
	v_mov_b32_e32 v80, v0
	s_mov_b32 s42, 0
	.p2align	6
.LBB34_340:                             ; =>This Inner Loop Header: Depth=1
	s_clause 0x3
	buffer_load_dword v86, v79, s[0:3], 0 offen offset:8
	buffer_load_dword v87, v79, s[0:3], 0 offen offset:12
	buffer_load_dword v88, v79, s[0:3], 0 offen
	buffer_load_dword v89, v79, s[0:3], 0 offen offset:4
	ds_read_b128 v[82:85], v78
	v_add_nc_u32_e32 v80, 1, v80
	v_add_nc_u32_e32 v78, 16, v78
	v_add_nc_u32_e32 v79, 16, v79
	v_cmp_lt_u32_e32 vcc_lo, 7, v80
	s_or_b32 s42, vcc_lo, s42
	s_waitcnt vmcnt(2) lgkmcnt(0)
	v_mul_f64 v[90:91], v[84:85], v[86:87]
	v_mul_f64 v[86:87], v[82:83], v[86:87]
	s_waitcnt vmcnt(0)
	v_fma_f64 v[82:83], v[82:83], v[88:89], -v[90:91]
	v_fma_f64 v[84:85], v[84:85], v[88:89], v[86:87]
	v_add_f64 v[1:2], v[1:2], v[82:83]
	v_add_f64 v[3:4], v[3:4], v[84:85]
	s_andn2_b32 exec_lo, exec_lo, s42
	s_cbranch_execnz .LBB34_340
; %bb.341:
	s_or_b32 exec_lo, exec_lo, s42
.LBB34_342:
	s_or_b32 exec_lo, exec_lo, s8
	v_mov_b32_e32 v78, 0
	ds_read_b128 v[82:85], v78 offset:144
	s_waitcnt lgkmcnt(0)
	v_mul_f64 v[78:79], v[3:4], v[84:85]
	v_mul_f64 v[84:85], v[1:2], v[84:85]
	v_fma_f64 v[1:2], v[1:2], v[82:83], -v[78:79]
	v_fma_f64 v[3:4], v[3:4], v[82:83], v[84:85]
	buffer_store_dword v2, off, s[0:3], 0 offset:148
	buffer_store_dword v1, off, s[0:3], 0 offset:144
	;; [unrolled: 1-line block ×4, first 2 shown]
.LBB34_343:
	s_or_b32 exec_lo, exec_lo, s4
	v_mov_b32_e32 v4, s31
	s_mov_b32 s4, exec_lo
	s_clause 0x3
	buffer_load_dword v1, v4, s[0:3], 0 offen
	buffer_load_dword v2, v4, s[0:3], 0 offen offset:4
	buffer_load_dword v3, v4, s[0:3], 0 offen offset:8
	;; [unrolled: 1-line block ×3, first 2 shown]
	s_waitcnt vmcnt(0)
	ds_write_b128 v76, v[1:4]
	s_waitcnt lgkmcnt(0)
	s_waitcnt_vscnt null, 0x0
	s_barrier
	buffer_gl0_inv
	v_cmpx_gt_u32_e32 10, v0
	s_cbranch_execz .LBB34_351
; %bb.344:
	ds_read_b128 v[1:4], v76
	v_cmp_ne_u32_e32 vcc_lo, 1, v77
	s_cbranch_vccnz .LBB34_346
; %bb.345:
	s_clause 0x3
	buffer_load_dword v78, v75, s[0:3], 0 offen offset:8
	buffer_load_dword v79, v75, s[0:3], 0 offen offset:12
	buffer_load_dword v82, v75, s[0:3], 0 offen
	buffer_load_dword v83, v75, s[0:3], 0 offen offset:4
	s_waitcnt vmcnt(2) lgkmcnt(0)
	v_mul_f64 v[84:85], v[3:4], v[78:79]
	v_mul_f64 v[78:79], v[1:2], v[78:79]
	s_waitcnt vmcnt(0)
	v_fma_f64 v[1:2], v[1:2], v[82:83], -v[84:85]
	v_fma_f64 v[3:4], v[3:4], v[82:83], v[78:79]
.LBB34_346:
	s_mov_b32 s8, exec_lo
	v_cmpx_ne_u32_e32 9, v0
	s_cbranch_execz .LBB34_350
; %bb.347:
	v_add_nc_u32_e32 v78, 0x240, v81
	v_add3_u32 v79, 0, v81, 16
	v_mov_b32_e32 v80, v0
	s_mov_b32 s42, 0
	.p2align	6
.LBB34_348:                             ; =>This Inner Loop Header: Depth=1
	s_clause 0x3
	buffer_load_dword v86, v79, s[0:3], 0 offen offset:8
	buffer_load_dword v87, v79, s[0:3], 0 offen offset:12
	buffer_load_dword v88, v79, s[0:3], 0 offen
	buffer_load_dword v89, v79, s[0:3], 0 offen offset:4
	ds_read_b128 v[82:85], v78
	v_add_nc_u32_e32 v80, 1, v80
	v_add_nc_u32_e32 v78, 16, v78
	;; [unrolled: 1-line block ×3, first 2 shown]
	v_cmp_lt_u32_e32 vcc_lo, 8, v80
	s_or_b32 s42, vcc_lo, s42
	s_waitcnt vmcnt(2) lgkmcnt(0)
	v_mul_f64 v[90:91], v[84:85], v[86:87]
	v_mul_f64 v[86:87], v[82:83], v[86:87]
	s_waitcnt vmcnt(0)
	v_fma_f64 v[82:83], v[82:83], v[88:89], -v[90:91]
	v_fma_f64 v[84:85], v[84:85], v[88:89], v[86:87]
	v_add_f64 v[1:2], v[1:2], v[82:83]
	v_add_f64 v[3:4], v[3:4], v[84:85]
	s_andn2_b32 exec_lo, exec_lo, s42
	s_cbranch_execnz .LBB34_348
; %bb.349:
	s_or_b32 exec_lo, exec_lo, s42
.LBB34_350:
	s_or_b32 exec_lo, exec_lo, s8
	v_mov_b32_e32 v78, 0
	ds_read_b128 v[82:85], v78 offset:160
	s_waitcnt lgkmcnt(0)
	v_mul_f64 v[78:79], v[3:4], v[84:85]
	v_mul_f64 v[84:85], v[1:2], v[84:85]
	v_fma_f64 v[1:2], v[1:2], v[82:83], -v[78:79]
	v_fma_f64 v[3:4], v[3:4], v[82:83], v[84:85]
	buffer_store_dword v2, off, s[0:3], 0 offset:164
	buffer_store_dword v1, off, s[0:3], 0 offset:160
	buffer_store_dword v4, off, s[0:3], 0 offset:172
	buffer_store_dword v3, off, s[0:3], 0 offset:168
.LBB34_351:
	s_or_b32 exec_lo, exec_lo, s4
	v_mov_b32_e32 v4, s30
	s_mov_b32 s4, exec_lo
	s_clause 0x3
	buffer_load_dword v1, v4, s[0:3], 0 offen
	buffer_load_dword v2, v4, s[0:3], 0 offen offset:4
	buffer_load_dword v3, v4, s[0:3], 0 offen offset:8
	buffer_load_dword v4, v4, s[0:3], 0 offen offset:12
	s_waitcnt vmcnt(0)
	ds_write_b128 v76, v[1:4]
	s_waitcnt lgkmcnt(0)
	s_waitcnt_vscnt null, 0x0
	s_barrier
	buffer_gl0_inv
	v_cmpx_gt_u32_e32 11, v0
	s_cbranch_execz .LBB34_359
; %bb.352:
	ds_read_b128 v[1:4], v76
	v_cmp_ne_u32_e32 vcc_lo, 1, v77
	s_cbranch_vccnz .LBB34_354
; %bb.353:
	s_clause 0x3
	buffer_load_dword v78, v75, s[0:3], 0 offen offset:8
	buffer_load_dword v79, v75, s[0:3], 0 offen offset:12
	buffer_load_dword v82, v75, s[0:3], 0 offen
	buffer_load_dword v83, v75, s[0:3], 0 offen offset:4
	s_waitcnt vmcnt(2) lgkmcnt(0)
	v_mul_f64 v[84:85], v[3:4], v[78:79]
	v_mul_f64 v[78:79], v[1:2], v[78:79]
	s_waitcnt vmcnt(0)
	v_fma_f64 v[1:2], v[1:2], v[82:83], -v[84:85]
	v_fma_f64 v[3:4], v[3:4], v[82:83], v[78:79]
.LBB34_354:
	s_mov_b32 s8, exec_lo
	v_cmpx_ne_u32_e32 10, v0
	s_cbranch_execz .LBB34_358
; %bb.355:
	v_add_nc_u32_e32 v78, 0x240, v81
	v_add3_u32 v79, 0, v81, 16
	v_mov_b32_e32 v80, v0
	s_mov_b32 s42, 0
	.p2align	6
.LBB34_356:                             ; =>This Inner Loop Header: Depth=1
	s_clause 0x3
	buffer_load_dword v86, v79, s[0:3], 0 offen offset:8
	buffer_load_dword v87, v79, s[0:3], 0 offen offset:12
	buffer_load_dword v88, v79, s[0:3], 0 offen
	buffer_load_dword v89, v79, s[0:3], 0 offen offset:4
	ds_read_b128 v[82:85], v78
	v_add_nc_u32_e32 v80, 1, v80
	v_add_nc_u32_e32 v78, 16, v78
	;; [unrolled: 1-line block ×3, first 2 shown]
	v_cmp_lt_u32_e32 vcc_lo, 9, v80
	s_or_b32 s42, vcc_lo, s42
	s_waitcnt vmcnt(2) lgkmcnt(0)
	v_mul_f64 v[90:91], v[84:85], v[86:87]
	v_mul_f64 v[86:87], v[82:83], v[86:87]
	s_waitcnt vmcnt(0)
	v_fma_f64 v[82:83], v[82:83], v[88:89], -v[90:91]
	v_fma_f64 v[84:85], v[84:85], v[88:89], v[86:87]
	v_add_f64 v[1:2], v[1:2], v[82:83]
	v_add_f64 v[3:4], v[3:4], v[84:85]
	s_andn2_b32 exec_lo, exec_lo, s42
	s_cbranch_execnz .LBB34_356
; %bb.357:
	s_or_b32 exec_lo, exec_lo, s42
.LBB34_358:
	s_or_b32 exec_lo, exec_lo, s8
	v_mov_b32_e32 v78, 0
	ds_read_b128 v[82:85], v78 offset:176
	s_waitcnt lgkmcnt(0)
	v_mul_f64 v[78:79], v[3:4], v[84:85]
	v_mul_f64 v[84:85], v[1:2], v[84:85]
	v_fma_f64 v[1:2], v[1:2], v[82:83], -v[78:79]
	v_fma_f64 v[3:4], v[3:4], v[82:83], v[84:85]
	buffer_store_dword v2, off, s[0:3], 0 offset:180
	buffer_store_dword v1, off, s[0:3], 0 offset:176
	buffer_store_dword v4, off, s[0:3], 0 offset:188
	buffer_store_dword v3, off, s[0:3], 0 offset:184
.LBB34_359:
	s_or_b32 exec_lo, exec_lo, s4
	v_mov_b32_e32 v4, s29
	s_mov_b32 s4, exec_lo
	s_clause 0x3
	buffer_load_dword v1, v4, s[0:3], 0 offen
	buffer_load_dword v2, v4, s[0:3], 0 offen offset:4
	buffer_load_dword v3, v4, s[0:3], 0 offen offset:8
	;; [unrolled: 1-line block ×3, first 2 shown]
	s_waitcnt vmcnt(0)
	ds_write_b128 v76, v[1:4]
	s_waitcnt lgkmcnt(0)
	s_waitcnt_vscnt null, 0x0
	s_barrier
	buffer_gl0_inv
	v_cmpx_gt_u32_e32 12, v0
	s_cbranch_execz .LBB34_367
; %bb.360:
	ds_read_b128 v[1:4], v76
	v_cmp_ne_u32_e32 vcc_lo, 1, v77
	s_cbranch_vccnz .LBB34_362
; %bb.361:
	s_clause 0x3
	buffer_load_dword v78, v75, s[0:3], 0 offen offset:8
	buffer_load_dword v79, v75, s[0:3], 0 offen offset:12
	buffer_load_dword v82, v75, s[0:3], 0 offen
	buffer_load_dword v83, v75, s[0:3], 0 offen offset:4
	s_waitcnt vmcnt(2) lgkmcnt(0)
	v_mul_f64 v[84:85], v[3:4], v[78:79]
	v_mul_f64 v[78:79], v[1:2], v[78:79]
	s_waitcnt vmcnt(0)
	v_fma_f64 v[1:2], v[1:2], v[82:83], -v[84:85]
	v_fma_f64 v[3:4], v[3:4], v[82:83], v[78:79]
.LBB34_362:
	s_mov_b32 s8, exec_lo
	v_cmpx_ne_u32_e32 11, v0
	s_cbranch_execz .LBB34_366
; %bb.363:
	v_add_nc_u32_e32 v78, 0x240, v81
	v_add3_u32 v79, 0, v81, 16
	v_mov_b32_e32 v80, v0
	s_mov_b32 s42, 0
	.p2align	6
.LBB34_364:                             ; =>This Inner Loop Header: Depth=1
	s_clause 0x3
	buffer_load_dword v86, v79, s[0:3], 0 offen offset:8
	buffer_load_dword v87, v79, s[0:3], 0 offen offset:12
	buffer_load_dword v88, v79, s[0:3], 0 offen
	buffer_load_dword v89, v79, s[0:3], 0 offen offset:4
	ds_read_b128 v[82:85], v78
	v_add_nc_u32_e32 v80, 1, v80
	v_add_nc_u32_e32 v78, 16, v78
	;; [unrolled: 1-line block ×3, first 2 shown]
	v_cmp_lt_u32_e32 vcc_lo, 10, v80
	s_or_b32 s42, vcc_lo, s42
	s_waitcnt vmcnt(2) lgkmcnt(0)
	v_mul_f64 v[90:91], v[84:85], v[86:87]
	v_mul_f64 v[86:87], v[82:83], v[86:87]
	s_waitcnt vmcnt(0)
	v_fma_f64 v[82:83], v[82:83], v[88:89], -v[90:91]
	v_fma_f64 v[84:85], v[84:85], v[88:89], v[86:87]
	v_add_f64 v[1:2], v[1:2], v[82:83]
	v_add_f64 v[3:4], v[3:4], v[84:85]
	s_andn2_b32 exec_lo, exec_lo, s42
	s_cbranch_execnz .LBB34_364
; %bb.365:
	s_or_b32 exec_lo, exec_lo, s42
.LBB34_366:
	s_or_b32 exec_lo, exec_lo, s8
	v_mov_b32_e32 v78, 0
	ds_read_b128 v[82:85], v78 offset:192
	s_waitcnt lgkmcnt(0)
	v_mul_f64 v[78:79], v[3:4], v[84:85]
	v_mul_f64 v[84:85], v[1:2], v[84:85]
	v_fma_f64 v[1:2], v[1:2], v[82:83], -v[78:79]
	v_fma_f64 v[3:4], v[3:4], v[82:83], v[84:85]
	buffer_store_dword v2, off, s[0:3], 0 offset:196
	buffer_store_dword v1, off, s[0:3], 0 offset:192
	buffer_store_dword v4, off, s[0:3], 0 offset:204
	buffer_store_dword v3, off, s[0:3], 0 offset:200
.LBB34_367:
	s_or_b32 exec_lo, exec_lo, s4
	v_mov_b32_e32 v4, s28
	s_mov_b32 s4, exec_lo
	s_clause 0x3
	buffer_load_dword v1, v4, s[0:3], 0 offen
	buffer_load_dword v2, v4, s[0:3], 0 offen offset:4
	buffer_load_dword v3, v4, s[0:3], 0 offen offset:8
	;; [unrolled: 1-line block ×3, first 2 shown]
	s_waitcnt vmcnt(0)
	ds_write_b128 v76, v[1:4]
	s_waitcnt lgkmcnt(0)
	s_waitcnt_vscnt null, 0x0
	s_barrier
	buffer_gl0_inv
	v_cmpx_gt_u32_e32 13, v0
	s_cbranch_execz .LBB34_375
; %bb.368:
	ds_read_b128 v[1:4], v76
	v_cmp_ne_u32_e32 vcc_lo, 1, v77
	s_cbranch_vccnz .LBB34_370
; %bb.369:
	s_clause 0x3
	buffer_load_dword v78, v75, s[0:3], 0 offen offset:8
	buffer_load_dword v79, v75, s[0:3], 0 offen offset:12
	buffer_load_dword v82, v75, s[0:3], 0 offen
	buffer_load_dword v83, v75, s[0:3], 0 offen offset:4
	s_waitcnt vmcnt(2) lgkmcnt(0)
	v_mul_f64 v[84:85], v[3:4], v[78:79]
	v_mul_f64 v[78:79], v[1:2], v[78:79]
	s_waitcnt vmcnt(0)
	v_fma_f64 v[1:2], v[1:2], v[82:83], -v[84:85]
	v_fma_f64 v[3:4], v[3:4], v[82:83], v[78:79]
.LBB34_370:
	s_mov_b32 s8, exec_lo
	v_cmpx_ne_u32_e32 12, v0
	s_cbranch_execz .LBB34_374
; %bb.371:
	v_add_nc_u32_e32 v78, 0x240, v81
	v_add3_u32 v79, 0, v81, 16
	v_mov_b32_e32 v80, v0
	s_mov_b32 s42, 0
	.p2align	6
.LBB34_372:                             ; =>This Inner Loop Header: Depth=1
	s_clause 0x3
	buffer_load_dword v86, v79, s[0:3], 0 offen offset:8
	buffer_load_dword v87, v79, s[0:3], 0 offen offset:12
	buffer_load_dword v88, v79, s[0:3], 0 offen
	buffer_load_dword v89, v79, s[0:3], 0 offen offset:4
	ds_read_b128 v[82:85], v78
	v_add_nc_u32_e32 v80, 1, v80
	v_add_nc_u32_e32 v78, 16, v78
	;; [unrolled: 1-line block ×3, first 2 shown]
	v_cmp_lt_u32_e32 vcc_lo, 11, v80
	s_or_b32 s42, vcc_lo, s42
	s_waitcnt vmcnt(2) lgkmcnt(0)
	v_mul_f64 v[90:91], v[84:85], v[86:87]
	v_mul_f64 v[86:87], v[82:83], v[86:87]
	s_waitcnt vmcnt(0)
	v_fma_f64 v[82:83], v[82:83], v[88:89], -v[90:91]
	v_fma_f64 v[84:85], v[84:85], v[88:89], v[86:87]
	v_add_f64 v[1:2], v[1:2], v[82:83]
	v_add_f64 v[3:4], v[3:4], v[84:85]
	s_andn2_b32 exec_lo, exec_lo, s42
	s_cbranch_execnz .LBB34_372
; %bb.373:
	s_or_b32 exec_lo, exec_lo, s42
.LBB34_374:
	s_or_b32 exec_lo, exec_lo, s8
	v_mov_b32_e32 v78, 0
	ds_read_b128 v[82:85], v78 offset:208
	s_waitcnt lgkmcnt(0)
	v_mul_f64 v[78:79], v[3:4], v[84:85]
	v_mul_f64 v[84:85], v[1:2], v[84:85]
	v_fma_f64 v[1:2], v[1:2], v[82:83], -v[78:79]
	v_fma_f64 v[3:4], v[3:4], v[82:83], v[84:85]
	buffer_store_dword v2, off, s[0:3], 0 offset:212
	buffer_store_dword v1, off, s[0:3], 0 offset:208
	;; [unrolled: 1-line block ×4, first 2 shown]
.LBB34_375:
	s_or_b32 exec_lo, exec_lo, s4
	v_mov_b32_e32 v4, s27
	s_mov_b32 s4, exec_lo
	s_clause 0x3
	buffer_load_dword v1, v4, s[0:3], 0 offen
	buffer_load_dword v2, v4, s[0:3], 0 offen offset:4
	buffer_load_dword v3, v4, s[0:3], 0 offen offset:8
	;; [unrolled: 1-line block ×3, first 2 shown]
	s_waitcnt vmcnt(0)
	ds_write_b128 v76, v[1:4]
	s_waitcnt lgkmcnt(0)
	s_waitcnt_vscnt null, 0x0
	s_barrier
	buffer_gl0_inv
	v_cmpx_gt_u32_e32 14, v0
	s_cbranch_execz .LBB34_383
; %bb.376:
	ds_read_b128 v[1:4], v76
	v_cmp_ne_u32_e32 vcc_lo, 1, v77
	s_cbranch_vccnz .LBB34_378
; %bb.377:
	s_clause 0x3
	buffer_load_dword v78, v75, s[0:3], 0 offen offset:8
	buffer_load_dword v79, v75, s[0:3], 0 offen offset:12
	buffer_load_dword v82, v75, s[0:3], 0 offen
	buffer_load_dword v83, v75, s[0:3], 0 offen offset:4
	s_waitcnt vmcnt(2) lgkmcnt(0)
	v_mul_f64 v[84:85], v[3:4], v[78:79]
	v_mul_f64 v[78:79], v[1:2], v[78:79]
	s_waitcnt vmcnt(0)
	v_fma_f64 v[1:2], v[1:2], v[82:83], -v[84:85]
	v_fma_f64 v[3:4], v[3:4], v[82:83], v[78:79]
.LBB34_378:
	s_mov_b32 s8, exec_lo
	v_cmpx_ne_u32_e32 13, v0
	s_cbranch_execz .LBB34_382
; %bb.379:
	v_add_nc_u32_e32 v78, 0x240, v81
	v_add3_u32 v79, 0, v81, 16
	v_mov_b32_e32 v80, v0
	s_mov_b32 s42, 0
	.p2align	6
.LBB34_380:                             ; =>This Inner Loop Header: Depth=1
	s_clause 0x3
	buffer_load_dword v86, v79, s[0:3], 0 offen offset:8
	buffer_load_dword v87, v79, s[0:3], 0 offen offset:12
	buffer_load_dword v88, v79, s[0:3], 0 offen
	buffer_load_dword v89, v79, s[0:3], 0 offen offset:4
	ds_read_b128 v[82:85], v78
	v_add_nc_u32_e32 v80, 1, v80
	v_add_nc_u32_e32 v78, 16, v78
	;; [unrolled: 1-line block ×3, first 2 shown]
	v_cmp_lt_u32_e32 vcc_lo, 12, v80
	s_or_b32 s42, vcc_lo, s42
	s_waitcnt vmcnt(2) lgkmcnt(0)
	v_mul_f64 v[90:91], v[84:85], v[86:87]
	v_mul_f64 v[86:87], v[82:83], v[86:87]
	s_waitcnt vmcnt(0)
	v_fma_f64 v[82:83], v[82:83], v[88:89], -v[90:91]
	v_fma_f64 v[84:85], v[84:85], v[88:89], v[86:87]
	v_add_f64 v[1:2], v[1:2], v[82:83]
	v_add_f64 v[3:4], v[3:4], v[84:85]
	s_andn2_b32 exec_lo, exec_lo, s42
	s_cbranch_execnz .LBB34_380
; %bb.381:
	s_or_b32 exec_lo, exec_lo, s42
.LBB34_382:
	s_or_b32 exec_lo, exec_lo, s8
	v_mov_b32_e32 v78, 0
	ds_read_b128 v[82:85], v78 offset:224
	s_waitcnt lgkmcnt(0)
	v_mul_f64 v[78:79], v[3:4], v[84:85]
	v_mul_f64 v[84:85], v[1:2], v[84:85]
	v_fma_f64 v[1:2], v[1:2], v[82:83], -v[78:79]
	v_fma_f64 v[3:4], v[3:4], v[82:83], v[84:85]
	buffer_store_dword v2, off, s[0:3], 0 offset:228
	buffer_store_dword v1, off, s[0:3], 0 offset:224
	;; [unrolled: 1-line block ×4, first 2 shown]
.LBB34_383:
	s_or_b32 exec_lo, exec_lo, s4
	v_mov_b32_e32 v4, s26
	s_mov_b32 s4, exec_lo
	s_clause 0x3
	buffer_load_dword v1, v4, s[0:3], 0 offen
	buffer_load_dword v2, v4, s[0:3], 0 offen offset:4
	buffer_load_dword v3, v4, s[0:3], 0 offen offset:8
	;; [unrolled: 1-line block ×3, first 2 shown]
	s_waitcnt vmcnt(0)
	ds_write_b128 v76, v[1:4]
	s_waitcnt lgkmcnt(0)
	s_waitcnt_vscnt null, 0x0
	s_barrier
	buffer_gl0_inv
	v_cmpx_gt_u32_e32 15, v0
	s_cbranch_execz .LBB34_391
; %bb.384:
	ds_read_b128 v[1:4], v76
	v_cmp_ne_u32_e32 vcc_lo, 1, v77
	s_cbranch_vccnz .LBB34_386
; %bb.385:
	s_clause 0x3
	buffer_load_dword v78, v75, s[0:3], 0 offen offset:8
	buffer_load_dword v79, v75, s[0:3], 0 offen offset:12
	buffer_load_dword v82, v75, s[0:3], 0 offen
	buffer_load_dword v83, v75, s[0:3], 0 offen offset:4
	s_waitcnt vmcnt(2) lgkmcnt(0)
	v_mul_f64 v[84:85], v[3:4], v[78:79]
	v_mul_f64 v[78:79], v[1:2], v[78:79]
	s_waitcnt vmcnt(0)
	v_fma_f64 v[1:2], v[1:2], v[82:83], -v[84:85]
	v_fma_f64 v[3:4], v[3:4], v[82:83], v[78:79]
.LBB34_386:
	s_mov_b32 s8, exec_lo
	v_cmpx_ne_u32_e32 14, v0
	s_cbranch_execz .LBB34_390
; %bb.387:
	v_add_nc_u32_e32 v78, 0x240, v81
	v_add3_u32 v79, 0, v81, 16
	v_mov_b32_e32 v80, v0
	s_mov_b32 s42, 0
	.p2align	6
.LBB34_388:                             ; =>This Inner Loop Header: Depth=1
	s_clause 0x3
	buffer_load_dword v86, v79, s[0:3], 0 offen offset:8
	buffer_load_dword v87, v79, s[0:3], 0 offen offset:12
	buffer_load_dword v88, v79, s[0:3], 0 offen
	buffer_load_dword v89, v79, s[0:3], 0 offen offset:4
	ds_read_b128 v[82:85], v78
	v_add_nc_u32_e32 v80, 1, v80
	v_add_nc_u32_e32 v78, 16, v78
	v_add_nc_u32_e32 v79, 16, v79
	v_cmp_lt_u32_e32 vcc_lo, 13, v80
	s_or_b32 s42, vcc_lo, s42
	s_waitcnt vmcnt(2) lgkmcnt(0)
	v_mul_f64 v[90:91], v[84:85], v[86:87]
	v_mul_f64 v[86:87], v[82:83], v[86:87]
	s_waitcnt vmcnt(0)
	v_fma_f64 v[82:83], v[82:83], v[88:89], -v[90:91]
	v_fma_f64 v[84:85], v[84:85], v[88:89], v[86:87]
	v_add_f64 v[1:2], v[1:2], v[82:83]
	v_add_f64 v[3:4], v[3:4], v[84:85]
	s_andn2_b32 exec_lo, exec_lo, s42
	s_cbranch_execnz .LBB34_388
; %bb.389:
	s_or_b32 exec_lo, exec_lo, s42
.LBB34_390:
	s_or_b32 exec_lo, exec_lo, s8
	v_mov_b32_e32 v78, 0
	ds_read_b128 v[82:85], v78 offset:240
	s_waitcnt lgkmcnt(0)
	v_mul_f64 v[78:79], v[3:4], v[84:85]
	v_mul_f64 v[84:85], v[1:2], v[84:85]
	v_fma_f64 v[1:2], v[1:2], v[82:83], -v[78:79]
	v_fma_f64 v[3:4], v[3:4], v[82:83], v[84:85]
	buffer_store_dword v2, off, s[0:3], 0 offset:244
	buffer_store_dword v1, off, s[0:3], 0 offset:240
	;; [unrolled: 1-line block ×4, first 2 shown]
.LBB34_391:
	s_or_b32 exec_lo, exec_lo, s4
	v_mov_b32_e32 v4, s25
	s_mov_b32 s4, exec_lo
	s_clause 0x3
	buffer_load_dword v1, v4, s[0:3], 0 offen
	buffer_load_dword v2, v4, s[0:3], 0 offen offset:4
	buffer_load_dword v3, v4, s[0:3], 0 offen offset:8
	;; [unrolled: 1-line block ×3, first 2 shown]
	s_waitcnt vmcnt(0)
	ds_write_b128 v76, v[1:4]
	s_waitcnt lgkmcnt(0)
	s_waitcnt_vscnt null, 0x0
	s_barrier
	buffer_gl0_inv
	v_cmpx_gt_u32_e32 16, v0
	s_cbranch_execz .LBB34_399
; %bb.392:
	ds_read_b128 v[1:4], v76
	v_cmp_ne_u32_e32 vcc_lo, 1, v77
	s_cbranch_vccnz .LBB34_394
; %bb.393:
	s_clause 0x3
	buffer_load_dword v78, v75, s[0:3], 0 offen offset:8
	buffer_load_dword v79, v75, s[0:3], 0 offen offset:12
	buffer_load_dword v82, v75, s[0:3], 0 offen
	buffer_load_dword v83, v75, s[0:3], 0 offen offset:4
	s_waitcnt vmcnt(2) lgkmcnt(0)
	v_mul_f64 v[84:85], v[3:4], v[78:79]
	v_mul_f64 v[78:79], v[1:2], v[78:79]
	s_waitcnt vmcnt(0)
	v_fma_f64 v[1:2], v[1:2], v[82:83], -v[84:85]
	v_fma_f64 v[3:4], v[3:4], v[82:83], v[78:79]
.LBB34_394:
	s_mov_b32 s8, exec_lo
	v_cmpx_ne_u32_e32 15, v0
	s_cbranch_execz .LBB34_398
; %bb.395:
	v_add_nc_u32_e32 v78, 0x240, v81
	v_add3_u32 v79, 0, v81, 16
	v_mov_b32_e32 v80, v0
	s_mov_b32 s42, 0
	.p2align	6
.LBB34_396:                             ; =>This Inner Loop Header: Depth=1
	s_clause 0x3
	buffer_load_dword v86, v79, s[0:3], 0 offen offset:8
	buffer_load_dword v87, v79, s[0:3], 0 offen offset:12
	buffer_load_dword v88, v79, s[0:3], 0 offen
	buffer_load_dword v89, v79, s[0:3], 0 offen offset:4
	ds_read_b128 v[82:85], v78
	v_add_nc_u32_e32 v80, 1, v80
	v_add_nc_u32_e32 v78, 16, v78
	;; [unrolled: 1-line block ×3, first 2 shown]
	v_cmp_lt_u32_e32 vcc_lo, 14, v80
	s_or_b32 s42, vcc_lo, s42
	s_waitcnt vmcnt(2) lgkmcnt(0)
	v_mul_f64 v[90:91], v[84:85], v[86:87]
	v_mul_f64 v[86:87], v[82:83], v[86:87]
	s_waitcnt vmcnt(0)
	v_fma_f64 v[82:83], v[82:83], v[88:89], -v[90:91]
	v_fma_f64 v[84:85], v[84:85], v[88:89], v[86:87]
	v_add_f64 v[1:2], v[1:2], v[82:83]
	v_add_f64 v[3:4], v[3:4], v[84:85]
	s_andn2_b32 exec_lo, exec_lo, s42
	s_cbranch_execnz .LBB34_396
; %bb.397:
	s_or_b32 exec_lo, exec_lo, s42
.LBB34_398:
	s_or_b32 exec_lo, exec_lo, s8
	v_mov_b32_e32 v78, 0
	ds_read_b128 v[82:85], v78 offset:256
	s_waitcnt lgkmcnt(0)
	v_mul_f64 v[78:79], v[3:4], v[84:85]
	v_mul_f64 v[84:85], v[1:2], v[84:85]
	v_fma_f64 v[1:2], v[1:2], v[82:83], -v[78:79]
	v_fma_f64 v[3:4], v[3:4], v[82:83], v[84:85]
	buffer_store_dword v2, off, s[0:3], 0 offset:260
	buffer_store_dword v1, off, s[0:3], 0 offset:256
	buffer_store_dword v4, off, s[0:3], 0 offset:268
	buffer_store_dword v3, off, s[0:3], 0 offset:264
.LBB34_399:
	s_or_b32 exec_lo, exec_lo, s4
	v_mov_b32_e32 v4, s24
	s_mov_b32 s4, exec_lo
	s_clause 0x3
	buffer_load_dword v1, v4, s[0:3], 0 offen
	buffer_load_dword v2, v4, s[0:3], 0 offen offset:4
	buffer_load_dword v3, v4, s[0:3], 0 offen offset:8
	;; [unrolled: 1-line block ×3, first 2 shown]
	s_waitcnt vmcnt(0)
	ds_write_b128 v76, v[1:4]
	s_waitcnt lgkmcnt(0)
	s_waitcnt_vscnt null, 0x0
	s_barrier
	buffer_gl0_inv
	v_cmpx_gt_u32_e32 17, v0
	s_cbranch_execz .LBB34_407
; %bb.400:
	ds_read_b128 v[1:4], v76
	v_cmp_ne_u32_e32 vcc_lo, 1, v77
	s_cbranch_vccnz .LBB34_402
; %bb.401:
	s_clause 0x3
	buffer_load_dword v78, v75, s[0:3], 0 offen offset:8
	buffer_load_dword v79, v75, s[0:3], 0 offen offset:12
	buffer_load_dword v82, v75, s[0:3], 0 offen
	buffer_load_dword v83, v75, s[0:3], 0 offen offset:4
	s_waitcnt vmcnt(2) lgkmcnt(0)
	v_mul_f64 v[84:85], v[3:4], v[78:79]
	v_mul_f64 v[78:79], v[1:2], v[78:79]
	s_waitcnt vmcnt(0)
	v_fma_f64 v[1:2], v[1:2], v[82:83], -v[84:85]
	v_fma_f64 v[3:4], v[3:4], v[82:83], v[78:79]
.LBB34_402:
	s_mov_b32 s8, exec_lo
	v_cmpx_ne_u32_e32 16, v0
	s_cbranch_execz .LBB34_406
; %bb.403:
	v_add_nc_u32_e32 v78, 0x240, v81
	v_add3_u32 v79, 0, v81, 16
	v_mov_b32_e32 v80, v0
	s_mov_b32 s42, 0
	.p2align	6
.LBB34_404:                             ; =>This Inner Loop Header: Depth=1
	s_clause 0x3
	buffer_load_dword v86, v79, s[0:3], 0 offen offset:8
	buffer_load_dword v87, v79, s[0:3], 0 offen offset:12
	buffer_load_dword v88, v79, s[0:3], 0 offen
	buffer_load_dword v89, v79, s[0:3], 0 offen offset:4
	ds_read_b128 v[82:85], v78
	v_add_nc_u32_e32 v80, 1, v80
	v_add_nc_u32_e32 v78, 16, v78
	;; [unrolled: 1-line block ×3, first 2 shown]
	v_cmp_lt_u32_e32 vcc_lo, 15, v80
	s_or_b32 s42, vcc_lo, s42
	s_waitcnt vmcnt(2) lgkmcnt(0)
	v_mul_f64 v[90:91], v[84:85], v[86:87]
	v_mul_f64 v[86:87], v[82:83], v[86:87]
	s_waitcnt vmcnt(0)
	v_fma_f64 v[82:83], v[82:83], v[88:89], -v[90:91]
	v_fma_f64 v[84:85], v[84:85], v[88:89], v[86:87]
	v_add_f64 v[1:2], v[1:2], v[82:83]
	v_add_f64 v[3:4], v[3:4], v[84:85]
	s_andn2_b32 exec_lo, exec_lo, s42
	s_cbranch_execnz .LBB34_404
; %bb.405:
	s_or_b32 exec_lo, exec_lo, s42
.LBB34_406:
	s_or_b32 exec_lo, exec_lo, s8
	v_mov_b32_e32 v78, 0
	ds_read_b128 v[82:85], v78 offset:272
	s_waitcnt lgkmcnt(0)
	v_mul_f64 v[78:79], v[3:4], v[84:85]
	v_mul_f64 v[84:85], v[1:2], v[84:85]
	v_fma_f64 v[1:2], v[1:2], v[82:83], -v[78:79]
	v_fma_f64 v[3:4], v[3:4], v[82:83], v[84:85]
	buffer_store_dword v2, off, s[0:3], 0 offset:276
	buffer_store_dword v1, off, s[0:3], 0 offset:272
	;; [unrolled: 1-line block ×4, first 2 shown]
.LBB34_407:
	s_or_b32 exec_lo, exec_lo, s4
	v_mov_b32_e32 v4, s23
	s_mov_b32 s4, exec_lo
	s_clause 0x3
	buffer_load_dword v1, v4, s[0:3], 0 offen
	buffer_load_dword v2, v4, s[0:3], 0 offen offset:4
	buffer_load_dword v3, v4, s[0:3], 0 offen offset:8
	;; [unrolled: 1-line block ×3, first 2 shown]
	s_waitcnt vmcnt(0)
	ds_write_b128 v76, v[1:4]
	s_waitcnt lgkmcnt(0)
	s_waitcnt_vscnt null, 0x0
	s_barrier
	buffer_gl0_inv
	v_cmpx_gt_u32_e32 18, v0
	s_cbranch_execz .LBB34_415
; %bb.408:
	ds_read_b128 v[1:4], v76
	v_cmp_ne_u32_e32 vcc_lo, 1, v77
	s_cbranch_vccnz .LBB34_410
; %bb.409:
	s_clause 0x3
	buffer_load_dword v78, v75, s[0:3], 0 offen offset:8
	buffer_load_dword v79, v75, s[0:3], 0 offen offset:12
	buffer_load_dword v82, v75, s[0:3], 0 offen
	buffer_load_dword v83, v75, s[0:3], 0 offen offset:4
	s_waitcnt vmcnt(2) lgkmcnt(0)
	v_mul_f64 v[84:85], v[3:4], v[78:79]
	v_mul_f64 v[78:79], v[1:2], v[78:79]
	s_waitcnt vmcnt(0)
	v_fma_f64 v[1:2], v[1:2], v[82:83], -v[84:85]
	v_fma_f64 v[3:4], v[3:4], v[82:83], v[78:79]
.LBB34_410:
	s_mov_b32 s8, exec_lo
	v_cmpx_ne_u32_e32 17, v0
	s_cbranch_execz .LBB34_414
; %bb.411:
	v_add_nc_u32_e32 v78, 0x240, v81
	v_add3_u32 v79, 0, v81, 16
	v_mov_b32_e32 v80, v0
	s_mov_b32 s42, 0
	.p2align	6
.LBB34_412:                             ; =>This Inner Loop Header: Depth=1
	s_clause 0x3
	buffer_load_dword v86, v79, s[0:3], 0 offen offset:8
	buffer_load_dword v87, v79, s[0:3], 0 offen offset:12
	buffer_load_dword v88, v79, s[0:3], 0 offen
	buffer_load_dword v89, v79, s[0:3], 0 offen offset:4
	ds_read_b128 v[82:85], v78
	v_add_nc_u32_e32 v80, 1, v80
	v_add_nc_u32_e32 v78, 16, v78
	;; [unrolled: 1-line block ×3, first 2 shown]
	v_cmp_lt_u32_e32 vcc_lo, 16, v80
	s_or_b32 s42, vcc_lo, s42
	s_waitcnt vmcnt(2) lgkmcnt(0)
	v_mul_f64 v[90:91], v[84:85], v[86:87]
	v_mul_f64 v[86:87], v[82:83], v[86:87]
	s_waitcnt vmcnt(0)
	v_fma_f64 v[82:83], v[82:83], v[88:89], -v[90:91]
	v_fma_f64 v[84:85], v[84:85], v[88:89], v[86:87]
	v_add_f64 v[1:2], v[1:2], v[82:83]
	v_add_f64 v[3:4], v[3:4], v[84:85]
	s_andn2_b32 exec_lo, exec_lo, s42
	s_cbranch_execnz .LBB34_412
; %bb.413:
	s_or_b32 exec_lo, exec_lo, s42
.LBB34_414:
	s_or_b32 exec_lo, exec_lo, s8
	v_mov_b32_e32 v78, 0
	ds_read_b128 v[82:85], v78 offset:288
	s_waitcnt lgkmcnt(0)
	v_mul_f64 v[78:79], v[3:4], v[84:85]
	v_mul_f64 v[84:85], v[1:2], v[84:85]
	v_fma_f64 v[1:2], v[1:2], v[82:83], -v[78:79]
	v_fma_f64 v[3:4], v[3:4], v[82:83], v[84:85]
	buffer_store_dword v2, off, s[0:3], 0 offset:292
	buffer_store_dword v1, off, s[0:3], 0 offset:288
	;; [unrolled: 1-line block ×4, first 2 shown]
.LBB34_415:
	s_or_b32 exec_lo, exec_lo, s4
	v_mov_b32_e32 v4, s22
	s_mov_b32 s4, exec_lo
	s_clause 0x3
	buffer_load_dword v1, v4, s[0:3], 0 offen
	buffer_load_dword v2, v4, s[0:3], 0 offen offset:4
	buffer_load_dword v3, v4, s[0:3], 0 offen offset:8
	;; [unrolled: 1-line block ×3, first 2 shown]
	s_waitcnt vmcnt(0)
	ds_write_b128 v76, v[1:4]
	s_waitcnt lgkmcnt(0)
	s_waitcnt_vscnt null, 0x0
	s_barrier
	buffer_gl0_inv
	v_cmpx_gt_u32_e32 19, v0
	s_cbranch_execz .LBB34_423
; %bb.416:
	ds_read_b128 v[1:4], v76
	v_cmp_ne_u32_e32 vcc_lo, 1, v77
	s_cbranch_vccnz .LBB34_418
; %bb.417:
	s_clause 0x3
	buffer_load_dword v78, v75, s[0:3], 0 offen offset:8
	buffer_load_dword v79, v75, s[0:3], 0 offen offset:12
	buffer_load_dword v82, v75, s[0:3], 0 offen
	buffer_load_dword v83, v75, s[0:3], 0 offen offset:4
	s_waitcnt vmcnt(2) lgkmcnt(0)
	v_mul_f64 v[84:85], v[3:4], v[78:79]
	v_mul_f64 v[78:79], v[1:2], v[78:79]
	s_waitcnt vmcnt(0)
	v_fma_f64 v[1:2], v[1:2], v[82:83], -v[84:85]
	v_fma_f64 v[3:4], v[3:4], v[82:83], v[78:79]
.LBB34_418:
	s_mov_b32 s8, exec_lo
	v_cmpx_ne_u32_e32 18, v0
	s_cbranch_execz .LBB34_422
; %bb.419:
	v_add_nc_u32_e32 v78, 0x240, v81
	v_add3_u32 v79, 0, v81, 16
	v_mov_b32_e32 v80, v0
	s_mov_b32 s42, 0
	.p2align	6
.LBB34_420:                             ; =>This Inner Loop Header: Depth=1
	s_clause 0x3
	buffer_load_dword v86, v79, s[0:3], 0 offen offset:8
	buffer_load_dword v87, v79, s[0:3], 0 offen offset:12
	buffer_load_dword v88, v79, s[0:3], 0 offen
	buffer_load_dword v89, v79, s[0:3], 0 offen offset:4
	ds_read_b128 v[82:85], v78
	v_add_nc_u32_e32 v80, 1, v80
	v_add_nc_u32_e32 v78, 16, v78
	;; [unrolled: 1-line block ×3, first 2 shown]
	v_cmp_lt_u32_e32 vcc_lo, 17, v80
	s_or_b32 s42, vcc_lo, s42
	s_waitcnt vmcnt(2) lgkmcnt(0)
	v_mul_f64 v[90:91], v[84:85], v[86:87]
	v_mul_f64 v[86:87], v[82:83], v[86:87]
	s_waitcnt vmcnt(0)
	v_fma_f64 v[82:83], v[82:83], v[88:89], -v[90:91]
	v_fma_f64 v[84:85], v[84:85], v[88:89], v[86:87]
	v_add_f64 v[1:2], v[1:2], v[82:83]
	v_add_f64 v[3:4], v[3:4], v[84:85]
	s_andn2_b32 exec_lo, exec_lo, s42
	s_cbranch_execnz .LBB34_420
; %bb.421:
	s_or_b32 exec_lo, exec_lo, s42
.LBB34_422:
	s_or_b32 exec_lo, exec_lo, s8
	v_mov_b32_e32 v78, 0
	ds_read_b128 v[82:85], v78 offset:304
	s_waitcnt lgkmcnt(0)
	v_mul_f64 v[78:79], v[3:4], v[84:85]
	v_mul_f64 v[84:85], v[1:2], v[84:85]
	v_fma_f64 v[1:2], v[1:2], v[82:83], -v[78:79]
	v_fma_f64 v[3:4], v[3:4], v[82:83], v[84:85]
	buffer_store_dword v2, off, s[0:3], 0 offset:308
	buffer_store_dword v1, off, s[0:3], 0 offset:304
	;; [unrolled: 1-line block ×4, first 2 shown]
.LBB34_423:
	s_or_b32 exec_lo, exec_lo, s4
	v_mov_b32_e32 v4, s21
	s_mov_b32 s4, exec_lo
	s_clause 0x3
	buffer_load_dword v1, v4, s[0:3], 0 offen
	buffer_load_dword v2, v4, s[0:3], 0 offen offset:4
	buffer_load_dword v3, v4, s[0:3], 0 offen offset:8
	;; [unrolled: 1-line block ×3, first 2 shown]
	s_waitcnt vmcnt(0)
	ds_write_b128 v76, v[1:4]
	s_waitcnt lgkmcnt(0)
	s_waitcnt_vscnt null, 0x0
	s_barrier
	buffer_gl0_inv
	v_cmpx_gt_u32_e32 20, v0
	s_cbranch_execz .LBB34_431
; %bb.424:
	ds_read_b128 v[1:4], v76
	v_cmp_ne_u32_e32 vcc_lo, 1, v77
	s_cbranch_vccnz .LBB34_426
; %bb.425:
	s_clause 0x3
	buffer_load_dword v78, v75, s[0:3], 0 offen offset:8
	buffer_load_dword v79, v75, s[0:3], 0 offen offset:12
	buffer_load_dword v82, v75, s[0:3], 0 offen
	buffer_load_dword v83, v75, s[0:3], 0 offen offset:4
	s_waitcnt vmcnt(2) lgkmcnt(0)
	v_mul_f64 v[84:85], v[3:4], v[78:79]
	v_mul_f64 v[78:79], v[1:2], v[78:79]
	s_waitcnt vmcnt(0)
	v_fma_f64 v[1:2], v[1:2], v[82:83], -v[84:85]
	v_fma_f64 v[3:4], v[3:4], v[82:83], v[78:79]
.LBB34_426:
	s_mov_b32 s8, exec_lo
	v_cmpx_ne_u32_e32 19, v0
	s_cbranch_execz .LBB34_430
; %bb.427:
	v_add_nc_u32_e32 v78, 0x240, v81
	v_add3_u32 v79, 0, v81, 16
	v_mov_b32_e32 v80, v0
	s_mov_b32 s42, 0
	.p2align	6
.LBB34_428:                             ; =>This Inner Loop Header: Depth=1
	s_clause 0x3
	buffer_load_dword v86, v79, s[0:3], 0 offen offset:8
	buffer_load_dword v87, v79, s[0:3], 0 offen offset:12
	buffer_load_dword v88, v79, s[0:3], 0 offen
	buffer_load_dword v89, v79, s[0:3], 0 offen offset:4
	ds_read_b128 v[82:85], v78
	v_add_nc_u32_e32 v80, 1, v80
	v_add_nc_u32_e32 v78, 16, v78
	;; [unrolled: 1-line block ×3, first 2 shown]
	v_cmp_lt_u32_e32 vcc_lo, 18, v80
	s_or_b32 s42, vcc_lo, s42
	s_waitcnt vmcnt(2) lgkmcnt(0)
	v_mul_f64 v[90:91], v[84:85], v[86:87]
	v_mul_f64 v[86:87], v[82:83], v[86:87]
	s_waitcnt vmcnt(0)
	v_fma_f64 v[82:83], v[82:83], v[88:89], -v[90:91]
	v_fma_f64 v[84:85], v[84:85], v[88:89], v[86:87]
	v_add_f64 v[1:2], v[1:2], v[82:83]
	v_add_f64 v[3:4], v[3:4], v[84:85]
	s_andn2_b32 exec_lo, exec_lo, s42
	s_cbranch_execnz .LBB34_428
; %bb.429:
	s_or_b32 exec_lo, exec_lo, s42
.LBB34_430:
	s_or_b32 exec_lo, exec_lo, s8
	v_mov_b32_e32 v78, 0
	ds_read_b128 v[82:85], v78 offset:320
	s_waitcnt lgkmcnt(0)
	v_mul_f64 v[78:79], v[3:4], v[84:85]
	v_mul_f64 v[84:85], v[1:2], v[84:85]
	v_fma_f64 v[1:2], v[1:2], v[82:83], -v[78:79]
	v_fma_f64 v[3:4], v[3:4], v[82:83], v[84:85]
	buffer_store_dword v2, off, s[0:3], 0 offset:324
	buffer_store_dword v1, off, s[0:3], 0 offset:320
	;; [unrolled: 1-line block ×4, first 2 shown]
.LBB34_431:
	s_or_b32 exec_lo, exec_lo, s4
	v_mov_b32_e32 v4, s20
	s_mov_b32 s4, exec_lo
	s_clause 0x3
	buffer_load_dword v1, v4, s[0:3], 0 offen
	buffer_load_dword v2, v4, s[0:3], 0 offen offset:4
	buffer_load_dword v3, v4, s[0:3], 0 offen offset:8
	buffer_load_dword v4, v4, s[0:3], 0 offen offset:12
	s_waitcnt vmcnt(0)
	ds_write_b128 v76, v[1:4]
	s_waitcnt lgkmcnt(0)
	s_waitcnt_vscnt null, 0x0
	s_barrier
	buffer_gl0_inv
	v_cmpx_gt_u32_e32 21, v0
	s_cbranch_execz .LBB34_439
; %bb.432:
	ds_read_b128 v[1:4], v76
	v_cmp_ne_u32_e32 vcc_lo, 1, v77
	s_cbranch_vccnz .LBB34_434
; %bb.433:
	s_clause 0x3
	buffer_load_dword v78, v75, s[0:3], 0 offen offset:8
	buffer_load_dword v79, v75, s[0:3], 0 offen offset:12
	buffer_load_dword v82, v75, s[0:3], 0 offen
	buffer_load_dword v83, v75, s[0:3], 0 offen offset:4
	s_waitcnt vmcnt(2) lgkmcnt(0)
	v_mul_f64 v[84:85], v[3:4], v[78:79]
	v_mul_f64 v[78:79], v[1:2], v[78:79]
	s_waitcnt vmcnt(0)
	v_fma_f64 v[1:2], v[1:2], v[82:83], -v[84:85]
	v_fma_f64 v[3:4], v[3:4], v[82:83], v[78:79]
.LBB34_434:
	s_mov_b32 s8, exec_lo
	v_cmpx_ne_u32_e32 20, v0
	s_cbranch_execz .LBB34_438
; %bb.435:
	v_add_nc_u32_e32 v78, 0x240, v81
	v_add3_u32 v79, 0, v81, 16
	v_mov_b32_e32 v80, v0
	s_mov_b32 s42, 0
	.p2align	6
.LBB34_436:                             ; =>This Inner Loop Header: Depth=1
	s_clause 0x3
	buffer_load_dword v86, v79, s[0:3], 0 offen offset:8
	buffer_load_dword v87, v79, s[0:3], 0 offen offset:12
	buffer_load_dword v88, v79, s[0:3], 0 offen
	buffer_load_dword v89, v79, s[0:3], 0 offen offset:4
	ds_read_b128 v[82:85], v78
	v_add_nc_u32_e32 v80, 1, v80
	v_add_nc_u32_e32 v78, 16, v78
	;; [unrolled: 1-line block ×3, first 2 shown]
	v_cmp_lt_u32_e32 vcc_lo, 19, v80
	s_or_b32 s42, vcc_lo, s42
	s_waitcnt vmcnt(2) lgkmcnt(0)
	v_mul_f64 v[90:91], v[84:85], v[86:87]
	v_mul_f64 v[86:87], v[82:83], v[86:87]
	s_waitcnt vmcnt(0)
	v_fma_f64 v[82:83], v[82:83], v[88:89], -v[90:91]
	v_fma_f64 v[84:85], v[84:85], v[88:89], v[86:87]
	v_add_f64 v[1:2], v[1:2], v[82:83]
	v_add_f64 v[3:4], v[3:4], v[84:85]
	s_andn2_b32 exec_lo, exec_lo, s42
	s_cbranch_execnz .LBB34_436
; %bb.437:
	s_or_b32 exec_lo, exec_lo, s42
.LBB34_438:
	s_or_b32 exec_lo, exec_lo, s8
	v_mov_b32_e32 v78, 0
	ds_read_b128 v[82:85], v78 offset:336
	s_waitcnt lgkmcnt(0)
	v_mul_f64 v[78:79], v[3:4], v[84:85]
	v_mul_f64 v[84:85], v[1:2], v[84:85]
	v_fma_f64 v[1:2], v[1:2], v[82:83], -v[78:79]
	v_fma_f64 v[3:4], v[3:4], v[82:83], v[84:85]
	buffer_store_dword v2, off, s[0:3], 0 offset:340
	buffer_store_dword v1, off, s[0:3], 0 offset:336
	;; [unrolled: 1-line block ×4, first 2 shown]
.LBB34_439:
	s_or_b32 exec_lo, exec_lo, s4
	v_mov_b32_e32 v4, s19
	s_mov_b32 s4, exec_lo
	s_clause 0x3
	buffer_load_dword v1, v4, s[0:3], 0 offen
	buffer_load_dword v2, v4, s[0:3], 0 offen offset:4
	buffer_load_dword v3, v4, s[0:3], 0 offen offset:8
	;; [unrolled: 1-line block ×3, first 2 shown]
	s_waitcnt vmcnt(0)
	ds_write_b128 v76, v[1:4]
	s_waitcnt lgkmcnt(0)
	s_waitcnt_vscnt null, 0x0
	s_barrier
	buffer_gl0_inv
	v_cmpx_gt_u32_e32 22, v0
	s_cbranch_execz .LBB34_447
; %bb.440:
	ds_read_b128 v[1:4], v76
	v_cmp_ne_u32_e32 vcc_lo, 1, v77
	s_cbranch_vccnz .LBB34_442
; %bb.441:
	s_clause 0x3
	buffer_load_dword v78, v75, s[0:3], 0 offen offset:8
	buffer_load_dword v79, v75, s[0:3], 0 offen offset:12
	buffer_load_dword v82, v75, s[0:3], 0 offen
	buffer_load_dword v83, v75, s[0:3], 0 offen offset:4
	s_waitcnt vmcnt(2) lgkmcnt(0)
	v_mul_f64 v[84:85], v[3:4], v[78:79]
	v_mul_f64 v[78:79], v[1:2], v[78:79]
	s_waitcnt vmcnt(0)
	v_fma_f64 v[1:2], v[1:2], v[82:83], -v[84:85]
	v_fma_f64 v[3:4], v[3:4], v[82:83], v[78:79]
.LBB34_442:
	s_mov_b32 s8, exec_lo
	v_cmpx_ne_u32_e32 21, v0
	s_cbranch_execz .LBB34_446
; %bb.443:
	v_add_nc_u32_e32 v78, 0x240, v81
	v_add3_u32 v79, 0, v81, 16
	v_mov_b32_e32 v80, v0
	s_mov_b32 s42, 0
	.p2align	6
.LBB34_444:                             ; =>This Inner Loop Header: Depth=1
	s_clause 0x3
	buffer_load_dword v86, v79, s[0:3], 0 offen offset:8
	buffer_load_dword v87, v79, s[0:3], 0 offen offset:12
	buffer_load_dword v88, v79, s[0:3], 0 offen
	buffer_load_dword v89, v79, s[0:3], 0 offen offset:4
	ds_read_b128 v[82:85], v78
	v_add_nc_u32_e32 v80, 1, v80
	v_add_nc_u32_e32 v78, 16, v78
	;; [unrolled: 1-line block ×3, first 2 shown]
	v_cmp_lt_u32_e32 vcc_lo, 20, v80
	s_or_b32 s42, vcc_lo, s42
	s_waitcnt vmcnt(2) lgkmcnt(0)
	v_mul_f64 v[90:91], v[84:85], v[86:87]
	v_mul_f64 v[86:87], v[82:83], v[86:87]
	s_waitcnt vmcnt(0)
	v_fma_f64 v[82:83], v[82:83], v[88:89], -v[90:91]
	v_fma_f64 v[84:85], v[84:85], v[88:89], v[86:87]
	v_add_f64 v[1:2], v[1:2], v[82:83]
	v_add_f64 v[3:4], v[3:4], v[84:85]
	s_andn2_b32 exec_lo, exec_lo, s42
	s_cbranch_execnz .LBB34_444
; %bb.445:
	s_or_b32 exec_lo, exec_lo, s42
.LBB34_446:
	s_or_b32 exec_lo, exec_lo, s8
	v_mov_b32_e32 v78, 0
	ds_read_b128 v[82:85], v78 offset:352
	s_waitcnt lgkmcnt(0)
	v_mul_f64 v[78:79], v[3:4], v[84:85]
	v_mul_f64 v[84:85], v[1:2], v[84:85]
	v_fma_f64 v[1:2], v[1:2], v[82:83], -v[78:79]
	v_fma_f64 v[3:4], v[3:4], v[82:83], v[84:85]
	buffer_store_dword v2, off, s[0:3], 0 offset:356
	buffer_store_dword v1, off, s[0:3], 0 offset:352
	;; [unrolled: 1-line block ×4, first 2 shown]
.LBB34_447:
	s_or_b32 exec_lo, exec_lo, s4
	v_mov_b32_e32 v4, s18
	s_mov_b32 s4, exec_lo
	s_clause 0x3
	buffer_load_dword v1, v4, s[0:3], 0 offen
	buffer_load_dword v2, v4, s[0:3], 0 offen offset:4
	buffer_load_dword v3, v4, s[0:3], 0 offen offset:8
	;; [unrolled: 1-line block ×3, first 2 shown]
	s_waitcnt vmcnt(0)
	ds_write_b128 v76, v[1:4]
	s_waitcnt lgkmcnt(0)
	s_waitcnt_vscnt null, 0x0
	s_barrier
	buffer_gl0_inv
	v_cmpx_gt_u32_e32 23, v0
	s_cbranch_execz .LBB34_455
; %bb.448:
	ds_read_b128 v[1:4], v76
	v_cmp_ne_u32_e32 vcc_lo, 1, v77
	s_cbranch_vccnz .LBB34_450
; %bb.449:
	s_clause 0x3
	buffer_load_dword v78, v75, s[0:3], 0 offen offset:8
	buffer_load_dword v79, v75, s[0:3], 0 offen offset:12
	buffer_load_dword v82, v75, s[0:3], 0 offen
	buffer_load_dword v83, v75, s[0:3], 0 offen offset:4
	s_waitcnt vmcnt(2) lgkmcnt(0)
	v_mul_f64 v[84:85], v[3:4], v[78:79]
	v_mul_f64 v[78:79], v[1:2], v[78:79]
	s_waitcnt vmcnt(0)
	v_fma_f64 v[1:2], v[1:2], v[82:83], -v[84:85]
	v_fma_f64 v[3:4], v[3:4], v[82:83], v[78:79]
.LBB34_450:
	s_mov_b32 s8, exec_lo
	v_cmpx_ne_u32_e32 22, v0
	s_cbranch_execz .LBB34_454
; %bb.451:
	v_add_nc_u32_e32 v78, 0x240, v81
	v_add3_u32 v79, 0, v81, 16
	v_mov_b32_e32 v80, v0
	s_mov_b32 s42, 0
	.p2align	6
.LBB34_452:                             ; =>This Inner Loop Header: Depth=1
	s_clause 0x3
	buffer_load_dword v86, v79, s[0:3], 0 offen offset:8
	buffer_load_dword v87, v79, s[0:3], 0 offen offset:12
	buffer_load_dword v88, v79, s[0:3], 0 offen
	buffer_load_dword v89, v79, s[0:3], 0 offen offset:4
	ds_read_b128 v[82:85], v78
	v_add_nc_u32_e32 v80, 1, v80
	v_add_nc_u32_e32 v78, 16, v78
	;; [unrolled: 1-line block ×3, first 2 shown]
	v_cmp_lt_u32_e32 vcc_lo, 21, v80
	s_or_b32 s42, vcc_lo, s42
	s_waitcnt vmcnt(2) lgkmcnt(0)
	v_mul_f64 v[90:91], v[84:85], v[86:87]
	v_mul_f64 v[86:87], v[82:83], v[86:87]
	s_waitcnt vmcnt(0)
	v_fma_f64 v[82:83], v[82:83], v[88:89], -v[90:91]
	v_fma_f64 v[84:85], v[84:85], v[88:89], v[86:87]
	v_add_f64 v[1:2], v[1:2], v[82:83]
	v_add_f64 v[3:4], v[3:4], v[84:85]
	s_andn2_b32 exec_lo, exec_lo, s42
	s_cbranch_execnz .LBB34_452
; %bb.453:
	s_or_b32 exec_lo, exec_lo, s42
.LBB34_454:
	s_or_b32 exec_lo, exec_lo, s8
	v_mov_b32_e32 v78, 0
	ds_read_b128 v[82:85], v78 offset:368
	s_waitcnt lgkmcnt(0)
	v_mul_f64 v[78:79], v[3:4], v[84:85]
	v_mul_f64 v[84:85], v[1:2], v[84:85]
	v_fma_f64 v[1:2], v[1:2], v[82:83], -v[78:79]
	v_fma_f64 v[3:4], v[3:4], v[82:83], v[84:85]
	buffer_store_dword v2, off, s[0:3], 0 offset:372
	buffer_store_dword v1, off, s[0:3], 0 offset:368
	;; [unrolled: 1-line block ×4, first 2 shown]
.LBB34_455:
	s_or_b32 exec_lo, exec_lo, s4
	v_mov_b32_e32 v4, s17
	s_mov_b32 s4, exec_lo
	s_clause 0x3
	buffer_load_dword v1, v4, s[0:3], 0 offen
	buffer_load_dword v2, v4, s[0:3], 0 offen offset:4
	buffer_load_dword v3, v4, s[0:3], 0 offen offset:8
	;; [unrolled: 1-line block ×3, first 2 shown]
	s_waitcnt vmcnt(0)
	ds_write_b128 v76, v[1:4]
	s_waitcnt lgkmcnt(0)
	s_waitcnt_vscnt null, 0x0
	s_barrier
	buffer_gl0_inv
	v_cmpx_gt_u32_e32 24, v0
	s_cbranch_execz .LBB34_463
; %bb.456:
	ds_read_b128 v[1:4], v76
	v_cmp_ne_u32_e32 vcc_lo, 1, v77
	s_cbranch_vccnz .LBB34_458
; %bb.457:
	s_clause 0x3
	buffer_load_dword v78, v75, s[0:3], 0 offen offset:8
	buffer_load_dword v79, v75, s[0:3], 0 offen offset:12
	buffer_load_dword v82, v75, s[0:3], 0 offen
	buffer_load_dword v83, v75, s[0:3], 0 offen offset:4
	s_waitcnt vmcnt(2) lgkmcnt(0)
	v_mul_f64 v[84:85], v[3:4], v[78:79]
	v_mul_f64 v[78:79], v[1:2], v[78:79]
	s_waitcnt vmcnt(0)
	v_fma_f64 v[1:2], v[1:2], v[82:83], -v[84:85]
	v_fma_f64 v[3:4], v[3:4], v[82:83], v[78:79]
.LBB34_458:
	s_mov_b32 s8, exec_lo
	v_cmpx_ne_u32_e32 23, v0
	s_cbranch_execz .LBB34_462
; %bb.459:
	v_add_nc_u32_e32 v78, 0x240, v81
	v_add3_u32 v79, 0, v81, 16
	v_mov_b32_e32 v80, v0
	s_mov_b32 s42, 0
	.p2align	6
.LBB34_460:                             ; =>This Inner Loop Header: Depth=1
	s_clause 0x3
	buffer_load_dword v86, v79, s[0:3], 0 offen offset:8
	buffer_load_dword v87, v79, s[0:3], 0 offen offset:12
	buffer_load_dword v88, v79, s[0:3], 0 offen
	buffer_load_dword v89, v79, s[0:3], 0 offen offset:4
	ds_read_b128 v[82:85], v78
	v_add_nc_u32_e32 v80, 1, v80
	v_add_nc_u32_e32 v78, 16, v78
	v_add_nc_u32_e32 v79, 16, v79
	v_cmp_lt_u32_e32 vcc_lo, 22, v80
	s_or_b32 s42, vcc_lo, s42
	s_waitcnt vmcnt(2) lgkmcnt(0)
	v_mul_f64 v[90:91], v[84:85], v[86:87]
	v_mul_f64 v[86:87], v[82:83], v[86:87]
	s_waitcnt vmcnt(0)
	v_fma_f64 v[82:83], v[82:83], v[88:89], -v[90:91]
	v_fma_f64 v[84:85], v[84:85], v[88:89], v[86:87]
	v_add_f64 v[1:2], v[1:2], v[82:83]
	v_add_f64 v[3:4], v[3:4], v[84:85]
	s_andn2_b32 exec_lo, exec_lo, s42
	s_cbranch_execnz .LBB34_460
; %bb.461:
	s_or_b32 exec_lo, exec_lo, s42
.LBB34_462:
	s_or_b32 exec_lo, exec_lo, s8
	v_mov_b32_e32 v78, 0
	ds_read_b128 v[82:85], v78 offset:384
	s_waitcnt lgkmcnt(0)
	v_mul_f64 v[78:79], v[3:4], v[84:85]
	v_mul_f64 v[84:85], v[1:2], v[84:85]
	v_fma_f64 v[1:2], v[1:2], v[82:83], -v[78:79]
	v_fma_f64 v[3:4], v[3:4], v[82:83], v[84:85]
	buffer_store_dword v2, off, s[0:3], 0 offset:388
	buffer_store_dword v1, off, s[0:3], 0 offset:384
	;; [unrolled: 1-line block ×4, first 2 shown]
.LBB34_463:
	s_or_b32 exec_lo, exec_lo, s4
	v_mov_b32_e32 v4, s16
	s_mov_b32 s4, exec_lo
	s_clause 0x3
	buffer_load_dword v1, v4, s[0:3], 0 offen
	buffer_load_dword v2, v4, s[0:3], 0 offen offset:4
	buffer_load_dword v3, v4, s[0:3], 0 offen offset:8
	;; [unrolled: 1-line block ×3, first 2 shown]
	s_waitcnt vmcnt(0)
	ds_write_b128 v76, v[1:4]
	s_waitcnt lgkmcnt(0)
	s_waitcnt_vscnt null, 0x0
	s_barrier
	buffer_gl0_inv
	v_cmpx_gt_u32_e32 25, v0
	s_cbranch_execz .LBB34_471
; %bb.464:
	ds_read_b128 v[1:4], v76
	v_cmp_ne_u32_e32 vcc_lo, 1, v77
	s_cbranch_vccnz .LBB34_466
; %bb.465:
	s_clause 0x3
	buffer_load_dword v78, v75, s[0:3], 0 offen offset:8
	buffer_load_dword v79, v75, s[0:3], 0 offen offset:12
	buffer_load_dword v82, v75, s[0:3], 0 offen
	buffer_load_dword v83, v75, s[0:3], 0 offen offset:4
	s_waitcnt vmcnt(2) lgkmcnt(0)
	v_mul_f64 v[84:85], v[3:4], v[78:79]
	v_mul_f64 v[78:79], v[1:2], v[78:79]
	s_waitcnt vmcnt(0)
	v_fma_f64 v[1:2], v[1:2], v[82:83], -v[84:85]
	v_fma_f64 v[3:4], v[3:4], v[82:83], v[78:79]
.LBB34_466:
	s_mov_b32 s8, exec_lo
	v_cmpx_ne_u32_e32 24, v0
	s_cbranch_execz .LBB34_470
; %bb.467:
	v_add_nc_u32_e32 v78, 0x240, v81
	v_add3_u32 v79, 0, v81, 16
	v_mov_b32_e32 v80, v0
	s_mov_b32 s42, 0
	.p2align	6
.LBB34_468:                             ; =>This Inner Loop Header: Depth=1
	s_clause 0x3
	buffer_load_dword v86, v79, s[0:3], 0 offen offset:8
	buffer_load_dword v87, v79, s[0:3], 0 offen offset:12
	buffer_load_dword v88, v79, s[0:3], 0 offen
	buffer_load_dword v89, v79, s[0:3], 0 offen offset:4
	ds_read_b128 v[82:85], v78
	v_add_nc_u32_e32 v80, 1, v80
	v_add_nc_u32_e32 v78, 16, v78
	v_add_nc_u32_e32 v79, 16, v79
	v_cmp_lt_u32_e32 vcc_lo, 23, v80
	s_or_b32 s42, vcc_lo, s42
	s_waitcnt vmcnt(2) lgkmcnt(0)
	v_mul_f64 v[90:91], v[84:85], v[86:87]
	v_mul_f64 v[86:87], v[82:83], v[86:87]
	s_waitcnt vmcnt(0)
	v_fma_f64 v[82:83], v[82:83], v[88:89], -v[90:91]
	v_fma_f64 v[84:85], v[84:85], v[88:89], v[86:87]
	v_add_f64 v[1:2], v[1:2], v[82:83]
	v_add_f64 v[3:4], v[3:4], v[84:85]
	s_andn2_b32 exec_lo, exec_lo, s42
	s_cbranch_execnz .LBB34_468
; %bb.469:
	s_or_b32 exec_lo, exec_lo, s42
.LBB34_470:
	s_or_b32 exec_lo, exec_lo, s8
	v_mov_b32_e32 v78, 0
	ds_read_b128 v[82:85], v78 offset:400
	s_waitcnt lgkmcnt(0)
	v_mul_f64 v[78:79], v[3:4], v[84:85]
	v_mul_f64 v[84:85], v[1:2], v[84:85]
	v_fma_f64 v[1:2], v[1:2], v[82:83], -v[78:79]
	v_fma_f64 v[3:4], v[3:4], v[82:83], v[84:85]
	buffer_store_dword v2, off, s[0:3], 0 offset:404
	buffer_store_dword v1, off, s[0:3], 0 offset:400
	;; [unrolled: 1-line block ×4, first 2 shown]
.LBB34_471:
	s_or_b32 exec_lo, exec_lo, s4
	v_mov_b32_e32 v4, s15
	s_mov_b32 s4, exec_lo
	s_clause 0x3
	buffer_load_dword v1, v4, s[0:3], 0 offen
	buffer_load_dword v2, v4, s[0:3], 0 offen offset:4
	buffer_load_dword v3, v4, s[0:3], 0 offen offset:8
	;; [unrolled: 1-line block ×3, first 2 shown]
	s_waitcnt vmcnt(0)
	ds_write_b128 v76, v[1:4]
	s_waitcnt lgkmcnt(0)
	s_waitcnt_vscnt null, 0x0
	s_barrier
	buffer_gl0_inv
	v_cmpx_gt_u32_e32 26, v0
	s_cbranch_execz .LBB34_479
; %bb.472:
	ds_read_b128 v[1:4], v76
	v_cmp_ne_u32_e32 vcc_lo, 1, v77
	s_cbranch_vccnz .LBB34_474
; %bb.473:
	s_clause 0x3
	buffer_load_dword v78, v75, s[0:3], 0 offen offset:8
	buffer_load_dword v79, v75, s[0:3], 0 offen offset:12
	buffer_load_dword v82, v75, s[0:3], 0 offen
	buffer_load_dword v83, v75, s[0:3], 0 offen offset:4
	s_waitcnt vmcnt(2) lgkmcnt(0)
	v_mul_f64 v[84:85], v[3:4], v[78:79]
	v_mul_f64 v[78:79], v[1:2], v[78:79]
	s_waitcnt vmcnt(0)
	v_fma_f64 v[1:2], v[1:2], v[82:83], -v[84:85]
	v_fma_f64 v[3:4], v[3:4], v[82:83], v[78:79]
.LBB34_474:
	s_mov_b32 s8, exec_lo
	v_cmpx_ne_u32_e32 25, v0
	s_cbranch_execz .LBB34_478
; %bb.475:
	v_add_nc_u32_e32 v78, 0x240, v81
	v_add3_u32 v79, 0, v81, 16
	v_mov_b32_e32 v80, v0
	s_mov_b32 s42, 0
	.p2align	6
.LBB34_476:                             ; =>This Inner Loop Header: Depth=1
	s_clause 0x3
	buffer_load_dword v86, v79, s[0:3], 0 offen offset:8
	buffer_load_dword v87, v79, s[0:3], 0 offen offset:12
	buffer_load_dword v88, v79, s[0:3], 0 offen
	buffer_load_dword v89, v79, s[0:3], 0 offen offset:4
	ds_read_b128 v[82:85], v78
	v_add_nc_u32_e32 v80, 1, v80
	v_add_nc_u32_e32 v78, 16, v78
	;; [unrolled: 1-line block ×3, first 2 shown]
	v_cmp_lt_u32_e32 vcc_lo, 24, v80
	s_or_b32 s42, vcc_lo, s42
	s_waitcnt vmcnt(2) lgkmcnt(0)
	v_mul_f64 v[90:91], v[84:85], v[86:87]
	v_mul_f64 v[86:87], v[82:83], v[86:87]
	s_waitcnt vmcnt(0)
	v_fma_f64 v[82:83], v[82:83], v[88:89], -v[90:91]
	v_fma_f64 v[84:85], v[84:85], v[88:89], v[86:87]
	v_add_f64 v[1:2], v[1:2], v[82:83]
	v_add_f64 v[3:4], v[3:4], v[84:85]
	s_andn2_b32 exec_lo, exec_lo, s42
	s_cbranch_execnz .LBB34_476
; %bb.477:
	s_or_b32 exec_lo, exec_lo, s42
.LBB34_478:
	s_or_b32 exec_lo, exec_lo, s8
	v_mov_b32_e32 v78, 0
	ds_read_b128 v[82:85], v78 offset:416
	s_waitcnt lgkmcnt(0)
	v_mul_f64 v[78:79], v[3:4], v[84:85]
	v_mul_f64 v[84:85], v[1:2], v[84:85]
	v_fma_f64 v[1:2], v[1:2], v[82:83], -v[78:79]
	v_fma_f64 v[3:4], v[3:4], v[82:83], v[84:85]
	buffer_store_dword v2, off, s[0:3], 0 offset:420
	buffer_store_dword v1, off, s[0:3], 0 offset:416
	;; [unrolled: 1-line block ×4, first 2 shown]
.LBB34_479:
	s_or_b32 exec_lo, exec_lo, s4
	v_mov_b32_e32 v4, s14
	s_mov_b32 s4, exec_lo
	s_clause 0x3
	buffer_load_dword v1, v4, s[0:3], 0 offen
	buffer_load_dword v2, v4, s[0:3], 0 offen offset:4
	buffer_load_dword v3, v4, s[0:3], 0 offen offset:8
	;; [unrolled: 1-line block ×3, first 2 shown]
	s_waitcnt vmcnt(0)
	ds_write_b128 v76, v[1:4]
	s_waitcnt lgkmcnt(0)
	s_waitcnt_vscnt null, 0x0
	s_barrier
	buffer_gl0_inv
	v_cmpx_gt_u32_e32 27, v0
	s_cbranch_execz .LBB34_487
; %bb.480:
	ds_read_b128 v[1:4], v76
	v_cmp_ne_u32_e32 vcc_lo, 1, v77
	s_cbranch_vccnz .LBB34_482
; %bb.481:
	s_clause 0x3
	buffer_load_dword v78, v75, s[0:3], 0 offen offset:8
	buffer_load_dword v79, v75, s[0:3], 0 offen offset:12
	buffer_load_dword v82, v75, s[0:3], 0 offen
	buffer_load_dword v83, v75, s[0:3], 0 offen offset:4
	s_waitcnt vmcnt(2) lgkmcnt(0)
	v_mul_f64 v[84:85], v[3:4], v[78:79]
	v_mul_f64 v[78:79], v[1:2], v[78:79]
	s_waitcnt vmcnt(0)
	v_fma_f64 v[1:2], v[1:2], v[82:83], -v[84:85]
	v_fma_f64 v[3:4], v[3:4], v[82:83], v[78:79]
.LBB34_482:
	s_mov_b32 s8, exec_lo
	v_cmpx_ne_u32_e32 26, v0
	s_cbranch_execz .LBB34_486
; %bb.483:
	v_add_nc_u32_e32 v78, 0x240, v81
	v_add3_u32 v79, 0, v81, 16
	v_mov_b32_e32 v80, v0
	s_mov_b32 s42, 0
	.p2align	6
.LBB34_484:                             ; =>This Inner Loop Header: Depth=1
	s_clause 0x3
	buffer_load_dword v86, v79, s[0:3], 0 offen offset:8
	buffer_load_dword v87, v79, s[0:3], 0 offen offset:12
	buffer_load_dword v88, v79, s[0:3], 0 offen
	buffer_load_dword v89, v79, s[0:3], 0 offen offset:4
	ds_read_b128 v[82:85], v78
	v_add_nc_u32_e32 v80, 1, v80
	v_add_nc_u32_e32 v78, 16, v78
	;; [unrolled: 1-line block ×3, first 2 shown]
	v_cmp_lt_u32_e32 vcc_lo, 25, v80
	s_or_b32 s42, vcc_lo, s42
	s_waitcnt vmcnt(2) lgkmcnt(0)
	v_mul_f64 v[90:91], v[84:85], v[86:87]
	v_mul_f64 v[86:87], v[82:83], v[86:87]
	s_waitcnt vmcnt(0)
	v_fma_f64 v[82:83], v[82:83], v[88:89], -v[90:91]
	v_fma_f64 v[84:85], v[84:85], v[88:89], v[86:87]
	v_add_f64 v[1:2], v[1:2], v[82:83]
	v_add_f64 v[3:4], v[3:4], v[84:85]
	s_andn2_b32 exec_lo, exec_lo, s42
	s_cbranch_execnz .LBB34_484
; %bb.485:
	s_or_b32 exec_lo, exec_lo, s42
.LBB34_486:
	s_or_b32 exec_lo, exec_lo, s8
	v_mov_b32_e32 v78, 0
	ds_read_b128 v[82:85], v78 offset:432
	s_waitcnt lgkmcnt(0)
	v_mul_f64 v[78:79], v[3:4], v[84:85]
	v_mul_f64 v[84:85], v[1:2], v[84:85]
	v_fma_f64 v[1:2], v[1:2], v[82:83], -v[78:79]
	v_fma_f64 v[3:4], v[3:4], v[82:83], v[84:85]
	buffer_store_dword v2, off, s[0:3], 0 offset:436
	buffer_store_dword v1, off, s[0:3], 0 offset:432
	;; [unrolled: 1-line block ×4, first 2 shown]
.LBB34_487:
	s_or_b32 exec_lo, exec_lo, s4
	v_mov_b32_e32 v4, s13
	s_mov_b32 s4, exec_lo
	s_clause 0x3
	buffer_load_dword v1, v4, s[0:3], 0 offen
	buffer_load_dword v2, v4, s[0:3], 0 offen offset:4
	buffer_load_dword v3, v4, s[0:3], 0 offen offset:8
	;; [unrolled: 1-line block ×3, first 2 shown]
	s_waitcnt vmcnt(0)
	ds_write_b128 v76, v[1:4]
	s_waitcnt lgkmcnt(0)
	s_waitcnt_vscnt null, 0x0
	s_barrier
	buffer_gl0_inv
	v_cmpx_gt_u32_e32 28, v0
	s_cbranch_execz .LBB34_495
; %bb.488:
	ds_read_b128 v[1:4], v76
	v_cmp_ne_u32_e32 vcc_lo, 1, v77
	s_cbranch_vccnz .LBB34_490
; %bb.489:
	s_clause 0x3
	buffer_load_dword v78, v75, s[0:3], 0 offen offset:8
	buffer_load_dword v79, v75, s[0:3], 0 offen offset:12
	buffer_load_dword v82, v75, s[0:3], 0 offen
	buffer_load_dword v83, v75, s[0:3], 0 offen offset:4
	s_waitcnt vmcnt(2) lgkmcnt(0)
	v_mul_f64 v[84:85], v[3:4], v[78:79]
	v_mul_f64 v[78:79], v[1:2], v[78:79]
	s_waitcnt vmcnt(0)
	v_fma_f64 v[1:2], v[1:2], v[82:83], -v[84:85]
	v_fma_f64 v[3:4], v[3:4], v[82:83], v[78:79]
.LBB34_490:
	s_mov_b32 s8, exec_lo
	v_cmpx_ne_u32_e32 27, v0
	s_cbranch_execz .LBB34_494
; %bb.491:
	v_add_nc_u32_e32 v78, 0x240, v81
	v_add3_u32 v79, 0, v81, 16
	v_mov_b32_e32 v80, v0
	s_mov_b32 s42, 0
	.p2align	6
.LBB34_492:                             ; =>This Inner Loop Header: Depth=1
	s_clause 0x3
	buffer_load_dword v86, v79, s[0:3], 0 offen offset:8
	buffer_load_dword v87, v79, s[0:3], 0 offen offset:12
	buffer_load_dword v88, v79, s[0:3], 0 offen
	buffer_load_dword v89, v79, s[0:3], 0 offen offset:4
	ds_read_b128 v[82:85], v78
	v_add_nc_u32_e32 v80, 1, v80
	v_add_nc_u32_e32 v78, 16, v78
	;; [unrolled: 1-line block ×3, first 2 shown]
	v_cmp_lt_u32_e32 vcc_lo, 26, v80
	s_or_b32 s42, vcc_lo, s42
	s_waitcnt vmcnt(2) lgkmcnt(0)
	v_mul_f64 v[90:91], v[84:85], v[86:87]
	v_mul_f64 v[86:87], v[82:83], v[86:87]
	s_waitcnt vmcnt(0)
	v_fma_f64 v[82:83], v[82:83], v[88:89], -v[90:91]
	v_fma_f64 v[84:85], v[84:85], v[88:89], v[86:87]
	v_add_f64 v[1:2], v[1:2], v[82:83]
	v_add_f64 v[3:4], v[3:4], v[84:85]
	s_andn2_b32 exec_lo, exec_lo, s42
	s_cbranch_execnz .LBB34_492
; %bb.493:
	s_or_b32 exec_lo, exec_lo, s42
.LBB34_494:
	s_or_b32 exec_lo, exec_lo, s8
	v_mov_b32_e32 v78, 0
	ds_read_b128 v[82:85], v78 offset:448
	s_waitcnt lgkmcnt(0)
	v_mul_f64 v[78:79], v[3:4], v[84:85]
	v_mul_f64 v[84:85], v[1:2], v[84:85]
	v_fma_f64 v[1:2], v[1:2], v[82:83], -v[78:79]
	v_fma_f64 v[3:4], v[3:4], v[82:83], v[84:85]
	buffer_store_dword v2, off, s[0:3], 0 offset:452
	buffer_store_dword v1, off, s[0:3], 0 offset:448
	;; [unrolled: 1-line block ×4, first 2 shown]
.LBB34_495:
	s_or_b32 exec_lo, exec_lo, s4
	v_mov_b32_e32 v4, s12
	s_mov_b32 s4, exec_lo
	s_clause 0x3
	buffer_load_dword v1, v4, s[0:3], 0 offen
	buffer_load_dword v2, v4, s[0:3], 0 offen offset:4
	buffer_load_dword v3, v4, s[0:3], 0 offen offset:8
	;; [unrolled: 1-line block ×3, first 2 shown]
	s_waitcnt vmcnt(0)
	ds_write_b128 v76, v[1:4]
	s_waitcnt lgkmcnt(0)
	s_waitcnt_vscnt null, 0x0
	s_barrier
	buffer_gl0_inv
	v_cmpx_gt_u32_e32 29, v0
	s_cbranch_execz .LBB34_503
; %bb.496:
	ds_read_b128 v[1:4], v76
	v_cmp_ne_u32_e32 vcc_lo, 1, v77
	s_cbranch_vccnz .LBB34_498
; %bb.497:
	s_clause 0x3
	buffer_load_dword v78, v75, s[0:3], 0 offen offset:8
	buffer_load_dword v79, v75, s[0:3], 0 offen offset:12
	buffer_load_dword v82, v75, s[0:3], 0 offen
	buffer_load_dword v83, v75, s[0:3], 0 offen offset:4
	s_waitcnt vmcnt(2) lgkmcnt(0)
	v_mul_f64 v[84:85], v[3:4], v[78:79]
	v_mul_f64 v[78:79], v[1:2], v[78:79]
	s_waitcnt vmcnt(0)
	v_fma_f64 v[1:2], v[1:2], v[82:83], -v[84:85]
	v_fma_f64 v[3:4], v[3:4], v[82:83], v[78:79]
.LBB34_498:
	s_mov_b32 s8, exec_lo
	v_cmpx_ne_u32_e32 28, v0
	s_cbranch_execz .LBB34_502
; %bb.499:
	v_add_nc_u32_e32 v78, 0x240, v81
	v_add3_u32 v79, 0, v81, 16
	v_mov_b32_e32 v80, v0
	s_mov_b32 s42, 0
	.p2align	6
.LBB34_500:                             ; =>This Inner Loop Header: Depth=1
	s_clause 0x3
	buffer_load_dword v86, v79, s[0:3], 0 offen offset:8
	buffer_load_dword v87, v79, s[0:3], 0 offen offset:12
	buffer_load_dword v88, v79, s[0:3], 0 offen
	buffer_load_dword v89, v79, s[0:3], 0 offen offset:4
	ds_read_b128 v[82:85], v78
	v_add_nc_u32_e32 v80, 1, v80
	v_add_nc_u32_e32 v78, 16, v78
	;; [unrolled: 1-line block ×3, first 2 shown]
	v_cmp_lt_u32_e32 vcc_lo, 27, v80
	s_or_b32 s42, vcc_lo, s42
	s_waitcnt vmcnt(2) lgkmcnt(0)
	v_mul_f64 v[90:91], v[84:85], v[86:87]
	v_mul_f64 v[86:87], v[82:83], v[86:87]
	s_waitcnt vmcnt(0)
	v_fma_f64 v[82:83], v[82:83], v[88:89], -v[90:91]
	v_fma_f64 v[84:85], v[84:85], v[88:89], v[86:87]
	v_add_f64 v[1:2], v[1:2], v[82:83]
	v_add_f64 v[3:4], v[3:4], v[84:85]
	s_andn2_b32 exec_lo, exec_lo, s42
	s_cbranch_execnz .LBB34_500
; %bb.501:
	s_or_b32 exec_lo, exec_lo, s42
.LBB34_502:
	s_or_b32 exec_lo, exec_lo, s8
	v_mov_b32_e32 v78, 0
	ds_read_b128 v[82:85], v78 offset:464
	s_waitcnt lgkmcnt(0)
	v_mul_f64 v[78:79], v[3:4], v[84:85]
	v_mul_f64 v[84:85], v[1:2], v[84:85]
	v_fma_f64 v[1:2], v[1:2], v[82:83], -v[78:79]
	v_fma_f64 v[3:4], v[3:4], v[82:83], v[84:85]
	buffer_store_dword v2, off, s[0:3], 0 offset:468
	buffer_store_dword v1, off, s[0:3], 0 offset:464
	;; [unrolled: 1-line block ×4, first 2 shown]
.LBB34_503:
	s_or_b32 exec_lo, exec_lo, s4
	v_mov_b32_e32 v4, s11
	s_mov_b32 s4, exec_lo
	s_clause 0x3
	buffer_load_dword v1, v4, s[0:3], 0 offen
	buffer_load_dword v2, v4, s[0:3], 0 offen offset:4
	buffer_load_dword v3, v4, s[0:3], 0 offen offset:8
	;; [unrolled: 1-line block ×3, first 2 shown]
	s_waitcnt vmcnt(0)
	ds_write_b128 v76, v[1:4]
	s_waitcnt lgkmcnt(0)
	s_waitcnt_vscnt null, 0x0
	s_barrier
	buffer_gl0_inv
	v_cmpx_gt_u32_e32 30, v0
	s_cbranch_execz .LBB34_511
; %bb.504:
	ds_read_b128 v[1:4], v76
	v_cmp_ne_u32_e32 vcc_lo, 1, v77
	s_cbranch_vccnz .LBB34_506
; %bb.505:
	s_clause 0x3
	buffer_load_dword v78, v75, s[0:3], 0 offen offset:8
	buffer_load_dword v79, v75, s[0:3], 0 offen offset:12
	buffer_load_dword v82, v75, s[0:3], 0 offen
	buffer_load_dword v83, v75, s[0:3], 0 offen offset:4
	s_waitcnt vmcnt(2) lgkmcnt(0)
	v_mul_f64 v[84:85], v[3:4], v[78:79]
	v_mul_f64 v[78:79], v[1:2], v[78:79]
	s_waitcnt vmcnt(0)
	v_fma_f64 v[1:2], v[1:2], v[82:83], -v[84:85]
	v_fma_f64 v[3:4], v[3:4], v[82:83], v[78:79]
.LBB34_506:
	s_mov_b32 s8, exec_lo
	v_cmpx_ne_u32_e32 29, v0
	s_cbranch_execz .LBB34_510
; %bb.507:
	v_add_nc_u32_e32 v78, 0x240, v81
	v_add3_u32 v79, 0, v81, 16
	v_mov_b32_e32 v80, v0
	s_mov_b32 s42, 0
	.p2align	6
.LBB34_508:                             ; =>This Inner Loop Header: Depth=1
	s_clause 0x3
	buffer_load_dword v86, v79, s[0:3], 0 offen offset:8
	buffer_load_dword v87, v79, s[0:3], 0 offen offset:12
	buffer_load_dword v88, v79, s[0:3], 0 offen
	buffer_load_dword v89, v79, s[0:3], 0 offen offset:4
	ds_read_b128 v[82:85], v78
	v_add_nc_u32_e32 v80, 1, v80
	v_add_nc_u32_e32 v78, 16, v78
	;; [unrolled: 1-line block ×3, first 2 shown]
	v_cmp_lt_u32_e32 vcc_lo, 28, v80
	s_or_b32 s42, vcc_lo, s42
	s_waitcnt vmcnt(2) lgkmcnt(0)
	v_mul_f64 v[90:91], v[84:85], v[86:87]
	v_mul_f64 v[86:87], v[82:83], v[86:87]
	s_waitcnt vmcnt(0)
	v_fma_f64 v[82:83], v[82:83], v[88:89], -v[90:91]
	v_fma_f64 v[84:85], v[84:85], v[88:89], v[86:87]
	v_add_f64 v[1:2], v[1:2], v[82:83]
	v_add_f64 v[3:4], v[3:4], v[84:85]
	s_andn2_b32 exec_lo, exec_lo, s42
	s_cbranch_execnz .LBB34_508
; %bb.509:
	s_or_b32 exec_lo, exec_lo, s42
.LBB34_510:
	s_or_b32 exec_lo, exec_lo, s8
	v_mov_b32_e32 v78, 0
	ds_read_b128 v[82:85], v78 offset:480
	s_waitcnt lgkmcnt(0)
	v_mul_f64 v[78:79], v[3:4], v[84:85]
	v_mul_f64 v[84:85], v[1:2], v[84:85]
	v_fma_f64 v[1:2], v[1:2], v[82:83], -v[78:79]
	v_fma_f64 v[3:4], v[3:4], v[82:83], v[84:85]
	buffer_store_dword v2, off, s[0:3], 0 offset:484
	buffer_store_dword v1, off, s[0:3], 0 offset:480
	buffer_store_dword v4, off, s[0:3], 0 offset:492
	buffer_store_dword v3, off, s[0:3], 0 offset:488
.LBB34_511:
	s_or_b32 exec_lo, exec_lo, s4
	v_mov_b32_e32 v4, s10
	s_mov_b32 s4, exec_lo
	s_clause 0x3
	buffer_load_dword v1, v4, s[0:3], 0 offen
	buffer_load_dword v2, v4, s[0:3], 0 offen offset:4
	buffer_load_dword v3, v4, s[0:3], 0 offen offset:8
	buffer_load_dword v4, v4, s[0:3], 0 offen offset:12
	s_waitcnt vmcnt(0)
	ds_write_b128 v76, v[1:4]
	s_waitcnt lgkmcnt(0)
	s_waitcnt_vscnt null, 0x0
	s_barrier
	buffer_gl0_inv
	v_cmpx_gt_u32_e32 31, v0
	s_cbranch_execz .LBB34_519
; %bb.512:
	ds_read_b128 v[1:4], v76
	v_cmp_ne_u32_e32 vcc_lo, 1, v77
	s_cbranch_vccnz .LBB34_514
; %bb.513:
	s_clause 0x3
	buffer_load_dword v78, v75, s[0:3], 0 offen offset:8
	buffer_load_dword v79, v75, s[0:3], 0 offen offset:12
	buffer_load_dword v82, v75, s[0:3], 0 offen
	buffer_load_dword v83, v75, s[0:3], 0 offen offset:4
	s_waitcnt vmcnt(2) lgkmcnt(0)
	v_mul_f64 v[84:85], v[3:4], v[78:79]
	v_mul_f64 v[78:79], v[1:2], v[78:79]
	s_waitcnt vmcnt(0)
	v_fma_f64 v[1:2], v[1:2], v[82:83], -v[84:85]
	v_fma_f64 v[3:4], v[3:4], v[82:83], v[78:79]
.LBB34_514:
	s_mov_b32 s8, exec_lo
	v_cmpx_ne_u32_e32 30, v0
	s_cbranch_execz .LBB34_518
; %bb.515:
	v_add_nc_u32_e32 v78, 0x240, v81
	v_add3_u32 v79, 0, v81, 16
	v_mov_b32_e32 v80, v0
	s_mov_b32 s42, 0
	.p2align	6
.LBB34_516:                             ; =>This Inner Loop Header: Depth=1
	s_clause 0x3
	buffer_load_dword v86, v79, s[0:3], 0 offen offset:8
	buffer_load_dword v87, v79, s[0:3], 0 offen offset:12
	buffer_load_dword v88, v79, s[0:3], 0 offen
	buffer_load_dword v89, v79, s[0:3], 0 offen offset:4
	ds_read_b128 v[82:85], v78
	v_add_nc_u32_e32 v80, 1, v80
	v_add_nc_u32_e32 v78, 16, v78
	;; [unrolled: 1-line block ×3, first 2 shown]
	v_cmp_lt_u32_e32 vcc_lo, 29, v80
	s_or_b32 s42, vcc_lo, s42
	s_waitcnt vmcnt(2) lgkmcnt(0)
	v_mul_f64 v[90:91], v[84:85], v[86:87]
	v_mul_f64 v[86:87], v[82:83], v[86:87]
	s_waitcnt vmcnt(0)
	v_fma_f64 v[82:83], v[82:83], v[88:89], -v[90:91]
	v_fma_f64 v[84:85], v[84:85], v[88:89], v[86:87]
	v_add_f64 v[1:2], v[1:2], v[82:83]
	v_add_f64 v[3:4], v[3:4], v[84:85]
	s_andn2_b32 exec_lo, exec_lo, s42
	s_cbranch_execnz .LBB34_516
; %bb.517:
	s_or_b32 exec_lo, exec_lo, s42
.LBB34_518:
	s_or_b32 exec_lo, exec_lo, s8
	v_mov_b32_e32 v78, 0
	ds_read_b128 v[82:85], v78 offset:496
	s_waitcnt lgkmcnt(0)
	v_mul_f64 v[78:79], v[3:4], v[84:85]
	v_mul_f64 v[84:85], v[1:2], v[84:85]
	v_fma_f64 v[1:2], v[1:2], v[82:83], -v[78:79]
	v_fma_f64 v[3:4], v[3:4], v[82:83], v[84:85]
	buffer_store_dword v2, off, s[0:3], 0 offset:500
	buffer_store_dword v1, off, s[0:3], 0 offset:496
	;; [unrolled: 1-line block ×4, first 2 shown]
.LBB34_519:
	s_or_b32 exec_lo, exec_lo, s4
	v_mov_b32_e32 v4, s9
	s_mov_b32 s4, exec_lo
	s_clause 0x3
	buffer_load_dword v1, v4, s[0:3], 0 offen
	buffer_load_dword v2, v4, s[0:3], 0 offen offset:4
	buffer_load_dword v3, v4, s[0:3], 0 offen offset:8
	;; [unrolled: 1-line block ×3, first 2 shown]
	s_waitcnt vmcnt(0)
	ds_write_b128 v76, v[1:4]
	s_waitcnt lgkmcnt(0)
	s_waitcnt_vscnt null, 0x0
	s_barrier
	buffer_gl0_inv
	v_cmpx_gt_u32_e32 32, v0
	s_cbranch_execz .LBB34_527
; %bb.520:
	ds_read_b128 v[1:4], v76
	v_cmp_ne_u32_e32 vcc_lo, 1, v77
	s_cbranch_vccnz .LBB34_522
; %bb.521:
	s_clause 0x3
	buffer_load_dword v78, v75, s[0:3], 0 offen offset:8
	buffer_load_dword v79, v75, s[0:3], 0 offen offset:12
	buffer_load_dword v82, v75, s[0:3], 0 offen
	buffer_load_dword v83, v75, s[0:3], 0 offen offset:4
	s_waitcnt vmcnt(2) lgkmcnt(0)
	v_mul_f64 v[84:85], v[3:4], v[78:79]
	v_mul_f64 v[78:79], v[1:2], v[78:79]
	s_waitcnt vmcnt(0)
	v_fma_f64 v[1:2], v[1:2], v[82:83], -v[84:85]
	v_fma_f64 v[3:4], v[3:4], v[82:83], v[78:79]
.LBB34_522:
	s_mov_b32 s8, exec_lo
	v_cmpx_ne_u32_e32 31, v0
	s_cbranch_execz .LBB34_526
; %bb.523:
	v_add_nc_u32_e32 v78, 0x240, v81
	v_add3_u32 v79, 0, v81, 16
	v_mov_b32_e32 v80, v0
	s_mov_b32 s42, 0
	.p2align	6
.LBB34_524:                             ; =>This Inner Loop Header: Depth=1
	s_clause 0x3
	buffer_load_dword v86, v79, s[0:3], 0 offen offset:8
	buffer_load_dword v87, v79, s[0:3], 0 offen offset:12
	buffer_load_dword v88, v79, s[0:3], 0 offen
	buffer_load_dword v89, v79, s[0:3], 0 offen offset:4
	ds_read_b128 v[82:85], v78
	v_add_nc_u32_e32 v80, 1, v80
	v_add_nc_u32_e32 v78, 16, v78
	;; [unrolled: 1-line block ×3, first 2 shown]
	v_cmp_lt_u32_e32 vcc_lo, 30, v80
	s_or_b32 s42, vcc_lo, s42
	s_waitcnt vmcnt(2) lgkmcnt(0)
	v_mul_f64 v[90:91], v[84:85], v[86:87]
	v_mul_f64 v[86:87], v[82:83], v[86:87]
	s_waitcnt vmcnt(0)
	v_fma_f64 v[82:83], v[82:83], v[88:89], -v[90:91]
	v_fma_f64 v[84:85], v[84:85], v[88:89], v[86:87]
	v_add_f64 v[1:2], v[1:2], v[82:83]
	v_add_f64 v[3:4], v[3:4], v[84:85]
	s_andn2_b32 exec_lo, exec_lo, s42
	s_cbranch_execnz .LBB34_524
; %bb.525:
	s_or_b32 exec_lo, exec_lo, s42
.LBB34_526:
	s_or_b32 exec_lo, exec_lo, s8
	v_mov_b32_e32 v78, 0
	ds_read_b128 v[82:85], v78 offset:512
	s_waitcnt lgkmcnt(0)
	v_mul_f64 v[78:79], v[3:4], v[84:85]
	v_mul_f64 v[84:85], v[1:2], v[84:85]
	v_fma_f64 v[1:2], v[1:2], v[82:83], -v[78:79]
	v_fma_f64 v[3:4], v[3:4], v[82:83], v[84:85]
	buffer_store_dword v2, off, s[0:3], 0 offset:516
	buffer_store_dword v1, off, s[0:3], 0 offset:512
	;; [unrolled: 1-line block ×4, first 2 shown]
.LBB34_527:
	s_or_b32 exec_lo, exec_lo, s4
	v_mov_b32_e32 v4, s7
	v_cmp_gt_u32_e64 s4, 33, v0
	s_clause 0x3
	buffer_load_dword v1, v4, s[0:3], 0 offen
	buffer_load_dword v2, v4, s[0:3], 0 offen offset:4
	buffer_load_dword v3, v4, s[0:3], 0 offen offset:8
	;; [unrolled: 1-line block ×3, first 2 shown]
	s_waitcnt vmcnt(0)
	ds_write_b128 v76, v[1:4]
	s_waitcnt lgkmcnt(0)
	s_waitcnt_vscnt null, 0x0
	s_barrier
	buffer_gl0_inv
	s_and_saveexec_b32 s8, s4
	s_cbranch_execz .LBB34_535
; %bb.528:
	ds_read_b128 v[1:4], v76
	v_cmp_ne_u32_e32 vcc_lo, 1, v77
	s_cbranch_vccnz .LBB34_530
; %bb.529:
	s_clause 0x3
	buffer_load_dword v78, v75, s[0:3], 0 offen offset:8
	buffer_load_dword v79, v75, s[0:3], 0 offen offset:12
	buffer_load_dword v82, v75, s[0:3], 0 offen
	buffer_load_dword v83, v75, s[0:3], 0 offen offset:4
	s_waitcnt vmcnt(2) lgkmcnt(0)
	v_mul_f64 v[84:85], v[3:4], v[78:79]
	v_mul_f64 v[78:79], v[1:2], v[78:79]
	s_waitcnt vmcnt(0)
	v_fma_f64 v[1:2], v[1:2], v[82:83], -v[84:85]
	v_fma_f64 v[3:4], v[3:4], v[82:83], v[78:79]
.LBB34_530:
	s_mov_b32 s42, exec_lo
	v_cmpx_ne_u32_e32 32, v0
	s_cbranch_execz .LBB34_534
; %bb.531:
	v_add_nc_u32_e32 v78, 0x240, v81
	v_add3_u32 v79, 0, v81, 16
	v_mov_b32_e32 v80, v0
	s_mov_b32 s43, 0
	.p2align	6
.LBB34_532:                             ; =>This Inner Loop Header: Depth=1
	s_clause 0x3
	buffer_load_dword v86, v79, s[0:3], 0 offen offset:8
	buffer_load_dword v87, v79, s[0:3], 0 offen offset:12
	buffer_load_dword v88, v79, s[0:3], 0 offen
	buffer_load_dword v89, v79, s[0:3], 0 offen offset:4
	ds_read_b128 v[82:85], v78
	v_add_nc_u32_e32 v80, 1, v80
	v_add_nc_u32_e32 v78, 16, v78
	;; [unrolled: 1-line block ×3, first 2 shown]
	v_cmp_lt_u32_e32 vcc_lo, 31, v80
	s_or_b32 s43, vcc_lo, s43
	s_waitcnt vmcnt(2) lgkmcnt(0)
	v_mul_f64 v[90:91], v[84:85], v[86:87]
	v_mul_f64 v[86:87], v[82:83], v[86:87]
	s_waitcnt vmcnt(0)
	v_fma_f64 v[82:83], v[82:83], v[88:89], -v[90:91]
	v_fma_f64 v[84:85], v[84:85], v[88:89], v[86:87]
	v_add_f64 v[1:2], v[1:2], v[82:83]
	v_add_f64 v[3:4], v[3:4], v[84:85]
	s_andn2_b32 exec_lo, exec_lo, s43
	s_cbranch_execnz .LBB34_532
; %bb.533:
	s_or_b32 exec_lo, exec_lo, s43
.LBB34_534:
	s_or_b32 exec_lo, exec_lo, s42
	v_mov_b32_e32 v78, 0
	ds_read_b128 v[82:85], v78 offset:528
	s_waitcnt lgkmcnt(0)
	v_mul_f64 v[78:79], v[3:4], v[84:85]
	v_mul_f64 v[84:85], v[1:2], v[84:85]
	v_fma_f64 v[1:2], v[1:2], v[82:83], -v[78:79]
	v_fma_f64 v[3:4], v[3:4], v[82:83], v[84:85]
	buffer_store_dword v2, off, s[0:3], 0 offset:532
	buffer_store_dword v1, off, s[0:3], 0 offset:528
	;; [unrolled: 1-line block ×4, first 2 shown]
.LBB34_535:
	s_or_b32 exec_lo, exec_lo, s8
	v_mov_b32_e32 v4, s6
	s_mov_b32 s8, exec_lo
                                        ; implicit-def: $sgpr44
	s_clause 0x3
	buffer_load_dword v1, v4, s[0:3], 0 offen
	buffer_load_dword v2, v4, s[0:3], 0 offen offset:4
	buffer_load_dword v3, v4, s[0:3], 0 offen offset:8
	;; [unrolled: 1-line block ×3, first 2 shown]
	s_waitcnt vmcnt(0)
	ds_write_b128 v76, v[1:4]
	s_waitcnt lgkmcnt(0)
	s_waitcnt_vscnt null, 0x0
	s_barrier
	buffer_gl0_inv
                                        ; implicit-def: $vgpr1_vgpr2
	v_cmpx_ne_u32_e32 34, v0
	s_cbranch_execz .LBB34_543
; %bb.536:
	ds_read_b128 v[1:4], v76
	v_cmp_ne_u32_e32 vcc_lo, 1, v77
	s_cbranch_vccnz .LBB34_538
; %bb.537:
	s_clause 0x3
	buffer_load_dword v76, v75, s[0:3], 0 offen offset:8
	buffer_load_dword v77, v75, s[0:3], 0 offen offset:12
	buffer_load_dword v78, v75, s[0:3], 0 offen
	buffer_load_dword v79, v75, s[0:3], 0 offen offset:4
	s_waitcnt vmcnt(2) lgkmcnt(0)
	v_mul_f64 v[82:83], v[3:4], v[76:77]
	v_mul_f64 v[75:76], v[1:2], v[76:77]
	s_waitcnt vmcnt(0)
	v_fma_f64 v[1:2], v[1:2], v[78:79], -v[82:83]
	v_fma_f64 v[3:4], v[3:4], v[78:79], v[75:76]
.LBB34_538:
	s_and_saveexec_b32 s42, s4
	s_cbranch_execz .LBB34_542
; %bb.539:
	v_add_nc_u32_e32 v75, 0x240, v81
	v_add3_u32 v76, 0, v81, 16
	s_mov_b32 s4, 0
	.p2align	6
.LBB34_540:                             ; =>This Inner Loop Header: Depth=1
	s_clause 0x3
	buffer_load_dword v81, v76, s[0:3], 0 offen offset:8
	buffer_load_dword v82, v76, s[0:3], 0 offen offset:12
	buffer_load_dword v83, v76, s[0:3], 0 offen
	buffer_load_dword v84, v76, s[0:3], 0 offen offset:4
	ds_read_b128 v[77:80], v75
	v_add_nc_u32_e32 v0, 1, v0
	v_add_nc_u32_e32 v75, 16, v75
	;; [unrolled: 1-line block ×3, first 2 shown]
	v_cmp_lt_u32_e32 vcc_lo, 32, v0
	s_or_b32 s4, vcc_lo, s4
	s_waitcnt vmcnt(2) lgkmcnt(0)
	v_mul_f64 v[85:86], v[79:80], v[81:82]
	v_mul_f64 v[81:82], v[77:78], v[81:82]
	s_waitcnt vmcnt(0)
	v_fma_f64 v[77:78], v[77:78], v[83:84], -v[85:86]
	v_fma_f64 v[79:80], v[79:80], v[83:84], v[81:82]
	v_add_f64 v[1:2], v[1:2], v[77:78]
	v_add_f64 v[3:4], v[3:4], v[79:80]
	s_andn2_b32 exec_lo, exec_lo, s4
	s_cbranch_execnz .LBB34_540
; %bb.541:
	s_or_b32 exec_lo, exec_lo, s4
.LBB34_542:
	s_or_b32 exec_lo, exec_lo, s42
	v_mov_b32_e32 v0, 0
	s_movk_i32 s44, 0x228
	s_or_b32 s5, s5, exec_lo
	ds_read_b128 v[75:78], v0 offset:544
	s_waitcnt lgkmcnt(0)
	v_mul_f64 v[79:80], v[3:4], v[77:78]
	v_mul_f64 v[77:78], v[1:2], v[77:78]
	v_fma_f64 v[79:80], v[1:2], v[75:76], -v[79:80]
	v_fma_f64 v[1:2], v[3:4], v[75:76], v[77:78]
	buffer_store_dword v80, off, s[0:3], 0 offset:548
	buffer_store_dword v79, off, s[0:3], 0 offset:544
.LBB34_543:
	s_or_b32 exec_lo, exec_lo, s8
.LBB34_544:
	s_and_saveexec_b32 s4, s5
	s_cbranch_execz .LBB34_546
; %bb.545:
	v_mov_b32_e32 v0, s44
	buffer_store_dword v2, v0, s[0:3], 0 offen offset:4
	buffer_store_dword v1, v0, s[0:3], 0 offen
.LBB34_546:
	s_or_b32 exec_lo, exec_lo, s4
	s_clause 0x3
	buffer_load_dword v0, off, s[0:3], 0
	buffer_load_dword v1, off, s[0:3], 0 offset:4
	buffer_load_dword v2, off, s[0:3], 0 offset:8
	;; [unrolled: 1-line block ×3, first 2 shown]
	v_mov_b32_e32 v4, s41
	v_mov_b32_e32 v91, s37
	;; [unrolled: 1-line block ×4, first 2 shown]
	s_clause 0x3
	buffer_load_dword v75, v4, s[0:3], 0 offen
	buffer_load_dword v76, v4, s[0:3], 0 offen offset:4
	buffer_load_dword v77, v4, s[0:3], 0 offen offset:8
	;; [unrolled: 1-line block ×3, first 2 shown]
	v_mov_b32_e32 v4, s40
	v_mov_b32_e32 v99, s9
	;; [unrolled: 1-line block ×3, first 2 shown]
	s_clause 0x3
	buffer_load_dword v79, v4, s[0:3], 0 offen
	buffer_load_dword v80, v4, s[0:3], 0 offen offset:4
	buffer_load_dword v81, v4, s[0:3], 0 offen offset:8
	;; [unrolled: 1-line block ×3, first 2 shown]
	v_mov_b32_e32 v4, s39
	v_mov_b32_e32 v98, s10
	s_clause 0x3
	buffer_load_dword v83, v4, s[0:3], 0 offen
	buffer_load_dword v84, v4, s[0:3], 0 offen offset:4
	buffer_load_dword v85, v4, s[0:3], 0 offen offset:8
	;; [unrolled: 1-line block ×3, first 2 shown]
	v_mov_b32_e32 v4, s38
	s_clause 0x3
	buffer_load_dword v87, v4, s[0:3], 0 offen
	buffer_load_dword v88, v4, s[0:3], 0 offen offset:4
	buffer_load_dword v89, v4, s[0:3], 0 offen offset:8
	;; [unrolled: 1-line block ×3, first 2 shown]
	v_mov_b32_e32 v4, s36
	v_mov_b32_e32 v100, s7
	;; [unrolled: 1-line block ×3, first 2 shown]
	s_waitcnt vmcnt(16)
	global_store_dwordx4 v[45:46], v[0:3], off
	s_clause 0x7
	buffer_load_dword v0, v91, s[0:3], 0 offen
	buffer_load_dword v1, v91, s[0:3], 0 offen offset:4
	buffer_load_dword v2, v91, s[0:3], 0 offen offset:8
	;; [unrolled: 1-line block ×3, first 2 shown]
	buffer_load_dword v91, v4, s[0:3], 0 offen
	buffer_load_dword v92, v4, s[0:3], 0 offen offset:4
	buffer_load_dword v93, v4, s[0:3], 0 offen offset:8
	;; [unrolled: 1-line block ×3, first 2 shown]
	v_mov_b32_e32 v4, s35
	s_waitcnt vmcnt(20)
	global_store_dwordx4 v[47:48], v[75:78], off
	s_clause 0x3
	buffer_load_dword v45, v4, s[0:3], 0 offen
	buffer_load_dword v46, v4, s[0:3], 0 offen offset:4
	buffer_load_dword v47, v4, s[0:3], 0 offen offset:8
	;; [unrolled: 1-line block ×3, first 2 shown]
	v_mov_b32_e32 v4, s34
	s_waitcnt vmcnt(20)
	global_store_dwordx4 v[41:42], v[79:82], off
	s_clause 0x3
	buffer_load_dword v75, v4, s[0:3], 0 offen
	buffer_load_dword v76, v4, s[0:3], 0 offen offset:4
	buffer_load_dword v77, v4, s[0:3], 0 offen offset:8
	;; [unrolled: 1-line block ×3, first 2 shown]
	v_mov_b32_e32 v4, s33
	s_clause 0x3
	buffer_load_dword v79, v4, s[0:3], 0 offen
	buffer_load_dword v80, v4, s[0:3], 0 offen offset:4
	buffer_load_dword v81, v4, s[0:3], 0 offen offset:8
	;; [unrolled: 1-line block ×3, first 2 shown]
	v_mov_b32_e32 v4, s31
	s_waitcnt vmcnt(24)
	global_store_dwordx4 v[43:44], v[83:86], off
	v_mov_b32_e32 v86, s30
	s_clause 0x3
	buffer_load_dword v41, v4, s[0:3], 0 offen
	buffer_load_dword v42, v4, s[0:3], 0 offen offset:4
	buffer_load_dword v43, v4, s[0:3], 0 offen offset:8
	;; [unrolled: 1-line block ×3, first 2 shown]
	v_mov_b32_e32 v4, s29
	s_waitcnt vmcnt(24)
	global_store_dwordx4 v[33:34], v[87:90], off
	v_mov_b32_e32 v87, s28
	s_clause 0x3
	buffer_load_dword v83, v86, s[0:3], 0 offen
	buffer_load_dword v84, v86, s[0:3], 0 offen offset:4
	buffer_load_dword v85, v86, s[0:3], 0 offen offset:8
	;; [unrolled: 1-line block ×3, first 2 shown]
	s_waitcnt vmcnt(24)
	global_store_dwordx4 v[35:36], v[0:3], off
	s_clause 0x7
	buffer_load_dword v0, v4, s[0:3], 0 offen
	buffer_load_dword v1, v4, s[0:3], 0 offen offset:4
	buffer_load_dword v2, v4, s[0:3], 0 offen offset:8
	;; [unrolled: 1-line block ×3, first 2 shown]
	buffer_load_dword v33, v87, s[0:3], 0 offen
	buffer_load_dword v34, v87, s[0:3], 0 offen offset:4
	buffer_load_dword v35, v87, s[0:3], 0 offen offset:8
	;; [unrolled: 1-line block ×3, first 2 shown]
	v_mov_b32_e32 v4, s27
	s_waitcnt vmcnt(28)
	global_store_dwordx4 v[27:28], v[91:94], off
	s_clause 0x7
	buffer_load_dword v87, v4, s[0:3], 0 offen
	buffer_load_dword v88, v4, s[0:3], 0 offen offset:4
	buffer_load_dword v89, v4, s[0:3], 0 offen offset:8
	;; [unrolled: 1-line block ×3, first 2 shown]
	buffer_load_dword v91, v95, s[0:3], 0 offen
	buffer_load_dword v92, v95, s[0:3], 0 offen offset:4
	buffer_load_dword v93, v95, s[0:3], 0 offen offset:8
	;; [unrolled: 1-line block ×3, first 2 shown]
	v_mov_b32_e32 v4, s25
	s_waitcnt vmcnt(32)
	global_store_dwordx4 v[37:38], v[45:48], off
	v_mov_b32_e32 v37, s23
	s_clause 0x3
	buffer_load_dword v45, v4, s[0:3], 0 offen
	buffer_load_dword v46, v4, s[0:3], 0 offen offset:4
	buffer_load_dword v47, v4, s[0:3], 0 offen offset:8
	buffer_load_dword v48, v4, s[0:3], 0 offen offset:12
	v_mov_b32_e32 v4, s24
	s_waitcnt vmcnt(32)
	global_store_dwordx4 v[29:30], v[75:78], off
	s_clause 0x7
	buffer_load_dword v27, v4, s[0:3], 0 offen
	buffer_load_dword v28, v4, s[0:3], 0 offen offset:4
	buffer_load_dword v29, v4, s[0:3], 0 offen offset:8
	;; [unrolled: 1-line block ×3, first 2 shown]
	buffer_load_dword v75, v37, s[0:3], 0 offen
	buffer_load_dword v76, v37, s[0:3], 0 offen offset:4
	buffer_load_dword v77, v37, s[0:3], 0 offen offset:8
	;; [unrolled: 1-line block ×3, first 2 shown]
	v_mov_b32_e32 v4, s22
	s_waitcnt vmcnt(36)
	global_store_dwordx4 v[39:40], v[79:82], off
	s_clause 0x3
	buffer_load_dword v37, v4, s[0:3], 0 offen
	buffer_load_dword v38, v4, s[0:3], 0 offen offset:4
	buffer_load_dword v39, v4, s[0:3], 0 offen offset:8
	;; [unrolled: 1-line block ×3, first 2 shown]
	v_mov_b32_e32 v4, s21
	s_waitcnt vmcnt(36)
	global_store_dwordx4 v[31:32], v[41:44], off
	v_mov_b32_e32 v41, s19
	v_mov_b32_e32 v80, s17
	;; [unrolled: 1-line block ×4, first 2 shown]
	s_waitcnt vmcnt(32)
	global_store_dwordx4 v[15:16], v[83:86], off
	v_mov_b32_e32 v16, s13
	v_mov_b32_e32 v44, s18
	;; [unrolled: 1-line block ×4, first 2 shown]
	s_waitcnt vmcnt(28)
	global_store_dwordx4 v[5:6], v[0:3], off
	s_waitcnt vmcnt(24)
	global_store_dwordx4 v[7:8], v[33:36], off
	s_clause 0x7
	buffer_load_dword v0, v4, s[0:3], 0 offen
	buffer_load_dword v1, v4, s[0:3], 0 offen offset:4
	buffer_load_dword v2, v4, s[0:3], 0 offen offset:8
	buffer_load_dword v3, v4, s[0:3], 0 offen offset:12
	buffer_load_dword v4, v79, s[0:3], 0 offen
	buffer_load_dword v5, v79, s[0:3], 0 offen offset:4
	buffer_load_dword v6, v79, s[0:3], 0 offen offset:8
	buffer_load_dword v7, v79, s[0:3], 0 offen offset:12
	s_waitcnt vmcnt(28)
	global_store_dwordx4 v[9:10], v[87:90], off
	s_clause 0x7
	buffer_load_dword v31, v41, s[0:3], 0 offen
	buffer_load_dword v32, v41, s[0:3], 0 offen offset:4
	buffer_load_dword v33, v41, s[0:3], 0 offen offset:8
	buffer_load_dword v34, v41, s[0:3], 0 offen offset:12
	buffer_load_dword v41, v44, s[0:3], 0 offen
	buffer_load_dword v42, v44, s[0:3], 0 offen offset:4
	buffer_load_dword v43, v44, s[0:3], 0 offen offset:8
	buffer_load_dword v44, v44, s[0:3], 0 offen offset:12
	;; [unrolled: 11-line block ×7, first 2 shown]
	buffer_load_dword v91, v101, s[0:3], 0 offen
	buffer_load_dword v92, v101, s[0:3], 0 offen offset:4
	buffer_load_dword v93, v101, s[0:3], 0 offen offset:8
	;; [unrolled: 1-line block ×3, first 2 shown]
	s_waitcnt vmcnt(56)
	global_store_dwordx4 v[23:24], v[0:3], off
	s_waitcnt vmcnt(52)
	global_store_dwordx4 v[25:26], v[4:7], off
	;; [unrolled: 2-line block ×15, first 2 shown]
.LBB34_547:
	s_endpgm
	.section	.rodata,"a",@progbits
	.p2align	6, 0x0
	.amdhsa_kernel _ZN9rocsolver6v33100L18trti2_kernel_smallILi35E19rocblas_complex_numIdEPS3_EEv13rocblas_fill_17rocblas_diagonal_T1_iil
		.amdhsa_group_segment_fixed_size 1120
		.amdhsa_private_segment_fixed_size 576
		.amdhsa_kernarg_size 32
		.amdhsa_user_sgpr_count 6
		.amdhsa_user_sgpr_private_segment_buffer 1
		.amdhsa_user_sgpr_dispatch_ptr 0
		.amdhsa_user_sgpr_queue_ptr 0
		.amdhsa_user_sgpr_kernarg_segment_ptr 1
		.amdhsa_user_sgpr_dispatch_id 0
		.amdhsa_user_sgpr_flat_scratch_init 0
		.amdhsa_user_sgpr_private_segment_size 0
		.amdhsa_wavefront_size32 1
		.amdhsa_uses_dynamic_stack 0
		.amdhsa_system_sgpr_private_segment_wavefront_offset 1
		.amdhsa_system_sgpr_workgroup_id_x 1
		.amdhsa_system_sgpr_workgroup_id_y 0
		.amdhsa_system_sgpr_workgroup_id_z 0
		.amdhsa_system_sgpr_workgroup_info 0
		.amdhsa_system_vgpr_workitem_id 0
		.amdhsa_next_free_vgpr 102
		.amdhsa_next_free_sgpr 57
		.amdhsa_reserve_vcc 1
		.amdhsa_reserve_flat_scratch 0
		.amdhsa_float_round_mode_32 0
		.amdhsa_float_round_mode_16_64 0
		.amdhsa_float_denorm_mode_32 3
		.amdhsa_float_denorm_mode_16_64 3
		.amdhsa_dx10_clamp 1
		.amdhsa_ieee_mode 1
		.amdhsa_fp16_overflow 0
		.amdhsa_workgroup_processor_mode 1
		.amdhsa_memory_ordered 1
		.amdhsa_forward_progress 1
		.amdhsa_shared_vgpr_count 0
		.amdhsa_exception_fp_ieee_invalid_op 0
		.amdhsa_exception_fp_denorm_src 0
		.amdhsa_exception_fp_ieee_div_zero 0
		.amdhsa_exception_fp_ieee_overflow 0
		.amdhsa_exception_fp_ieee_underflow 0
		.amdhsa_exception_fp_ieee_inexact 0
		.amdhsa_exception_int_div_zero 0
	.end_amdhsa_kernel
	.section	.text._ZN9rocsolver6v33100L18trti2_kernel_smallILi35E19rocblas_complex_numIdEPS3_EEv13rocblas_fill_17rocblas_diagonal_T1_iil,"axG",@progbits,_ZN9rocsolver6v33100L18trti2_kernel_smallILi35E19rocblas_complex_numIdEPS3_EEv13rocblas_fill_17rocblas_diagonal_T1_iil,comdat
.Lfunc_end34:
	.size	_ZN9rocsolver6v33100L18trti2_kernel_smallILi35E19rocblas_complex_numIdEPS3_EEv13rocblas_fill_17rocblas_diagonal_T1_iil, .Lfunc_end34-_ZN9rocsolver6v33100L18trti2_kernel_smallILi35E19rocblas_complex_numIdEPS3_EEv13rocblas_fill_17rocblas_diagonal_T1_iil
                                        ; -- End function
	.set _ZN9rocsolver6v33100L18trti2_kernel_smallILi35E19rocblas_complex_numIdEPS3_EEv13rocblas_fill_17rocblas_diagonal_T1_iil.num_vgpr, 102
	.set _ZN9rocsolver6v33100L18trti2_kernel_smallILi35E19rocblas_complex_numIdEPS3_EEv13rocblas_fill_17rocblas_diagonal_T1_iil.num_agpr, 0
	.set _ZN9rocsolver6v33100L18trti2_kernel_smallILi35E19rocblas_complex_numIdEPS3_EEv13rocblas_fill_17rocblas_diagonal_T1_iil.numbered_sgpr, 57
	.set _ZN9rocsolver6v33100L18trti2_kernel_smallILi35E19rocblas_complex_numIdEPS3_EEv13rocblas_fill_17rocblas_diagonal_T1_iil.num_named_barrier, 0
	.set _ZN9rocsolver6v33100L18trti2_kernel_smallILi35E19rocblas_complex_numIdEPS3_EEv13rocblas_fill_17rocblas_diagonal_T1_iil.private_seg_size, 576
	.set _ZN9rocsolver6v33100L18trti2_kernel_smallILi35E19rocblas_complex_numIdEPS3_EEv13rocblas_fill_17rocblas_diagonal_T1_iil.uses_vcc, 1
	.set _ZN9rocsolver6v33100L18trti2_kernel_smallILi35E19rocblas_complex_numIdEPS3_EEv13rocblas_fill_17rocblas_diagonal_T1_iil.uses_flat_scratch, 0
	.set _ZN9rocsolver6v33100L18trti2_kernel_smallILi35E19rocblas_complex_numIdEPS3_EEv13rocblas_fill_17rocblas_diagonal_T1_iil.has_dyn_sized_stack, 0
	.set _ZN9rocsolver6v33100L18trti2_kernel_smallILi35E19rocblas_complex_numIdEPS3_EEv13rocblas_fill_17rocblas_diagonal_T1_iil.has_recursion, 0
	.set _ZN9rocsolver6v33100L18trti2_kernel_smallILi35E19rocblas_complex_numIdEPS3_EEv13rocblas_fill_17rocblas_diagonal_T1_iil.has_indirect_call, 0
	.section	.AMDGPU.csdata,"",@progbits
; Kernel info:
; codeLenInByte = 35424
; TotalNumSgprs: 59
; NumVgprs: 102
; ScratchSize: 576
; MemoryBound: 0
; FloatMode: 240
; IeeeMode: 1
; LDSByteSize: 1120 bytes/workgroup (compile time only)
; SGPRBlocks: 0
; VGPRBlocks: 12
; NumSGPRsForWavesPerEU: 59
; NumVGPRsForWavesPerEU: 102
; Occupancy: 9
; WaveLimiterHint : 0
; COMPUTE_PGM_RSRC2:SCRATCH_EN: 1
; COMPUTE_PGM_RSRC2:USER_SGPR: 6
; COMPUTE_PGM_RSRC2:TRAP_HANDLER: 0
; COMPUTE_PGM_RSRC2:TGID_X_EN: 1
; COMPUTE_PGM_RSRC2:TGID_Y_EN: 0
; COMPUTE_PGM_RSRC2:TGID_Z_EN: 0
; COMPUTE_PGM_RSRC2:TIDIG_COMP_CNT: 0
	.section	.text._ZN9rocsolver6v33100L18trti2_kernel_smallILi36E19rocblas_complex_numIdEPS3_EEv13rocblas_fill_17rocblas_diagonal_T1_iil,"axG",@progbits,_ZN9rocsolver6v33100L18trti2_kernel_smallILi36E19rocblas_complex_numIdEPS3_EEv13rocblas_fill_17rocblas_diagonal_T1_iil,comdat
	.globl	_ZN9rocsolver6v33100L18trti2_kernel_smallILi36E19rocblas_complex_numIdEPS3_EEv13rocblas_fill_17rocblas_diagonal_T1_iil ; -- Begin function _ZN9rocsolver6v33100L18trti2_kernel_smallILi36E19rocblas_complex_numIdEPS3_EEv13rocblas_fill_17rocblas_diagonal_T1_iil
	.p2align	8
	.type	_ZN9rocsolver6v33100L18trti2_kernel_smallILi36E19rocblas_complex_numIdEPS3_EEv13rocblas_fill_17rocblas_diagonal_T1_iil,@function
_ZN9rocsolver6v33100L18trti2_kernel_smallILi36E19rocblas_complex_numIdEPS3_EEv13rocblas_fill_17rocblas_diagonal_T1_iil: ; @_ZN9rocsolver6v33100L18trti2_kernel_smallILi36E19rocblas_complex_numIdEPS3_EEv13rocblas_fill_17rocblas_diagonal_T1_iil
; %bb.0:
	s_add_u32 s0, s0, s7
	s_addc_u32 s1, s1, 0
	s_mov_b32 s7, exec_lo
	v_cmpx_gt_u32_e32 36, v0
	s_cbranch_execz .LBB35_563
; %bb.1:
	s_load_dwordx8 s[8:15], s[4:5], 0x0
	s_ashr_i32 s4, s6, 31
	v_lshlrev_b32_e32 v83, 4, v0
	s_movk_i32 s16, 0xf0
	s_movk_i32 s17, 0x100
	;; [unrolled: 1-line block ×17, first 2 shown]
	s_waitcnt lgkmcnt(0)
	s_mul_hi_u32 s5, s14, s6
	s_mul_i32 s4, s14, s4
	s_mul_i32 s7, s15, s6
	s_add_i32 s5, s5, s4
	s_mul_i32 s4, s14, s6
	s_add_i32 s5, s5, s7
	s_ashr_i32 s7, s12, 31
	s_lshl_b64 s[4:5], s[4:5], 4
	s_mov_b32 s6, s12
	s_add_u32 s10, s10, s4
	s_addc_u32 s11, s11, s5
	s_lshl_b64 s[4:5], s[6:7], 4
	s_mov_b32 s6, s13
	s_add_u32 s4, s10, s4
	s_addc_u32 s5, s11, s5
	v_add_co_u32 v15, s10, s4, v83
	s_ashr_i32 s7, s13, 31
	v_add_co_ci_u32_e64 v16, null, s5, 0, s10
	s_lshl_b64 s[6:7], s[6:7], 4
	global_load_dwordx4 v[5:8], v83, s[4:5]
	v_add_co_u32 v13, vcc_lo, v15, s6
	v_add_co_ci_u32_e64 v14, null, s7, v16, vcc_lo
	v_add3_u32 v9, s13, s13, v0
	s_cmpk_lg_i32 s9, 0x84
	s_movk_i32 s6, 0x70
	global_load_dwordx4 v[1:4], v[13:14], off
	s_movk_i32 s7, 0x80
	v_add_nc_u32_e32 v11, s13, v9
	v_ashrrev_i32_e32 v10, 31, v9
	s_movk_i32 s10, 0x90
	s_movk_i32 s11, 0xa0
	;; [unrolled: 1-line block ×3, first 2 shown]
	v_add_nc_u32_e32 v17, s13, v11
	v_lshlrev_b64 v[9:10], 4, v[9:10]
	v_ashrrev_i32_e32 v12, 31, v11
	s_movk_i32 s14, 0xd0
	s_movk_i32 s15, 0xe0
	v_add_nc_u32_e32 v19, s13, v17
	v_ashrrev_i32_e32 v18, 31, v17
	v_add_co_u32 v77, vcc_lo, s4, v9
	v_add_co_ci_u32_e64 v78, null, s5, v10, vcc_lo
	v_add_nc_u32_e32 v21, s13, v19
	v_lshlrev_b64 v[11:12], 4, v[11:12]
	v_ashrrev_i32_e32 v20, 31, v19
	global_load_dwordx4 v[58:61], v[77:78], off
	s_movk_i32 s55, 0x200
	v_add_nc_u32_e32 v23, s13, v21
	v_ashrrev_i32_e32 v22, 31, v21
	v_lshlrev_b64 v[19:20], 4, v[19:20]
	s_movk_i32 s56, 0x210
	s_movk_i32 s57, 0x220
	v_add_nc_u32_e32 v25, s13, v23
	v_ashrrev_i32_e32 v24, 31, v23
	s_movk_i32 s58, 0x230
	s_cselect_b32 s44, -1, 0
	s_cmpk_eq_i32 s9, 0x84
	v_add_nc_u32_e32 v27, s13, v25
	v_lshlrev_b64 v[23:24], 4, v[23:24]
	v_ashrrev_i32_e32 v26, 31, v25
	v_add_nc_u32_e32 v29, s13, v27
	v_ashrrev_i32_e32 v28, 31, v27
	v_add_nc_u32_e32 v31, s13, v29
	;; [unrolled: 2-line block ×10, first 2 shown]
	v_add_nc_u32_e32 v51, s13, v49
	v_ashrrev_i32_e32 v50, 31, v49
	v_add_nc_u32_e32 v53, s13, v51
	v_ashrrev_i32_e32 v52, 31, v51
	;; [unrolled: 2-line block ×4, first 2 shown]
	v_add_nc_u32_e32 v81, s13, v57
	v_add_nc_u32_e32 v84, s13, v81
	v_ashrrev_i32_e32 v82, 31, v81
	v_add_nc_u32_e32 v86, s13, v84
	v_ashrrev_i32_e32 v85, 31, v84
	;; [unrolled: 2-line block ×11, first 2 shown]
	s_movk_i32 s13, 0xc0
	v_ashrrev_i32_e32 v47, 31, v46
	v_lshlrev_b64 v[9:10], 4, v[46:47]
	v_lshlrev_b64 v[46:47], 4, v[17:18]
	v_add_co_u32 v17, vcc_lo, s4, v9
	v_add_co_ci_u32_e64 v18, null, s5, v10, vcc_lo
	v_add_co_u32 v79, vcc_lo, s4, v11
	v_add_co_ci_u32_e64 v80, null, s5, v12, vcc_lo
	global_load_dwordx4 v[9:12], v[17:18], off
	v_add_co_u32 v75, vcc_lo, s4, v46
	v_add_co_ci_u32_e64 v76, null, s5, v47, vcc_lo
	v_lshlrev_b64 v[46:47], 4, v[21:22]
	v_add_co_u32 v73, vcc_lo, s4, v19
	v_add_co_ci_u32_e64 v74, null, s5, v20, vcc_lo
	s_waitcnt vmcnt(3)
	buffer_store_dword v8, off, s[0:3], 0 offset:12
	buffer_store_dword v7, off, s[0:3], 0 offset:8
	;; [unrolled: 1-line block ×3, first 2 shown]
	buffer_store_dword v5, off, s[0:3], 0
	global_load_dwordx4 v[5:8], v[79:80], off
	v_add_co_u32 v71, vcc_lo, s4, v46
	s_waitcnt vmcnt(3)
	buffer_store_dword v4, off, s[0:3], 0 offset:28
	buffer_store_dword v3, off, s[0:3], 0 offset:24
	;; [unrolled: 1-line block ×4, first 2 shown]
	global_load_dwordx4 v[1:4], v[75:76], off
	s_waitcnt vmcnt(3)
	buffer_store_dword v61, off, s[0:3], 0 offset:44
	buffer_store_dword v60, off, s[0:3], 0 offset:40
	;; [unrolled: 1-line block ×4, first 2 shown]
	global_load_dwordx4 v[19:22], v[73:74], off
	v_add_co_ci_u32_e64 v72, null, s5, v47, vcc_lo
	v_add_co_u32 v67, vcc_lo, s4, v23
	v_add_co_ci_u32_e64 v68, null, s5, v24, vcc_lo
	v_lshlrev_b64 v[23:24], 4, v[25:26]
	v_lshlrev_b64 v[25:26], 4, v[27:28]
	;; [unrolled: 1-line block ×3, first 2 shown]
	v_ashrrev_i32_e32 v46, 31, v45
	v_ashrrev_i32_e32 v58, 31, v57
	s_waitcnt vmcnt(2)
	buffer_store_dword v8, off, s[0:3], 0 offset:60
	buffer_store_dword v7, off, s[0:3], 0 offset:56
	;; [unrolled: 1-line block ×4, first 2 shown]
	global_load_dwordx4 v[5:8], v[71:72], off
	v_add_co_u32 v69, vcc_lo, s4, v23
	s_waitcnt vmcnt(2)
	buffer_store_dword v4, off, s[0:3], 0 offset:76
	buffer_store_dword v3, off, s[0:3], 0 offset:72
	;; [unrolled: 1-line block ×4, first 2 shown]
	global_load_dwordx4 v[1:4], v[67:68], off
	v_add_co_ci_u32_e64 v70, null, s5, v24, vcc_lo
	v_lshlrev_b64 v[23:24], 4, v[29:30]
	s_waitcnt vmcnt(2)
	buffer_store_dword v22, off, s[0:3], 0 offset:92
	buffer_store_dword v21, off, s[0:3], 0 offset:88
	;; [unrolled: 1-line block ×4, first 2 shown]
	v_add_co_u32 v65, vcc_lo, s4, v25
	global_load_dwordx4 v[19:22], v[69:70], off
	v_add_co_ci_u32_e64 v66, null, s5, v26, vcc_lo
	v_add_co_u32 v63, vcc_lo, s4, v23
	v_add_co_ci_u32_e64 v64, null, s5, v24, vcc_lo
	v_lshlrev_b64 v[23:24], 4, v[31:32]
	v_lshlrev_b64 v[25:26], 4, v[33:34]
	;; [unrolled: 1-line block ×4, first 2 shown]
	s_waitcnt vmcnt(2)
	buffer_store_dword v8, off, s[0:3], 0 offset:108
	buffer_store_dword v7, off, s[0:3], 0 offset:104
	;; [unrolled: 1-line block ×4, first 2 shown]
	global_load_dwordx4 v[5:8], v[65:66], off
	v_add_co_u32 v61, vcc_lo, s4, v23
	s_waitcnt vmcnt(2)
	buffer_store_dword v4, off, s[0:3], 0 offset:124
	buffer_store_dword v3, off, s[0:3], 0 offset:120
	;; [unrolled: 1-line block ×4, first 2 shown]
	global_load_dwordx4 v[1:4], v[63:64], off
	v_add_co_ci_u32_e64 v62, null, s5, v24, vcc_lo
	v_lshlrev_b64 v[23:24], 4, v[35:36]
	s_waitcnt vmcnt(2)
	buffer_store_dword v22, off, s[0:3], 0 offset:140
	buffer_store_dword v21, off, s[0:3], 0 offset:136
	;; [unrolled: 1-line block ×4, first 2 shown]
	v_add_co_u32 v47, vcc_lo, s4, v25
	global_load_dwordx4 v[19:22], v[61:62], off
	v_add_co_ci_u32_e64 v48, null, s5, v26, vcc_lo
	v_add_co_u32 v31, vcc_lo, s4, v23
	v_add_co_ci_u32_e64 v32, null, s5, v24, vcc_lo
	v_lshlrev_b64 v[23:24], 4, v[37:38]
	s_waitcnt vmcnt(2)
	buffer_store_dword v5, off, s[0:3], 0 offset:144
	buffer_store_dword v6, off, s[0:3], 0 offset:148
	;; [unrolled: 1-line block ×4, first 2 shown]
	global_load_dwordx4 v[5:8], v[47:48], off
	v_add_co_u32 v25, vcc_lo, s4, v23
	s_waitcnt vmcnt(2)
	buffer_store_dword v1, off, s[0:3], 0 offset:160
	buffer_store_dword v2, off, s[0:3], 0 offset:164
	buffer_store_dword v3, off, s[0:3], 0 offset:168
	buffer_store_dword v4, off, s[0:3], 0 offset:172
	global_load_dwordx4 v[1:4], v[31:32], off
	v_add_co_ci_u32_e64 v26, null, s5, v24, vcc_lo
	s_waitcnt vmcnt(2)
	buffer_store_dword v19, off, s[0:3], 0 offset:176
	buffer_store_dword v20, off, s[0:3], 0 offset:180
	;; [unrolled: 1-line block ×4, first 2 shown]
	v_add_co_u32 v19, vcc_lo, s4, v27
	global_load_dwordx4 v[21:24], v[25:26], off
	v_add_co_ci_u32_e64 v20, null, s5, v28, vcc_lo
	s_waitcnt vmcnt(2)
	buffer_store_dword v8, off, s[0:3], 0 offset:204
	buffer_store_dword v7, off, s[0:3], 0 offset:200
	;; [unrolled: 1-line block ×4, first 2 shown]
	v_add_co_u32 v5, vcc_lo, s4, v29
	global_load_dwordx4 v[33:36], v[19:20], off
	v_add_co_ci_u32_e64 v6, null, s5, v30, vcc_lo
	s_waitcnt vmcnt(2)
	buffer_store_dword v4, off, s[0:3], 0 offset:220
	buffer_store_dword v3, off, s[0:3], 0 offset:216
	;; [unrolled: 1-line block ×4, first 2 shown]
	global_load_dwordx4 v[1:4], v[5:6], off
	v_lshlrev_b64 v[7:8], 4, v[43:44]
	v_lshlrev_b64 v[29:30], 4, v[45:46]
	s_waitcnt vmcnt(2)
	buffer_store_dword v24, off, s[0:3], 0 offset:236
	buffer_store_dword v23, off, s[0:3], 0 offset:232
	;; [unrolled: 1-line block ×4, first 2 shown]
	v_add_co_u32 v27, vcc_lo, s4, v7
	v_add_co_ci_u32_e64 v28, null, s5, v8, vcc_lo
	v_lshlrev_b64 v[7:8], 4, v[49:50]
	v_add_co_u32 v21, vcc_lo, s4, v29
	global_load_dwordx4 v[37:40], v[27:28], off
	v_add_co_ci_u32_e64 v22, null, s5, v30, vcc_lo
	v_add_co_u32 v7, vcc_lo, s4, v7
	v_add_co_ci_u32_e64 v8, null, s5, v8, vcc_lo
	v_lshlrev_b64 v[23:24], 4, v[51:52]
	v_lshlrev_b64 v[45:46], 4, v[55:56]
	s_waitcnt vmcnt(2)
	buffer_store_dword v36, off, s[0:3], 0 offset:252
	buffer_store_dword v35, off, s[0:3], 0 offset:248
	;; [unrolled: 1-line block ×4, first 2 shown]
	global_load_dwordx4 v[33:36], v[21:22], off
	s_waitcnt vmcnt(2)
	buffer_store_dword v4, off, s[0:3], 0 offset:268
	buffer_store_dword v3, off, s[0:3], 0 offset:264
	;; [unrolled: 1-line block ×4, first 2 shown]
	global_load_dwordx4 v[1:4], v[7:8], off
	v_add_co_u32 v29, vcc_lo, s4, v23
	v_add_co_ci_u32_e64 v30, null, s5, v24, vcc_lo
	s_waitcnt vmcnt(2)
	buffer_store_dword v40, off, s[0:3], 0 offset:284
	buffer_store_dword v39, off, s[0:3], 0 offset:280
	;; [unrolled: 1-line block ×4, first 2 shown]
	v_add_co_u32 v23, vcc_lo, s4, v41
	global_load_dwordx4 v[37:40], v[29:30], off
	v_add_co_ci_u32_e64 v24, null, s5, v42, vcc_lo
	s_waitcnt vmcnt(2)
	buffer_store_dword v36, off, s[0:3], 0 offset:300
	buffer_store_dword v35, off, s[0:3], 0 offset:296
	buffer_store_dword v34, off, s[0:3], 0 offset:292
	buffer_store_dword v33, off, s[0:3], 0 offset:288
	v_add_co_u32 v33, vcc_lo, s4, v45
	global_load_dwordx4 v[41:44], v[23:24], off
	v_add_co_ci_u32_e64 v34, null, s5, v46, vcc_lo
	s_waitcnt vmcnt(2)
	buffer_store_dword v4, off, s[0:3], 0 offset:316
	buffer_store_dword v3, off, s[0:3], 0 offset:312
	;; [unrolled: 1-line block ×4, first 2 shown]
	v_lshlrev_b64 v[35:36], 4, v[57:58]
	v_lshlrev_b64 v[45:46], 4, v[81:82]
	global_load_dwordx4 v[1:4], v[33:34], off
	v_lshlrev_b64 v[57:58], 4, v[84:85]
	s_waitcnt vmcnt(2)
	buffer_store_dword v40, off, s[0:3], 0 offset:332
	buffer_store_dword v39, off, s[0:3], 0 offset:328
	;; [unrolled: 1-line block ×4, first 2 shown]
	v_add_co_u32 v35, vcc_lo, s4, v35
	v_add_co_ci_u32_e64 v36, null, s5, v36, vcc_lo
	v_add_co_u32 v37, vcc_lo, s4, v45
	v_add_co_ci_u32_e64 v38, null, s5, v46, vcc_lo
	global_load_dwordx4 v[49:52], v[35:36], off
	v_add_co_u32 v39, vcc_lo, s4, v57
	v_add_co_ci_u32_e64 v40, null, s5, v58, vcc_lo
	v_lshlrev_b64 v[45:46], 4, v[90:91]
	v_lshlrev_b64 v[81:82], 4, v[96:97]
	s_waitcnt vmcnt(2)
	buffer_store_dword v44, off, s[0:3], 0 offset:348
	buffer_store_dword v43, off, s[0:3], 0 offset:344
	;; [unrolled: 1-line block ×4, first 2 shown]
	global_load_dwordx4 v[53:56], v[37:38], off
	s_waitcnt vmcnt(2)
	buffer_store_dword v4, off, s[0:3], 0 offset:364
	buffer_store_dword v3, off, s[0:3], 0 offset:360
	;; [unrolled: 1-line block ×4, first 2 shown]
	global_load_dwordx4 v[1:4], v[39:40], off
	v_lshlrev_b64 v[41:42], 4, v[86:87]
	v_lshlrev_b64 v[43:44], 4, v[88:89]
	s_waitcnt vmcnt(2)
	buffer_store_dword v52, off, s[0:3], 0 offset:380
	buffer_store_dword v51, off, s[0:3], 0 offset:376
	;; [unrolled: 1-line block ×4, first 2 shown]
	v_add_co_u32 v41, vcc_lo, s4, v41
	v_add_co_ci_u32_e64 v42, null, s5, v42, vcc_lo
	v_add_co_u32 v43, vcc_lo, s4, v43
	v_add_co_ci_u32_e64 v44, null, s5, v44, vcc_lo
	global_load_dwordx4 v[57:60], v[41:42], off
	v_add_co_u32 v45, vcc_lo, s4, v45
	v_add_co_ci_u32_e64 v46, null, s5, v46, vcc_lo
	v_lshlrev_b64 v[49:50], 4, v[92:93]
	v_lshlrev_b64 v[51:52], 4, v[94:95]
	;; [unrolled: 1-line block ×3, first 2 shown]
	s_waitcnt vmcnt(2)
	buffer_store_dword v56, off, s[0:3], 0 offset:396
	buffer_store_dword v55, off, s[0:3], 0 offset:392
	buffer_store_dword v54, off, s[0:3], 0 offset:388
	buffer_store_dword v53, off, s[0:3], 0 offset:384
	global_load_dwordx4 v[53:56], v[43:44], off
	s_waitcnt vmcnt(2)
	buffer_store_dword v4, off, s[0:3], 0 offset:412
	buffer_store_dword v3, off, s[0:3], 0 offset:408
	;; [unrolled: 1-line block ×4, first 2 shown]
	global_load_dwordx4 v[1:4], v[45:46], off
	v_add_co_u32 v49, vcc_lo, s4, v49
	v_add_co_ci_u32_e64 v50, null, s5, v50, vcc_lo
	s_waitcnt vmcnt(2)
	buffer_store_dword v60, off, s[0:3], 0 offset:428
	buffer_store_dword v59, off, s[0:3], 0 offset:424
	buffer_store_dword v58, off, s[0:3], 0 offset:420
	buffer_store_dword v57, off, s[0:3], 0 offset:416
	v_add_co_u32 v51, vcc_lo, s4, v51
	global_load_dwordx4 v[57:60], v[49:50], off
	v_add_co_ci_u32_e64 v52, null, s5, v52, vcc_lo
	s_waitcnt vmcnt(2)
	buffer_store_dword v56, off, s[0:3], 0 offset:444
	buffer_store_dword v55, off, s[0:3], 0 offset:440
	;; [unrolled: 1-line block ×4, first 2 shown]
	v_add_co_u32 v53, vcc_lo, s4, v81
	v_add_co_ci_u32_e64 v54, null, s5, v82, vcc_lo
	global_load_dwordx4 v[84:87], v[51:52], off
	s_waitcnt vmcnt(2)
	buffer_store_dword v4, off, s[0:3], 0 offset:460
	buffer_store_dword v3, off, s[0:3], 0 offset:456
	buffer_store_dword v2, off, s[0:3], 0 offset:452
	buffer_store_dword v1, off, s[0:3], 0 offset:448
	v_lshlrev_b64 v[55:56], 4, v[98:99]
	global_load_dwordx4 v[1:4], v[53:54], off
	v_lshlrev_b64 v[81:82], 4, v[100:101]
	s_waitcnt vmcnt(2)
	buffer_store_dword v60, off, s[0:3], 0 offset:476
	buffer_store_dword v59, off, s[0:3], 0 offset:472
	;; [unrolled: 1-line block ×4, first 2 shown]
	v_add_co_u32 v55, vcc_lo, s4, v55
	v_add_co_ci_u32_e64 v56, null, s5, v56, vcc_lo
	v_add_co_u32 v57, vcc_lo, s4, v81
	v_add_co_ci_u32_e64 v58, null, s5, v82, vcc_lo
	global_load_dwordx4 v[88:91], v[55:56], off
	v_add_co_u32 v59, vcc_lo, s4, v92
	v_add_co_ci_u32_e64 v60, null, s5, v93, vcc_lo
	s_movk_i32 s4, 0x50
	s_movk_i32 s5, 0x60
	s_waitcnt vmcnt(2)
	buffer_store_dword v87, off, s[0:3], 0 offset:492
	buffer_store_dword v86, off, s[0:3], 0 offset:488
	;; [unrolled: 1-line block ×4, first 2 shown]
	global_load_dwordx4 v[84:87], v[57:58], off
	s_waitcnt vmcnt(2)
	buffer_store_dword v4, off, s[0:3], 0 offset:508
	buffer_store_dword v3, off, s[0:3], 0 offset:504
	;; [unrolled: 1-line block ×4, first 2 shown]
	global_load_dwordx4 v[1:4], v[59:60], off
	s_waitcnt vmcnt(2)
	buffer_store_dword v91, off, s[0:3], 0 offset:524
	buffer_store_dword v90, off, s[0:3], 0 offset:520
	buffer_store_dword v89, off, s[0:3], 0 offset:516
	buffer_store_dword v88, off, s[0:3], 0 offset:512
	s_waitcnt vmcnt(1)
	buffer_store_dword v87, off, s[0:3], 0 offset:540
	buffer_store_dword v86, off, s[0:3], 0 offset:536
	buffer_store_dword v85, off, s[0:3], 0 offset:532
	buffer_store_dword v84, off, s[0:3], 0 offset:528
	;; [unrolled: 5-line block ×3, first 2 shown]
	buffer_store_dword v12, off, s[0:3], 0 offset:572
	buffer_store_dword v11, off, s[0:3], 0 offset:568
	;; [unrolled: 1-line block ×4, first 2 shown]
	s_cbranch_scc1 .LBB35_7
; %bb.2:
	v_lshl_add_u32 v84, v0, 4, 0
                                        ; implicit-def: $vgpr11_vgpr12
                                        ; implicit-def: $vgpr3_vgpr4
	s_clause 0x3
	buffer_load_dword v9, v84, s[0:3], 0 offen
	buffer_load_dword v10, v84, s[0:3], 0 offen offset:4
	buffer_load_dword v81, v84, s[0:3], 0 offen offset:8
	;; [unrolled: 1-line block ×3, first 2 shown]
	s_waitcnt vmcnt(0)
	v_cmp_ngt_f64_e64 s9, |v[9:10]|, |v[81:82]|
	s_and_saveexec_b32 s23, s9
	s_xor_b32 s9, exec_lo, s23
	s_cbranch_execz .LBB35_4
; %bb.3:
	v_div_scale_f64 v[1:2], null, v[81:82], v[81:82], v[9:10]
	v_div_scale_f64 v[85:86], vcc_lo, v[9:10], v[81:82], v[9:10]
	v_rcp_f64_e32 v[3:4], v[1:2]
	v_fma_f64 v[11:12], -v[1:2], v[3:4], 1.0
	v_fma_f64 v[3:4], v[3:4], v[11:12], v[3:4]
	v_fma_f64 v[11:12], -v[1:2], v[3:4], 1.0
	v_fma_f64 v[3:4], v[3:4], v[11:12], v[3:4]
	v_mul_f64 v[11:12], v[85:86], v[3:4]
	v_fma_f64 v[1:2], -v[1:2], v[11:12], v[85:86]
	v_div_fmas_f64 v[1:2], v[1:2], v[3:4], v[11:12]
	v_div_fixup_f64 v[1:2], v[1:2], v[81:82], v[9:10]
	v_fma_f64 v[3:4], v[9:10], v[1:2], v[81:82]
	v_div_scale_f64 v[9:10], null, v[3:4], v[3:4], 1.0
	v_div_scale_f64 v[85:86], vcc_lo, 1.0, v[3:4], 1.0
	v_rcp_f64_e32 v[11:12], v[9:10]
	v_fma_f64 v[81:82], -v[9:10], v[11:12], 1.0
	v_fma_f64 v[11:12], v[11:12], v[81:82], v[11:12]
	v_fma_f64 v[81:82], -v[9:10], v[11:12], 1.0
	v_fma_f64 v[11:12], v[11:12], v[81:82], v[11:12]
	v_mul_f64 v[81:82], v[85:86], v[11:12]
	v_fma_f64 v[9:10], -v[9:10], v[81:82], v[85:86]
	v_div_fmas_f64 v[9:10], v[9:10], v[11:12], v[81:82]
                                        ; implicit-def: $vgpr81_vgpr82
	v_div_fixup_f64 v[3:4], v[9:10], v[3:4], 1.0
                                        ; implicit-def: $vgpr9_vgpr10
	v_mul_f64 v[11:12], v[1:2], v[3:4]
	v_xor_b32_e32 v4, 0x80000000, v4
	v_xor_b32_e32 v2, 0x80000000, v12
	v_mov_b32_e32 v1, v11
.LBB35_4:
	s_andn2_saveexec_b32 s9, s9
	s_cbranch_execz .LBB35_6
; %bb.5:
	v_div_scale_f64 v[1:2], null, v[9:10], v[9:10], v[81:82]
	v_div_scale_f64 v[85:86], vcc_lo, v[81:82], v[9:10], v[81:82]
	v_rcp_f64_e32 v[3:4], v[1:2]
	v_fma_f64 v[11:12], -v[1:2], v[3:4], 1.0
	v_fma_f64 v[3:4], v[3:4], v[11:12], v[3:4]
	v_fma_f64 v[11:12], -v[1:2], v[3:4], 1.0
	v_fma_f64 v[3:4], v[3:4], v[11:12], v[3:4]
	v_mul_f64 v[11:12], v[85:86], v[3:4]
	v_fma_f64 v[1:2], -v[1:2], v[11:12], v[85:86]
	v_div_fmas_f64 v[1:2], v[1:2], v[3:4], v[11:12]
	v_div_fixup_f64 v[1:2], v[1:2], v[9:10], v[81:82]
	v_fma_f64 v[3:4], v[81:82], v[1:2], v[9:10]
	v_div_scale_f64 v[9:10], null, v[3:4], v[3:4], 1.0
	v_rcp_f64_e32 v[11:12], v[9:10]
	v_fma_f64 v[81:82], -v[9:10], v[11:12], 1.0
	v_fma_f64 v[11:12], v[11:12], v[81:82], v[11:12]
	v_fma_f64 v[81:82], -v[9:10], v[11:12], 1.0
	v_fma_f64 v[11:12], v[11:12], v[81:82], v[11:12]
	v_div_scale_f64 v[81:82], vcc_lo, 1.0, v[3:4], 1.0
	v_mul_f64 v[85:86], v[81:82], v[11:12]
	v_fma_f64 v[9:10], -v[9:10], v[85:86], v[81:82]
	v_div_fmas_f64 v[9:10], v[9:10], v[11:12], v[85:86]
	v_div_fixup_f64 v[11:12], v[9:10], v[3:4], 1.0
	v_mul_f64 v[3:4], v[1:2], -v[11:12]
	v_xor_b32_e32 v2, 0x80000000, v12
	v_mov_b32_e32 v1, v11
.LBB35_6:
	s_or_b32 exec_lo, exec_lo, s9
	buffer_store_dword v4, v84, s[0:3], 0 offen offset:12
	v_xor_b32_e32 v4, 0x80000000, v4
	buffer_store_dword v12, v84, s[0:3], 0 offen offset:4
	buffer_store_dword v11, v84, s[0:3], 0 offen
	buffer_store_dword v3, v84, s[0:3], 0 offen offset:8
	s_branch .LBB35_8
.LBB35_7:
	v_mov_b32_e32 v1, 0
	v_mov_b32_e32 v3, 0
	;; [unrolled: 1-line block ×4, first 2 shown]
.LBB35_8:
	v_add_nc_u32_e32 v10, 0x240, v83
	v_mov_b32_e32 v9, v83
	s_mov_b32 s42, 16
	s_mov_b32 s43, 32
	;; [unrolled: 1-line block ×34, first 2 shown]
	s_cmpk_eq_i32 s8, 0x79
	ds_write_b128 v83, v[1:4]
	s_cbranch_scc1 .LBB35_284
; %bb.9:
	v_mov_b32_e32 v4, s9
	v_cmp_eq_u32_e64 s4, 35, v0
	s_clause 0x3
	buffer_load_dword v1, v4, s[0:3], 0 offen
	buffer_load_dword v2, v4, s[0:3], 0 offen offset:4
	buffer_load_dword v3, v4, s[0:3], 0 offen offset:8
	;; [unrolled: 1-line block ×3, first 2 shown]
	s_waitcnt vmcnt(0)
	ds_write_b128 v10, v[1:4]
	s_waitcnt lgkmcnt(0)
	s_waitcnt_vscnt null, 0x0
	s_barrier
	buffer_gl0_inv
	s_and_saveexec_b32 s5, s4
	s_cbranch_execz .LBB35_13
; %bb.10:
	ds_read_b128 v[1:4], v10
	s_andn2_b32 vcc_lo, exec_lo, s44
	s_cbranch_vccnz .LBB35_12
; %bb.11:
	s_clause 0x3
	buffer_load_dword v11, v9, s[0:3], 0 offen offset:8
	buffer_load_dword v12, v9, s[0:3], 0 offen offset:12
	buffer_load_dword v81, v9, s[0:3], 0 offen
	buffer_load_dword v82, v9, s[0:3], 0 offen offset:4
	s_waitcnt vmcnt(2) lgkmcnt(0)
	v_mul_f64 v[84:85], v[3:4], v[11:12]
	v_mul_f64 v[11:12], v[1:2], v[11:12]
	s_waitcnt vmcnt(0)
	v_fma_f64 v[1:2], v[1:2], v[81:82], -v[84:85]
	v_fma_f64 v[3:4], v[3:4], v[81:82], v[11:12]
.LBB35_12:
	v_mov_b32_e32 v11, 0
	ds_read_b128 v[84:87], v11 offset:544
	s_waitcnt lgkmcnt(0)
	v_mul_f64 v[11:12], v[3:4], v[86:87]
	v_mul_f64 v[81:82], v[1:2], v[86:87]
	v_fma_f64 v[1:2], v[1:2], v[84:85], -v[11:12]
	v_fma_f64 v[3:4], v[3:4], v[84:85], v[81:82]
	buffer_store_dword v2, off, s[0:3], 0 offset:548
	buffer_store_dword v1, off, s[0:3], 0 offset:544
	;; [unrolled: 1-line block ×4, first 2 shown]
.LBB35_13:
	s_or_b32 exec_lo, exec_lo, s5
	v_mov_b32_e32 v4, s10
	v_cmp_lt_u32_e64 s5, 33, v0
	s_clause 0x3
	buffer_load_dword v1, v4, s[0:3], 0 offen
	buffer_load_dword v2, v4, s[0:3], 0 offen offset:4
	buffer_load_dword v3, v4, s[0:3], 0 offen offset:8
	;; [unrolled: 1-line block ×3, first 2 shown]
	s_waitcnt vmcnt(0)
	ds_write_b128 v10, v[1:4]
	s_waitcnt lgkmcnt(0)
	s_waitcnt_vscnt null, 0x0
	s_barrier
	buffer_gl0_inv
	s_and_saveexec_b32 s6, s5
	s_cbranch_execz .LBB35_19
; %bb.14:
	ds_read_b128 v[1:4], v10
	s_andn2_b32 vcc_lo, exec_lo, s44
	s_cbranch_vccnz .LBB35_16
; %bb.15:
	s_clause 0x3
	buffer_load_dword v11, v9, s[0:3], 0 offen offset:8
	buffer_load_dword v12, v9, s[0:3], 0 offen offset:12
	buffer_load_dword v81, v9, s[0:3], 0 offen
	buffer_load_dword v82, v9, s[0:3], 0 offen offset:4
	s_waitcnt vmcnt(2) lgkmcnt(0)
	v_mul_f64 v[84:85], v[3:4], v[11:12]
	v_mul_f64 v[11:12], v[1:2], v[11:12]
	s_waitcnt vmcnt(0)
	v_fma_f64 v[1:2], v[1:2], v[81:82], -v[84:85]
	v_fma_f64 v[3:4], v[3:4], v[81:82], v[11:12]
.LBB35_16:
	s_and_saveexec_b32 s8, s4
	s_cbranch_execz .LBB35_18
; %bb.17:
	s_clause 0x3
	buffer_load_dword v11, off, s[0:3], 0 offset:552
	buffer_load_dword v12, off, s[0:3], 0 offset:556
	;; [unrolled: 1-line block ×4, first 2 shown]
	v_mov_b32_e32 v84, 0
	ds_read_b128 v[84:87], v84 offset:1120
	s_waitcnt vmcnt(2) lgkmcnt(0)
	v_mul_f64 v[88:89], v[84:85], v[11:12]
	v_mul_f64 v[11:12], v[86:87], v[11:12]
	s_waitcnt vmcnt(0)
	v_fma_f64 v[86:87], v[86:87], v[81:82], v[88:89]
	v_fma_f64 v[11:12], v[84:85], v[81:82], -v[11:12]
	v_add_f64 v[3:4], v[3:4], v[86:87]
	v_add_f64 v[1:2], v[1:2], v[11:12]
.LBB35_18:
	s_or_b32 exec_lo, exec_lo, s8
	v_mov_b32_e32 v11, 0
	ds_read_b128 v[84:87], v11 offset:528
	s_waitcnt lgkmcnt(0)
	v_mul_f64 v[11:12], v[3:4], v[86:87]
	v_mul_f64 v[81:82], v[1:2], v[86:87]
	v_fma_f64 v[1:2], v[1:2], v[84:85], -v[11:12]
	v_fma_f64 v[3:4], v[3:4], v[84:85], v[81:82]
	buffer_store_dword v2, off, s[0:3], 0 offset:532
	buffer_store_dword v1, off, s[0:3], 0 offset:528
	;; [unrolled: 1-line block ×4, first 2 shown]
.LBB35_19:
	s_or_b32 exec_lo, exec_lo, s6
	v_mov_b32_e32 v4, s11
	v_cmp_lt_u32_e64 s4, 32, v0
	s_clause 0x3
	buffer_load_dword v1, v4, s[0:3], 0 offen
	buffer_load_dword v2, v4, s[0:3], 0 offen offset:4
	buffer_load_dword v3, v4, s[0:3], 0 offen offset:8
	buffer_load_dword v4, v4, s[0:3], 0 offen offset:12
	s_waitcnt vmcnt(0)
	ds_write_b128 v10, v[1:4]
	s_waitcnt lgkmcnt(0)
	s_waitcnt_vscnt null, 0x0
	s_barrier
	buffer_gl0_inv
	s_and_saveexec_b32 s6, s4
	s_cbranch_execz .LBB35_27
; %bb.20:
	ds_read_b128 v[1:4], v10
	s_andn2_b32 vcc_lo, exec_lo, s44
	s_cbranch_vccnz .LBB35_22
; %bb.21:
	s_clause 0x3
	buffer_load_dword v11, v9, s[0:3], 0 offen offset:8
	buffer_load_dword v12, v9, s[0:3], 0 offen offset:12
	buffer_load_dword v81, v9, s[0:3], 0 offen
	buffer_load_dword v82, v9, s[0:3], 0 offen offset:4
	s_waitcnt vmcnt(2) lgkmcnt(0)
	v_mul_f64 v[84:85], v[3:4], v[11:12]
	v_mul_f64 v[11:12], v[1:2], v[11:12]
	s_waitcnt vmcnt(0)
	v_fma_f64 v[1:2], v[1:2], v[81:82], -v[84:85]
	v_fma_f64 v[3:4], v[3:4], v[81:82], v[11:12]
.LBB35_22:
	s_and_saveexec_b32 s8, s5
	s_cbranch_execz .LBB35_26
; %bb.23:
	v_subrev_nc_u32_e32 v11, 33, v0
	s_movk_i32 s45, 0x450
	s_mov_b32 s5, 0
	s_mov_b32 s46, s10
	.p2align	6
.LBB35_24:                              ; =>This Inner Loop Header: Depth=1
	v_mov_b32_e32 v12, s46
	v_add_nc_u32_e32 v11, -1, v11
	s_add_i32 s46, s46, 16
	s_clause 0x3
	buffer_load_dword v81, v12, s[0:3], 0 offen offset:8
	buffer_load_dword v82, v12, s[0:3], 0 offen offset:12
	buffer_load_dword v88, v12, s[0:3], 0 offen
	buffer_load_dword v89, v12, s[0:3], 0 offen offset:4
	v_mov_b32_e32 v12, s45
	v_cmp_eq_u32_e32 vcc_lo, 0, v11
	s_add_i32 s45, s45, 16
	ds_read_b128 v[84:87], v12
	s_or_b32 s5, vcc_lo, s5
	s_waitcnt vmcnt(2) lgkmcnt(0)
	v_mul_f64 v[90:91], v[86:87], v[81:82]
	v_mul_f64 v[81:82], v[84:85], v[81:82]
	s_waitcnt vmcnt(0)
	v_fma_f64 v[84:85], v[84:85], v[88:89], -v[90:91]
	v_fma_f64 v[81:82], v[86:87], v[88:89], v[81:82]
	v_add_f64 v[1:2], v[1:2], v[84:85]
	v_add_f64 v[3:4], v[3:4], v[81:82]
	s_andn2_b32 exec_lo, exec_lo, s5
	s_cbranch_execnz .LBB35_24
; %bb.25:
	s_or_b32 exec_lo, exec_lo, s5
.LBB35_26:
	s_or_b32 exec_lo, exec_lo, s8
	v_mov_b32_e32 v11, 0
	ds_read_b128 v[84:87], v11 offset:512
	s_waitcnt lgkmcnt(0)
	v_mul_f64 v[11:12], v[3:4], v[86:87]
	v_mul_f64 v[81:82], v[1:2], v[86:87]
	v_fma_f64 v[1:2], v[1:2], v[84:85], -v[11:12]
	v_fma_f64 v[3:4], v[3:4], v[84:85], v[81:82]
	buffer_store_dword v2, off, s[0:3], 0 offset:516
	buffer_store_dword v1, off, s[0:3], 0 offset:512
	;; [unrolled: 1-line block ×4, first 2 shown]
.LBB35_27:
	s_or_b32 exec_lo, exec_lo, s6
	v_mov_b32_e32 v4, s12
	v_cmp_lt_u32_e64 s5, 31, v0
	s_clause 0x3
	buffer_load_dword v1, v4, s[0:3], 0 offen
	buffer_load_dword v2, v4, s[0:3], 0 offen offset:4
	buffer_load_dword v3, v4, s[0:3], 0 offen offset:8
	;; [unrolled: 1-line block ×3, first 2 shown]
	s_waitcnt vmcnt(0)
	ds_write_b128 v10, v[1:4]
	s_waitcnt lgkmcnt(0)
	s_waitcnt_vscnt null, 0x0
	s_barrier
	buffer_gl0_inv
	s_and_saveexec_b32 s6, s5
	s_cbranch_execz .LBB35_35
; %bb.28:
	ds_read_b128 v[1:4], v10
	s_andn2_b32 vcc_lo, exec_lo, s44
	s_cbranch_vccnz .LBB35_30
; %bb.29:
	s_clause 0x3
	buffer_load_dword v11, v9, s[0:3], 0 offen offset:8
	buffer_load_dword v12, v9, s[0:3], 0 offen offset:12
	buffer_load_dword v81, v9, s[0:3], 0 offen
	buffer_load_dword v82, v9, s[0:3], 0 offen offset:4
	s_waitcnt vmcnt(2) lgkmcnt(0)
	v_mul_f64 v[84:85], v[3:4], v[11:12]
	v_mul_f64 v[11:12], v[1:2], v[11:12]
	s_waitcnt vmcnt(0)
	v_fma_f64 v[1:2], v[1:2], v[81:82], -v[84:85]
	v_fma_f64 v[3:4], v[3:4], v[81:82], v[11:12]
.LBB35_30:
	s_and_saveexec_b32 s8, s4
	s_cbranch_execz .LBB35_34
; %bb.31:
	v_subrev_nc_u32_e32 v11, 32, v0
	s_movk_i32 s45, 0x440
	s_mov_b32 s4, 0
	s_mov_b32 s46, s11
	.p2align	6
.LBB35_32:                              ; =>This Inner Loop Header: Depth=1
	v_mov_b32_e32 v12, s46
	v_add_nc_u32_e32 v11, -1, v11
	s_add_i32 s46, s46, 16
	s_clause 0x3
	buffer_load_dword v81, v12, s[0:3], 0 offen offset:8
	buffer_load_dword v82, v12, s[0:3], 0 offen offset:12
	buffer_load_dword v88, v12, s[0:3], 0 offen
	buffer_load_dword v89, v12, s[0:3], 0 offen offset:4
	v_mov_b32_e32 v12, s45
	v_cmp_eq_u32_e32 vcc_lo, 0, v11
	s_add_i32 s45, s45, 16
	ds_read_b128 v[84:87], v12
	s_or_b32 s4, vcc_lo, s4
	s_waitcnt vmcnt(2) lgkmcnt(0)
	v_mul_f64 v[90:91], v[86:87], v[81:82]
	v_mul_f64 v[81:82], v[84:85], v[81:82]
	s_waitcnt vmcnt(0)
	v_fma_f64 v[84:85], v[84:85], v[88:89], -v[90:91]
	v_fma_f64 v[81:82], v[86:87], v[88:89], v[81:82]
	v_add_f64 v[1:2], v[1:2], v[84:85]
	v_add_f64 v[3:4], v[3:4], v[81:82]
	s_andn2_b32 exec_lo, exec_lo, s4
	s_cbranch_execnz .LBB35_32
; %bb.33:
	s_or_b32 exec_lo, exec_lo, s4
.LBB35_34:
	s_or_b32 exec_lo, exec_lo, s8
	v_mov_b32_e32 v11, 0
	ds_read_b128 v[84:87], v11 offset:496
	s_waitcnt lgkmcnt(0)
	v_mul_f64 v[11:12], v[3:4], v[86:87]
	v_mul_f64 v[81:82], v[1:2], v[86:87]
	v_fma_f64 v[1:2], v[1:2], v[84:85], -v[11:12]
	v_fma_f64 v[3:4], v[3:4], v[84:85], v[81:82]
	buffer_store_dword v2, off, s[0:3], 0 offset:500
	buffer_store_dword v1, off, s[0:3], 0 offset:496
	;; [unrolled: 1-line block ×4, first 2 shown]
.LBB35_35:
	s_or_b32 exec_lo, exec_lo, s6
	v_mov_b32_e32 v4, s13
	v_cmp_lt_u32_e64 s4, 30, v0
	s_clause 0x3
	buffer_load_dword v1, v4, s[0:3], 0 offen
	buffer_load_dword v2, v4, s[0:3], 0 offen offset:4
	buffer_load_dword v3, v4, s[0:3], 0 offen offset:8
	;; [unrolled: 1-line block ×3, first 2 shown]
	s_waitcnt vmcnt(0)
	ds_write_b128 v10, v[1:4]
	s_waitcnt lgkmcnt(0)
	s_waitcnt_vscnt null, 0x0
	s_barrier
	buffer_gl0_inv
	s_and_saveexec_b32 s6, s4
	s_cbranch_execz .LBB35_43
; %bb.36:
	ds_read_b128 v[1:4], v10
	s_andn2_b32 vcc_lo, exec_lo, s44
	s_cbranch_vccnz .LBB35_38
; %bb.37:
	s_clause 0x3
	buffer_load_dword v11, v9, s[0:3], 0 offen offset:8
	buffer_load_dword v12, v9, s[0:3], 0 offen offset:12
	buffer_load_dword v81, v9, s[0:3], 0 offen
	buffer_load_dword v82, v9, s[0:3], 0 offen offset:4
	s_waitcnt vmcnt(2) lgkmcnt(0)
	v_mul_f64 v[84:85], v[3:4], v[11:12]
	v_mul_f64 v[11:12], v[1:2], v[11:12]
	s_waitcnt vmcnt(0)
	v_fma_f64 v[1:2], v[1:2], v[81:82], -v[84:85]
	v_fma_f64 v[3:4], v[3:4], v[81:82], v[11:12]
.LBB35_38:
	s_and_saveexec_b32 s8, s5
	s_cbranch_execz .LBB35_42
; %bb.39:
	v_subrev_nc_u32_e32 v11, 31, v0
	s_movk_i32 s45, 0x430
	s_mov_b32 s5, 0
	s_mov_b32 s46, s12
	.p2align	6
.LBB35_40:                              ; =>This Inner Loop Header: Depth=1
	v_mov_b32_e32 v12, s46
	v_add_nc_u32_e32 v11, -1, v11
	s_add_i32 s46, s46, 16
	s_clause 0x3
	buffer_load_dword v81, v12, s[0:3], 0 offen offset:8
	buffer_load_dword v82, v12, s[0:3], 0 offen offset:12
	buffer_load_dword v88, v12, s[0:3], 0 offen
	buffer_load_dword v89, v12, s[0:3], 0 offen offset:4
	v_mov_b32_e32 v12, s45
	v_cmp_eq_u32_e32 vcc_lo, 0, v11
	s_add_i32 s45, s45, 16
	ds_read_b128 v[84:87], v12
	s_or_b32 s5, vcc_lo, s5
	s_waitcnt vmcnt(2) lgkmcnt(0)
	v_mul_f64 v[90:91], v[86:87], v[81:82]
	v_mul_f64 v[81:82], v[84:85], v[81:82]
	s_waitcnt vmcnt(0)
	v_fma_f64 v[84:85], v[84:85], v[88:89], -v[90:91]
	v_fma_f64 v[81:82], v[86:87], v[88:89], v[81:82]
	v_add_f64 v[1:2], v[1:2], v[84:85]
	v_add_f64 v[3:4], v[3:4], v[81:82]
	s_andn2_b32 exec_lo, exec_lo, s5
	s_cbranch_execnz .LBB35_40
; %bb.41:
	s_or_b32 exec_lo, exec_lo, s5
.LBB35_42:
	s_or_b32 exec_lo, exec_lo, s8
	v_mov_b32_e32 v11, 0
	ds_read_b128 v[84:87], v11 offset:480
	s_waitcnt lgkmcnt(0)
	v_mul_f64 v[11:12], v[3:4], v[86:87]
	v_mul_f64 v[81:82], v[1:2], v[86:87]
	v_fma_f64 v[1:2], v[1:2], v[84:85], -v[11:12]
	v_fma_f64 v[3:4], v[3:4], v[84:85], v[81:82]
	buffer_store_dword v2, off, s[0:3], 0 offset:484
	buffer_store_dword v1, off, s[0:3], 0 offset:480
	;; [unrolled: 1-line block ×4, first 2 shown]
.LBB35_43:
	s_or_b32 exec_lo, exec_lo, s6
	v_mov_b32_e32 v4, s14
	v_cmp_lt_u32_e64 s5, 29, v0
	s_clause 0x3
	buffer_load_dword v1, v4, s[0:3], 0 offen
	buffer_load_dword v2, v4, s[0:3], 0 offen offset:4
	buffer_load_dword v3, v4, s[0:3], 0 offen offset:8
	;; [unrolled: 1-line block ×3, first 2 shown]
	s_waitcnt vmcnt(0)
	ds_write_b128 v10, v[1:4]
	s_waitcnt lgkmcnt(0)
	s_waitcnt_vscnt null, 0x0
	s_barrier
	buffer_gl0_inv
	s_and_saveexec_b32 s6, s5
	s_cbranch_execz .LBB35_51
; %bb.44:
	ds_read_b128 v[1:4], v10
	s_andn2_b32 vcc_lo, exec_lo, s44
	s_cbranch_vccnz .LBB35_46
; %bb.45:
	s_clause 0x3
	buffer_load_dword v11, v9, s[0:3], 0 offen offset:8
	buffer_load_dword v12, v9, s[0:3], 0 offen offset:12
	buffer_load_dword v81, v9, s[0:3], 0 offen
	buffer_load_dword v82, v9, s[0:3], 0 offen offset:4
	s_waitcnt vmcnt(2) lgkmcnt(0)
	v_mul_f64 v[84:85], v[3:4], v[11:12]
	v_mul_f64 v[11:12], v[1:2], v[11:12]
	s_waitcnt vmcnt(0)
	v_fma_f64 v[1:2], v[1:2], v[81:82], -v[84:85]
	v_fma_f64 v[3:4], v[3:4], v[81:82], v[11:12]
.LBB35_46:
	s_and_saveexec_b32 s8, s4
	s_cbranch_execz .LBB35_50
; %bb.47:
	v_subrev_nc_u32_e32 v11, 30, v0
	s_movk_i32 s45, 0x420
	s_mov_b32 s4, 0
	s_mov_b32 s46, s13
	.p2align	6
.LBB35_48:                              ; =>This Inner Loop Header: Depth=1
	v_mov_b32_e32 v12, s46
	v_add_nc_u32_e32 v11, -1, v11
	s_add_i32 s46, s46, 16
	s_clause 0x3
	buffer_load_dword v81, v12, s[0:3], 0 offen offset:8
	buffer_load_dword v82, v12, s[0:3], 0 offen offset:12
	buffer_load_dword v88, v12, s[0:3], 0 offen
	buffer_load_dword v89, v12, s[0:3], 0 offen offset:4
	v_mov_b32_e32 v12, s45
	v_cmp_eq_u32_e32 vcc_lo, 0, v11
	s_add_i32 s45, s45, 16
	ds_read_b128 v[84:87], v12
	s_or_b32 s4, vcc_lo, s4
	s_waitcnt vmcnt(2) lgkmcnt(0)
	v_mul_f64 v[90:91], v[86:87], v[81:82]
	v_mul_f64 v[81:82], v[84:85], v[81:82]
	s_waitcnt vmcnt(0)
	v_fma_f64 v[84:85], v[84:85], v[88:89], -v[90:91]
	v_fma_f64 v[81:82], v[86:87], v[88:89], v[81:82]
	v_add_f64 v[1:2], v[1:2], v[84:85]
	v_add_f64 v[3:4], v[3:4], v[81:82]
	s_andn2_b32 exec_lo, exec_lo, s4
	s_cbranch_execnz .LBB35_48
; %bb.49:
	s_or_b32 exec_lo, exec_lo, s4
.LBB35_50:
	s_or_b32 exec_lo, exec_lo, s8
	v_mov_b32_e32 v11, 0
	ds_read_b128 v[84:87], v11 offset:464
	s_waitcnt lgkmcnt(0)
	v_mul_f64 v[11:12], v[3:4], v[86:87]
	v_mul_f64 v[81:82], v[1:2], v[86:87]
	v_fma_f64 v[1:2], v[1:2], v[84:85], -v[11:12]
	v_fma_f64 v[3:4], v[3:4], v[84:85], v[81:82]
	buffer_store_dword v2, off, s[0:3], 0 offset:468
	buffer_store_dword v1, off, s[0:3], 0 offset:464
	;; [unrolled: 1-line block ×4, first 2 shown]
.LBB35_51:
	s_or_b32 exec_lo, exec_lo, s6
	v_mov_b32_e32 v4, s15
	v_cmp_lt_u32_e64 s4, 28, v0
	s_clause 0x3
	buffer_load_dword v1, v4, s[0:3], 0 offen
	buffer_load_dword v2, v4, s[0:3], 0 offen offset:4
	buffer_load_dword v3, v4, s[0:3], 0 offen offset:8
	;; [unrolled: 1-line block ×3, first 2 shown]
	s_waitcnt vmcnt(0)
	ds_write_b128 v10, v[1:4]
	s_waitcnt lgkmcnt(0)
	s_waitcnt_vscnt null, 0x0
	s_barrier
	buffer_gl0_inv
	s_and_saveexec_b32 s6, s4
	s_cbranch_execz .LBB35_59
; %bb.52:
	ds_read_b128 v[1:4], v10
	s_andn2_b32 vcc_lo, exec_lo, s44
	s_cbranch_vccnz .LBB35_54
; %bb.53:
	s_clause 0x3
	buffer_load_dword v11, v9, s[0:3], 0 offen offset:8
	buffer_load_dword v12, v9, s[0:3], 0 offen offset:12
	buffer_load_dword v81, v9, s[0:3], 0 offen
	buffer_load_dword v82, v9, s[0:3], 0 offen offset:4
	s_waitcnt vmcnt(2) lgkmcnt(0)
	v_mul_f64 v[84:85], v[3:4], v[11:12]
	v_mul_f64 v[11:12], v[1:2], v[11:12]
	s_waitcnt vmcnt(0)
	v_fma_f64 v[1:2], v[1:2], v[81:82], -v[84:85]
	v_fma_f64 v[3:4], v[3:4], v[81:82], v[11:12]
.LBB35_54:
	s_and_saveexec_b32 s8, s5
	s_cbranch_execz .LBB35_58
; %bb.55:
	v_subrev_nc_u32_e32 v11, 29, v0
	s_movk_i32 s45, 0x410
	s_mov_b32 s5, 0
	s_mov_b32 s46, s14
	.p2align	6
.LBB35_56:                              ; =>This Inner Loop Header: Depth=1
	v_mov_b32_e32 v12, s46
	v_add_nc_u32_e32 v11, -1, v11
	s_add_i32 s46, s46, 16
	s_clause 0x3
	buffer_load_dword v81, v12, s[0:3], 0 offen offset:8
	buffer_load_dword v82, v12, s[0:3], 0 offen offset:12
	buffer_load_dword v88, v12, s[0:3], 0 offen
	buffer_load_dword v89, v12, s[0:3], 0 offen offset:4
	v_mov_b32_e32 v12, s45
	v_cmp_eq_u32_e32 vcc_lo, 0, v11
	s_add_i32 s45, s45, 16
	ds_read_b128 v[84:87], v12
	s_or_b32 s5, vcc_lo, s5
	s_waitcnt vmcnt(2) lgkmcnt(0)
	v_mul_f64 v[90:91], v[86:87], v[81:82]
	v_mul_f64 v[81:82], v[84:85], v[81:82]
	s_waitcnt vmcnt(0)
	v_fma_f64 v[84:85], v[84:85], v[88:89], -v[90:91]
	v_fma_f64 v[81:82], v[86:87], v[88:89], v[81:82]
	v_add_f64 v[1:2], v[1:2], v[84:85]
	v_add_f64 v[3:4], v[3:4], v[81:82]
	s_andn2_b32 exec_lo, exec_lo, s5
	s_cbranch_execnz .LBB35_56
; %bb.57:
	s_or_b32 exec_lo, exec_lo, s5
.LBB35_58:
	s_or_b32 exec_lo, exec_lo, s8
	v_mov_b32_e32 v11, 0
	ds_read_b128 v[84:87], v11 offset:448
	s_waitcnt lgkmcnt(0)
	v_mul_f64 v[11:12], v[3:4], v[86:87]
	v_mul_f64 v[81:82], v[1:2], v[86:87]
	v_fma_f64 v[1:2], v[1:2], v[84:85], -v[11:12]
	v_fma_f64 v[3:4], v[3:4], v[84:85], v[81:82]
	buffer_store_dword v2, off, s[0:3], 0 offset:452
	buffer_store_dword v1, off, s[0:3], 0 offset:448
	;; [unrolled: 1-line block ×4, first 2 shown]
.LBB35_59:
	s_or_b32 exec_lo, exec_lo, s6
	v_mov_b32_e32 v4, s16
	v_cmp_lt_u32_e64 s5, 27, v0
	s_clause 0x3
	buffer_load_dword v1, v4, s[0:3], 0 offen
	buffer_load_dword v2, v4, s[0:3], 0 offen offset:4
	buffer_load_dword v3, v4, s[0:3], 0 offen offset:8
	;; [unrolled: 1-line block ×3, first 2 shown]
	s_waitcnt vmcnt(0)
	ds_write_b128 v10, v[1:4]
	s_waitcnt lgkmcnt(0)
	s_waitcnt_vscnt null, 0x0
	s_barrier
	buffer_gl0_inv
	s_and_saveexec_b32 s6, s5
	s_cbranch_execz .LBB35_67
; %bb.60:
	ds_read_b128 v[1:4], v10
	s_andn2_b32 vcc_lo, exec_lo, s44
	s_cbranch_vccnz .LBB35_62
; %bb.61:
	s_clause 0x3
	buffer_load_dword v11, v9, s[0:3], 0 offen offset:8
	buffer_load_dword v12, v9, s[0:3], 0 offen offset:12
	buffer_load_dword v81, v9, s[0:3], 0 offen
	buffer_load_dword v82, v9, s[0:3], 0 offen offset:4
	s_waitcnt vmcnt(2) lgkmcnt(0)
	v_mul_f64 v[84:85], v[3:4], v[11:12]
	v_mul_f64 v[11:12], v[1:2], v[11:12]
	s_waitcnt vmcnt(0)
	v_fma_f64 v[1:2], v[1:2], v[81:82], -v[84:85]
	v_fma_f64 v[3:4], v[3:4], v[81:82], v[11:12]
.LBB35_62:
	s_and_saveexec_b32 s8, s4
	s_cbranch_execz .LBB35_66
; %bb.63:
	v_subrev_nc_u32_e32 v11, 28, v0
	s_movk_i32 s45, 0x400
	s_mov_b32 s4, 0
	s_mov_b32 s46, s15
	.p2align	6
.LBB35_64:                              ; =>This Inner Loop Header: Depth=1
	v_mov_b32_e32 v12, s46
	v_add_nc_u32_e32 v11, -1, v11
	s_add_i32 s46, s46, 16
	s_clause 0x3
	buffer_load_dword v81, v12, s[0:3], 0 offen offset:8
	buffer_load_dword v82, v12, s[0:3], 0 offen offset:12
	buffer_load_dword v88, v12, s[0:3], 0 offen
	buffer_load_dword v89, v12, s[0:3], 0 offen offset:4
	v_mov_b32_e32 v12, s45
	v_cmp_eq_u32_e32 vcc_lo, 0, v11
	s_add_i32 s45, s45, 16
	ds_read_b128 v[84:87], v12
	s_or_b32 s4, vcc_lo, s4
	s_waitcnt vmcnt(2) lgkmcnt(0)
	v_mul_f64 v[90:91], v[86:87], v[81:82]
	v_mul_f64 v[81:82], v[84:85], v[81:82]
	s_waitcnt vmcnt(0)
	v_fma_f64 v[84:85], v[84:85], v[88:89], -v[90:91]
	v_fma_f64 v[81:82], v[86:87], v[88:89], v[81:82]
	v_add_f64 v[1:2], v[1:2], v[84:85]
	v_add_f64 v[3:4], v[3:4], v[81:82]
	s_andn2_b32 exec_lo, exec_lo, s4
	s_cbranch_execnz .LBB35_64
; %bb.65:
	s_or_b32 exec_lo, exec_lo, s4
.LBB35_66:
	s_or_b32 exec_lo, exec_lo, s8
	v_mov_b32_e32 v11, 0
	ds_read_b128 v[84:87], v11 offset:432
	s_waitcnt lgkmcnt(0)
	v_mul_f64 v[11:12], v[3:4], v[86:87]
	v_mul_f64 v[81:82], v[1:2], v[86:87]
	v_fma_f64 v[1:2], v[1:2], v[84:85], -v[11:12]
	v_fma_f64 v[3:4], v[3:4], v[84:85], v[81:82]
	buffer_store_dword v2, off, s[0:3], 0 offset:436
	buffer_store_dword v1, off, s[0:3], 0 offset:432
	;; [unrolled: 1-line block ×4, first 2 shown]
.LBB35_67:
	s_or_b32 exec_lo, exec_lo, s6
	v_mov_b32_e32 v4, s17
	v_cmp_lt_u32_e64 s4, 26, v0
	s_clause 0x3
	buffer_load_dword v1, v4, s[0:3], 0 offen
	buffer_load_dword v2, v4, s[0:3], 0 offen offset:4
	buffer_load_dword v3, v4, s[0:3], 0 offen offset:8
	;; [unrolled: 1-line block ×3, first 2 shown]
	s_waitcnt vmcnt(0)
	ds_write_b128 v10, v[1:4]
	s_waitcnt lgkmcnt(0)
	s_waitcnt_vscnt null, 0x0
	s_barrier
	buffer_gl0_inv
	s_and_saveexec_b32 s6, s4
	s_cbranch_execz .LBB35_75
; %bb.68:
	ds_read_b128 v[1:4], v10
	s_andn2_b32 vcc_lo, exec_lo, s44
	s_cbranch_vccnz .LBB35_70
; %bb.69:
	s_clause 0x3
	buffer_load_dword v11, v9, s[0:3], 0 offen offset:8
	buffer_load_dword v12, v9, s[0:3], 0 offen offset:12
	buffer_load_dword v81, v9, s[0:3], 0 offen
	buffer_load_dword v82, v9, s[0:3], 0 offen offset:4
	s_waitcnt vmcnt(2) lgkmcnt(0)
	v_mul_f64 v[84:85], v[3:4], v[11:12]
	v_mul_f64 v[11:12], v[1:2], v[11:12]
	s_waitcnt vmcnt(0)
	v_fma_f64 v[1:2], v[1:2], v[81:82], -v[84:85]
	v_fma_f64 v[3:4], v[3:4], v[81:82], v[11:12]
.LBB35_70:
	s_and_saveexec_b32 s8, s5
	s_cbranch_execz .LBB35_74
; %bb.71:
	v_subrev_nc_u32_e32 v11, 27, v0
	s_movk_i32 s45, 0x3f0
	s_mov_b32 s5, 0
	s_mov_b32 s46, s16
	.p2align	6
.LBB35_72:                              ; =>This Inner Loop Header: Depth=1
	v_mov_b32_e32 v12, s46
	v_add_nc_u32_e32 v11, -1, v11
	s_add_i32 s46, s46, 16
	s_clause 0x3
	buffer_load_dword v81, v12, s[0:3], 0 offen offset:8
	buffer_load_dword v82, v12, s[0:3], 0 offen offset:12
	buffer_load_dword v88, v12, s[0:3], 0 offen
	buffer_load_dword v89, v12, s[0:3], 0 offen offset:4
	v_mov_b32_e32 v12, s45
	v_cmp_eq_u32_e32 vcc_lo, 0, v11
	s_add_i32 s45, s45, 16
	ds_read_b128 v[84:87], v12
	s_or_b32 s5, vcc_lo, s5
	s_waitcnt vmcnt(2) lgkmcnt(0)
	v_mul_f64 v[90:91], v[86:87], v[81:82]
	v_mul_f64 v[81:82], v[84:85], v[81:82]
	s_waitcnt vmcnt(0)
	v_fma_f64 v[84:85], v[84:85], v[88:89], -v[90:91]
	v_fma_f64 v[81:82], v[86:87], v[88:89], v[81:82]
	v_add_f64 v[1:2], v[1:2], v[84:85]
	v_add_f64 v[3:4], v[3:4], v[81:82]
	s_andn2_b32 exec_lo, exec_lo, s5
	s_cbranch_execnz .LBB35_72
; %bb.73:
	s_or_b32 exec_lo, exec_lo, s5
.LBB35_74:
	s_or_b32 exec_lo, exec_lo, s8
	v_mov_b32_e32 v11, 0
	ds_read_b128 v[84:87], v11 offset:416
	s_waitcnt lgkmcnt(0)
	v_mul_f64 v[11:12], v[3:4], v[86:87]
	v_mul_f64 v[81:82], v[1:2], v[86:87]
	v_fma_f64 v[1:2], v[1:2], v[84:85], -v[11:12]
	v_fma_f64 v[3:4], v[3:4], v[84:85], v[81:82]
	buffer_store_dword v2, off, s[0:3], 0 offset:420
	buffer_store_dword v1, off, s[0:3], 0 offset:416
	;; [unrolled: 1-line block ×4, first 2 shown]
.LBB35_75:
	s_or_b32 exec_lo, exec_lo, s6
	v_mov_b32_e32 v4, s18
	v_cmp_lt_u32_e64 s5, 25, v0
	s_clause 0x3
	buffer_load_dword v1, v4, s[0:3], 0 offen
	buffer_load_dword v2, v4, s[0:3], 0 offen offset:4
	buffer_load_dword v3, v4, s[0:3], 0 offen offset:8
	;; [unrolled: 1-line block ×3, first 2 shown]
	s_waitcnt vmcnt(0)
	ds_write_b128 v10, v[1:4]
	s_waitcnt lgkmcnt(0)
	s_waitcnt_vscnt null, 0x0
	s_barrier
	buffer_gl0_inv
	s_and_saveexec_b32 s6, s5
	s_cbranch_execz .LBB35_83
; %bb.76:
	ds_read_b128 v[1:4], v10
	s_andn2_b32 vcc_lo, exec_lo, s44
	s_cbranch_vccnz .LBB35_78
; %bb.77:
	s_clause 0x3
	buffer_load_dword v11, v9, s[0:3], 0 offen offset:8
	buffer_load_dword v12, v9, s[0:3], 0 offen offset:12
	buffer_load_dword v81, v9, s[0:3], 0 offen
	buffer_load_dword v82, v9, s[0:3], 0 offen offset:4
	s_waitcnt vmcnt(2) lgkmcnt(0)
	v_mul_f64 v[84:85], v[3:4], v[11:12]
	v_mul_f64 v[11:12], v[1:2], v[11:12]
	s_waitcnt vmcnt(0)
	v_fma_f64 v[1:2], v[1:2], v[81:82], -v[84:85]
	v_fma_f64 v[3:4], v[3:4], v[81:82], v[11:12]
.LBB35_78:
	s_and_saveexec_b32 s8, s4
	s_cbranch_execz .LBB35_82
; %bb.79:
	v_subrev_nc_u32_e32 v11, 26, v0
	s_movk_i32 s45, 0x3e0
	s_mov_b32 s4, 0
	s_mov_b32 s46, s17
	.p2align	6
.LBB35_80:                              ; =>This Inner Loop Header: Depth=1
	v_mov_b32_e32 v12, s46
	v_add_nc_u32_e32 v11, -1, v11
	s_add_i32 s46, s46, 16
	s_clause 0x3
	buffer_load_dword v81, v12, s[0:3], 0 offen offset:8
	buffer_load_dword v82, v12, s[0:3], 0 offen offset:12
	buffer_load_dword v88, v12, s[0:3], 0 offen
	buffer_load_dword v89, v12, s[0:3], 0 offen offset:4
	v_mov_b32_e32 v12, s45
	v_cmp_eq_u32_e32 vcc_lo, 0, v11
	s_add_i32 s45, s45, 16
	ds_read_b128 v[84:87], v12
	s_or_b32 s4, vcc_lo, s4
	s_waitcnt vmcnt(2) lgkmcnt(0)
	v_mul_f64 v[90:91], v[86:87], v[81:82]
	v_mul_f64 v[81:82], v[84:85], v[81:82]
	s_waitcnt vmcnt(0)
	v_fma_f64 v[84:85], v[84:85], v[88:89], -v[90:91]
	v_fma_f64 v[81:82], v[86:87], v[88:89], v[81:82]
	v_add_f64 v[1:2], v[1:2], v[84:85]
	v_add_f64 v[3:4], v[3:4], v[81:82]
	s_andn2_b32 exec_lo, exec_lo, s4
	s_cbranch_execnz .LBB35_80
; %bb.81:
	s_or_b32 exec_lo, exec_lo, s4
.LBB35_82:
	s_or_b32 exec_lo, exec_lo, s8
	v_mov_b32_e32 v11, 0
	ds_read_b128 v[84:87], v11 offset:400
	s_waitcnt lgkmcnt(0)
	v_mul_f64 v[11:12], v[3:4], v[86:87]
	v_mul_f64 v[81:82], v[1:2], v[86:87]
	v_fma_f64 v[1:2], v[1:2], v[84:85], -v[11:12]
	v_fma_f64 v[3:4], v[3:4], v[84:85], v[81:82]
	buffer_store_dword v2, off, s[0:3], 0 offset:404
	buffer_store_dword v1, off, s[0:3], 0 offset:400
	;; [unrolled: 1-line block ×4, first 2 shown]
.LBB35_83:
	s_or_b32 exec_lo, exec_lo, s6
	v_mov_b32_e32 v4, s19
	v_cmp_lt_u32_e64 s4, 24, v0
	s_clause 0x3
	buffer_load_dword v1, v4, s[0:3], 0 offen
	buffer_load_dword v2, v4, s[0:3], 0 offen offset:4
	buffer_load_dword v3, v4, s[0:3], 0 offen offset:8
	;; [unrolled: 1-line block ×3, first 2 shown]
	s_waitcnt vmcnt(0)
	ds_write_b128 v10, v[1:4]
	s_waitcnt lgkmcnt(0)
	s_waitcnt_vscnt null, 0x0
	s_barrier
	buffer_gl0_inv
	s_and_saveexec_b32 s6, s4
	s_cbranch_execz .LBB35_91
; %bb.84:
	ds_read_b128 v[1:4], v10
	s_andn2_b32 vcc_lo, exec_lo, s44
	s_cbranch_vccnz .LBB35_86
; %bb.85:
	s_clause 0x3
	buffer_load_dword v11, v9, s[0:3], 0 offen offset:8
	buffer_load_dword v12, v9, s[0:3], 0 offen offset:12
	buffer_load_dword v81, v9, s[0:3], 0 offen
	buffer_load_dword v82, v9, s[0:3], 0 offen offset:4
	s_waitcnt vmcnt(2) lgkmcnt(0)
	v_mul_f64 v[84:85], v[3:4], v[11:12]
	v_mul_f64 v[11:12], v[1:2], v[11:12]
	s_waitcnt vmcnt(0)
	v_fma_f64 v[1:2], v[1:2], v[81:82], -v[84:85]
	v_fma_f64 v[3:4], v[3:4], v[81:82], v[11:12]
.LBB35_86:
	s_and_saveexec_b32 s8, s5
	s_cbranch_execz .LBB35_90
; %bb.87:
	v_subrev_nc_u32_e32 v11, 25, v0
	s_movk_i32 s45, 0x3d0
	s_mov_b32 s5, 0
	s_mov_b32 s46, s18
	.p2align	6
.LBB35_88:                              ; =>This Inner Loop Header: Depth=1
	v_mov_b32_e32 v12, s46
	v_add_nc_u32_e32 v11, -1, v11
	s_add_i32 s46, s46, 16
	s_clause 0x3
	buffer_load_dword v81, v12, s[0:3], 0 offen offset:8
	buffer_load_dword v82, v12, s[0:3], 0 offen offset:12
	buffer_load_dword v88, v12, s[0:3], 0 offen
	buffer_load_dword v89, v12, s[0:3], 0 offen offset:4
	v_mov_b32_e32 v12, s45
	v_cmp_eq_u32_e32 vcc_lo, 0, v11
	s_add_i32 s45, s45, 16
	ds_read_b128 v[84:87], v12
	s_or_b32 s5, vcc_lo, s5
	s_waitcnt vmcnt(2) lgkmcnt(0)
	v_mul_f64 v[90:91], v[86:87], v[81:82]
	v_mul_f64 v[81:82], v[84:85], v[81:82]
	s_waitcnt vmcnt(0)
	v_fma_f64 v[84:85], v[84:85], v[88:89], -v[90:91]
	v_fma_f64 v[81:82], v[86:87], v[88:89], v[81:82]
	v_add_f64 v[1:2], v[1:2], v[84:85]
	v_add_f64 v[3:4], v[3:4], v[81:82]
	s_andn2_b32 exec_lo, exec_lo, s5
	s_cbranch_execnz .LBB35_88
; %bb.89:
	s_or_b32 exec_lo, exec_lo, s5
.LBB35_90:
	s_or_b32 exec_lo, exec_lo, s8
	v_mov_b32_e32 v11, 0
	ds_read_b128 v[84:87], v11 offset:384
	s_waitcnt lgkmcnt(0)
	v_mul_f64 v[11:12], v[3:4], v[86:87]
	v_mul_f64 v[81:82], v[1:2], v[86:87]
	v_fma_f64 v[1:2], v[1:2], v[84:85], -v[11:12]
	v_fma_f64 v[3:4], v[3:4], v[84:85], v[81:82]
	buffer_store_dword v2, off, s[0:3], 0 offset:388
	buffer_store_dword v1, off, s[0:3], 0 offset:384
	buffer_store_dword v4, off, s[0:3], 0 offset:396
	buffer_store_dword v3, off, s[0:3], 0 offset:392
.LBB35_91:
	s_or_b32 exec_lo, exec_lo, s6
	v_mov_b32_e32 v4, s20
	v_cmp_lt_u32_e64 s5, 23, v0
	s_clause 0x3
	buffer_load_dword v1, v4, s[0:3], 0 offen
	buffer_load_dword v2, v4, s[0:3], 0 offen offset:4
	buffer_load_dword v3, v4, s[0:3], 0 offen offset:8
	;; [unrolled: 1-line block ×3, first 2 shown]
	s_waitcnt vmcnt(0)
	ds_write_b128 v10, v[1:4]
	s_waitcnt lgkmcnt(0)
	s_waitcnt_vscnt null, 0x0
	s_barrier
	buffer_gl0_inv
	s_and_saveexec_b32 s6, s5
	s_cbranch_execz .LBB35_99
; %bb.92:
	ds_read_b128 v[1:4], v10
	s_andn2_b32 vcc_lo, exec_lo, s44
	s_cbranch_vccnz .LBB35_94
; %bb.93:
	s_clause 0x3
	buffer_load_dword v11, v9, s[0:3], 0 offen offset:8
	buffer_load_dword v12, v9, s[0:3], 0 offen offset:12
	buffer_load_dword v81, v9, s[0:3], 0 offen
	buffer_load_dword v82, v9, s[0:3], 0 offen offset:4
	s_waitcnt vmcnt(2) lgkmcnt(0)
	v_mul_f64 v[84:85], v[3:4], v[11:12]
	v_mul_f64 v[11:12], v[1:2], v[11:12]
	s_waitcnt vmcnt(0)
	v_fma_f64 v[1:2], v[1:2], v[81:82], -v[84:85]
	v_fma_f64 v[3:4], v[3:4], v[81:82], v[11:12]
.LBB35_94:
	s_and_saveexec_b32 s8, s4
	s_cbranch_execz .LBB35_98
; %bb.95:
	v_subrev_nc_u32_e32 v11, 24, v0
	s_movk_i32 s45, 0x3c0
	s_mov_b32 s4, 0
	s_mov_b32 s46, s19
	.p2align	6
.LBB35_96:                              ; =>This Inner Loop Header: Depth=1
	v_mov_b32_e32 v12, s46
	v_add_nc_u32_e32 v11, -1, v11
	s_add_i32 s46, s46, 16
	s_clause 0x3
	buffer_load_dword v81, v12, s[0:3], 0 offen offset:8
	buffer_load_dword v82, v12, s[0:3], 0 offen offset:12
	buffer_load_dword v88, v12, s[0:3], 0 offen
	buffer_load_dword v89, v12, s[0:3], 0 offen offset:4
	v_mov_b32_e32 v12, s45
	v_cmp_eq_u32_e32 vcc_lo, 0, v11
	s_add_i32 s45, s45, 16
	ds_read_b128 v[84:87], v12
	s_or_b32 s4, vcc_lo, s4
	s_waitcnt vmcnt(2) lgkmcnt(0)
	v_mul_f64 v[90:91], v[86:87], v[81:82]
	v_mul_f64 v[81:82], v[84:85], v[81:82]
	s_waitcnt vmcnt(0)
	v_fma_f64 v[84:85], v[84:85], v[88:89], -v[90:91]
	v_fma_f64 v[81:82], v[86:87], v[88:89], v[81:82]
	v_add_f64 v[1:2], v[1:2], v[84:85]
	v_add_f64 v[3:4], v[3:4], v[81:82]
	s_andn2_b32 exec_lo, exec_lo, s4
	s_cbranch_execnz .LBB35_96
; %bb.97:
	s_or_b32 exec_lo, exec_lo, s4
.LBB35_98:
	s_or_b32 exec_lo, exec_lo, s8
	v_mov_b32_e32 v11, 0
	ds_read_b128 v[84:87], v11 offset:368
	s_waitcnt lgkmcnt(0)
	v_mul_f64 v[11:12], v[3:4], v[86:87]
	v_mul_f64 v[81:82], v[1:2], v[86:87]
	v_fma_f64 v[1:2], v[1:2], v[84:85], -v[11:12]
	v_fma_f64 v[3:4], v[3:4], v[84:85], v[81:82]
	buffer_store_dword v2, off, s[0:3], 0 offset:372
	buffer_store_dword v1, off, s[0:3], 0 offset:368
	;; [unrolled: 1-line block ×4, first 2 shown]
.LBB35_99:
	s_or_b32 exec_lo, exec_lo, s6
	v_mov_b32_e32 v4, s21
	v_cmp_lt_u32_e64 s4, 22, v0
	s_clause 0x3
	buffer_load_dword v1, v4, s[0:3], 0 offen
	buffer_load_dword v2, v4, s[0:3], 0 offen offset:4
	buffer_load_dword v3, v4, s[0:3], 0 offen offset:8
	;; [unrolled: 1-line block ×3, first 2 shown]
	s_waitcnt vmcnt(0)
	ds_write_b128 v10, v[1:4]
	s_waitcnt lgkmcnt(0)
	s_waitcnt_vscnt null, 0x0
	s_barrier
	buffer_gl0_inv
	s_and_saveexec_b32 s6, s4
	s_cbranch_execz .LBB35_107
; %bb.100:
	ds_read_b128 v[1:4], v10
	s_andn2_b32 vcc_lo, exec_lo, s44
	s_cbranch_vccnz .LBB35_102
; %bb.101:
	s_clause 0x3
	buffer_load_dword v11, v9, s[0:3], 0 offen offset:8
	buffer_load_dword v12, v9, s[0:3], 0 offen offset:12
	buffer_load_dword v81, v9, s[0:3], 0 offen
	buffer_load_dword v82, v9, s[0:3], 0 offen offset:4
	s_waitcnt vmcnt(2) lgkmcnt(0)
	v_mul_f64 v[84:85], v[3:4], v[11:12]
	v_mul_f64 v[11:12], v[1:2], v[11:12]
	s_waitcnt vmcnt(0)
	v_fma_f64 v[1:2], v[1:2], v[81:82], -v[84:85]
	v_fma_f64 v[3:4], v[3:4], v[81:82], v[11:12]
.LBB35_102:
	s_and_saveexec_b32 s8, s5
	s_cbranch_execz .LBB35_106
; %bb.103:
	v_subrev_nc_u32_e32 v11, 23, v0
	s_movk_i32 s45, 0x3b0
	s_mov_b32 s5, 0
	s_mov_b32 s46, s20
	.p2align	6
.LBB35_104:                             ; =>This Inner Loop Header: Depth=1
	v_mov_b32_e32 v12, s46
	v_add_nc_u32_e32 v11, -1, v11
	s_add_i32 s46, s46, 16
	s_clause 0x3
	buffer_load_dword v81, v12, s[0:3], 0 offen offset:8
	buffer_load_dword v82, v12, s[0:3], 0 offen offset:12
	buffer_load_dword v88, v12, s[0:3], 0 offen
	buffer_load_dword v89, v12, s[0:3], 0 offen offset:4
	v_mov_b32_e32 v12, s45
	v_cmp_eq_u32_e32 vcc_lo, 0, v11
	s_add_i32 s45, s45, 16
	ds_read_b128 v[84:87], v12
	s_or_b32 s5, vcc_lo, s5
	s_waitcnt vmcnt(2) lgkmcnt(0)
	v_mul_f64 v[90:91], v[86:87], v[81:82]
	v_mul_f64 v[81:82], v[84:85], v[81:82]
	s_waitcnt vmcnt(0)
	v_fma_f64 v[84:85], v[84:85], v[88:89], -v[90:91]
	v_fma_f64 v[81:82], v[86:87], v[88:89], v[81:82]
	v_add_f64 v[1:2], v[1:2], v[84:85]
	v_add_f64 v[3:4], v[3:4], v[81:82]
	s_andn2_b32 exec_lo, exec_lo, s5
	s_cbranch_execnz .LBB35_104
; %bb.105:
	s_or_b32 exec_lo, exec_lo, s5
.LBB35_106:
	s_or_b32 exec_lo, exec_lo, s8
	v_mov_b32_e32 v11, 0
	ds_read_b128 v[84:87], v11 offset:352
	s_waitcnt lgkmcnt(0)
	v_mul_f64 v[11:12], v[3:4], v[86:87]
	v_mul_f64 v[81:82], v[1:2], v[86:87]
	v_fma_f64 v[1:2], v[1:2], v[84:85], -v[11:12]
	v_fma_f64 v[3:4], v[3:4], v[84:85], v[81:82]
	buffer_store_dword v2, off, s[0:3], 0 offset:356
	buffer_store_dword v1, off, s[0:3], 0 offset:352
	;; [unrolled: 1-line block ×4, first 2 shown]
.LBB35_107:
	s_or_b32 exec_lo, exec_lo, s6
	v_mov_b32_e32 v4, s22
	v_cmp_lt_u32_e64 s5, 21, v0
	s_clause 0x3
	buffer_load_dword v1, v4, s[0:3], 0 offen
	buffer_load_dword v2, v4, s[0:3], 0 offen offset:4
	buffer_load_dword v3, v4, s[0:3], 0 offen offset:8
	buffer_load_dword v4, v4, s[0:3], 0 offen offset:12
	s_waitcnt vmcnt(0)
	ds_write_b128 v10, v[1:4]
	s_waitcnt lgkmcnt(0)
	s_waitcnt_vscnt null, 0x0
	s_barrier
	buffer_gl0_inv
	s_and_saveexec_b32 s6, s5
	s_cbranch_execz .LBB35_115
; %bb.108:
	ds_read_b128 v[1:4], v10
	s_andn2_b32 vcc_lo, exec_lo, s44
	s_cbranch_vccnz .LBB35_110
; %bb.109:
	s_clause 0x3
	buffer_load_dword v11, v9, s[0:3], 0 offen offset:8
	buffer_load_dword v12, v9, s[0:3], 0 offen offset:12
	buffer_load_dword v81, v9, s[0:3], 0 offen
	buffer_load_dword v82, v9, s[0:3], 0 offen offset:4
	s_waitcnt vmcnt(2) lgkmcnt(0)
	v_mul_f64 v[84:85], v[3:4], v[11:12]
	v_mul_f64 v[11:12], v[1:2], v[11:12]
	s_waitcnt vmcnt(0)
	v_fma_f64 v[1:2], v[1:2], v[81:82], -v[84:85]
	v_fma_f64 v[3:4], v[3:4], v[81:82], v[11:12]
.LBB35_110:
	s_and_saveexec_b32 s8, s4
	s_cbranch_execz .LBB35_114
; %bb.111:
	v_subrev_nc_u32_e32 v11, 22, v0
	s_movk_i32 s45, 0x3a0
	s_mov_b32 s4, 0
	s_mov_b32 s46, s21
	.p2align	6
.LBB35_112:                             ; =>This Inner Loop Header: Depth=1
	v_mov_b32_e32 v12, s46
	v_add_nc_u32_e32 v11, -1, v11
	s_add_i32 s46, s46, 16
	s_clause 0x3
	buffer_load_dword v81, v12, s[0:3], 0 offen offset:8
	buffer_load_dword v82, v12, s[0:3], 0 offen offset:12
	buffer_load_dword v88, v12, s[0:3], 0 offen
	buffer_load_dword v89, v12, s[0:3], 0 offen offset:4
	v_mov_b32_e32 v12, s45
	v_cmp_eq_u32_e32 vcc_lo, 0, v11
	s_add_i32 s45, s45, 16
	ds_read_b128 v[84:87], v12
	s_or_b32 s4, vcc_lo, s4
	s_waitcnt vmcnt(2) lgkmcnt(0)
	v_mul_f64 v[90:91], v[86:87], v[81:82]
	v_mul_f64 v[81:82], v[84:85], v[81:82]
	s_waitcnt vmcnt(0)
	v_fma_f64 v[84:85], v[84:85], v[88:89], -v[90:91]
	v_fma_f64 v[81:82], v[86:87], v[88:89], v[81:82]
	v_add_f64 v[1:2], v[1:2], v[84:85]
	v_add_f64 v[3:4], v[3:4], v[81:82]
	s_andn2_b32 exec_lo, exec_lo, s4
	s_cbranch_execnz .LBB35_112
; %bb.113:
	s_or_b32 exec_lo, exec_lo, s4
.LBB35_114:
	s_or_b32 exec_lo, exec_lo, s8
	v_mov_b32_e32 v11, 0
	ds_read_b128 v[84:87], v11 offset:336
	s_waitcnt lgkmcnt(0)
	v_mul_f64 v[11:12], v[3:4], v[86:87]
	v_mul_f64 v[81:82], v[1:2], v[86:87]
	v_fma_f64 v[1:2], v[1:2], v[84:85], -v[11:12]
	v_fma_f64 v[3:4], v[3:4], v[84:85], v[81:82]
	buffer_store_dword v2, off, s[0:3], 0 offset:340
	buffer_store_dword v1, off, s[0:3], 0 offset:336
	buffer_store_dword v4, off, s[0:3], 0 offset:348
	buffer_store_dword v3, off, s[0:3], 0 offset:344
.LBB35_115:
	s_or_b32 exec_lo, exec_lo, s6
	v_mov_b32_e32 v4, s23
	v_cmp_lt_u32_e64 s4, 20, v0
	s_clause 0x3
	buffer_load_dword v1, v4, s[0:3], 0 offen
	buffer_load_dword v2, v4, s[0:3], 0 offen offset:4
	buffer_load_dword v3, v4, s[0:3], 0 offen offset:8
	;; [unrolled: 1-line block ×3, first 2 shown]
	s_waitcnt vmcnt(0)
	ds_write_b128 v10, v[1:4]
	s_waitcnt lgkmcnt(0)
	s_waitcnt_vscnt null, 0x0
	s_barrier
	buffer_gl0_inv
	s_and_saveexec_b32 s6, s4
	s_cbranch_execz .LBB35_123
; %bb.116:
	ds_read_b128 v[1:4], v10
	s_andn2_b32 vcc_lo, exec_lo, s44
	s_cbranch_vccnz .LBB35_118
; %bb.117:
	s_clause 0x3
	buffer_load_dword v11, v9, s[0:3], 0 offen offset:8
	buffer_load_dword v12, v9, s[0:3], 0 offen offset:12
	buffer_load_dword v81, v9, s[0:3], 0 offen
	buffer_load_dword v82, v9, s[0:3], 0 offen offset:4
	s_waitcnt vmcnt(2) lgkmcnt(0)
	v_mul_f64 v[84:85], v[3:4], v[11:12]
	v_mul_f64 v[11:12], v[1:2], v[11:12]
	s_waitcnt vmcnt(0)
	v_fma_f64 v[1:2], v[1:2], v[81:82], -v[84:85]
	v_fma_f64 v[3:4], v[3:4], v[81:82], v[11:12]
.LBB35_118:
	s_and_saveexec_b32 s8, s5
	s_cbranch_execz .LBB35_122
; %bb.119:
	v_subrev_nc_u32_e32 v11, 21, v0
	s_movk_i32 s45, 0x390
	s_mov_b32 s5, 0
	s_mov_b32 s46, s22
	.p2align	6
.LBB35_120:                             ; =>This Inner Loop Header: Depth=1
	v_mov_b32_e32 v12, s46
	v_add_nc_u32_e32 v11, -1, v11
	s_add_i32 s46, s46, 16
	s_clause 0x3
	buffer_load_dword v81, v12, s[0:3], 0 offen offset:8
	buffer_load_dword v82, v12, s[0:3], 0 offen offset:12
	buffer_load_dword v88, v12, s[0:3], 0 offen
	buffer_load_dword v89, v12, s[0:3], 0 offen offset:4
	v_mov_b32_e32 v12, s45
	v_cmp_eq_u32_e32 vcc_lo, 0, v11
	s_add_i32 s45, s45, 16
	ds_read_b128 v[84:87], v12
	s_or_b32 s5, vcc_lo, s5
	s_waitcnt vmcnt(2) lgkmcnt(0)
	v_mul_f64 v[90:91], v[86:87], v[81:82]
	v_mul_f64 v[81:82], v[84:85], v[81:82]
	s_waitcnt vmcnt(0)
	v_fma_f64 v[84:85], v[84:85], v[88:89], -v[90:91]
	v_fma_f64 v[81:82], v[86:87], v[88:89], v[81:82]
	v_add_f64 v[1:2], v[1:2], v[84:85]
	v_add_f64 v[3:4], v[3:4], v[81:82]
	s_andn2_b32 exec_lo, exec_lo, s5
	s_cbranch_execnz .LBB35_120
; %bb.121:
	s_or_b32 exec_lo, exec_lo, s5
.LBB35_122:
	s_or_b32 exec_lo, exec_lo, s8
	v_mov_b32_e32 v11, 0
	ds_read_b128 v[84:87], v11 offset:320
	s_waitcnt lgkmcnt(0)
	v_mul_f64 v[11:12], v[3:4], v[86:87]
	v_mul_f64 v[81:82], v[1:2], v[86:87]
	v_fma_f64 v[1:2], v[1:2], v[84:85], -v[11:12]
	v_fma_f64 v[3:4], v[3:4], v[84:85], v[81:82]
	buffer_store_dword v2, off, s[0:3], 0 offset:324
	buffer_store_dword v1, off, s[0:3], 0 offset:320
	;; [unrolled: 1-line block ×4, first 2 shown]
.LBB35_123:
	s_or_b32 exec_lo, exec_lo, s6
	v_mov_b32_e32 v4, s24
	v_cmp_lt_u32_e64 s5, 19, v0
	s_clause 0x3
	buffer_load_dword v1, v4, s[0:3], 0 offen
	buffer_load_dword v2, v4, s[0:3], 0 offen offset:4
	buffer_load_dword v3, v4, s[0:3], 0 offen offset:8
	buffer_load_dword v4, v4, s[0:3], 0 offen offset:12
	s_waitcnt vmcnt(0)
	ds_write_b128 v10, v[1:4]
	s_waitcnt lgkmcnt(0)
	s_waitcnt_vscnt null, 0x0
	s_barrier
	buffer_gl0_inv
	s_and_saveexec_b32 s6, s5
	s_cbranch_execz .LBB35_131
; %bb.124:
	ds_read_b128 v[1:4], v10
	s_andn2_b32 vcc_lo, exec_lo, s44
	s_cbranch_vccnz .LBB35_126
; %bb.125:
	s_clause 0x3
	buffer_load_dword v11, v9, s[0:3], 0 offen offset:8
	buffer_load_dword v12, v9, s[0:3], 0 offen offset:12
	buffer_load_dword v81, v9, s[0:3], 0 offen
	buffer_load_dword v82, v9, s[0:3], 0 offen offset:4
	s_waitcnt vmcnt(2) lgkmcnt(0)
	v_mul_f64 v[84:85], v[3:4], v[11:12]
	v_mul_f64 v[11:12], v[1:2], v[11:12]
	s_waitcnt vmcnt(0)
	v_fma_f64 v[1:2], v[1:2], v[81:82], -v[84:85]
	v_fma_f64 v[3:4], v[3:4], v[81:82], v[11:12]
.LBB35_126:
	s_and_saveexec_b32 s8, s4
	s_cbranch_execz .LBB35_130
; %bb.127:
	v_subrev_nc_u32_e32 v11, 20, v0
	s_movk_i32 s45, 0x380
	s_mov_b32 s4, 0
	s_mov_b32 s46, s23
	.p2align	6
.LBB35_128:                             ; =>This Inner Loop Header: Depth=1
	v_mov_b32_e32 v12, s46
	v_add_nc_u32_e32 v11, -1, v11
	s_add_i32 s46, s46, 16
	s_clause 0x3
	buffer_load_dword v81, v12, s[0:3], 0 offen offset:8
	buffer_load_dword v82, v12, s[0:3], 0 offen offset:12
	buffer_load_dword v88, v12, s[0:3], 0 offen
	buffer_load_dword v89, v12, s[0:3], 0 offen offset:4
	v_mov_b32_e32 v12, s45
	v_cmp_eq_u32_e32 vcc_lo, 0, v11
	s_add_i32 s45, s45, 16
	ds_read_b128 v[84:87], v12
	s_or_b32 s4, vcc_lo, s4
	s_waitcnt vmcnt(2) lgkmcnt(0)
	v_mul_f64 v[90:91], v[86:87], v[81:82]
	v_mul_f64 v[81:82], v[84:85], v[81:82]
	s_waitcnt vmcnt(0)
	v_fma_f64 v[84:85], v[84:85], v[88:89], -v[90:91]
	v_fma_f64 v[81:82], v[86:87], v[88:89], v[81:82]
	v_add_f64 v[1:2], v[1:2], v[84:85]
	v_add_f64 v[3:4], v[3:4], v[81:82]
	s_andn2_b32 exec_lo, exec_lo, s4
	s_cbranch_execnz .LBB35_128
; %bb.129:
	s_or_b32 exec_lo, exec_lo, s4
.LBB35_130:
	s_or_b32 exec_lo, exec_lo, s8
	v_mov_b32_e32 v11, 0
	ds_read_b128 v[84:87], v11 offset:304
	s_waitcnt lgkmcnt(0)
	v_mul_f64 v[11:12], v[3:4], v[86:87]
	v_mul_f64 v[81:82], v[1:2], v[86:87]
	v_fma_f64 v[1:2], v[1:2], v[84:85], -v[11:12]
	v_fma_f64 v[3:4], v[3:4], v[84:85], v[81:82]
	buffer_store_dword v2, off, s[0:3], 0 offset:308
	buffer_store_dword v1, off, s[0:3], 0 offset:304
	;; [unrolled: 1-line block ×4, first 2 shown]
.LBB35_131:
	s_or_b32 exec_lo, exec_lo, s6
	v_mov_b32_e32 v4, s25
	v_cmp_lt_u32_e64 s4, 18, v0
	s_clause 0x3
	buffer_load_dword v1, v4, s[0:3], 0 offen
	buffer_load_dword v2, v4, s[0:3], 0 offen offset:4
	buffer_load_dword v3, v4, s[0:3], 0 offen offset:8
	;; [unrolled: 1-line block ×3, first 2 shown]
	s_waitcnt vmcnt(0)
	ds_write_b128 v10, v[1:4]
	s_waitcnt lgkmcnt(0)
	s_waitcnt_vscnt null, 0x0
	s_barrier
	buffer_gl0_inv
	s_and_saveexec_b32 s6, s4
	s_cbranch_execz .LBB35_139
; %bb.132:
	ds_read_b128 v[1:4], v10
	s_andn2_b32 vcc_lo, exec_lo, s44
	s_cbranch_vccnz .LBB35_134
; %bb.133:
	s_clause 0x3
	buffer_load_dword v11, v9, s[0:3], 0 offen offset:8
	buffer_load_dword v12, v9, s[0:3], 0 offen offset:12
	buffer_load_dword v81, v9, s[0:3], 0 offen
	buffer_load_dword v82, v9, s[0:3], 0 offen offset:4
	s_waitcnt vmcnt(2) lgkmcnt(0)
	v_mul_f64 v[84:85], v[3:4], v[11:12]
	v_mul_f64 v[11:12], v[1:2], v[11:12]
	s_waitcnt vmcnt(0)
	v_fma_f64 v[1:2], v[1:2], v[81:82], -v[84:85]
	v_fma_f64 v[3:4], v[3:4], v[81:82], v[11:12]
.LBB35_134:
	s_and_saveexec_b32 s8, s5
	s_cbranch_execz .LBB35_138
; %bb.135:
	v_subrev_nc_u32_e32 v11, 19, v0
	s_movk_i32 s45, 0x370
	s_mov_b32 s5, 0
	s_mov_b32 s46, s24
	.p2align	6
.LBB35_136:                             ; =>This Inner Loop Header: Depth=1
	v_mov_b32_e32 v12, s46
	v_add_nc_u32_e32 v11, -1, v11
	s_add_i32 s46, s46, 16
	s_clause 0x3
	buffer_load_dword v81, v12, s[0:3], 0 offen offset:8
	buffer_load_dword v82, v12, s[0:3], 0 offen offset:12
	buffer_load_dword v88, v12, s[0:3], 0 offen
	buffer_load_dword v89, v12, s[0:3], 0 offen offset:4
	v_mov_b32_e32 v12, s45
	v_cmp_eq_u32_e32 vcc_lo, 0, v11
	s_add_i32 s45, s45, 16
	ds_read_b128 v[84:87], v12
	s_or_b32 s5, vcc_lo, s5
	s_waitcnt vmcnt(2) lgkmcnt(0)
	v_mul_f64 v[90:91], v[86:87], v[81:82]
	v_mul_f64 v[81:82], v[84:85], v[81:82]
	s_waitcnt vmcnt(0)
	v_fma_f64 v[84:85], v[84:85], v[88:89], -v[90:91]
	v_fma_f64 v[81:82], v[86:87], v[88:89], v[81:82]
	v_add_f64 v[1:2], v[1:2], v[84:85]
	v_add_f64 v[3:4], v[3:4], v[81:82]
	s_andn2_b32 exec_lo, exec_lo, s5
	s_cbranch_execnz .LBB35_136
; %bb.137:
	s_or_b32 exec_lo, exec_lo, s5
.LBB35_138:
	s_or_b32 exec_lo, exec_lo, s8
	v_mov_b32_e32 v11, 0
	ds_read_b128 v[84:87], v11 offset:288
	s_waitcnt lgkmcnt(0)
	v_mul_f64 v[11:12], v[3:4], v[86:87]
	v_mul_f64 v[81:82], v[1:2], v[86:87]
	v_fma_f64 v[1:2], v[1:2], v[84:85], -v[11:12]
	v_fma_f64 v[3:4], v[3:4], v[84:85], v[81:82]
	buffer_store_dword v2, off, s[0:3], 0 offset:292
	buffer_store_dword v1, off, s[0:3], 0 offset:288
	;; [unrolled: 1-line block ×4, first 2 shown]
.LBB35_139:
	s_or_b32 exec_lo, exec_lo, s6
	v_mov_b32_e32 v4, s26
	v_cmp_lt_u32_e64 s5, 17, v0
	s_clause 0x3
	buffer_load_dword v1, v4, s[0:3], 0 offen
	buffer_load_dword v2, v4, s[0:3], 0 offen offset:4
	buffer_load_dword v3, v4, s[0:3], 0 offen offset:8
	;; [unrolled: 1-line block ×3, first 2 shown]
	s_waitcnt vmcnt(0)
	ds_write_b128 v10, v[1:4]
	s_waitcnt lgkmcnt(0)
	s_waitcnt_vscnt null, 0x0
	s_barrier
	buffer_gl0_inv
	s_and_saveexec_b32 s6, s5
	s_cbranch_execz .LBB35_147
; %bb.140:
	ds_read_b128 v[1:4], v10
	s_andn2_b32 vcc_lo, exec_lo, s44
	s_cbranch_vccnz .LBB35_142
; %bb.141:
	s_clause 0x3
	buffer_load_dword v11, v9, s[0:3], 0 offen offset:8
	buffer_load_dword v12, v9, s[0:3], 0 offen offset:12
	buffer_load_dword v81, v9, s[0:3], 0 offen
	buffer_load_dword v82, v9, s[0:3], 0 offen offset:4
	s_waitcnt vmcnt(2) lgkmcnt(0)
	v_mul_f64 v[84:85], v[3:4], v[11:12]
	v_mul_f64 v[11:12], v[1:2], v[11:12]
	s_waitcnt vmcnt(0)
	v_fma_f64 v[1:2], v[1:2], v[81:82], -v[84:85]
	v_fma_f64 v[3:4], v[3:4], v[81:82], v[11:12]
.LBB35_142:
	s_and_saveexec_b32 s8, s4
	s_cbranch_execz .LBB35_146
; %bb.143:
	v_subrev_nc_u32_e32 v11, 18, v0
	s_movk_i32 s45, 0x360
	s_mov_b32 s4, 0
	s_mov_b32 s46, s25
	.p2align	6
.LBB35_144:                             ; =>This Inner Loop Header: Depth=1
	v_mov_b32_e32 v12, s46
	v_add_nc_u32_e32 v11, -1, v11
	s_add_i32 s46, s46, 16
	s_clause 0x3
	buffer_load_dword v81, v12, s[0:3], 0 offen offset:8
	buffer_load_dword v82, v12, s[0:3], 0 offen offset:12
	buffer_load_dword v88, v12, s[0:3], 0 offen
	buffer_load_dword v89, v12, s[0:3], 0 offen offset:4
	v_mov_b32_e32 v12, s45
	v_cmp_eq_u32_e32 vcc_lo, 0, v11
	s_add_i32 s45, s45, 16
	ds_read_b128 v[84:87], v12
	s_or_b32 s4, vcc_lo, s4
	s_waitcnt vmcnt(2) lgkmcnt(0)
	v_mul_f64 v[90:91], v[86:87], v[81:82]
	v_mul_f64 v[81:82], v[84:85], v[81:82]
	s_waitcnt vmcnt(0)
	v_fma_f64 v[84:85], v[84:85], v[88:89], -v[90:91]
	v_fma_f64 v[81:82], v[86:87], v[88:89], v[81:82]
	v_add_f64 v[1:2], v[1:2], v[84:85]
	v_add_f64 v[3:4], v[3:4], v[81:82]
	s_andn2_b32 exec_lo, exec_lo, s4
	s_cbranch_execnz .LBB35_144
; %bb.145:
	s_or_b32 exec_lo, exec_lo, s4
.LBB35_146:
	s_or_b32 exec_lo, exec_lo, s8
	v_mov_b32_e32 v11, 0
	ds_read_b128 v[84:87], v11 offset:272
	s_waitcnt lgkmcnt(0)
	v_mul_f64 v[11:12], v[3:4], v[86:87]
	v_mul_f64 v[81:82], v[1:2], v[86:87]
	v_fma_f64 v[1:2], v[1:2], v[84:85], -v[11:12]
	v_fma_f64 v[3:4], v[3:4], v[84:85], v[81:82]
	buffer_store_dword v2, off, s[0:3], 0 offset:276
	buffer_store_dword v1, off, s[0:3], 0 offset:272
	;; [unrolled: 1-line block ×4, first 2 shown]
.LBB35_147:
	s_or_b32 exec_lo, exec_lo, s6
	v_mov_b32_e32 v4, s27
	v_cmp_lt_u32_e64 s4, 16, v0
	s_clause 0x3
	buffer_load_dword v1, v4, s[0:3], 0 offen
	buffer_load_dword v2, v4, s[0:3], 0 offen offset:4
	buffer_load_dword v3, v4, s[0:3], 0 offen offset:8
	;; [unrolled: 1-line block ×3, first 2 shown]
	s_waitcnt vmcnt(0)
	ds_write_b128 v10, v[1:4]
	s_waitcnt lgkmcnt(0)
	s_waitcnt_vscnt null, 0x0
	s_barrier
	buffer_gl0_inv
	s_and_saveexec_b32 s6, s4
	s_cbranch_execz .LBB35_155
; %bb.148:
	ds_read_b128 v[1:4], v10
	s_andn2_b32 vcc_lo, exec_lo, s44
	s_cbranch_vccnz .LBB35_150
; %bb.149:
	s_clause 0x3
	buffer_load_dword v11, v9, s[0:3], 0 offen offset:8
	buffer_load_dword v12, v9, s[0:3], 0 offen offset:12
	buffer_load_dword v81, v9, s[0:3], 0 offen
	buffer_load_dword v82, v9, s[0:3], 0 offen offset:4
	s_waitcnt vmcnt(2) lgkmcnt(0)
	v_mul_f64 v[84:85], v[3:4], v[11:12]
	v_mul_f64 v[11:12], v[1:2], v[11:12]
	s_waitcnt vmcnt(0)
	v_fma_f64 v[1:2], v[1:2], v[81:82], -v[84:85]
	v_fma_f64 v[3:4], v[3:4], v[81:82], v[11:12]
.LBB35_150:
	s_and_saveexec_b32 s8, s5
	s_cbranch_execz .LBB35_154
; %bb.151:
	v_subrev_nc_u32_e32 v11, 17, v0
	s_movk_i32 s45, 0x350
	s_mov_b32 s5, 0
	s_mov_b32 s46, s26
	.p2align	6
.LBB35_152:                             ; =>This Inner Loop Header: Depth=1
	v_mov_b32_e32 v12, s46
	v_add_nc_u32_e32 v11, -1, v11
	s_add_i32 s46, s46, 16
	s_clause 0x3
	buffer_load_dword v81, v12, s[0:3], 0 offen offset:8
	buffer_load_dword v82, v12, s[0:3], 0 offen offset:12
	buffer_load_dword v88, v12, s[0:3], 0 offen
	buffer_load_dword v89, v12, s[0:3], 0 offen offset:4
	v_mov_b32_e32 v12, s45
	v_cmp_eq_u32_e32 vcc_lo, 0, v11
	s_add_i32 s45, s45, 16
	ds_read_b128 v[84:87], v12
	s_or_b32 s5, vcc_lo, s5
	s_waitcnt vmcnt(2) lgkmcnt(0)
	v_mul_f64 v[90:91], v[86:87], v[81:82]
	v_mul_f64 v[81:82], v[84:85], v[81:82]
	s_waitcnt vmcnt(0)
	v_fma_f64 v[84:85], v[84:85], v[88:89], -v[90:91]
	v_fma_f64 v[81:82], v[86:87], v[88:89], v[81:82]
	v_add_f64 v[1:2], v[1:2], v[84:85]
	v_add_f64 v[3:4], v[3:4], v[81:82]
	s_andn2_b32 exec_lo, exec_lo, s5
	s_cbranch_execnz .LBB35_152
; %bb.153:
	s_or_b32 exec_lo, exec_lo, s5
.LBB35_154:
	s_or_b32 exec_lo, exec_lo, s8
	v_mov_b32_e32 v11, 0
	ds_read_b128 v[84:87], v11 offset:256
	s_waitcnt lgkmcnt(0)
	v_mul_f64 v[11:12], v[3:4], v[86:87]
	v_mul_f64 v[81:82], v[1:2], v[86:87]
	v_fma_f64 v[1:2], v[1:2], v[84:85], -v[11:12]
	v_fma_f64 v[3:4], v[3:4], v[84:85], v[81:82]
	buffer_store_dword v2, off, s[0:3], 0 offset:260
	buffer_store_dword v1, off, s[0:3], 0 offset:256
	;; [unrolled: 1-line block ×4, first 2 shown]
.LBB35_155:
	s_or_b32 exec_lo, exec_lo, s6
	v_mov_b32_e32 v4, s28
	v_cmp_lt_u32_e64 s5, 15, v0
	s_clause 0x3
	buffer_load_dword v1, v4, s[0:3], 0 offen
	buffer_load_dword v2, v4, s[0:3], 0 offen offset:4
	buffer_load_dword v3, v4, s[0:3], 0 offen offset:8
	;; [unrolled: 1-line block ×3, first 2 shown]
	s_waitcnt vmcnt(0)
	ds_write_b128 v10, v[1:4]
	s_waitcnt lgkmcnt(0)
	s_waitcnt_vscnt null, 0x0
	s_barrier
	buffer_gl0_inv
	s_and_saveexec_b32 s6, s5
	s_cbranch_execz .LBB35_163
; %bb.156:
	ds_read_b128 v[1:4], v10
	s_andn2_b32 vcc_lo, exec_lo, s44
	s_cbranch_vccnz .LBB35_158
; %bb.157:
	s_clause 0x3
	buffer_load_dword v11, v9, s[0:3], 0 offen offset:8
	buffer_load_dword v12, v9, s[0:3], 0 offen offset:12
	buffer_load_dword v81, v9, s[0:3], 0 offen
	buffer_load_dword v82, v9, s[0:3], 0 offen offset:4
	s_waitcnt vmcnt(2) lgkmcnt(0)
	v_mul_f64 v[84:85], v[3:4], v[11:12]
	v_mul_f64 v[11:12], v[1:2], v[11:12]
	s_waitcnt vmcnt(0)
	v_fma_f64 v[1:2], v[1:2], v[81:82], -v[84:85]
	v_fma_f64 v[3:4], v[3:4], v[81:82], v[11:12]
.LBB35_158:
	s_and_saveexec_b32 s8, s4
	s_cbranch_execz .LBB35_162
; %bb.159:
	v_add_nc_u32_e32 v11, -16, v0
	s_movk_i32 s45, 0x340
	s_mov_b32 s4, 0
	s_mov_b32 s46, s27
	.p2align	6
.LBB35_160:                             ; =>This Inner Loop Header: Depth=1
	v_mov_b32_e32 v12, s46
	v_add_nc_u32_e32 v11, -1, v11
	s_add_i32 s46, s46, 16
	s_clause 0x3
	buffer_load_dword v81, v12, s[0:3], 0 offen offset:8
	buffer_load_dword v82, v12, s[0:3], 0 offen offset:12
	buffer_load_dword v88, v12, s[0:3], 0 offen
	buffer_load_dword v89, v12, s[0:3], 0 offen offset:4
	v_mov_b32_e32 v12, s45
	v_cmp_eq_u32_e32 vcc_lo, 0, v11
	s_add_i32 s45, s45, 16
	ds_read_b128 v[84:87], v12
	s_or_b32 s4, vcc_lo, s4
	s_waitcnt vmcnt(2) lgkmcnt(0)
	v_mul_f64 v[90:91], v[86:87], v[81:82]
	v_mul_f64 v[81:82], v[84:85], v[81:82]
	s_waitcnt vmcnt(0)
	v_fma_f64 v[84:85], v[84:85], v[88:89], -v[90:91]
	v_fma_f64 v[81:82], v[86:87], v[88:89], v[81:82]
	v_add_f64 v[1:2], v[1:2], v[84:85]
	v_add_f64 v[3:4], v[3:4], v[81:82]
	s_andn2_b32 exec_lo, exec_lo, s4
	s_cbranch_execnz .LBB35_160
; %bb.161:
	s_or_b32 exec_lo, exec_lo, s4
.LBB35_162:
	s_or_b32 exec_lo, exec_lo, s8
	v_mov_b32_e32 v11, 0
	ds_read_b128 v[84:87], v11 offset:240
	s_waitcnt lgkmcnt(0)
	v_mul_f64 v[11:12], v[3:4], v[86:87]
	v_mul_f64 v[81:82], v[1:2], v[86:87]
	v_fma_f64 v[1:2], v[1:2], v[84:85], -v[11:12]
	v_fma_f64 v[3:4], v[3:4], v[84:85], v[81:82]
	buffer_store_dword v2, off, s[0:3], 0 offset:244
	buffer_store_dword v1, off, s[0:3], 0 offset:240
	;; [unrolled: 1-line block ×4, first 2 shown]
.LBB35_163:
	s_or_b32 exec_lo, exec_lo, s6
	v_mov_b32_e32 v4, s29
	v_cmp_lt_u32_e64 s4, 14, v0
	s_clause 0x3
	buffer_load_dword v1, v4, s[0:3], 0 offen
	buffer_load_dword v2, v4, s[0:3], 0 offen offset:4
	buffer_load_dword v3, v4, s[0:3], 0 offen offset:8
	;; [unrolled: 1-line block ×3, first 2 shown]
	s_waitcnt vmcnt(0)
	ds_write_b128 v10, v[1:4]
	s_waitcnt lgkmcnt(0)
	s_waitcnt_vscnt null, 0x0
	s_barrier
	buffer_gl0_inv
	s_and_saveexec_b32 s6, s4
	s_cbranch_execz .LBB35_171
; %bb.164:
	ds_read_b128 v[1:4], v10
	s_andn2_b32 vcc_lo, exec_lo, s44
	s_cbranch_vccnz .LBB35_166
; %bb.165:
	s_clause 0x3
	buffer_load_dword v11, v9, s[0:3], 0 offen offset:8
	buffer_load_dword v12, v9, s[0:3], 0 offen offset:12
	buffer_load_dword v81, v9, s[0:3], 0 offen
	buffer_load_dword v82, v9, s[0:3], 0 offen offset:4
	s_waitcnt vmcnt(2) lgkmcnt(0)
	v_mul_f64 v[84:85], v[3:4], v[11:12]
	v_mul_f64 v[11:12], v[1:2], v[11:12]
	s_waitcnt vmcnt(0)
	v_fma_f64 v[1:2], v[1:2], v[81:82], -v[84:85]
	v_fma_f64 v[3:4], v[3:4], v[81:82], v[11:12]
.LBB35_166:
	s_and_saveexec_b32 s8, s5
	s_cbranch_execz .LBB35_170
; %bb.167:
	v_add_nc_u32_e32 v11, -15, v0
	s_movk_i32 s45, 0x330
	s_mov_b32 s5, 0
	s_mov_b32 s46, s28
	.p2align	6
.LBB35_168:                             ; =>This Inner Loop Header: Depth=1
	v_mov_b32_e32 v12, s46
	v_add_nc_u32_e32 v11, -1, v11
	s_add_i32 s46, s46, 16
	s_clause 0x3
	buffer_load_dword v81, v12, s[0:3], 0 offen offset:8
	buffer_load_dword v82, v12, s[0:3], 0 offen offset:12
	buffer_load_dword v88, v12, s[0:3], 0 offen
	buffer_load_dword v89, v12, s[0:3], 0 offen offset:4
	v_mov_b32_e32 v12, s45
	v_cmp_eq_u32_e32 vcc_lo, 0, v11
	s_add_i32 s45, s45, 16
	ds_read_b128 v[84:87], v12
	s_or_b32 s5, vcc_lo, s5
	s_waitcnt vmcnt(2) lgkmcnt(0)
	v_mul_f64 v[90:91], v[86:87], v[81:82]
	v_mul_f64 v[81:82], v[84:85], v[81:82]
	s_waitcnt vmcnt(0)
	v_fma_f64 v[84:85], v[84:85], v[88:89], -v[90:91]
	v_fma_f64 v[81:82], v[86:87], v[88:89], v[81:82]
	v_add_f64 v[1:2], v[1:2], v[84:85]
	v_add_f64 v[3:4], v[3:4], v[81:82]
	s_andn2_b32 exec_lo, exec_lo, s5
	s_cbranch_execnz .LBB35_168
; %bb.169:
	s_or_b32 exec_lo, exec_lo, s5
.LBB35_170:
	s_or_b32 exec_lo, exec_lo, s8
	v_mov_b32_e32 v11, 0
	ds_read_b128 v[84:87], v11 offset:224
	s_waitcnt lgkmcnt(0)
	v_mul_f64 v[11:12], v[3:4], v[86:87]
	v_mul_f64 v[81:82], v[1:2], v[86:87]
	v_fma_f64 v[1:2], v[1:2], v[84:85], -v[11:12]
	v_fma_f64 v[3:4], v[3:4], v[84:85], v[81:82]
	buffer_store_dword v2, off, s[0:3], 0 offset:228
	buffer_store_dword v1, off, s[0:3], 0 offset:224
	;; [unrolled: 1-line block ×4, first 2 shown]
.LBB35_171:
	s_or_b32 exec_lo, exec_lo, s6
	v_mov_b32_e32 v4, s30
	v_cmp_lt_u32_e64 s5, 13, v0
	s_clause 0x3
	buffer_load_dword v1, v4, s[0:3], 0 offen
	buffer_load_dword v2, v4, s[0:3], 0 offen offset:4
	buffer_load_dword v3, v4, s[0:3], 0 offen offset:8
	;; [unrolled: 1-line block ×3, first 2 shown]
	s_waitcnt vmcnt(0)
	ds_write_b128 v10, v[1:4]
	s_waitcnt lgkmcnt(0)
	s_waitcnt_vscnt null, 0x0
	s_barrier
	buffer_gl0_inv
	s_and_saveexec_b32 s6, s5
	s_cbranch_execz .LBB35_179
; %bb.172:
	ds_read_b128 v[1:4], v10
	s_andn2_b32 vcc_lo, exec_lo, s44
	s_cbranch_vccnz .LBB35_174
; %bb.173:
	s_clause 0x3
	buffer_load_dword v11, v9, s[0:3], 0 offen offset:8
	buffer_load_dword v12, v9, s[0:3], 0 offen offset:12
	buffer_load_dword v81, v9, s[0:3], 0 offen
	buffer_load_dword v82, v9, s[0:3], 0 offen offset:4
	s_waitcnt vmcnt(2) lgkmcnt(0)
	v_mul_f64 v[84:85], v[3:4], v[11:12]
	v_mul_f64 v[11:12], v[1:2], v[11:12]
	s_waitcnt vmcnt(0)
	v_fma_f64 v[1:2], v[1:2], v[81:82], -v[84:85]
	v_fma_f64 v[3:4], v[3:4], v[81:82], v[11:12]
.LBB35_174:
	s_and_saveexec_b32 s8, s4
	s_cbranch_execz .LBB35_178
; %bb.175:
	v_add_nc_u32_e32 v11, -14, v0
	s_movk_i32 s45, 0x320
	s_mov_b32 s4, 0
	s_mov_b32 s46, s29
	.p2align	6
.LBB35_176:                             ; =>This Inner Loop Header: Depth=1
	v_mov_b32_e32 v12, s46
	v_add_nc_u32_e32 v11, -1, v11
	s_add_i32 s46, s46, 16
	s_clause 0x3
	buffer_load_dword v81, v12, s[0:3], 0 offen offset:8
	buffer_load_dword v82, v12, s[0:3], 0 offen offset:12
	buffer_load_dword v88, v12, s[0:3], 0 offen
	buffer_load_dword v89, v12, s[0:3], 0 offen offset:4
	v_mov_b32_e32 v12, s45
	v_cmp_eq_u32_e32 vcc_lo, 0, v11
	s_add_i32 s45, s45, 16
	ds_read_b128 v[84:87], v12
	s_or_b32 s4, vcc_lo, s4
	s_waitcnt vmcnt(2) lgkmcnt(0)
	v_mul_f64 v[90:91], v[86:87], v[81:82]
	v_mul_f64 v[81:82], v[84:85], v[81:82]
	s_waitcnt vmcnt(0)
	v_fma_f64 v[84:85], v[84:85], v[88:89], -v[90:91]
	v_fma_f64 v[81:82], v[86:87], v[88:89], v[81:82]
	v_add_f64 v[1:2], v[1:2], v[84:85]
	v_add_f64 v[3:4], v[3:4], v[81:82]
	s_andn2_b32 exec_lo, exec_lo, s4
	s_cbranch_execnz .LBB35_176
; %bb.177:
	s_or_b32 exec_lo, exec_lo, s4
.LBB35_178:
	s_or_b32 exec_lo, exec_lo, s8
	v_mov_b32_e32 v11, 0
	ds_read_b128 v[84:87], v11 offset:208
	s_waitcnt lgkmcnt(0)
	v_mul_f64 v[11:12], v[3:4], v[86:87]
	v_mul_f64 v[81:82], v[1:2], v[86:87]
	v_fma_f64 v[1:2], v[1:2], v[84:85], -v[11:12]
	v_fma_f64 v[3:4], v[3:4], v[84:85], v[81:82]
	buffer_store_dword v2, off, s[0:3], 0 offset:212
	buffer_store_dword v1, off, s[0:3], 0 offset:208
	;; [unrolled: 1-line block ×4, first 2 shown]
.LBB35_179:
	s_or_b32 exec_lo, exec_lo, s6
	v_mov_b32_e32 v4, s31
	v_cmp_lt_u32_e64 s4, 12, v0
	s_clause 0x3
	buffer_load_dword v1, v4, s[0:3], 0 offen
	buffer_load_dword v2, v4, s[0:3], 0 offen offset:4
	buffer_load_dword v3, v4, s[0:3], 0 offen offset:8
	;; [unrolled: 1-line block ×3, first 2 shown]
	s_waitcnt vmcnt(0)
	ds_write_b128 v10, v[1:4]
	s_waitcnt lgkmcnt(0)
	s_waitcnt_vscnt null, 0x0
	s_barrier
	buffer_gl0_inv
	s_and_saveexec_b32 s6, s4
	s_cbranch_execz .LBB35_187
; %bb.180:
	ds_read_b128 v[1:4], v10
	s_andn2_b32 vcc_lo, exec_lo, s44
	s_cbranch_vccnz .LBB35_182
; %bb.181:
	s_clause 0x3
	buffer_load_dword v11, v9, s[0:3], 0 offen offset:8
	buffer_load_dword v12, v9, s[0:3], 0 offen offset:12
	buffer_load_dword v81, v9, s[0:3], 0 offen
	buffer_load_dword v82, v9, s[0:3], 0 offen offset:4
	s_waitcnt vmcnt(2) lgkmcnt(0)
	v_mul_f64 v[84:85], v[3:4], v[11:12]
	v_mul_f64 v[11:12], v[1:2], v[11:12]
	s_waitcnt vmcnt(0)
	v_fma_f64 v[1:2], v[1:2], v[81:82], -v[84:85]
	v_fma_f64 v[3:4], v[3:4], v[81:82], v[11:12]
.LBB35_182:
	s_and_saveexec_b32 s8, s5
	s_cbranch_execz .LBB35_186
; %bb.183:
	v_add_nc_u32_e32 v11, -13, v0
	s_movk_i32 s45, 0x310
	s_mov_b32 s5, 0
	s_mov_b32 s46, s30
	.p2align	6
.LBB35_184:                             ; =>This Inner Loop Header: Depth=1
	v_mov_b32_e32 v12, s46
	v_add_nc_u32_e32 v11, -1, v11
	s_add_i32 s46, s46, 16
	s_clause 0x3
	buffer_load_dword v81, v12, s[0:3], 0 offen offset:8
	buffer_load_dword v82, v12, s[0:3], 0 offen offset:12
	buffer_load_dword v88, v12, s[0:3], 0 offen
	buffer_load_dword v89, v12, s[0:3], 0 offen offset:4
	v_mov_b32_e32 v12, s45
	v_cmp_eq_u32_e32 vcc_lo, 0, v11
	s_add_i32 s45, s45, 16
	ds_read_b128 v[84:87], v12
	s_or_b32 s5, vcc_lo, s5
	s_waitcnt vmcnt(2) lgkmcnt(0)
	v_mul_f64 v[90:91], v[86:87], v[81:82]
	v_mul_f64 v[81:82], v[84:85], v[81:82]
	s_waitcnt vmcnt(0)
	v_fma_f64 v[84:85], v[84:85], v[88:89], -v[90:91]
	v_fma_f64 v[81:82], v[86:87], v[88:89], v[81:82]
	v_add_f64 v[1:2], v[1:2], v[84:85]
	v_add_f64 v[3:4], v[3:4], v[81:82]
	s_andn2_b32 exec_lo, exec_lo, s5
	s_cbranch_execnz .LBB35_184
; %bb.185:
	s_or_b32 exec_lo, exec_lo, s5
.LBB35_186:
	s_or_b32 exec_lo, exec_lo, s8
	v_mov_b32_e32 v11, 0
	ds_read_b128 v[84:87], v11 offset:192
	s_waitcnt lgkmcnt(0)
	v_mul_f64 v[11:12], v[3:4], v[86:87]
	v_mul_f64 v[81:82], v[1:2], v[86:87]
	v_fma_f64 v[1:2], v[1:2], v[84:85], -v[11:12]
	v_fma_f64 v[3:4], v[3:4], v[84:85], v[81:82]
	buffer_store_dword v2, off, s[0:3], 0 offset:196
	buffer_store_dword v1, off, s[0:3], 0 offset:192
	buffer_store_dword v4, off, s[0:3], 0 offset:204
	buffer_store_dword v3, off, s[0:3], 0 offset:200
.LBB35_187:
	s_or_b32 exec_lo, exec_lo, s6
	v_mov_b32_e32 v4, s33
	v_cmp_lt_u32_e64 s5, 11, v0
	s_clause 0x3
	buffer_load_dword v1, v4, s[0:3], 0 offen
	buffer_load_dword v2, v4, s[0:3], 0 offen offset:4
	buffer_load_dword v3, v4, s[0:3], 0 offen offset:8
	;; [unrolled: 1-line block ×3, first 2 shown]
	s_waitcnt vmcnt(0)
	ds_write_b128 v10, v[1:4]
	s_waitcnt lgkmcnt(0)
	s_waitcnt_vscnt null, 0x0
	s_barrier
	buffer_gl0_inv
	s_and_saveexec_b32 s6, s5
	s_cbranch_execz .LBB35_195
; %bb.188:
	ds_read_b128 v[1:4], v10
	s_andn2_b32 vcc_lo, exec_lo, s44
	s_cbranch_vccnz .LBB35_190
; %bb.189:
	s_clause 0x3
	buffer_load_dword v11, v9, s[0:3], 0 offen offset:8
	buffer_load_dword v12, v9, s[0:3], 0 offen offset:12
	buffer_load_dword v81, v9, s[0:3], 0 offen
	buffer_load_dword v82, v9, s[0:3], 0 offen offset:4
	s_waitcnt vmcnt(2) lgkmcnt(0)
	v_mul_f64 v[84:85], v[3:4], v[11:12]
	v_mul_f64 v[11:12], v[1:2], v[11:12]
	s_waitcnt vmcnt(0)
	v_fma_f64 v[1:2], v[1:2], v[81:82], -v[84:85]
	v_fma_f64 v[3:4], v[3:4], v[81:82], v[11:12]
.LBB35_190:
	s_and_saveexec_b32 s8, s4
	s_cbranch_execz .LBB35_194
; %bb.191:
	v_add_nc_u32_e32 v11, -12, v0
	s_movk_i32 s45, 0x300
	s_mov_b32 s4, 0
	s_mov_b32 s46, s31
	.p2align	6
.LBB35_192:                             ; =>This Inner Loop Header: Depth=1
	v_mov_b32_e32 v12, s46
	v_add_nc_u32_e32 v11, -1, v11
	s_add_i32 s46, s46, 16
	s_clause 0x3
	buffer_load_dword v81, v12, s[0:3], 0 offen offset:8
	buffer_load_dword v82, v12, s[0:3], 0 offen offset:12
	buffer_load_dword v88, v12, s[0:3], 0 offen
	buffer_load_dword v89, v12, s[0:3], 0 offen offset:4
	v_mov_b32_e32 v12, s45
	v_cmp_eq_u32_e32 vcc_lo, 0, v11
	s_add_i32 s45, s45, 16
	ds_read_b128 v[84:87], v12
	s_or_b32 s4, vcc_lo, s4
	s_waitcnt vmcnt(2) lgkmcnt(0)
	v_mul_f64 v[90:91], v[86:87], v[81:82]
	v_mul_f64 v[81:82], v[84:85], v[81:82]
	s_waitcnt vmcnt(0)
	v_fma_f64 v[84:85], v[84:85], v[88:89], -v[90:91]
	v_fma_f64 v[81:82], v[86:87], v[88:89], v[81:82]
	v_add_f64 v[1:2], v[1:2], v[84:85]
	v_add_f64 v[3:4], v[3:4], v[81:82]
	s_andn2_b32 exec_lo, exec_lo, s4
	s_cbranch_execnz .LBB35_192
; %bb.193:
	s_or_b32 exec_lo, exec_lo, s4
.LBB35_194:
	s_or_b32 exec_lo, exec_lo, s8
	v_mov_b32_e32 v11, 0
	ds_read_b128 v[84:87], v11 offset:176
	s_waitcnt lgkmcnt(0)
	v_mul_f64 v[11:12], v[3:4], v[86:87]
	v_mul_f64 v[81:82], v[1:2], v[86:87]
	v_fma_f64 v[1:2], v[1:2], v[84:85], -v[11:12]
	v_fma_f64 v[3:4], v[3:4], v[84:85], v[81:82]
	buffer_store_dword v2, off, s[0:3], 0 offset:180
	buffer_store_dword v1, off, s[0:3], 0 offset:176
	;; [unrolled: 1-line block ×4, first 2 shown]
.LBB35_195:
	s_or_b32 exec_lo, exec_lo, s6
	v_mov_b32_e32 v4, s34
	v_cmp_lt_u32_e64 s4, 10, v0
	s_clause 0x3
	buffer_load_dword v1, v4, s[0:3], 0 offen
	buffer_load_dword v2, v4, s[0:3], 0 offen offset:4
	buffer_load_dword v3, v4, s[0:3], 0 offen offset:8
	;; [unrolled: 1-line block ×3, first 2 shown]
	s_waitcnt vmcnt(0)
	ds_write_b128 v10, v[1:4]
	s_waitcnt lgkmcnt(0)
	s_waitcnt_vscnt null, 0x0
	s_barrier
	buffer_gl0_inv
	s_and_saveexec_b32 s6, s4
	s_cbranch_execz .LBB35_203
; %bb.196:
	ds_read_b128 v[1:4], v10
	s_andn2_b32 vcc_lo, exec_lo, s44
	s_cbranch_vccnz .LBB35_198
; %bb.197:
	s_clause 0x3
	buffer_load_dword v11, v9, s[0:3], 0 offen offset:8
	buffer_load_dword v12, v9, s[0:3], 0 offen offset:12
	buffer_load_dword v81, v9, s[0:3], 0 offen
	buffer_load_dword v82, v9, s[0:3], 0 offen offset:4
	s_waitcnt vmcnt(2) lgkmcnt(0)
	v_mul_f64 v[84:85], v[3:4], v[11:12]
	v_mul_f64 v[11:12], v[1:2], v[11:12]
	s_waitcnt vmcnt(0)
	v_fma_f64 v[1:2], v[1:2], v[81:82], -v[84:85]
	v_fma_f64 v[3:4], v[3:4], v[81:82], v[11:12]
.LBB35_198:
	s_and_saveexec_b32 s8, s5
	s_cbranch_execz .LBB35_202
; %bb.199:
	v_add_nc_u32_e32 v11, -11, v0
	s_movk_i32 s45, 0x2f0
	s_mov_b32 s5, 0
	s_mov_b32 s46, s33
	.p2align	6
.LBB35_200:                             ; =>This Inner Loop Header: Depth=1
	v_mov_b32_e32 v12, s46
	v_add_nc_u32_e32 v11, -1, v11
	s_add_i32 s46, s46, 16
	s_clause 0x3
	buffer_load_dword v81, v12, s[0:3], 0 offen offset:8
	buffer_load_dword v82, v12, s[0:3], 0 offen offset:12
	buffer_load_dword v88, v12, s[0:3], 0 offen
	buffer_load_dword v89, v12, s[0:3], 0 offen offset:4
	v_mov_b32_e32 v12, s45
	v_cmp_eq_u32_e32 vcc_lo, 0, v11
	s_add_i32 s45, s45, 16
	ds_read_b128 v[84:87], v12
	s_or_b32 s5, vcc_lo, s5
	s_waitcnt vmcnt(2) lgkmcnt(0)
	v_mul_f64 v[90:91], v[86:87], v[81:82]
	v_mul_f64 v[81:82], v[84:85], v[81:82]
	s_waitcnt vmcnt(0)
	v_fma_f64 v[84:85], v[84:85], v[88:89], -v[90:91]
	v_fma_f64 v[81:82], v[86:87], v[88:89], v[81:82]
	v_add_f64 v[1:2], v[1:2], v[84:85]
	v_add_f64 v[3:4], v[3:4], v[81:82]
	s_andn2_b32 exec_lo, exec_lo, s5
	s_cbranch_execnz .LBB35_200
; %bb.201:
	s_or_b32 exec_lo, exec_lo, s5
.LBB35_202:
	s_or_b32 exec_lo, exec_lo, s8
	v_mov_b32_e32 v11, 0
	ds_read_b128 v[84:87], v11 offset:160
	s_waitcnt lgkmcnt(0)
	v_mul_f64 v[11:12], v[3:4], v[86:87]
	v_mul_f64 v[81:82], v[1:2], v[86:87]
	v_fma_f64 v[1:2], v[1:2], v[84:85], -v[11:12]
	v_fma_f64 v[3:4], v[3:4], v[84:85], v[81:82]
	buffer_store_dword v2, off, s[0:3], 0 offset:164
	buffer_store_dword v1, off, s[0:3], 0 offset:160
	;; [unrolled: 1-line block ×4, first 2 shown]
.LBB35_203:
	s_or_b32 exec_lo, exec_lo, s6
	v_mov_b32_e32 v4, s35
	v_cmp_lt_u32_e64 s5, 9, v0
	s_clause 0x3
	buffer_load_dword v1, v4, s[0:3], 0 offen
	buffer_load_dword v2, v4, s[0:3], 0 offen offset:4
	buffer_load_dword v3, v4, s[0:3], 0 offen offset:8
	;; [unrolled: 1-line block ×3, first 2 shown]
	s_waitcnt vmcnt(0)
	ds_write_b128 v10, v[1:4]
	s_waitcnt lgkmcnt(0)
	s_waitcnt_vscnt null, 0x0
	s_barrier
	buffer_gl0_inv
	s_and_saveexec_b32 s6, s5
	s_cbranch_execz .LBB35_211
; %bb.204:
	ds_read_b128 v[1:4], v10
	s_andn2_b32 vcc_lo, exec_lo, s44
	s_cbranch_vccnz .LBB35_206
; %bb.205:
	s_clause 0x3
	buffer_load_dword v11, v9, s[0:3], 0 offen offset:8
	buffer_load_dword v12, v9, s[0:3], 0 offen offset:12
	buffer_load_dword v81, v9, s[0:3], 0 offen
	buffer_load_dword v82, v9, s[0:3], 0 offen offset:4
	s_waitcnt vmcnt(2) lgkmcnt(0)
	v_mul_f64 v[84:85], v[3:4], v[11:12]
	v_mul_f64 v[11:12], v[1:2], v[11:12]
	s_waitcnt vmcnt(0)
	v_fma_f64 v[1:2], v[1:2], v[81:82], -v[84:85]
	v_fma_f64 v[3:4], v[3:4], v[81:82], v[11:12]
.LBB35_206:
	s_and_saveexec_b32 s8, s4
	s_cbranch_execz .LBB35_210
; %bb.207:
	v_add_nc_u32_e32 v11, -10, v0
	s_movk_i32 s45, 0x2e0
	s_mov_b32 s4, 0
	s_mov_b32 s46, s34
	.p2align	6
.LBB35_208:                             ; =>This Inner Loop Header: Depth=1
	v_mov_b32_e32 v12, s46
	v_add_nc_u32_e32 v11, -1, v11
	s_add_i32 s46, s46, 16
	s_clause 0x3
	buffer_load_dword v81, v12, s[0:3], 0 offen offset:8
	buffer_load_dword v82, v12, s[0:3], 0 offen offset:12
	buffer_load_dword v88, v12, s[0:3], 0 offen
	buffer_load_dword v89, v12, s[0:3], 0 offen offset:4
	v_mov_b32_e32 v12, s45
	v_cmp_eq_u32_e32 vcc_lo, 0, v11
	s_add_i32 s45, s45, 16
	ds_read_b128 v[84:87], v12
	s_or_b32 s4, vcc_lo, s4
	s_waitcnt vmcnt(2) lgkmcnt(0)
	v_mul_f64 v[90:91], v[86:87], v[81:82]
	v_mul_f64 v[81:82], v[84:85], v[81:82]
	s_waitcnt vmcnt(0)
	v_fma_f64 v[84:85], v[84:85], v[88:89], -v[90:91]
	v_fma_f64 v[81:82], v[86:87], v[88:89], v[81:82]
	v_add_f64 v[1:2], v[1:2], v[84:85]
	v_add_f64 v[3:4], v[3:4], v[81:82]
	s_andn2_b32 exec_lo, exec_lo, s4
	s_cbranch_execnz .LBB35_208
; %bb.209:
	s_or_b32 exec_lo, exec_lo, s4
.LBB35_210:
	s_or_b32 exec_lo, exec_lo, s8
	v_mov_b32_e32 v11, 0
	ds_read_b128 v[84:87], v11 offset:144
	s_waitcnt lgkmcnt(0)
	v_mul_f64 v[11:12], v[3:4], v[86:87]
	v_mul_f64 v[81:82], v[1:2], v[86:87]
	v_fma_f64 v[1:2], v[1:2], v[84:85], -v[11:12]
	v_fma_f64 v[3:4], v[3:4], v[84:85], v[81:82]
	buffer_store_dword v2, off, s[0:3], 0 offset:148
	buffer_store_dword v1, off, s[0:3], 0 offset:144
	;; [unrolled: 1-line block ×4, first 2 shown]
.LBB35_211:
	s_or_b32 exec_lo, exec_lo, s6
	v_mov_b32_e32 v4, s36
	v_cmp_lt_u32_e64 s4, 8, v0
	s_clause 0x3
	buffer_load_dword v1, v4, s[0:3], 0 offen
	buffer_load_dword v2, v4, s[0:3], 0 offen offset:4
	buffer_load_dword v3, v4, s[0:3], 0 offen offset:8
	;; [unrolled: 1-line block ×3, first 2 shown]
	s_waitcnt vmcnt(0)
	ds_write_b128 v10, v[1:4]
	s_waitcnt lgkmcnt(0)
	s_waitcnt_vscnt null, 0x0
	s_barrier
	buffer_gl0_inv
	s_and_saveexec_b32 s6, s4
	s_cbranch_execz .LBB35_219
; %bb.212:
	ds_read_b128 v[1:4], v10
	s_andn2_b32 vcc_lo, exec_lo, s44
	s_cbranch_vccnz .LBB35_214
; %bb.213:
	s_clause 0x3
	buffer_load_dword v11, v9, s[0:3], 0 offen offset:8
	buffer_load_dword v12, v9, s[0:3], 0 offen offset:12
	buffer_load_dword v81, v9, s[0:3], 0 offen
	buffer_load_dword v82, v9, s[0:3], 0 offen offset:4
	s_waitcnt vmcnt(2) lgkmcnt(0)
	v_mul_f64 v[84:85], v[3:4], v[11:12]
	v_mul_f64 v[11:12], v[1:2], v[11:12]
	s_waitcnt vmcnt(0)
	v_fma_f64 v[1:2], v[1:2], v[81:82], -v[84:85]
	v_fma_f64 v[3:4], v[3:4], v[81:82], v[11:12]
.LBB35_214:
	s_and_saveexec_b32 s8, s5
	s_cbranch_execz .LBB35_218
; %bb.215:
	v_add_nc_u32_e32 v11, -9, v0
	s_movk_i32 s45, 0x2d0
	s_mov_b32 s5, 0
	s_mov_b32 s46, s35
	.p2align	6
.LBB35_216:                             ; =>This Inner Loop Header: Depth=1
	v_mov_b32_e32 v12, s46
	v_add_nc_u32_e32 v11, -1, v11
	s_add_i32 s46, s46, 16
	s_clause 0x3
	buffer_load_dword v81, v12, s[0:3], 0 offen offset:8
	buffer_load_dword v82, v12, s[0:3], 0 offen offset:12
	buffer_load_dword v88, v12, s[0:3], 0 offen
	buffer_load_dword v89, v12, s[0:3], 0 offen offset:4
	v_mov_b32_e32 v12, s45
	v_cmp_eq_u32_e32 vcc_lo, 0, v11
	s_add_i32 s45, s45, 16
	ds_read_b128 v[84:87], v12
	s_or_b32 s5, vcc_lo, s5
	s_waitcnt vmcnt(2) lgkmcnt(0)
	v_mul_f64 v[90:91], v[86:87], v[81:82]
	v_mul_f64 v[81:82], v[84:85], v[81:82]
	s_waitcnt vmcnt(0)
	v_fma_f64 v[84:85], v[84:85], v[88:89], -v[90:91]
	v_fma_f64 v[81:82], v[86:87], v[88:89], v[81:82]
	v_add_f64 v[1:2], v[1:2], v[84:85]
	v_add_f64 v[3:4], v[3:4], v[81:82]
	s_andn2_b32 exec_lo, exec_lo, s5
	s_cbranch_execnz .LBB35_216
; %bb.217:
	s_or_b32 exec_lo, exec_lo, s5
.LBB35_218:
	s_or_b32 exec_lo, exec_lo, s8
	v_mov_b32_e32 v11, 0
	ds_read_b128 v[84:87], v11 offset:128
	s_waitcnt lgkmcnt(0)
	v_mul_f64 v[11:12], v[3:4], v[86:87]
	v_mul_f64 v[81:82], v[1:2], v[86:87]
	v_fma_f64 v[1:2], v[1:2], v[84:85], -v[11:12]
	v_fma_f64 v[3:4], v[3:4], v[84:85], v[81:82]
	buffer_store_dword v2, off, s[0:3], 0 offset:132
	buffer_store_dword v1, off, s[0:3], 0 offset:128
	;; [unrolled: 1-line block ×4, first 2 shown]
.LBB35_219:
	s_or_b32 exec_lo, exec_lo, s6
	v_mov_b32_e32 v4, s37
	v_cmp_lt_u32_e64 s5, 7, v0
	s_clause 0x3
	buffer_load_dword v1, v4, s[0:3], 0 offen
	buffer_load_dword v2, v4, s[0:3], 0 offen offset:4
	buffer_load_dword v3, v4, s[0:3], 0 offen offset:8
	;; [unrolled: 1-line block ×3, first 2 shown]
	s_waitcnt vmcnt(0)
	ds_write_b128 v10, v[1:4]
	s_waitcnt lgkmcnt(0)
	s_waitcnt_vscnt null, 0x0
	s_barrier
	buffer_gl0_inv
	s_and_saveexec_b32 s6, s5
	s_cbranch_execz .LBB35_227
; %bb.220:
	ds_read_b128 v[1:4], v10
	s_andn2_b32 vcc_lo, exec_lo, s44
	s_cbranch_vccnz .LBB35_222
; %bb.221:
	s_clause 0x3
	buffer_load_dword v11, v9, s[0:3], 0 offen offset:8
	buffer_load_dword v12, v9, s[0:3], 0 offen offset:12
	buffer_load_dword v81, v9, s[0:3], 0 offen
	buffer_load_dword v82, v9, s[0:3], 0 offen offset:4
	s_waitcnt vmcnt(2) lgkmcnt(0)
	v_mul_f64 v[84:85], v[3:4], v[11:12]
	v_mul_f64 v[11:12], v[1:2], v[11:12]
	s_waitcnt vmcnt(0)
	v_fma_f64 v[1:2], v[1:2], v[81:82], -v[84:85]
	v_fma_f64 v[3:4], v[3:4], v[81:82], v[11:12]
.LBB35_222:
	s_and_saveexec_b32 s8, s4
	s_cbranch_execz .LBB35_226
; %bb.223:
	v_add_nc_u32_e32 v11, -8, v0
	s_movk_i32 s45, 0x2c0
	s_mov_b32 s4, 0
	s_mov_b32 s46, s36
	.p2align	6
.LBB35_224:                             ; =>This Inner Loop Header: Depth=1
	v_mov_b32_e32 v12, s46
	v_add_nc_u32_e32 v11, -1, v11
	s_add_i32 s46, s46, 16
	s_clause 0x3
	buffer_load_dword v81, v12, s[0:3], 0 offen offset:8
	buffer_load_dword v82, v12, s[0:3], 0 offen offset:12
	buffer_load_dword v88, v12, s[0:3], 0 offen
	buffer_load_dword v89, v12, s[0:3], 0 offen offset:4
	v_mov_b32_e32 v12, s45
	v_cmp_eq_u32_e32 vcc_lo, 0, v11
	s_add_i32 s45, s45, 16
	ds_read_b128 v[84:87], v12
	s_or_b32 s4, vcc_lo, s4
	s_waitcnt vmcnt(2) lgkmcnt(0)
	v_mul_f64 v[90:91], v[86:87], v[81:82]
	v_mul_f64 v[81:82], v[84:85], v[81:82]
	s_waitcnt vmcnt(0)
	v_fma_f64 v[84:85], v[84:85], v[88:89], -v[90:91]
	v_fma_f64 v[81:82], v[86:87], v[88:89], v[81:82]
	v_add_f64 v[1:2], v[1:2], v[84:85]
	v_add_f64 v[3:4], v[3:4], v[81:82]
	s_andn2_b32 exec_lo, exec_lo, s4
	s_cbranch_execnz .LBB35_224
; %bb.225:
	s_or_b32 exec_lo, exec_lo, s4
.LBB35_226:
	s_or_b32 exec_lo, exec_lo, s8
	v_mov_b32_e32 v11, 0
	ds_read_b128 v[84:87], v11 offset:112
	s_waitcnt lgkmcnt(0)
	v_mul_f64 v[11:12], v[3:4], v[86:87]
	v_mul_f64 v[81:82], v[1:2], v[86:87]
	v_fma_f64 v[1:2], v[1:2], v[84:85], -v[11:12]
	v_fma_f64 v[3:4], v[3:4], v[84:85], v[81:82]
	buffer_store_dword v2, off, s[0:3], 0 offset:116
	buffer_store_dword v1, off, s[0:3], 0 offset:112
	;; [unrolled: 1-line block ×4, first 2 shown]
.LBB35_227:
	s_or_b32 exec_lo, exec_lo, s6
	v_mov_b32_e32 v4, s38
	v_cmp_lt_u32_e64 s4, 6, v0
	s_clause 0x3
	buffer_load_dword v1, v4, s[0:3], 0 offen
	buffer_load_dword v2, v4, s[0:3], 0 offen offset:4
	buffer_load_dword v3, v4, s[0:3], 0 offen offset:8
	;; [unrolled: 1-line block ×3, first 2 shown]
	s_waitcnt vmcnt(0)
	ds_write_b128 v10, v[1:4]
	s_waitcnt lgkmcnt(0)
	s_waitcnt_vscnt null, 0x0
	s_barrier
	buffer_gl0_inv
	s_and_saveexec_b32 s6, s4
	s_cbranch_execz .LBB35_235
; %bb.228:
	ds_read_b128 v[1:4], v10
	s_andn2_b32 vcc_lo, exec_lo, s44
	s_cbranch_vccnz .LBB35_230
; %bb.229:
	s_clause 0x3
	buffer_load_dword v11, v9, s[0:3], 0 offen offset:8
	buffer_load_dword v12, v9, s[0:3], 0 offen offset:12
	buffer_load_dword v81, v9, s[0:3], 0 offen
	buffer_load_dword v82, v9, s[0:3], 0 offen offset:4
	s_waitcnt vmcnt(2) lgkmcnt(0)
	v_mul_f64 v[84:85], v[3:4], v[11:12]
	v_mul_f64 v[11:12], v[1:2], v[11:12]
	s_waitcnt vmcnt(0)
	v_fma_f64 v[1:2], v[1:2], v[81:82], -v[84:85]
	v_fma_f64 v[3:4], v[3:4], v[81:82], v[11:12]
.LBB35_230:
	s_and_saveexec_b32 s8, s5
	s_cbranch_execz .LBB35_234
; %bb.231:
	v_add_nc_u32_e32 v11, -7, v0
	s_movk_i32 s45, 0x2b0
	s_mov_b32 s5, 0
	s_mov_b32 s46, s37
	.p2align	6
.LBB35_232:                             ; =>This Inner Loop Header: Depth=1
	v_mov_b32_e32 v12, s46
	v_add_nc_u32_e32 v11, -1, v11
	s_add_i32 s46, s46, 16
	s_clause 0x3
	buffer_load_dword v81, v12, s[0:3], 0 offen offset:8
	buffer_load_dword v82, v12, s[0:3], 0 offen offset:12
	buffer_load_dword v88, v12, s[0:3], 0 offen
	buffer_load_dword v89, v12, s[0:3], 0 offen offset:4
	v_mov_b32_e32 v12, s45
	v_cmp_eq_u32_e32 vcc_lo, 0, v11
	s_add_i32 s45, s45, 16
	ds_read_b128 v[84:87], v12
	s_or_b32 s5, vcc_lo, s5
	s_waitcnt vmcnt(2) lgkmcnt(0)
	v_mul_f64 v[90:91], v[86:87], v[81:82]
	v_mul_f64 v[81:82], v[84:85], v[81:82]
	s_waitcnt vmcnt(0)
	v_fma_f64 v[84:85], v[84:85], v[88:89], -v[90:91]
	v_fma_f64 v[81:82], v[86:87], v[88:89], v[81:82]
	v_add_f64 v[1:2], v[1:2], v[84:85]
	v_add_f64 v[3:4], v[3:4], v[81:82]
	s_andn2_b32 exec_lo, exec_lo, s5
	s_cbranch_execnz .LBB35_232
; %bb.233:
	s_or_b32 exec_lo, exec_lo, s5
.LBB35_234:
	s_or_b32 exec_lo, exec_lo, s8
	v_mov_b32_e32 v11, 0
	ds_read_b128 v[84:87], v11 offset:96
	s_waitcnt lgkmcnt(0)
	v_mul_f64 v[11:12], v[3:4], v[86:87]
	v_mul_f64 v[81:82], v[1:2], v[86:87]
	v_fma_f64 v[1:2], v[1:2], v[84:85], -v[11:12]
	v_fma_f64 v[3:4], v[3:4], v[84:85], v[81:82]
	buffer_store_dword v2, off, s[0:3], 0 offset:100
	buffer_store_dword v1, off, s[0:3], 0 offset:96
	;; [unrolled: 1-line block ×4, first 2 shown]
.LBB35_235:
	s_or_b32 exec_lo, exec_lo, s6
	v_mov_b32_e32 v4, s39
	v_cmp_lt_u32_e64 s5, 5, v0
	s_clause 0x3
	buffer_load_dword v1, v4, s[0:3], 0 offen
	buffer_load_dword v2, v4, s[0:3], 0 offen offset:4
	buffer_load_dword v3, v4, s[0:3], 0 offen offset:8
	;; [unrolled: 1-line block ×3, first 2 shown]
	s_waitcnt vmcnt(0)
	ds_write_b128 v10, v[1:4]
	s_waitcnt lgkmcnt(0)
	s_waitcnt_vscnt null, 0x0
	s_barrier
	buffer_gl0_inv
	s_and_saveexec_b32 s6, s5
	s_cbranch_execz .LBB35_243
; %bb.236:
	ds_read_b128 v[1:4], v10
	s_andn2_b32 vcc_lo, exec_lo, s44
	s_cbranch_vccnz .LBB35_238
; %bb.237:
	s_clause 0x3
	buffer_load_dword v11, v9, s[0:3], 0 offen offset:8
	buffer_load_dword v12, v9, s[0:3], 0 offen offset:12
	buffer_load_dword v81, v9, s[0:3], 0 offen
	buffer_load_dword v82, v9, s[0:3], 0 offen offset:4
	s_waitcnt vmcnt(2) lgkmcnt(0)
	v_mul_f64 v[84:85], v[3:4], v[11:12]
	v_mul_f64 v[11:12], v[1:2], v[11:12]
	s_waitcnt vmcnt(0)
	v_fma_f64 v[1:2], v[1:2], v[81:82], -v[84:85]
	v_fma_f64 v[3:4], v[3:4], v[81:82], v[11:12]
.LBB35_238:
	s_and_saveexec_b32 s8, s4
	s_cbranch_execz .LBB35_242
; %bb.239:
	v_add_nc_u32_e32 v11, -6, v0
	s_movk_i32 s45, 0x2a0
	s_mov_b32 s4, 0
	s_mov_b32 s46, s38
	.p2align	6
.LBB35_240:                             ; =>This Inner Loop Header: Depth=1
	v_mov_b32_e32 v12, s46
	v_add_nc_u32_e32 v11, -1, v11
	s_add_i32 s46, s46, 16
	s_clause 0x3
	buffer_load_dword v81, v12, s[0:3], 0 offen offset:8
	buffer_load_dword v82, v12, s[0:3], 0 offen offset:12
	buffer_load_dword v88, v12, s[0:3], 0 offen
	buffer_load_dword v89, v12, s[0:3], 0 offen offset:4
	v_mov_b32_e32 v12, s45
	v_cmp_eq_u32_e32 vcc_lo, 0, v11
	s_add_i32 s45, s45, 16
	ds_read_b128 v[84:87], v12
	s_or_b32 s4, vcc_lo, s4
	s_waitcnt vmcnt(2) lgkmcnt(0)
	v_mul_f64 v[90:91], v[86:87], v[81:82]
	v_mul_f64 v[81:82], v[84:85], v[81:82]
	s_waitcnt vmcnt(0)
	v_fma_f64 v[84:85], v[84:85], v[88:89], -v[90:91]
	v_fma_f64 v[81:82], v[86:87], v[88:89], v[81:82]
	v_add_f64 v[1:2], v[1:2], v[84:85]
	v_add_f64 v[3:4], v[3:4], v[81:82]
	s_andn2_b32 exec_lo, exec_lo, s4
	s_cbranch_execnz .LBB35_240
; %bb.241:
	s_or_b32 exec_lo, exec_lo, s4
.LBB35_242:
	s_or_b32 exec_lo, exec_lo, s8
	v_mov_b32_e32 v11, 0
	ds_read_b128 v[84:87], v11 offset:80
	s_waitcnt lgkmcnt(0)
	v_mul_f64 v[11:12], v[3:4], v[86:87]
	v_mul_f64 v[81:82], v[1:2], v[86:87]
	v_fma_f64 v[1:2], v[1:2], v[84:85], -v[11:12]
	v_fma_f64 v[3:4], v[3:4], v[84:85], v[81:82]
	buffer_store_dword v2, off, s[0:3], 0 offset:84
	buffer_store_dword v1, off, s[0:3], 0 offset:80
	;; [unrolled: 1-line block ×4, first 2 shown]
.LBB35_243:
	s_or_b32 exec_lo, exec_lo, s6
	v_mov_b32_e32 v4, s40
	v_cmp_lt_u32_e64 s4, 4, v0
	s_clause 0x3
	buffer_load_dword v1, v4, s[0:3], 0 offen
	buffer_load_dword v2, v4, s[0:3], 0 offen offset:4
	buffer_load_dword v3, v4, s[0:3], 0 offen offset:8
	;; [unrolled: 1-line block ×3, first 2 shown]
	s_waitcnt vmcnt(0)
	ds_write_b128 v10, v[1:4]
	s_waitcnt lgkmcnt(0)
	s_waitcnt_vscnt null, 0x0
	s_barrier
	buffer_gl0_inv
	s_and_saveexec_b32 s6, s4
	s_cbranch_execz .LBB35_251
; %bb.244:
	ds_read_b128 v[1:4], v10
	s_andn2_b32 vcc_lo, exec_lo, s44
	s_cbranch_vccnz .LBB35_246
; %bb.245:
	s_clause 0x3
	buffer_load_dword v11, v9, s[0:3], 0 offen offset:8
	buffer_load_dword v12, v9, s[0:3], 0 offen offset:12
	buffer_load_dword v81, v9, s[0:3], 0 offen
	buffer_load_dword v82, v9, s[0:3], 0 offen offset:4
	s_waitcnt vmcnt(2) lgkmcnt(0)
	v_mul_f64 v[84:85], v[3:4], v[11:12]
	v_mul_f64 v[11:12], v[1:2], v[11:12]
	s_waitcnt vmcnt(0)
	v_fma_f64 v[1:2], v[1:2], v[81:82], -v[84:85]
	v_fma_f64 v[3:4], v[3:4], v[81:82], v[11:12]
.LBB35_246:
	s_and_saveexec_b32 s8, s5
	s_cbranch_execz .LBB35_250
; %bb.247:
	v_add_nc_u32_e32 v11, -5, v0
	s_movk_i32 s45, 0x290
	s_mov_b32 s5, 0
	s_mov_b32 s46, s39
	.p2align	6
.LBB35_248:                             ; =>This Inner Loop Header: Depth=1
	v_mov_b32_e32 v12, s46
	v_add_nc_u32_e32 v11, -1, v11
	s_add_i32 s46, s46, 16
	s_clause 0x3
	buffer_load_dword v81, v12, s[0:3], 0 offen offset:8
	buffer_load_dword v82, v12, s[0:3], 0 offen offset:12
	buffer_load_dword v88, v12, s[0:3], 0 offen
	buffer_load_dword v89, v12, s[0:3], 0 offen offset:4
	v_mov_b32_e32 v12, s45
	v_cmp_eq_u32_e32 vcc_lo, 0, v11
	s_add_i32 s45, s45, 16
	ds_read_b128 v[84:87], v12
	s_or_b32 s5, vcc_lo, s5
	s_waitcnt vmcnt(2) lgkmcnt(0)
	v_mul_f64 v[90:91], v[86:87], v[81:82]
	v_mul_f64 v[81:82], v[84:85], v[81:82]
	s_waitcnt vmcnt(0)
	v_fma_f64 v[84:85], v[84:85], v[88:89], -v[90:91]
	v_fma_f64 v[81:82], v[86:87], v[88:89], v[81:82]
	v_add_f64 v[1:2], v[1:2], v[84:85]
	v_add_f64 v[3:4], v[3:4], v[81:82]
	s_andn2_b32 exec_lo, exec_lo, s5
	s_cbranch_execnz .LBB35_248
; %bb.249:
	s_or_b32 exec_lo, exec_lo, s5
.LBB35_250:
	s_or_b32 exec_lo, exec_lo, s8
	v_mov_b32_e32 v11, 0
	ds_read_b128 v[84:87], v11 offset:64
	s_waitcnt lgkmcnt(0)
	v_mul_f64 v[11:12], v[3:4], v[86:87]
	v_mul_f64 v[81:82], v[1:2], v[86:87]
	v_fma_f64 v[1:2], v[1:2], v[84:85], -v[11:12]
	v_fma_f64 v[3:4], v[3:4], v[84:85], v[81:82]
	buffer_store_dword v2, off, s[0:3], 0 offset:68
	buffer_store_dword v1, off, s[0:3], 0 offset:64
	buffer_store_dword v4, off, s[0:3], 0 offset:76
	buffer_store_dword v3, off, s[0:3], 0 offset:72
.LBB35_251:
	s_or_b32 exec_lo, exec_lo, s6
	v_mov_b32_e32 v4, s41
	v_cmp_lt_u32_e64 s5, 3, v0
	s_clause 0x3
	buffer_load_dword v1, v4, s[0:3], 0 offen
	buffer_load_dword v2, v4, s[0:3], 0 offen offset:4
	buffer_load_dword v3, v4, s[0:3], 0 offen offset:8
	buffer_load_dword v4, v4, s[0:3], 0 offen offset:12
	s_waitcnt vmcnt(0)
	ds_write_b128 v10, v[1:4]
	s_waitcnt lgkmcnt(0)
	s_waitcnt_vscnt null, 0x0
	s_barrier
	buffer_gl0_inv
	s_and_saveexec_b32 s6, s5
	s_cbranch_execz .LBB35_259
; %bb.252:
	ds_read_b128 v[1:4], v10
	s_andn2_b32 vcc_lo, exec_lo, s44
	s_cbranch_vccnz .LBB35_254
; %bb.253:
	s_clause 0x3
	buffer_load_dword v11, v9, s[0:3], 0 offen offset:8
	buffer_load_dword v12, v9, s[0:3], 0 offen offset:12
	buffer_load_dword v81, v9, s[0:3], 0 offen
	buffer_load_dword v82, v9, s[0:3], 0 offen offset:4
	s_waitcnt vmcnt(2) lgkmcnt(0)
	v_mul_f64 v[84:85], v[3:4], v[11:12]
	v_mul_f64 v[11:12], v[1:2], v[11:12]
	s_waitcnt vmcnt(0)
	v_fma_f64 v[1:2], v[1:2], v[81:82], -v[84:85]
	v_fma_f64 v[3:4], v[3:4], v[81:82], v[11:12]
.LBB35_254:
	s_and_saveexec_b32 s8, s4
	s_cbranch_execz .LBB35_258
; %bb.255:
	v_add_nc_u32_e32 v11, -4, v0
	s_movk_i32 s45, 0x280
	s_mov_b32 s4, 0
	s_mov_b32 s46, s40
	.p2align	6
.LBB35_256:                             ; =>This Inner Loop Header: Depth=1
	v_mov_b32_e32 v12, s46
	v_add_nc_u32_e32 v11, -1, v11
	s_add_i32 s46, s46, 16
	s_clause 0x3
	buffer_load_dword v81, v12, s[0:3], 0 offen offset:8
	buffer_load_dword v82, v12, s[0:3], 0 offen offset:12
	buffer_load_dword v88, v12, s[0:3], 0 offen
	buffer_load_dword v89, v12, s[0:3], 0 offen offset:4
	v_mov_b32_e32 v12, s45
	v_cmp_eq_u32_e32 vcc_lo, 0, v11
	s_add_i32 s45, s45, 16
	ds_read_b128 v[84:87], v12
	s_or_b32 s4, vcc_lo, s4
	s_waitcnt vmcnt(2) lgkmcnt(0)
	v_mul_f64 v[90:91], v[86:87], v[81:82]
	v_mul_f64 v[81:82], v[84:85], v[81:82]
	s_waitcnt vmcnt(0)
	v_fma_f64 v[84:85], v[84:85], v[88:89], -v[90:91]
	v_fma_f64 v[81:82], v[86:87], v[88:89], v[81:82]
	v_add_f64 v[1:2], v[1:2], v[84:85]
	v_add_f64 v[3:4], v[3:4], v[81:82]
	s_andn2_b32 exec_lo, exec_lo, s4
	s_cbranch_execnz .LBB35_256
; %bb.257:
	s_or_b32 exec_lo, exec_lo, s4
.LBB35_258:
	s_or_b32 exec_lo, exec_lo, s8
	v_mov_b32_e32 v11, 0
	ds_read_b128 v[84:87], v11 offset:48
	s_waitcnt lgkmcnt(0)
	v_mul_f64 v[11:12], v[3:4], v[86:87]
	v_mul_f64 v[81:82], v[1:2], v[86:87]
	v_fma_f64 v[1:2], v[1:2], v[84:85], -v[11:12]
	v_fma_f64 v[3:4], v[3:4], v[84:85], v[81:82]
	buffer_store_dword v2, off, s[0:3], 0 offset:52
	buffer_store_dword v1, off, s[0:3], 0 offset:48
	;; [unrolled: 1-line block ×4, first 2 shown]
.LBB35_259:
	s_or_b32 exec_lo, exec_lo, s6
	v_mov_b32_e32 v4, s43
	v_cmp_lt_u32_e64 s6, 2, v0
	s_clause 0x3
	buffer_load_dword v1, v4, s[0:3], 0 offen
	buffer_load_dword v2, v4, s[0:3], 0 offen offset:4
	buffer_load_dword v3, v4, s[0:3], 0 offen offset:8
	;; [unrolled: 1-line block ×3, first 2 shown]
	s_waitcnt vmcnt(0)
	ds_write_b128 v10, v[1:4]
	s_waitcnt lgkmcnt(0)
	s_waitcnt_vscnt null, 0x0
	s_barrier
	buffer_gl0_inv
	s_and_saveexec_b32 s4, s6
	s_cbranch_execz .LBB35_267
; %bb.260:
	ds_read_b128 v[1:4], v10
	s_andn2_b32 vcc_lo, exec_lo, s44
	s_cbranch_vccnz .LBB35_262
; %bb.261:
	s_clause 0x3
	buffer_load_dword v11, v9, s[0:3], 0 offen offset:8
	buffer_load_dword v12, v9, s[0:3], 0 offen offset:12
	buffer_load_dword v81, v9, s[0:3], 0 offen
	buffer_load_dword v82, v9, s[0:3], 0 offen offset:4
	s_waitcnt vmcnt(2) lgkmcnt(0)
	v_mul_f64 v[84:85], v[3:4], v[11:12]
	v_mul_f64 v[11:12], v[1:2], v[11:12]
	s_waitcnt vmcnt(0)
	v_fma_f64 v[1:2], v[1:2], v[81:82], -v[84:85]
	v_fma_f64 v[3:4], v[3:4], v[81:82], v[11:12]
.LBB35_262:
	s_and_saveexec_b32 s8, s5
	s_cbranch_execz .LBB35_266
; %bb.263:
	v_add_nc_u32_e32 v11, -3, v0
	s_movk_i32 s45, 0x270
	s_mov_b32 s5, 0
	s_mov_b32 s46, s41
	.p2align	6
.LBB35_264:                             ; =>This Inner Loop Header: Depth=1
	v_mov_b32_e32 v12, s46
	v_add_nc_u32_e32 v11, -1, v11
	s_add_i32 s46, s46, 16
	s_clause 0x3
	buffer_load_dword v81, v12, s[0:3], 0 offen offset:8
	buffer_load_dword v82, v12, s[0:3], 0 offen offset:12
	buffer_load_dword v88, v12, s[0:3], 0 offen
	buffer_load_dword v89, v12, s[0:3], 0 offen offset:4
	v_mov_b32_e32 v12, s45
	v_cmp_eq_u32_e32 vcc_lo, 0, v11
	s_add_i32 s45, s45, 16
	ds_read_b128 v[84:87], v12
	s_or_b32 s5, vcc_lo, s5
	s_waitcnt vmcnt(2) lgkmcnt(0)
	v_mul_f64 v[90:91], v[86:87], v[81:82]
	v_mul_f64 v[81:82], v[84:85], v[81:82]
	s_waitcnt vmcnt(0)
	v_fma_f64 v[84:85], v[84:85], v[88:89], -v[90:91]
	v_fma_f64 v[81:82], v[86:87], v[88:89], v[81:82]
	v_add_f64 v[1:2], v[1:2], v[84:85]
	v_add_f64 v[3:4], v[3:4], v[81:82]
	s_andn2_b32 exec_lo, exec_lo, s5
	s_cbranch_execnz .LBB35_264
; %bb.265:
	s_or_b32 exec_lo, exec_lo, s5
.LBB35_266:
	s_or_b32 exec_lo, exec_lo, s8
	v_mov_b32_e32 v11, 0
	ds_read_b128 v[84:87], v11 offset:32
	s_waitcnt lgkmcnt(0)
	v_mul_f64 v[11:12], v[3:4], v[86:87]
	v_mul_f64 v[81:82], v[1:2], v[86:87]
	v_fma_f64 v[1:2], v[1:2], v[84:85], -v[11:12]
	v_fma_f64 v[3:4], v[3:4], v[84:85], v[81:82]
	buffer_store_dword v2, off, s[0:3], 0 offset:36
	buffer_store_dword v1, off, s[0:3], 0 offset:32
	;; [unrolled: 1-line block ×4, first 2 shown]
.LBB35_267:
	s_or_b32 exec_lo, exec_lo, s4
	v_mov_b32_e32 v4, s42
	v_cmp_lt_u32_e64 s4, 1, v0
	s_clause 0x3
	buffer_load_dword v1, v4, s[0:3], 0 offen
	buffer_load_dword v2, v4, s[0:3], 0 offen offset:4
	buffer_load_dword v3, v4, s[0:3], 0 offen offset:8
	;; [unrolled: 1-line block ×3, first 2 shown]
	s_waitcnt vmcnt(0)
	ds_write_b128 v10, v[1:4]
	s_waitcnt lgkmcnt(0)
	s_waitcnt_vscnt null, 0x0
	s_barrier
	buffer_gl0_inv
	s_and_saveexec_b32 s5, s4
	s_cbranch_execz .LBB35_275
; %bb.268:
	ds_read_b128 v[1:4], v10
	s_andn2_b32 vcc_lo, exec_lo, s44
	s_cbranch_vccnz .LBB35_270
; %bb.269:
	s_clause 0x3
	buffer_load_dword v11, v9, s[0:3], 0 offen offset:8
	buffer_load_dword v12, v9, s[0:3], 0 offen offset:12
	buffer_load_dword v81, v9, s[0:3], 0 offen
	buffer_load_dword v82, v9, s[0:3], 0 offen offset:4
	s_waitcnt vmcnt(2) lgkmcnt(0)
	v_mul_f64 v[84:85], v[3:4], v[11:12]
	v_mul_f64 v[11:12], v[1:2], v[11:12]
	s_waitcnt vmcnt(0)
	v_fma_f64 v[1:2], v[1:2], v[81:82], -v[84:85]
	v_fma_f64 v[3:4], v[3:4], v[81:82], v[11:12]
.LBB35_270:
	s_and_saveexec_b32 s8, s6
	s_cbranch_execz .LBB35_274
; %bb.271:
	v_add_nc_u32_e32 v11, -2, v0
	s_movk_i32 s45, 0x260
	s_mov_b32 s6, 0
	s_mov_b32 s46, s43
	.p2align	6
.LBB35_272:                             ; =>This Inner Loop Header: Depth=1
	v_mov_b32_e32 v12, s46
	v_add_nc_u32_e32 v11, -1, v11
	s_add_i32 s46, s46, 16
	s_clause 0x3
	buffer_load_dword v81, v12, s[0:3], 0 offen offset:8
	buffer_load_dword v82, v12, s[0:3], 0 offen offset:12
	buffer_load_dword v88, v12, s[0:3], 0 offen
	buffer_load_dword v89, v12, s[0:3], 0 offen offset:4
	v_mov_b32_e32 v12, s45
	v_cmp_eq_u32_e32 vcc_lo, 0, v11
	s_add_i32 s45, s45, 16
	ds_read_b128 v[84:87], v12
	s_or_b32 s6, vcc_lo, s6
	s_waitcnt vmcnt(2) lgkmcnt(0)
	v_mul_f64 v[90:91], v[86:87], v[81:82]
	v_mul_f64 v[81:82], v[84:85], v[81:82]
	s_waitcnt vmcnt(0)
	v_fma_f64 v[84:85], v[84:85], v[88:89], -v[90:91]
	v_fma_f64 v[81:82], v[86:87], v[88:89], v[81:82]
	v_add_f64 v[1:2], v[1:2], v[84:85]
	v_add_f64 v[3:4], v[3:4], v[81:82]
	s_andn2_b32 exec_lo, exec_lo, s6
	s_cbranch_execnz .LBB35_272
; %bb.273:
	s_or_b32 exec_lo, exec_lo, s6
.LBB35_274:
	s_or_b32 exec_lo, exec_lo, s8
	v_mov_b32_e32 v11, 0
	ds_read_b128 v[84:87], v11 offset:16
	s_waitcnt lgkmcnt(0)
	v_mul_f64 v[11:12], v[3:4], v[86:87]
	v_mul_f64 v[81:82], v[1:2], v[86:87]
	v_fma_f64 v[1:2], v[1:2], v[84:85], -v[11:12]
	v_fma_f64 v[3:4], v[3:4], v[84:85], v[81:82]
	buffer_store_dword v2, off, s[0:3], 0 offset:20
	buffer_store_dword v1, off, s[0:3], 0 offset:16
	;; [unrolled: 1-line block ×4, first 2 shown]
.LBB35_275:
	s_or_b32 exec_lo, exec_lo, s5
	s_clause 0x3
	buffer_load_dword v1, off, s[0:3], 0
	buffer_load_dword v2, off, s[0:3], 0 offset:4
	buffer_load_dword v3, off, s[0:3], 0 offset:8
	;; [unrolled: 1-line block ×3, first 2 shown]
	s_mov_b32 s6, 0
	s_mov_b32 s5, 0
	s_mov_b32 s8, exec_lo
                                        ; implicit-def: $sgpr45
	s_waitcnt vmcnt(0)
	ds_write_b128 v10, v[1:4]
	s_waitcnt lgkmcnt(0)
	s_waitcnt_vscnt null, 0x0
	s_barrier
	buffer_gl0_inv
                                        ; implicit-def: $vgpr1_vgpr2
	v_cmpx_ne_u32_e32 0, v0
	s_cbranch_execz .LBB35_283
; %bb.276:
	ds_read_b128 v[1:4], v10
	s_andn2_b32 vcc_lo, exec_lo, s44
	s_cbranch_vccnz .LBB35_278
; %bb.277:
	s_clause 0x3
	buffer_load_dword v11, v9, s[0:3], 0 offen offset:8
	buffer_load_dword v12, v9, s[0:3], 0 offen offset:12
	buffer_load_dword v81, v9, s[0:3], 0 offen
	buffer_load_dword v82, v9, s[0:3], 0 offen offset:4
	s_waitcnt vmcnt(2) lgkmcnt(0)
	v_mul_f64 v[84:85], v[3:4], v[11:12]
	v_mul_f64 v[11:12], v[1:2], v[11:12]
	s_waitcnt vmcnt(0)
	v_fma_f64 v[1:2], v[1:2], v[81:82], -v[84:85]
	v_fma_f64 v[3:4], v[3:4], v[81:82], v[11:12]
.LBB35_278:
	s_and_saveexec_b32 s5, s4
	s_cbranch_execz .LBB35_282
; %bb.279:
	v_add_nc_u32_e32 v11, -1, v0
	s_movk_i32 s45, 0x250
	s_mov_b32 s4, 0
	s_mov_b32 s46, s42
	.p2align	6
.LBB35_280:                             ; =>This Inner Loop Header: Depth=1
	v_mov_b32_e32 v12, s46
	v_add_nc_u32_e32 v11, -1, v11
	s_add_i32 s46, s46, 16
	s_clause 0x3
	buffer_load_dword v81, v12, s[0:3], 0 offen offset:8
	buffer_load_dword v82, v12, s[0:3], 0 offen offset:12
	buffer_load_dword v88, v12, s[0:3], 0 offen
	buffer_load_dword v89, v12, s[0:3], 0 offen offset:4
	v_mov_b32_e32 v12, s45
	v_cmp_eq_u32_e32 vcc_lo, 0, v11
	s_add_i32 s45, s45, 16
	ds_read_b128 v[84:87], v12
	s_or_b32 s4, vcc_lo, s4
	s_waitcnt vmcnt(2) lgkmcnt(0)
	v_mul_f64 v[90:91], v[86:87], v[81:82]
	v_mul_f64 v[81:82], v[84:85], v[81:82]
	s_waitcnt vmcnt(0)
	v_fma_f64 v[84:85], v[84:85], v[88:89], -v[90:91]
	v_fma_f64 v[81:82], v[86:87], v[88:89], v[81:82]
	v_add_f64 v[1:2], v[1:2], v[84:85]
	v_add_f64 v[3:4], v[3:4], v[81:82]
	s_andn2_b32 exec_lo, exec_lo, s4
	s_cbranch_execnz .LBB35_280
; %bb.281:
	s_or_b32 exec_lo, exec_lo, s4
.LBB35_282:
	s_or_b32 exec_lo, exec_lo, s5
	v_mov_b32_e32 v11, 0
	s_mov_b32 s5, exec_lo
	s_or_b32 s45, 0, 8
	ds_read_b128 v[84:87], v11
	s_waitcnt lgkmcnt(0)
	v_mul_f64 v[11:12], v[3:4], v[86:87]
	v_mul_f64 v[81:82], v[1:2], v[86:87]
	v_fma_f64 v[11:12], v[1:2], v[84:85], -v[11:12]
	v_fma_f64 v[1:2], v[3:4], v[84:85], v[81:82]
	buffer_store_dword v12, off, s[0:3], 0 offset:4
	buffer_store_dword v11, off, s[0:3], 0
.LBB35_283:
	s_or_b32 exec_lo, exec_lo, s8
	s_and_b32 vcc_lo, exec_lo, s6
	s_cbranch_vccnz .LBB35_285
	s_branch .LBB35_560
.LBB35_284:
	s_mov_b32 s5, 0
                                        ; implicit-def: $vgpr1_vgpr2
                                        ; implicit-def: $sgpr45
	s_cbranch_execz .LBB35_560
.LBB35_285:
	v_mov_b32_e32 v4, s42
	v_cmp_eq_u32_e64 s4, 0, v0
	v_cndmask_b32_e64 v11, 0, 1, s44
	s_clause 0x3
	buffer_load_dword v1, v4, s[0:3], 0 offen
	buffer_load_dword v2, v4, s[0:3], 0 offen offset:4
	buffer_load_dword v3, v4, s[0:3], 0 offen offset:8
	;; [unrolled: 1-line block ×3, first 2 shown]
	s_waitcnt vmcnt(0)
	ds_write_b128 v10, v[1:4]
	s_waitcnt lgkmcnt(0)
	s_waitcnt_vscnt null, 0x0
	s_barrier
	buffer_gl0_inv
	s_and_saveexec_b32 s6, s4
	s_cbranch_execz .LBB35_289
; %bb.286:
	ds_read_b128 v[1:4], v10
	s_andn2_b32 vcc_lo, exec_lo, s44
	s_cbranch_vccnz .LBB35_288
; %bb.287:
	s_clause 0x3
	buffer_load_dword v81, v9, s[0:3], 0 offen offset:8
	buffer_load_dword v82, v9, s[0:3], 0 offen offset:12
	buffer_load_dword v84, v9, s[0:3], 0 offen
	buffer_load_dword v85, v9, s[0:3], 0 offen offset:4
	s_waitcnt vmcnt(2) lgkmcnt(0)
	v_mul_f64 v[86:87], v[3:4], v[81:82]
	v_mul_f64 v[81:82], v[1:2], v[81:82]
	s_waitcnt vmcnt(0)
	v_fma_f64 v[1:2], v[1:2], v[84:85], -v[86:87]
	v_fma_f64 v[3:4], v[3:4], v[84:85], v[81:82]
.LBB35_288:
	v_mov_b32_e32 v12, 0
	ds_read_b128 v[84:87], v12 offset:16
	s_waitcnt lgkmcnt(0)
	v_mul_f64 v[81:82], v[3:4], v[86:87]
	v_mul_f64 v[86:87], v[1:2], v[86:87]
	v_fma_f64 v[1:2], v[1:2], v[84:85], -v[81:82]
	v_fma_f64 v[3:4], v[3:4], v[84:85], v[86:87]
	buffer_store_dword v2, off, s[0:3], 0 offset:20
	buffer_store_dword v1, off, s[0:3], 0 offset:16
	;; [unrolled: 1-line block ×4, first 2 shown]
.LBB35_289:
	s_or_b32 exec_lo, exec_lo, s6
	v_mov_b32_e32 v4, s43
	s_mov_b32 s6, exec_lo
	s_clause 0x3
	buffer_load_dword v1, v4, s[0:3], 0 offen
	buffer_load_dword v2, v4, s[0:3], 0 offen offset:4
	buffer_load_dword v3, v4, s[0:3], 0 offen offset:8
	;; [unrolled: 1-line block ×3, first 2 shown]
	s_waitcnt vmcnt(0)
	ds_write_b128 v10, v[1:4]
	s_waitcnt lgkmcnt(0)
	s_waitcnt_vscnt null, 0x0
	s_barrier
	buffer_gl0_inv
	v_cmpx_gt_u32_e32 2, v0
	s_cbranch_execz .LBB35_295
; %bb.290:
	ds_read_b128 v[1:4], v10
	v_cmp_ne_u32_e32 vcc_lo, 1, v11
	s_cbranch_vccnz .LBB35_292
; %bb.291:
	s_clause 0x3
	buffer_load_dword v81, v9, s[0:3], 0 offen offset:8
	buffer_load_dword v82, v9, s[0:3], 0 offen offset:12
	buffer_load_dword v84, v9, s[0:3], 0 offen
	buffer_load_dword v85, v9, s[0:3], 0 offen offset:4
	s_waitcnt vmcnt(2) lgkmcnt(0)
	v_mul_f64 v[86:87], v[3:4], v[81:82]
	v_mul_f64 v[81:82], v[1:2], v[81:82]
	s_waitcnt vmcnt(0)
	v_fma_f64 v[1:2], v[1:2], v[84:85], -v[86:87]
	v_fma_f64 v[3:4], v[3:4], v[84:85], v[81:82]
.LBB35_292:
	s_and_saveexec_b32 s8, s4
	s_cbranch_execz .LBB35_294
; %bb.293:
	s_clause 0x3
	buffer_load_dword v81, off, s[0:3], 0 offset:24
	buffer_load_dword v82, off, s[0:3], 0 offset:28
	;; [unrolled: 1-line block ×4, first 2 shown]
	v_mov_b32_e32 v12, 0
	ds_read_b128 v[84:87], v12 offset:592
	s_waitcnt vmcnt(2) lgkmcnt(0)
	v_mul_f64 v[90:91], v[86:87], v[81:82]
	v_mul_f64 v[81:82], v[84:85], v[81:82]
	s_waitcnt vmcnt(0)
	v_fma_f64 v[84:85], v[84:85], v[88:89], -v[90:91]
	v_fma_f64 v[81:82], v[86:87], v[88:89], v[81:82]
	v_add_f64 v[1:2], v[1:2], v[84:85]
	v_add_f64 v[3:4], v[3:4], v[81:82]
.LBB35_294:
	s_or_b32 exec_lo, exec_lo, s8
	v_mov_b32_e32 v12, 0
	ds_read_b128 v[84:87], v12 offset:32
	s_waitcnt lgkmcnt(0)
	v_mul_f64 v[81:82], v[3:4], v[86:87]
	v_mul_f64 v[86:87], v[1:2], v[86:87]
	v_fma_f64 v[1:2], v[1:2], v[84:85], -v[81:82]
	v_fma_f64 v[3:4], v[3:4], v[84:85], v[86:87]
	buffer_store_dword v2, off, s[0:3], 0 offset:36
	buffer_store_dword v1, off, s[0:3], 0 offset:32
	;; [unrolled: 1-line block ×4, first 2 shown]
.LBB35_295:
	s_or_b32 exec_lo, exec_lo, s6
	v_mov_b32_e32 v4, s41
	s_mov_b32 s6, exec_lo
	s_clause 0x3
	buffer_load_dword v1, v4, s[0:3], 0 offen
	buffer_load_dword v2, v4, s[0:3], 0 offen offset:4
	buffer_load_dword v3, v4, s[0:3], 0 offen offset:8
	;; [unrolled: 1-line block ×3, first 2 shown]
	s_waitcnt vmcnt(0)
	ds_write_b128 v10, v[1:4]
	s_waitcnt lgkmcnt(0)
	s_waitcnt_vscnt null, 0x0
	s_barrier
	buffer_gl0_inv
	v_cmpx_gt_u32_e32 3, v0
	s_cbranch_execz .LBB35_303
; %bb.296:
	ds_read_b128 v[1:4], v10
	v_cmp_ne_u32_e32 vcc_lo, 1, v11
	s_cbranch_vccnz .LBB35_298
; %bb.297:
	s_clause 0x3
	buffer_load_dword v81, v9, s[0:3], 0 offen offset:8
	buffer_load_dword v82, v9, s[0:3], 0 offen offset:12
	buffer_load_dword v84, v9, s[0:3], 0 offen
	buffer_load_dword v85, v9, s[0:3], 0 offen offset:4
	s_waitcnt vmcnt(2) lgkmcnt(0)
	v_mul_f64 v[86:87], v[3:4], v[81:82]
	v_mul_f64 v[81:82], v[1:2], v[81:82]
	s_waitcnt vmcnt(0)
	v_fma_f64 v[1:2], v[1:2], v[84:85], -v[86:87]
	v_fma_f64 v[3:4], v[3:4], v[84:85], v[81:82]
.LBB35_298:
	s_mov_b32 s8, exec_lo
	v_cmpx_ne_u32_e32 2, v0
	s_cbranch_execz .LBB35_302
; %bb.299:
	s_clause 0x3
	buffer_load_dword v81, v9, s[0:3], 0 offen offset:24
	buffer_load_dword v82, v9, s[0:3], 0 offen offset:28
	;; [unrolled: 1-line block ×4, first 2 shown]
	ds_read_b128 v[84:87], v10 offset:16
	s_waitcnt vmcnt(2) lgkmcnt(0)
	v_mul_f64 v[90:91], v[86:87], v[81:82]
	v_mul_f64 v[81:82], v[84:85], v[81:82]
	s_waitcnt vmcnt(0)
	v_fma_f64 v[84:85], v[84:85], v[88:89], -v[90:91]
	v_fma_f64 v[81:82], v[86:87], v[88:89], v[81:82]
	v_add_f64 v[1:2], v[1:2], v[84:85]
	v_add_f64 v[3:4], v[3:4], v[81:82]
	s_and_saveexec_b32 s44, s4
	s_cbranch_execz .LBB35_301
; %bb.300:
	s_clause 0x3
	buffer_load_dword v81, off, s[0:3], 0 offset:40
	buffer_load_dword v82, off, s[0:3], 0 offset:44
	;; [unrolled: 1-line block ×4, first 2 shown]
	v_mov_b32_e32 v12, 0
	ds_read_b128 v[84:87], v12 offset:608
	s_waitcnt vmcnt(2) lgkmcnt(0)
	v_mul_f64 v[90:91], v[84:85], v[81:82]
	v_mul_f64 v[81:82], v[86:87], v[81:82]
	s_waitcnt vmcnt(0)
	v_fma_f64 v[86:87], v[86:87], v[88:89], v[90:91]
	v_fma_f64 v[81:82], v[84:85], v[88:89], -v[81:82]
	v_add_f64 v[3:4], v[3:4], v[86:87]
	v_add_f64 v[1:2], v[1:2], v[81:82]
.LBB35_301:
	s_or_b32 exec_lo, exec_lo, s44
.LBB35_302:
	s_or_b32 exec_lo, exec_lo, s8
	v_mov_b32_e32 v12, 0
	ds_read_b128 v[84:87], v12 offset:48
	s_waitcnt lgkmcnt(0)
	v_mul_f64 v[81:82], v[3:4], v[86:87]
	v_mul_f64 v[86:87], v[1:2], v[86:87]
	v_fma_f64 v[1:2], v[1:2], v[84:85], -v[81:82]
	v_fma_f64 v[3:4], v[3:4], v[84:85], v[86:87]
	buffer_store_dword v2, off, s[0:3], 0 offset:52
	buffer_store_dword v1, off, s[0:3], 0 offset:48
	;; [unrolled: 1-line block ×4, first 2 shown]
.LBB35_303:
	s_or_b32 exec_lo, exec_lo, s6
	v_mov_b32_e32 v4, s40
	s_mov_b32 s4, exec_lo
	s_clause 0x3
	buffer_load_dword v1, v4, s[0:3], 0 offen
	buffer_load_dword v2, v4, s[0:3], 0 offen offset:4
	buffer_load_dword v3, v4, s[0:3], 0 offen offset:8
	;; [unrolled: 1-line block ×3, first 2 shown]
	s_waitcnt vmcnt(0)
	ds_write_b128 v10, v[1:4]
	s_waitcnt lgkmcnt(0)
	s_waitcnt_vscnt null, 0x0
	s_barrier
	buffer_gl0_inv
	v_cmpx_gt_u32_e32 4, v0
	s_cbranch_execz .LBB35_311
; %bb.304:
	ds_read_b128 v[1:4], v10
	v_cmp_ne_u32_e32 vcc_lo, 1, v11
	s_cbranch_vccnz .LBB35_306
; %bb.305:
	s_clause 0x3
	buffer_load_dword v81, v9, s[0:3], 0 offen offset:8
	buffer_load_dword v82, v9, s[0:3], 0 offen offset:12
	buffer_load_dword v84, v9, s[0:3], 0 offen
	buffer_load_dword v85, v9, s[0:3], 0 offen offset:4
	s_waitcnt vmcnt(2) lgkmcnt(0)
	v_mul_f64 v[86:87], v[3:4], v[81:82]
	v_mul_f64 v[81:82], v[1:2], v[81:82]
	s_waitcnt vmcnt(0)
	v_fma_f64 v[1:2], v[1:2], v[84:85], -v[86:87]
	v_fma_f64 v[3:4], v[3:4], v[84:85], v[81:82]
.LBB35_306:
	s_mov_b32 s6, exec_lo
	v_cmpx_ne_u32_e32 3, v0
	s_cbranch_execz .LBB35_310
; %bb.307:
	v_add_nc_u32_e32 v12, 0x250, v83
	v_add3_u32 v81, 0, v83, 16
	v_mov_b32_e32 v82, v0
	s_mov_b32 s8, 0
	.p2align	6
.LBB35_308:                             ; =>This Inner Loop Header: Depth=1
	s_clause 0x3
	buffer_load_dword v88, v81, s[0:3], 0 offen offset:8
	buffer_load_dword v89, v81, s[0:3], 0 offen offset:12
	buffer_load_dword v90, v81, s[0:3], 0 offen
	buffer_load_dword v91, v81, s[0:3], 0 offen offset:4
	ds_read_b128 v[84:87], v12
	v_add_nc_u32_e32 v82, 1, v82
	v_add_nc_u32_e32 v12, 16, v12
	;; [unrolled: 1-line block ×3, first 2 shown]
	v_cmp_lt_u32_e32 vcc_lo, 2, v82
	s_or_b32 s8, vcc_lo, s8
	s_waitcnt vmcnt(2) lgkmcnt(0)
	v_mul_f64 v[92:93], v[86:87], v[88:89]
	v_mul_f64 v[88:89], v[84:85], v[88:89]
	s_waitcnt vmcnt(0)
	v_fma_f64 v[84:85], v[84:85], v[90:91], -v[92:93]
	v_fma_f64 v[86:87], v[86:87], v[90:91], v[88:89]
	v_add_f64 v[1:2], v[1:2], v[84:85]
	v_add_f64 v[3:4], v[3:4], v[86:87]
	s_andn2_b32 exec_lo, exec_lo, s8
	s_cbranch_execnz .LBB35_308
; %bb.309:
	s_or_b32 exec_lo, exec_lo, s8
.LBB35_310:
	s_or_b32 exec_lo, exec_lo, s6
	v_mov_b32_e32 v12, 0
	ds_read_b128 v[84:87], v12 offset:64
	s_waitcnt lgkmcnt(0)
	v_mul_f64 v[81:82], v[3:4], v[86:87]
	v_mul_f64 v[86:87], v[1:2], v[86:87]
	v_fma_f64 v[1:2], v[1:2], v[84:85], -v[81:82]
	v_fma_f64 v[3:4], v[3:4], v[84:85], v[86:87]
	buffer_store_dword v2, off, s[0:3], 0 offset:68
	buffer_store_dword v1, off, s[0:3], 0 offset:64
	;; [unrolled: 1-line block ×4, first 2 shown]
.LBB35_311:
	s_or_b32 exec_lo, exec_lo, s4
	v_mov_b32_e32 v4, s39
	s_mov_b32 s4, exec_lo
	s_clause 0x3
	buffer_load_dword v1, v4, s[0:3], 0 offen
	buffer_load_dword v2, v4, s[0:3], 0 offen offset:4
	buffer_load_dword v3, v4, s[0:3], 0 offen offset:8
	;; [unrolled: 1-line block ×3, first 2 shown]
	s_waitcnt vmcnt(0)
	ds_write_b128 v10, v[1:4]
	s_waitcnt lgkmcnt(0)
	s_waitcnt_vscnt null, 0x0
	s_barrier
	buffer_gl0_inv
	v_cmpx_gt_u32_e32 5, v0
	s_cbranch_execz .LBB35_319
; %bb.312:
	ds_read_b128 v[1:4], v10
	v_cmp_ne_u32_e32 vcc_lo, 1, v11
	s_cbranch_vccnz .LBB35_314
; %bb.313:
	s_clause 0x3
	buffer_load_dword v81, v9, s[0:3], 0 offen offset:8
	buffer_load_dword v82, v9, s[0:3], 0 offen offset:12
	buffer_load_dword v84, v9, s[0:3], 0 offen
	buffer_load_dword v85, v9, s[0:3], 0 offen offset:4
	s_waitcnt vmcnt(2) lgkmcnt(0)
	v_mul_f64 v[86:87], v[3:4], v[81:82]
	v_mul_f64 v[81:82], v[1:2], v[81:82]
	s_waitcnt vmcnt(0)
	v_fma_f64 v[1:2], v[1:2], v[84:85], -v[86:87]
	v_fma_f64 v[3:4], v[3:4], v[84:85], v[81:82]
.LBB35_314:
	s_mov_b32 s6, exec_lo
	v_cmpx_ne_u32_e32 4, v0
	s_cbranch_execz .LBB35_318
; %bb.315:
	v_add_nc_u32_e32 v12, 0x250, v83
	v_add3_u32 v81, 0, v83, 16
	v_mov_b32_e32 v82, v0
	s_mov_b32 s8, 0
	.p2align	6
.LBB35_316:                             ; =>This Inner Loop Header: Depth=1
	s_clause 0x3
	buffer_load_dword v88, v81, s[0:3], 0 offen offset:8
	buffer_load_dword v89, v81, s[0:3], 0 offen offset:12
	buffer_load_dword v90, v81, s[0:3], 0 offen
	buffer_load_dword v91, v81, s[0:3], 0 offen offset:4
	ds_read_b128 v[84:87], v12
	v_add_nc_u32_e32 v82, 1, v82
	v_add_nc_u32_e32 v12, 16, v12
	;; [unrolled: 1-line block ×3, first 2 shown]
	v_cmp_lt_u32_e32 vcc_lo, 3, v82
	s_or_b32 s8, vcc_lo, s8
	s_waitcnt vmcnt(2) lgkmcnt(0)
	v_mul_f64 v[92:93], v[86:87], v[88:89]
	v_mul_f64 v[88:89], v[84:85], v[88:89]
	s_waitcnt vmcnt(0)
	v_fma_f64 v[84:85], v[84:85], v[90:91], -v[92:93]
	v_fma_f64 v[86:87], v[86:87], v[90:91], v[88:89]
	v_add_f64 v[1:2], v[1:2], v[84:85]
	v_add_f64 v[3:4], v[3:4], v[86:87]
	s_andn2_b32 exec_lo, exec_lo, s8
	s_cbranch_execnz .LBB35_316
; %bb.317:
	s_or_b32 exec_lo, exec_lo, s8
.LBB35_318:
	s_or_b32 exec_lo, exec_lo, s6
	v_mov_b32_e32 v12, 0
	ds_read_b128 v[84:87], v12 offset:80
	s_waitcnt lgkmcnt(0)
	v_mul_f64 v[81:82], v[3:4], v[86:87]
	v_mul_f64 v[86:87], v[1:2], v[86:87]
	v_fma_f64 v[1:2], v[1:2], v[84:85], -v[81:82]
	v_fma_f64 v[3:4], v[3:4], v[84:85], v[86:87]
	buffer_store_dword v2, off, s[0:3], 0 offset:84
	buffer_store_dword v1, off, s[0:3], 0 offset:80
	;; [unrolled: 1-line block ×4, first 2 shown]
.LBB35_319:
	s_or_b32 exec_lo, exec_lo, s4
	v_mov_b32_e32 v4, s38
	s_mov_b32 s4, exec_lo
	s_clause 0x3
	buffer_load_dword v1, v4, s[0:3], 0 offen
	buffer_load_dword v2, v4, s[0:3], 0 offen offset:4
	buffer_load_dword v3, v4, s[0:3], 0 offen offset:8
	;; [unrolled: 1-line block ×3, first 2 shown]
	s_waitcnt vmcnt(0)
	ds_write_b128 v10, v[1:4]
	s_waitcnt lgkmcnt(0)
	s_waitcnt_vscnt null, 0x0
	s_barrier
	buffer_gl0_inv
	v_cmpx_gt_u32_e32 6, v0
	s_cbranch_execz .LBB35_327
; %bb.320:
	ds_read_b128 v[1:4], v10
	v_cmp_ne_u32_e32 vcc_lo, 1, v11
	s_cbranch_vccnz .LBB35_322
; %bb.321:
	s_clause 0x3
	buffer_load_dword v81, v9, s[0:3], 0 offen offset:8
	buffer_load_dword v82, v9, s[0:3], 0 offen offset:12
	buffer_load_dword v84, v9, s[0:3], 0 offen
	buffer_load_dword v85, v9, s[0:3], 0 offen offset:4
	s_waitcnt vmcnt(2) lgkmcnt(0)
	v_mul_f64 v[86:87], v[3:4], v[81:82]
	v_mul_f64 v[81:82], v[1:2], v[81:82]
	s_waitcnt vmcnt(0)
	v_fma_f64 v[1:2], v[1:2], v[84:85], -v[86:87]
	v_fma_f64 v[3:4], v[3:4], v[84:85], v[81:82]
.LBB35_322:
	s_mov_b32 s6, exec_lo
	v_cmpx_ne_u32_e32 5, v0
	s_cbranch_execz .LBB35_326
; %bb.323:
	v_add_nc_u32_e32 v12, 0x250, v83
	v_add3_u32 v81, 0, v83, 16
	v_mov_b32_e32 v82, v0
	s_mov_b32 s8, 0
	.p2align	6
.LBB35_324:                             ; =>This Inner Loop Header: Depth=1
	s_clause 0x3
	buffer_load_dword v88, v81, s[0:3], 0 offen offset:8
	buffer_load_dword v89, v81, s[0:3], 0 offen offset:12
	buffer_load_dword v90, v81, s[0:3], 0 offen
	buffer_load_dword v91, v81, s[0:3], 0 offen offset:4
	ds_read_b128 v[84:87], v12
	v_add_nc_u32_e32 v82, 1, v82
	v_add_nc_u32_e32 v12, 16, v12
	;; [unrolled: 1-line block ×3, first 2 shown]
	v_cmp_lt_u32_e32 vcc_lo, 4, v82
	s_or_b32 s8, vcc_lo, s8
	s_waitcnt vmcnt(2) lgkmcnt(0)
	v_mul_f64 v[92:93], v[86:87], v[88:89]
	v_mul_f64 v[88:89], v[84:85], v[88:89]
	s_waitcnt vmcnt(0)
	v_fma_f64 v[84:85], v[84:85], v[90:91], -v[92:93]
	v_fma_f64 v[86:87], v[86:87], v[90:91], v[88:89]
	v_add_f64 v[1:2], v[1:2], v[84:85]
	v_add_f64 v[3:4], v[3:4], v[86:87]
	s_andn2_b32 exec_lo, exec_lo, s8
	s_cbranch_execnz .LBB35_324
; %bb.325:
	s_or_b32 exec_lo, exec_lo, s8
.LBB35_326:
	s_or_b32 exec_lo, exec_lo, s6
	v_mov_b32_e32 v12, 0
	ds_read_b128 v[84:87], v12 offset:96
	s_waitcnt lgkmcnt(0)
	v_mul_f64 v[81:82], v[3:4], v[86:87]
	v_mul_f64 v[86:87], v[1:2], v[86:87]
	v_fma_f64 v[1:2], v[1:2], v[84:85], -v[81:82]
	v_fma_f64 v[3:4], v[3:4], v[84:85], v[86:87]
	buffer_store_dword v2, off, s[0:3], 0 offset:100
	buffer_store_dword v1, off, s[0:3], 0 offset:96
	;; [unrolled: 1-line block ×4, first 2 shown]
.LBB35_327:
	s_or_b32 exec_lo, exec_lo, s4
	v_mov_b32_e32 v4, s37
	s_mov_b32 s4, exec_lo
	s_clause 0x3
	buffer_load_dword v1, v4, s[0:3], 0 offen
	buffer_load_dword v2, v4, s[0:3], 0 offen offset:4
	buffer_load_dword v3, v4, s[0:3], 0 offen offset:8
	;; [unrolled: 1-line block ×3, first 2 shown]
	s_waitcnt vmcnt(0)
	ds_write_b128 v10, v[1:4]
	s_waitcnt lgkmcnt(0)
	s_waitcnt_vscnt null, 0x0
	s_barrier
	buffer_gl0_inv
	v_cmpx_gt_u32_e32 7, v0
	s_cbranch_execz .LBB35_335
; %bb.328:
	ds_read_b128 v[1:4], v10
	v_cmp_ne_u32_e32 vcc_lo, 1, v11
	s_cbranch_vccnz .LBB35_330
; %bb.329:
	s_clause 0x3
	buffer_load_dword v81, v9, s[0:3], 0 offen offset:8
	buffer_load_dword v82, v9, s[0:3], 0 offen offset:12
	buffer_load_dword v84, v9, s[0:3], 0 offen
	buffer_load_dword v85, v9, s[0:3], 0 offen offset:4
	s_waitcnt vmcnt(2) lgkmcnt(0)
	v_mul_f64 v[86:87], v[3:4], v[81:82]
	v_mul_f64 v[81:82], v[1:2], v[81:82]
	s_waitcnt vmcnt(0)
	v_fma_f64 v[1:2], v[1:2], v[84:85], -v[86:87]
	v_fma_f64 v[3:4], v[3:4], v[84:85], v[81:82]
.LBB35_330:
	s_mov_b32 s6, exec_lo
	v_cmpx_ne_u32_e32 6, v0
	s_cbranch_execz .LBB35_334
; %bb.331:
	v_add_nc_u32_e32 v12, 0x250, v83
	v_add3_u32 v81, 0, v83, 16
	v_mov_b32_e32 v82, v0
	s_mov_b32 s8, 0
	.p2align	6
.LBB35_332:                             ; =>This Inner Loop Header: Depth=1
	s_clause 0x3
	buffer_load_dword v88, v81, s[0:3], 0 offen offset:8
	buffer_load_dword v89, v81, s[0:3], 0 offen offset:12
	buffer_load_dword v90, v81, s[0:3], 0 offen
	buffer_load_dword v91, v81, s[0:3], 0 offen offset:4
	ds_read_b128 v[84:87], v12
	v_add_nc_u32_e32 v82, 1, v82
	v_add_nc_u32_e32 v12, 16, v12
	;; [unrolled: 1-line block ×3, first 2 shown]
	v_cmp_lt_u32_e32 vcc_lo, 5, v82
	s_or_b32 s8, vcc_lo, s8
	s_waitcnt vmcnt(2) lgkmcnt(0)
	v_mul_f64 v[92:93], v[86:87], v[88:89]
	v_mul_f64 v[88:89], v[84:85], v[88:89]
	s_waitcnt vmcnt(0)
	v_fma_f64 v[84:85], v[84:85], v[90:91], -v[92:93]
	v_fma_f64 v[86:87], v[86:87], v[90:91], v[88:89]
	v_add_f64 v[1:2], v[1:2], v[84:85]
	v_add_f64 v[3:4], v[3:4], v[86:87]
	s_andn2_b32 exec_lo, exec_lo, s8
	s_cbranch_execnz .LBB35_332
; %bb.333:
	s_or_b32 exec_lo, exec_lo, s8
.LBB35_334:
	s_or_b32 exec_lo, exec_lo, s6
	v_mov_b32_e32 v12, 0
	ds_read_b128 v[84:87], v12 offset:112
	s_waitcnt lgkmcnt(0)
	v_mul_f64 v[81:82], v[3:4], v[86:87]
	v_mul_f64 v[86:87], v[1:2], v[86:87]
	v_fma_f64 v[1:2], v[1:2], v[84:85], -v[81:82]
	v_fma_f64 v[3:4], v[3:4], v[84:85], v[86:87]
	buffer_store_dword v2, off, s[0:3], 0 offset:116
	buffer_store_dword v1, off, s[0:3], 0 offset:112
	;; [unrolled: 1-line block ×4, first 2 shown]
.LBB35_335:
	s_or_b32 exec_lo, exec_lo, s4
	v_mov_b32_e32 v4, s36
	s_mov_b32 s4, exec_lo
	s_clause 0x3
	buffer_load_dword v1, v4, s[0:3], 0 offen
	buffer_load_dword v2, v4, s[0:3], 0 offen offset:4
	buffer_load_dword v3, v4, s[0:3], 0 offen offset:8
	;; [unrolled: 1-line block ×3, first 2 shown]
	s_waitcnt vmcnt(0)
	ds_write_b128 v10, v[1:4]
	s_waitcnt lgkmcnt(0)
	s_waitcnt_vscnt null, 0x0
	s_barrier
	buffer_gl0_inv
	v_cmpx_gt_u32_e32 8, v0
	s_cbranch_execz .LBB35_343
; %bb.336:
	ds_read_b128 v[1:4], v10
	v_cmp_ne_u32_e32 vcc_lo, 1, v11
	s_cbranch_vccnz .LBB35_338
; %bb.337:
	s_clause 0x3
	buffer_load_dword v81, v9, s[0:3], 0 offen offset:8
	buffer_load_dword v82, v9, s[0:3], 0 offen offset:12
	buffer_load_dword v84, v9, s[0:3], 0 offen
	buffer_load_dword v85, v9, s[0:3], 0 offen offset:4
	s_waitcnt vmcnt(2) lgkmcnt(0)
	v_mul_f64 v[86:87], v[3:4], v[81:82]
	v_mul_f64 v[81:82], v[1:2], v[81:82]
	s_waitcnt vmcnt(0)
	v_fma_f64 v[1:2], v[1:2], v[84:85], -v[86:87]
	v_fma_f64 v[3:4], v[3:4], v[84:85], v[81:82]
.LBB35_338:
	s_mov_b32 s6, exec_lo
	v_cmpx_ne_u32_e32 7, v0
	s_cbranch_execz .LBB35_342
; %bb.339:
	v_add_nc_u32_e32 v12, 0x250, v83
	v_add3_u32 v81, 0, v83, 16
	v_mov_b32_e32 v82, v0
	s_mov_b32 s8, 0
	.p2align	6
.LBB35_340:                             ; =>This Inner Loop Header: Depth=1
	s_clause 0x3
	buffer_load_dword v88, v81, s[0:3], 0 offen offset:8
	buffer_load_dword v89, v81, s[0:3], 0 offen offset:12
	buffer_load_dword v90, v81, s[0:3], 0 offen
	buffer_load_dword v91, v81, s[0:3], 0 offen offset:4
	ds_read_b128 v[84:87], v12
	v_add_nc_u32_e32 v82, 1, v82
	v_add_nc_u32_e32 v12, 16, v12
	v_add_nc_u32_e32 v81, 16, v81
	v_cmp_lt_u32_e32 vcc_lo, 6, v82
	s_or_b32 s8, vcc_lo, s8
	s_waitcnt vmcnt(2) lgkmcnt(0)
	v_mul_f64 v[92:93], v[86:87], v[88:89]
	v_mul_f64 v[88:89], v[84:85], v[88:89]
	s_waitcnt vmcnt(0)
	v_fma_f64 v[84:85], v[84:85], v[90:91], -v[92:93]
	v_fma_f64 v[86:87], v[86:87], v[90:91], v[88:89]
	v_add_f64 v[1:2], v[1:2], v[84:85]
	v_add_f64 v[3:4], v[3:4], v[86:87]
	s_andn2_b32 exec_lo, exec_lo, s8
	s_cbranch_execnz .LBB35_340
; %bb.341:
	s_or_b32 exec_lo, exec_lo, s8
.LBB35_342:
	s_or_b32 exec_lo, exec_lo, s6
	v_mov_b32_e32 v12, 0
	ds_read_b128 v[84:87], v12 offset:128
	s_waitcnt lgkmcnt(0)
	v_mul_f64 v[81:82], v[3:4], v[86:87]
	v_mul_f64 v[86:87], v[1:2], v[86:87]
	v_fma_f64 v[1:2], v[1:2], v[84:85], -v[81:82]
	v_fma_f64 v[3:4], v[3:4], v[84:85], v[86:87]
	buffer_store_dword v2, off, s[0:3], 0 offset:132
	buffer_store_dword v1, off, s[0:3], 0 offset:128
	;; [unrolled: 1-line block ×4, first 2 shown]
.LBB35_343:
	s_or_b32 exec_lo, exec_lo, s4
	v_mov_b32_e32 v4, s35
	s_mov_b32 s4, exec_lo
	s_clause 0x3
	buffer_load_dword v1, v4, s[0:3], 0 offen
	buffer_load_dword v2, v4, s[0:3], 0 offen offset:4
	buffer_load_dword v3, v4, s[0:3], 0 offen offset:8
	;; [unrolled: 1-line block ×3, first 2 shown]
	s_waitcnt vmcnt(0)
	ds_write_b128 v10, v[1:4]
	s_waitcnt lgkmcnt(0)
	s_waitcnt_vscnt null, 0x0
	s_barrier
	buffer_gl0_inv
	v_cmpx_gt_u32_e32 9, v0
	s_cbranch_execz .LBB35_351
; %bb.344:
	ds_read_b128 v[1:4], v10
	v_cmp_ne_u32_e32 vcc_lo, 1, v11
	s_cbranch_vccnz .LBB35_346
; %bb.345:
	s_clause 0x3
	buffer_load_dword v81, v9, s[0:3], 0 offen offset:8
	buffer_load_dword v82, v9, s[0:3], 0 offen offset:12
	buffer_load_dword v84, v9, s[0:3], 0 offen
	buffer_load_dword v85, v9, s[0:3], 0 offen offset:4
	s_waitcnt vmcnt(2) lgkmcnt(0)
	v_mul_f64 v[86:87], v[3:4], v[81:82]
	v_mul_f64 v[81:82], v[1:2], v[81:82]
	s_waitcnt vmcnt(0)
	v_fma_f64 v[1:2], v[1:2], v[84:85], -v[86:87]
	v_fma_f64 v[3:4], v[3:4], v[84:85], v[81:82]
.LBB35_346:
	s_mov_b32 s6, exec_lo
	v_cmpx_ne_u32_e32 8, v0
	s_cbranch_execz .LBB35_350
; %bb.347:
	v_add_nc_u32_e32 v12, 0x250, v83
	v_add3_u32 v81, 0, v83, 16
	v_mov_b32_e32 v82, v0
	s_mov_b32 s8, 0
	.p2align	6
.LBB35_348:                             ; =>This Inner Loop Header: Depth=1
	s_clause 0x3
	buffer_load_dword v88, v81, s[0:3], 0 offen offset:8
	buffer_load_dword v89, v81, s[0:3], 0 offen offset:12
	buffer_load_dword v90, v81, s[0:3], 0 offen
	buffer_load_dword v91, v81, s[0:3], 0 offen offset:4
	ds_read_b128 v[84:87], v12
	v_add_nc_u32_e32 v82, 1, v82
	v_add_nc_u32_e32 v12, 16, v12
	;; [unrolled: 1-line block ×3, first 2 shown]
	v_cmp_lt_u32_e32 vcc_lo, 7, v82
	s_or_b32 s8, vcc_lo, s8
	s_waitcnt vmcnt(2) lgkmcnt(0)
	v_mul_f64 v[92:93], v[86:87], v[88:89]
	v_mul_f64 v[88:89], v[84:85], v[88:89]
	s_waitcnt vmcnt(0)
	v_fma_f64 v[84:85], v[84:85], v[90:91], -v[92:93]
	v_fma_f64 v[86:87], v[86:87], v[90:91], v[88:89]
	v_add_f64 v[1:2], v[1:2], v[84:85]
	v_add_f64 v[3:4], v[3:4], v[86:87]
	s_andn2_b32 exec_lo, exec_lo, s8
	s_cbranch_execnz .LBB35_348
; %bb.349:
	s_or_b32 exec_lo, exec_lo, s8
.LBB35_350:
	s_or_b32 exec_lo, exec_lo, s6
	v_mov_b32_e32 v12, 0
	ds_read_b128 v[84:87], v12 offset:144
	s_waitcnt lgkmcnt(0)
	v_mul_f64 v[81:82], v[3:4], v[86:87]
	v_mul_f64 v[86:87], v[1:2], v[86:87]
	v_fma_f64 v[1:2], v[1:2], v[84:85], -v[81:82]
	v_fma_f64 v[3:4], v[3:4], v[84:85], v[86:87]
	buffer_store_dword v2, off, s[0:3], 0 offset:148
	buffer_store_dword v1, off, s[0:3], 0 offset:144
	;; [unrolled: 1-line block ×4, first 2 shown]
.LBB35_351:
	s_or_b32 exec_lo, exec_lo, s4
	v_mov_b32_e32 v4, s34
	s_mov_b32 s4, exec_lo
	s_clause 0x3
	buffer_load_dword v1, v4, s[0:3], 0 offen
	buffer_load_dword v2, v4, s[0:3], 0 offen offset:4
	buffer_load_dword v3, v4, s[0:3], 0 offen offset:8
	;; [unrolled: 1-line block ×3, first 2 shown]
	s_waitcnt vmcnt(0)
	ds_write_b128 v10, v[1:4]
	s_waitcnt lgkmcnt(0)
	s_waitcnt_vscnt null, 0x0
	s_barrier
	buffer_gl0_inv
	v_cmpx_gt_u32_e32 10, v0
	s_cbranch_execz .LBB35_359
; %bb.352:
	ds_read_b128 v[1:4], v10
	v_cmp_ne_u32_e32 vcc_lo, 1, v11
	s_cbranch_vccnz .LBB35_354
; %bb.353:
	s_clause 0x3
	buffer_load_dword v81, v9, s[0:3], 0 offen offset:8
	buffer_load_dword v82, v9, s[0:3], 0 offen offset:12
	buffer_load_dword v84, v9, s[0:3], 0 offen
	buffer_load_dword v85, v9, s[0:3], 0 offen offset:4
	s_waitcnt vmcnt(2) lgkmcnt(0)
	v_mul_f64 v[86:87], v[3:4], v[81:82]
	v_mul_f64 v[81:82], v[1:2], v[81:82]
	s_waitcnt vmcnt(0)
	v_fma_f64 v[1:2], v[1:2], v[84:85], -v[86:87]
	v_fma_f64 v[3:4], v[3:4], v[84:85], v[81:82]
.LBB35_354:
	s_mov_b32 s6, exec_lo
	v_cmpx_ne_u32_e32 9, v0
	s_cbranch_execz .LBB35_358
; %bb.355:
	v_add_nc_u32_e32 v12, 0x250, v83
	v_add3_u32 v81, 0, v83, 16
	v_mov_b32_e32 v82, v0
	s_mov_b32 s8, 0
	.p2align	6
.LBB35_356:                             ; =>This Inner Loop Header: Depth=1
	s_clause 0x3
	buffer_load_dword v88, v81, s[0:3], 0 offen offset:8
	buffer_load_dword v89, v81, s[0:3], 0 offen offset:12
	buffer_load_dword v90, v81, s[0:3], 0 offen
	buffer_load_dword v91, v81, s[0:3], 0 offen offset:4
	ds_read_b128 v[84:87], v12
	v_add_nc_u32_e32 v82, 1, v82
	v_add_nc_u32_e32 v12, 16, v12
	;; [unrolled: 1-line block ×3, first 2 shown]
	v_cmp_lt_u32_e32 vcc_lo, 8, v82
	s_or_b32 s8, vcc_lo, s8
	s_waitcnt vmcnt(2) lgkmcnt(0)
	v_mul_f64 v[92:93], v[86:87], v[88:89]
	v_mul_f64 v[88:89], v[84:85], v[88:89]
	s_waitcnt vmcnt(0)
	v_fma_f64 v[84:85], v[84:85], v[90:91], -v[92:93]
	v_fma_f64 v[86:87], v[86:87], v[90:91], v[88:89]
	v_add_f64 v[1:2], v[1:2], v[84:85]
	v_add_f64 v[3:4], v[3:4], v[86:87]
	s_andn2_b32 exec_lo, exec_lo, s8
	s_cbranch_execnz .LBB35_356
; %bb.357:
	s_or_b32 exec_lo, exec_lo, s8
.LBB35_358:
	s_or_b32 exec_lo, exec_lo, s6
	v_mov_b32_e32 v12, 0
	ds_read_b128 v[84:87], v12 offset:160
	s_waitcnt lgkmcnt(0)
	v_mul_f64 v[81:82], v[3:4], v[86:87]
	v_mul_f64 v[86:87], v[1:2], v[86:87]
	v_fma_f64 v[1:2], v[1:2], v[84:85], -v[81:82]
	v_fma_f64 v[3:4], v[3:4], v[84:85], v[86:87]
	buffer_store_dword v2, off, s[0:3], 0 offset:164
	buffer_store_dword v1, off, s[0:3], 0 offset:160
	;; [unrolled: 1-line block ×4, first 2 shown]
.LBB35_359:
	s_or_b32 exec_lo, exec_lo, s4
	v_mov_b32_e32 v4, s33
	s_mov_b32 s4, exec_lo
	s_clause 0x3
	buffer_load_dword v1, v4, s[0:3], 0 offen
	buffer_load_dword v2, v4, s[0:3], 0 offen offset:4
	buffer_load_dword v3, v4, s[0:3], 0 offen offset:8
	;; [unrolled: 1-line block ×3, first 2 shown]
	s_waitcnt vmcnt(0)
	ds_write_b128 v10, v[1:4]
	s_waitcnt lgkmcnt(0)
	s_waitcnt_vscnt null, 0x0
	s_barrier
	buffer_gl0_inv
	v_cmpx_gt_u32_e32 11, v0
	s_cbranch_execz .LBB35_367
; %bb.360:
	ds_read_b128 v[1:4], v10
	v_cmp_ne_u32_e32 vcc_lo, 1, v11
	s_cbranch_vccnz .LBB35_362
; %bb.361:
	s_clause 0x3
	buffer_load_dword v81, v9, s[0:3], 0 offen offset:8
	buffer_load_dword v82, v9, s[0:3], 0 offen offset:12
	buffer_load_dword v84, v9, s[0:3], 0 offen
	buffer_load_dword v85, v9, s[0:3], 0 offen offset:4
	s_waitcnt vmcnt(2) lgkmcnt(0)
	v_mul_f64 v[86:87], v[3:4], v[81:82]
	v_mul_f64 v[81:82], v[1:2], v[81:82]
	s_waitcnt vmcnt(0)
	v_fma_f64 v[1:2], v[1:2], v[84:85], -v[86:87]
	v_fma_f64 v[3:4], v[3:4], v[84:85], v[81:82]
.LBB35_362:
	s_mov_b32 s6, exec_lo
	v_cmpx_ne_u32_e32 10, v0
	s_cbranch_execz .LBB35_366
; %bb.363:
	v_add_nc_u32_e32 v12, 0x250, v83
	v_add3_u32 v81, 0, v83, 16
	v_mov_b32_e32 v82, v0
	s_mov_b32 s8, 0
	.p2align	6
.LBB35_364:                             ; =>This Inner Loop Header: Depth=1
	s_clause 0x3
	buffer_load_dword v88, v81, s[0:3], 0 offen offset:8
	buffer_load_dword v89, v81, s[0:3], 0 offen offset:12
	buffer_load_dword v90, v81, s[0:3], 0 offen
	buffer_load_dword v91, v81, s[0:3], 0 offen offset:4
	ds_read_b128 v[84:87], v12
	v_add_nc_u32_e32 v82, 1, v82
	v_add_nc_u32_e32 v12, 16, v12
	;; [unrolled: 1-line block ×3, first 2 shown]
	v_cmp_lt_u32_e32 vcc_lo, 9, v82
	s_or_b32 s8, vcc_lo, s8
	s_waitcnt vmcnt(2) lgkmcnt(0)
	v_mul_f64 v[92:93], v[86:87], v[88:89]
	v_mul_f64 v[88:89], v[84:85], v[88:89]
	s_waitcnt vmcnt(0)
	v_fma_f64 v[84:85], v[84:85], v[90:91], -v[92:93]
	v_fma_f64 v[86:87], v[86:87], v[90:91], v[88:89]
	v_add_f64 v[1:2], v[1:2], v[84:85]
	v_add_f64 v[3:4], v[3:4], v[86:87]
	s_andn2_b32 exec_lo, exec_lo, s8
	s_cbranch_execnz .LBB35_364
; %bb.365:
	s_or_b32 exec_lo, exec_lo, s8
.LBB35_366:
	s_or_b32 exec_lo, exec_lo, s6
	v_mov_b32_e32 v12, 0
	ds_read_b128 v[84:87], v12 offset:176
	s_waitcnt lgkmcnt(0)
	v_mul_f64 v[81:82], v[3:4], v[86:87]
	v_mul_f64 v[86:87], v[1:2], v[86:87]
	v_fma_f64 v[1:2], v[1:2], v[84:85], -v[81:82]
	v_fma_f64 v[3:4], v[3:4], v[84:85], v[86:87]
	buffer_store_dword v2, off, s[0:3], 0 offset:180
	buffer_store_dword v1, off, s[0:3], 0 offset:176
	;; [unrolled: 1-line block ×4, first 2 shown]
.LBB35_367:
	s_or_b32 exec_lo, exec_lo, s4
	v_mov_b32_e32 v4, s31
	s_mov_b32 s4, exec_lo
	s_clause 0x3
	buffer_load_dword v1, v4, s[0:3], 0 offen
	buffer_load_dword v2, v4, s[0:3], 0 offen offset:4
	buffer_load_dword v3, v4, s[0:3], 0 offen offset:8
	;; [unrolled: 1-line block ×3, first 2 shown]
	s_waitcnt vmcnt(0)
	ds_write_b128 v10, v[1:4]
	s_waitcnt lgkmcnt(0)
	s_waitcnt_vscnt null, 0x0
	s_barrier
	buffer_gl0_inv
	v_cmpx_gt_u32_e32 12, v0
	s_cbranch_execz .LBB35_375
; %bb.368:
	ds_read_b128 v[1:4], v10
	v_cmp_ne_u32_e32 vcc_lo, 1, v11
	s_cbranch_vccnz .LBB35_370
; %bb.369:
	s_clause 0x3
	buffer_load_dword v81, v9, s[0:3], 0 offen offset:8
	buffer_load_dword v82, v9, s[0:3], 0 offen offset:12
	buffer_load_dword v84, v9, s[0:3], 0 offen
	buffer_load_dword v85, v9, s[0:3], 0 offen offset:4
	s_waitcnt vmcnt(2) lgkmcnt(0)
	v_mul_f64 v[86:87], v[3:4], v[81:82]
	v_mul_f64 v[81:82], v[1:2], v[81:82]
	s_waitcnt vmcnt(0)
	v_fma_f64 v[1:2], v[1:2], v[84:85], -v[86:87]
	v_fma_f64 v[3:4], v[3:4], v[84:85], v[81:82]
.LBB35_370:
	s_mov_b32 s6, exec_lo
	v_cmpx_ne_u32_e32 11, v0
	s_cbranch_execz .LBB35_374
; %bb.371:
	v_add_nc_u32_e32 v12, 0x250, v83
	v_add3_u32 v81, 0, v83, 16
	v_mov_b32_e32 v82, v0
	s_mov_b32 s8, 0
	.p2align	6
.LBB35_372:                             ; =>This Inner Loop Header: Depth=1
	s_clause 0x3
	buffer_load_dword v88, v81, s[0:3], 0 offen offset:8
	buffer_load_dword v89, v81, s[0:3], 0 offen offset:12
	buffer_load_dword v90, v81, s[0:3], 0 offen
	buffer_load_dword v91, v81, s[0:3], 0 offen offset:4
	ds_read_b128 v[84:87], v12
	v_add_nc_u32_e32 v82, 1, v82
	v_add_nc_u32_e32 v12, 16, v12
	v_add_nc_u32_e32 v81, 16, v81
	v_cmp_lt_u32_e32 vcc_lo, 10, v82
	s_or_b32 s8, vcc_lo, s8
	s_waitcnt vmcnt(2) lgkmcnt(0)
	v_mul_f64 v[92:93], v[86:87], v[88:89]
	v_mul_f64 v[88:89], v[84:85], v[88:89]
	s_waitcnt vmcnt(0)
	v_fma_f64 v[84:85], v[84:85], v[90:91], -v[92:93]
	v_fma_f64 v[86:87], v[86:87], v[90:91], v[88:89]
	v_add_f64 v[1:2], v[1:2], v[84:85]
	v_add_f64 v[3:4], v[3:4], v[86:87]
	s_andn2_b32 exec_lo, exec_lo, s8
	s_cbranch_execnz .LBB35_372
; %bb.373:
	s_or_b32 exec_lo, exec_lo, s8
.LBB35_374:
	s_or_b32 exec_lo, exec_lo, s6
	v_mov_b32_e32 v12, 0
	ds_read_b128 v[84:87], v12 offset:192
	s_waitcnt lgkmcnt(0)
	v_mul_f64 v[81:82], v[3:4], v[86:87]
	v_mul_f64 v[86:87], v[1:2], v[86:87]
	v_fma_f64 v[1:2], v[1:2], v[84:85], -v[81:82]
	v_fma_f64 v[3:4], v[3:4], v[84:85], v[86:87]
	buffer_store_dword v2, off, s[0:3], 0 offset:196
	buffer_store_dword v1, off, s[0:3], 0 offset:192
	;; [unrolled: 1-line block ×4, first 2 shown]
.LBB35_375:
	s_or_b32 exec_lo, exec_lo, s4
	v_mov_b32_e32 v4, s30
	s_mov_b32 s4, exec_lo
	s_clause 0x3
	buffer_load_dword v1, v4, s[0:3], 0 offen
	buffer_load_dword v2, v4, s[0:3], 0 offen offset:4
	buffer_load_dword v3, v4, s[0:3], 0 offen offset:8
	;; [unrolled: 1-line block ×3, first 2 shown]
	s_waitcnt vmcnt(0)
	ds_write_b128 v10, v[1:4]
	s_waitcnt lgkmcnt(0)
	s_waitcnt_vscnt null, 0x0
	s_barrier
	buffer_gl0_inv
	v_cmpx_gt_u32_e32 13, v0
	s_cbranch_execz .LBB35_383
; %bb.376:
	ds_read_b128 v[1:4], v10
	v_cmp_ne_u32_e32 vcc_lo, 1, v11
	s_cbranch_vccnz .LBB35_378
; %bb.377:
	s_clause 0x3
	buffer_load_dword v81, v9, s[0:3], 0 offen offset:8
	buffer_load_dword v82, v9, s[0:3], 0 offen offset:12
	buffer_load_dword v84, v9, s[0:3], 0 offen
	buffer_load_dword v85, v9, s[0:3], 0 offen offset:4
	s_waitcnt vmcnt(2) lgkmcnt(0)
	v_mul_f64 v[86:87], v[3:4], v[81:82]
	v_mul_f64 v[81:82], v[1:2], v[81:82]
	s_waitcnt vmcnt(0)
	v_fma_f64 v[1:2], v[1:2], v[84:85], -v[86:87]
	v_fma_f64 v[3:4], v[3:4], v[84:85], v[81:82]
.LBB35_378:
	s_mov_b32 s6, exec_lo
	v_cmpx_ne_u32_e32 12, v0
	s_cbranch_execz .LBB35_382
; %bb.379:
	v_add_nc_u32_e32 v12, 0x250, v83
	v_add3_u32 v81, 0, v83, 16
	v_mov_b32_e32 v82, v0
	s_mov_b32 s8, 0
	.p2align	6
.LBB35_380:                             ; =>This Inner Loop Header: Depth=1
	s_clause 0x3
	buffer_load_dword v88, v81, s[0:3], 0 offen offset:8
	buffer_load_dword v89, v81, s[0:3], 0 offen offset:12
	buffer_load_dword v90, v81, s[0:3], 0 offen
	buffer_load_dword v91, v81, s[0:3], 0 offen offset:4
	ds_read_b128 v[84:87], v12
	v_add_nc_u32_e32 v82, 1, v82
	v_add_nc_u32_e32 v12, 16, v12
	;; [unrolled: 1-line block ×3, first 2 shown]
	v_cmp_lt_u32_e32 vcc_lo, 11, v82
	s_or_b32 s8, vcc_lo, s8
	s_waitcnt vmcnt(2) lgkmcnt(0)
	v_mul_f64 v[92:93], v[86:87], v[88:89]
	v_mul_f64 v[88:89], v[84:85], v[88:89]
	s_waitcnt vmcnt(0)
	v_fma_f64 v[84:85], v[84:85], v[90:91], -v[92:93]
	v_fma_f64 v[86:87], v[86:87], v[90:91], v[88:89]
	v_add_f64 v[1:2], v[1:2], v[84:85]
	v_add_f64 v[3:4], v[3:4], v[86:87]
	s_andn2_b32 exec_lo, exec_lo, s8
	s_cbranch_execnz .LBB35_380
; %bb.381:
	s_or_b32 exec_lo, exec_lo, s8
.LBB35_382:
	s_or_b32 exec_lo, exec_lo, s6
	v_mov_b32_e32 v12, 0
	ds_read_b128 v[84:87], v12 offset:208
	s_waitcnt lgkmcnt(0)
	v_mul_f64 v[81:82], v[3:4], v[86:87]
	v_mul_f64 v[86:87], v[1:2], v[86:87]
	v_fma_f64 v[1:2], v[1:2], v[84:85], -v[81:82]
	v_fma_f64 v[3:4], v[3:4], v[84:85], v[86:87]
	buffer_store_dword v2, off, s[0:3], 0 offset:212
	buffer_store_dword v1, off, s[0:3], 0 offset:208
	;; [unrolled: 1-line block ×4, first 2 shown]
.LBB35_383:
	s_or_b32 exec_lo, exec_lo, s4
	v_mov_b32_e32 v4, s29
	s_mov_b32 s4, exec_lo
	s_clause 0x3
	buffer_load_dword v1, v4, s[0:3], 0 offen
	buffer_load_dword v2, v4, s[0:3], 0 offen offset:4
	buffer_load_dword v3, v4, s[0:3], 0 offen offset:8
	;; [unrolled: 1-line block ×3, first 2 shown]
	s_waitcnt vmcnt(0)
	ds_write_b128 v10, v[1:4]
	s_waitcnt lgkmcnt(0)
	s_waitcnt_vscnt null, 0x0
	s_barrier
	buffer_gl0_inv
	v_cmpx_gt_u32_e32 14, v0
	s_cbranch_execz .LBB35_391
; %bb.384:
	ds_read_b128 v[1:4], v10
	v_cmp_ne_u32_e32 vcc_lo, 1, v11
	s_cbranch_vccnz .LBB35_386
; %bb.385:
	s_clause 0x3
	buffer_load_dword v81, v9, s[0:3], 0 offen offset:8
	buffer_load_dword v82, v9, s[0:3], 0 offen offset:12
	buffer_load_dword v84, v9, s[0:3], 0 offen
	buffer_load_dword v85, v9, s[0:3], 0 offen offset:4
	s_waitcnt vmcnt(2) lgkmcnt(0)
	v_mul_f64 v[86:87], v[3:4], v[81:82]
	v_mul_f64 v[81:82], v[1:2], v[81:82]
	s_waitcnt vmcnt(0)
	v_fma_f64 v[1:2], v[1:2], v[84:85], -v[86:87]
	v_fma_f64 v[3:4], v[3:4], v[84:85], v[81:82]
.LBB35_386:
	s_mov_b32 s6, exec_lo
	v_cmpx_ne_u32_e32 13, v0
	s_cbranch_execz .LBB35_390
; %bb.387:
	v_add_nc_u32_e32 v12, 0x250, v83
	v_add3_u32 v81, 0, v83, 16
	v_mov_b32_e32 v82, v0
	s_mov_b32 s8, 0
	.p2align	6
.LBB35_388:                             ; =>This Inner Loop Header: Depth=1
	s_clause 0x3
	buffer_load_dword v88, v81, s[0:3], 0 offen offset:8
	buffer_load_dword v89, v81, s[0:3], 0 offen offset:12
	buffer_load_dword v90, v81, s[0:3], 0 offen
	buffer_load_dword v91, v81, s[0:3], 0 offen offset:4
	ds_read_b128 v[84:87], v12
	v_add_nc_u32_e32 v82, 1, v82
	v_add_nc_u32_e32 v12, 16, v12
	;; [unrolled: 1-line block ×3, first 2 shown]
	v_cmp_lt_u32_e32 vcc_lo, 12, v82
	s_or_b32 s8, vcc_lo, s8
	s_waitcnt vmcnt(2) lgkmcnt(0)
	v_mul_f64 v[92:93], v[86:87], v[88:89]
	v_mul_f64 v[88:89], v[84:85], v[88:89]
	s_waitcnt vmcnt(0)
	v_fma_f64 v[84:85], v[84:85], v[90:91], -v[92:93]
	v_fma_f64 v[86:87], v[86:87], v[90:91], v[88:89]
	v_add_f64 v[1:2], v[1:2], v[84:85]
	v_add_f64 v[3:4], v[3:4], v[86:87]
	s_andn2_b32 exec_lo, exec_lo, s8
	s_cbranch_execnz .LBB35_388
; %bb.389:
	s_or_b32 exec_lo, exec_lo, s8
.LBB35_390:
	s_or_b32 exec_lo, exec_lo, s6
	v_mov_b32_e32 v12, 0
	ds_read_b128 v[84:87], v12 offset:224
	s_waitcnt lgkmcnt(0)
	v_mul_f64 v[81:82], v[3:4], v[86:87]
	v_mul_f64 v[86:87], v[1:2], v[86:87]
	v_fma_f64 v[1:2], v[1:2], v[84:85], -v[81:82]
	v_fma_f64 v[3:4], v[3:4], v[84:85], v[86:87]
	buffer_store_dword v2, off, s[0:3], 0 offset:228
	buffer_store_dword v1, off, s[0:3], 0 offset:224
	buffer_store_dword v4, off, s[0:3], 0 offset:236
	buffer_store_dword v3, off, s[0:3], 0 offset:232
.LBB35_391:
	s_or_b32 exec_lo, exec_lo, s4
	v_mov_b32_e32 v4, s28
	s_mov_b32 s4, exec_lo
	s_clause 0x3
	buffer_load_dword v1, v4, s[0:3], 0 offen
	buffer_load_dword v2, v4, s[0:3], 0 offen offset:4
	buffer_load_dword v3, v4, s[0:3], 0 offen offset:8
	;; [unrolled: 1-line block ×3, first 2 shown]
	s_waitcnt vmcnt(0)
	ds_write_b128 v10, v[1:4]
	s_waitcnt lgkmcnt(0)
	s_waitcnt_vscnt null, 0x0
	s_barrier
	buffer_gl0_inv
	v_cmpx_gt_u32_e32 15, v0
	s_cbranch_execz .LBB35_399
; %bb.392:
	ds_read_b128 v[1:4], v10
	v_cmp_ne_u32_e32 vcc_lo, 1, v11
	s_cbranch_vccnz .LBB35_394
; %bb.393:
	s_clause 0x3
	buffer_load_dword v81, v9, s[0:3], 0 offen offset:8
	buffer_load_dword v82, v9, s[0:3], 0 offen offset:12
	buffer_load_dword v84, v9, s[0:3], 0 offen
	buffer_load_dword v85, v9, s[0:3], 0 offen offset:4
	s_waitcnt vmcnt(2) lgkmcnt(0)
	v_mul_f64 v[86:87], v[3:4], v[81:82]
	v_mul_f64 v[81:82], v[1:2], v[81:82]
	s_waitcnt vmcnt(0)
	v_fma_f64 v[1:2], v[1:2], v[84:85], -v[86:87]
	v_fma_f64 v[3:4], v[3:4], v[84:85], v[81:82]
.LBB35_394:
	s_mov_b32 s6, exec_lo
	v_cmpx_ne_u32_e32 14, v0
	s_cbranch_execz .LBB35_398
; %bb.395:
	v_add_nc_u32_e32 v12, 0x250, v83
	v_add3_u32 v81, 0, v83, 16
	v_mov_b32_e32 v82, v0
	s_mov_b32 s8, 0
	.p2align	6
.LBB35_396:                             ; =>This Inner Loop Header: Depth=1
	s_clause 0x3
	buffer_load_dword v88, v81, s[0:3], 0 offen offset:8
	buffer_load_dword v89, v81, s[0:3], 0 offen offset:12
	buffer_load_dword v90, v81, s[0:3], 0 offen
	buffer_load_dword v91, v81, s[0:3], 0 offen offset:4
	ds_read_b128 v[84:87], v12
	v_add_nc_u32_e32 v82, 1, v82
	v_add_nc_u32_e32 v12, 16, v12
	;; [unrolled: 1-line block ×3, first 2 shown]
	v_cmp_lt_u32_e32 vcc_lo, 13, v82
	s_or_b32 s8, vcc_lo, s8
	s_waitcnt vmcnt(2) lgkmcnt(0)
	v_mul_f64 v[92:93], v[86:87], v[88:89]
	v_mul_f64 v[88:89], v[84:85], v[88:89]
	s_waitcnt vmcnt(0)
	v_fma_f64 v[84:85], v[84:85], v[90:91], -v[92:93]
	v_fma_f64 v[86:87], v[86:87], v[90:91], v[88:89]
	v_add_f64 v[1:2], v[1:2], v[84:85]
	v_add_f64 v[3:4], v[3:4], v[86:87]
	s_andn2_b32 exec_lo, exec_lo, s8
	s_cbranch_execnz .LBB35_396
; %bb.397:
	s_or_b32 exec_lo, exec_lo, s8
.LBB35_398:
	s_or_b32 exec_lo, exec_lo, s6
	v_mov_b32_e32 v12, 0
	ds_read_b128 v[84:87], v12 offset:240
	s_waitcnt lgkmcnt(0)
	v_mul_f64 v[81:82], v[3:4], v[86:87]
	v_mul_f64 v[86:87], v[1:2], v[86:87]
	v_fma_f64 v[1:2], v[1:2], v[84:85], -v[81:82]
	v_fma_f64 v[3:4], v[3:4], v[84:85], v[86:87]
	buffer_store_dword v2, off, s[0:3], 0 offset:244
	buffer_store_dword v1, off, s[0:3], 0 offset:240
	;; [unrolled: 1-line block ×4, first 2 shown]
.LBB35_399:
	s_or_b32 exec_lo, exec_lo, s4
	v_mov_b32_e32 v4, s27
	s_mov_b32 s4, exec_lo
	s_clause 0x3
	buffer_load_dword v1, v4, s[0:3], 0 offen
	buffer_load_dword v2, v4, s[0:3], 0 offen offset:4
	buffer_load_dword v3, v4, s[0:3], 0 offen offset:8
	;; [unrolled: 1-line block ×3, first 2 shown]
	s_waitcnt vmcnt(0)
	ds_write_b128 v10, v[1:4]
	s_waitcnt lgkmcnt(0)
	s_waitcnt_vscnt null, 0x0
	s_barrier
	buffer_gl0_inv
	v_cmpx_gt_u32_e32 16, v0
	s_cbranch_execz .LBB35_407
; %bb.400:
	ds_read_b128 v[1:4], v10
	v_cmp_ne_u32_e32 vcc_lo, 1, v11
	s_cbranch_vccnz .LBB35_402
; %bb.401:
	s_clause 0x3
	buffer_load_dword v81, v9, s[0:3], 0 offen offset:8
	buffer_load_dword v82, v9, s[0:3], 0 offen offset:12
	buffer_load_dword v84, v9, s[0:3], 0 offen
	buffer_load_dword v85, v9, s[0:3], 0 offen offset:4
	s_waitcnt vmcnt(2) lgkmcnt(0)
	v_mul_f64 v[86:87], v[3:4], v[81:82]
	v_mul_f64 v[81:82], v[1:2], v[81:82]
	s_waitcnt vmcnt(0)
	v_fma_f64 v[1:2], v[1:2], v[84:85], -v[86:87]
	v_fma_f64 v[3:4], v[3:4], v[84:85], v[81:82]
.LBB35_402:
	s_mov_b32 s6, exec_lo
	v_cmpx_ne_u32_e32 15, v0
	s_cbranch_execz .LBB35_406
; %bb.403:
	v_add_nc_u32_e32 v12, 0x250, v83
	v_add3_u32 v81, 0, v83, 16
	v_mov_b32_e32 v82, v0
	s_mov_b32 s8, 0
	.p2align	6
.LBB35_404:                             ; =>This Inner Loop Header: Depth=1
	s_clause 0x3
	buffer_load_dword v88, v81, s[0:3], 0 offen offset:8
	buffer_load_dword v89, v81, s[0:3], 0 offen offset:12
	buffer_load_dword v90, v81, s[0:3], 0 offen
	buffer_load_dword v91, v81, s[0:3], 0 offen offset:4
	ds_read_b128 v[84:87], v12
	v_add_nc_u32_e32 v82, 1, v82
	v_add_nc_u32_e32 v12, 16, v12
	;; [unrolled: 1-line block ×3, first 2 shown]
	v_cmp_lt_u32_e32 vcc_lo, 14, v82
	s_or_b32 s8, vcc_lo, s8
	s_waitcnt vmcnt(2) lgkmcnt(0)
	v_mul_f64 v[92:93], v[86:87], v[88:89]
	v_mul_f64 v[88:89], v[84:85], v[88:89]
	s_waitcnt vmcnt(0)
	v_fma_f64 v[84:85], v[84:85], v[90:91], -v[92:93]
	v_fma_f64 v[86:87], v[86:87], v[90:91], v[88:89]
	v_add_f64 v[1:2], v[1:2], v[84:85]
	v_add_f64 v[3:4], v[3:4], v[86:87]
	s_andn2_b32 exec_lo, exec_lo, s8
	s_cbranch_execnz .LBB35_404
; %bb.405:
	s_or_b32 exec_lo, exec_lo, s8
.LBB35_406:
	s_or_b32 exec_lo, exec_lo, s6
	v_mov_b32_e32 v12, 0
	ds_read_b128 v[84:87], v12 offset:256
	s_waitcnt lgkmcnt(0)
	v_mul_f64 v[81:82], v[3:4], v[86:87]
	v_mul_f64 v[86:87], v[1:2], v[86:87]
	v_fma_f64 v[1:2], v[1:2], v[84:85], -v[81:82]
	v_fma_f64 v[3:4], v[3:4], v[84:85], v[86:87]
	buffer_store_dword v2, off, s[0:3], 0 offset:260
	buffer_store_dword v1, off, s[0:3], 0 offset:256
	;; [unrolled: 1-line block ×4, first 2 shown]
.LBB35_407:
	s_or_b32 exec_lo, exec_lo, s4
	v_mov_b32_e32 v4, s26
	s_mov_b32 s4, exec_lo
	s_clause 0x3
	buffer_load_dword v1, v4, s[0:3], 0 offen
	buffer_load_dword v2, v4, s[0:3], 0 offen offset:4
	buffer_load_dword v3, v4, s[0:3], 0 offen offset:8
	;; [unrolled: 1-line block ×3, first 2 shown]
	s_waitcnt vmcnt(0)
	ds_write_b128 v10, v[1:4]
	s_waitcnt lgkmcnt(0)
	s_waitcnt_vscnt null, 0x0
	s_barrier
	buffer_gl0_inv
	v_cmpx_gt_u32_e32 17, v0
	s_cbranch_execz .LBB35_415
; %bb.408:
	ds_read_b128 v[1:4], v10
	v_cmp_ne_u32_e32 vcc_lo, 1, v11
	s_cbranch_vccnz .LBB35_410
; %bb.409:
	s_clause 0x3
	buffer_load_dword v81, v9, s[0:3], 0 offen offset:8
	buffer_load_dword v82, v9, s[0:3], 0 offen offset:12
	buffer_load_dword v84, v9, s[0:3], 0 offen
	buffer_load_dword v85, v9, s[0:3], 0 offen offset:4
	s_waitcnt vmcnt(2) lgkmcnt(0)
	v_mul_f64 v[86:87], v[3:4], v[81:82]
	v_mul_f64 v[81:82], v[1:2], v[81:82]
	s_waitcnt vmcnt(0)
	v_fma_f64 v[1:2], v[1:2], v[84:85], -v[86:87]
	v_fma_f64 v[3:4], v[3:4], v[84:85], v[81:82]
.LBB35_410:
	s_mov_b32 s6, exec_lo
	v_cmpx_ne_u32_e32 16, v0
	s_cbranch_execz .LBB35_414
; %bb.411:
	v_add_nc_u32_e32 v12, 0x250, v83
	v_add3_u32 v81, 0, v83, 16
	v_mov_b32_e32 v82, v0
	s_mov_b32 s8, 0
	.p2align	6
.LBB35_412:                             ; =>This Inner Loop Header: Depth=1
	s_clause 0x3
	buffer_load_dword v88, v81, s[0:3], 0 offen offset:8
	buffer_load_dword v89, v81, s[0:3], 0 offen offset:12
	buffer_load_dword v90, v81, s[0:3], 0 offen
	buffer_load_dword v91, v81, s[0:3], 0 offen offset:4
	ds_read_b128 v[84:87], v12
	v_add_nc_u32_e32 v82, 1, v82
	v_add_nc_u32_e32 v12, 16, v12
	;; [unrolled: 1-line block ×3, first 2 shown]
	v_cmp_lt_u32_e32 vcc_lo, 15, v82
	s_or_b32 s8, vcc_lo, s8
	s_waitcnt vmcnt(2) lgkmcnt(0)
	v_mul_f64 v[92:93], v[86:87], v[88:89]
	v_mul_f64 v[88:89], v[84:85], v[88:89]
	s_waitcnt vmcnt(0)
	v_fma_f64 v[84:85], v[84:85], v[90:91], -v[92:93]
	v_fma_f64 v[86:87], v[86:87], v[90:91], v[88:89]
	v_add_f64 v[1:2], v[1:2], v[84:85]
	v_add_f64 v[3:4], v[3:4], v[86:87]
	s_andn2_b32 exec_lo, exec_lo, s8
	s_cbranch_execnz .LBB35_412
; %bb.413:
	s_or_b32 exec_lo, exec_lo, s8
.LBB35_414:
	s_or_b32 exec_lo, exec_lo, s6
	v_mov_b32_e32 v12, 0
	ds_read_b128 v[84:87], v12 offset:272
	s_waitcnt lgkmcnt(0)
	v_mul_f64 v[81:82], v[3:4], v[86:87]
	v_mul_f64 v[86:87], v[1:2], v[86:87]
	v_fma_f64 v[1:2], v[1:2], v[84:85], -v[81:82]
	v_fma_f64 v[3:4], v[3:4], v[84:85], v[86:87]
	buffer_store_dword v2, off, s[0:3], 0 offset:276
	buffer_store_dword v1, off, s[0:3], 0 offset:272
	;; [unrolled: 1-line block ×4, first 2 shown]
.LBB35_415:
	s_or_b32 exec_lo, exec_lo, s4
	v_mov_b32_e32 v4, s25
	s_mov_b32 s4, exec_lo
	s_clause 0x3
	buffer_load_dword v1, v4, s[0:3], 0 offen
	buffer_load_dword v2, v4, s[0:3], 0 offen offset:4
	buffer_load_dword v3, v4, s[0:3], 0 offen offset:8
	;; [unrolled: 1-line block ×3, first 2 shown]
	s_waitcnt vmcnt(0)
	ds_write_b128 v10, v[1:4]
	s_waitcnt lgkmcnt(0)
	s_waitcnt_vscnt null, 0x0
	s_barrier
	buffer_gl0_inv
	v_cmpx_gt_u32_e32 18, v0
	s_cbranch_execz .LBB35_423
; %bb.416:
	ds_read_b128 v[1:4], v10
	v_cmp_ne_u32_e32 vcc_lo, 1, v11
	s_cbranch_vccnz .LBB35_418
; %bb.417:
	s_clause 0x3
	buffer_load_dword v81, v9, s[0:3], 0 offen offset:8
	buffer_load_dword v82, v9, s[0:3], 0 offen offset:12
	buffer_load_dword v84, v9, s[0:3], 0 offen
	buffer_load_dword v85, v9, s[0:3], 0 offen offset:4
	s_waitcnt vmcnt(2) lgkmcnt(0)
	v_mul_f64 v[86:87], v[3:4], v[81:82]
	v_mul_f64 v[81:82], v[1:2], v[81:82]
	s_waitcnt vmcnt(0)
	v_fma_f64 v[1:2], v[1:2], v[84:85], -v[86:87]
	v_fma_f64 v[3:4], v[3:4], v[84:85], v[81:82]
.LBB35_418:
	s_mov_b32 s6, exec_lo
	v_cmpx_ne_u32_e32 17, v0
	s_cbranch_execz .LBB35_422
; %bb.419:
	v_add_nc_u32_e32 v12, 0x250, v83
	v_add3_u32 v81, 0, v83, 16
	v_mov_b32_e32 v82, v0
	s_mov_b32 s8, 0
	.p2align	6
.LBB35_420:                             ; =>This Inner Loop Header: Depth=1
	s_clause 0x3
	buffer_load_dword v88, v81, s[0:3], 0 offen offset:8
	buffer_load_dword v89, v81, s[0:3], 0 offen offset:12
	buffer_load_dword v90, v81, s[0:3], 0 offen
	buffer_load_dword v91, v81, s[0:3], 0 offen offset:4
	ds_read_b128 v[84:87], v12
	v_add_nc_u32_e32 v82, 1, v82
	v_add_nc_u32_e32 v12, 16, v12
	;; [unrolled: 1-line block ×3, first 2 shown]
	v_cmp_lt_u32_e32 vcc_lo, 16, v82
	s_or_b32 s8, vcc_lo, s8
	s_waitcnt vmcnt(2) lgkmcnt(0)
	v_mul_f64 v[92:93], v[86:87], v[88:89]
	v_mul_f64 v[88:89], v[84:85], v[88:89]
	s_waitcnt vmcnt(0)
	v_fma_f64 v[84:85], v[84:85], v[90:91], -v[92:93]
	v_fma_f64 v[86:87], v[86:87], v[90:91], v[88:89]
	v_add_f64 v[1:2], v[1:2], v[84:85]
	v_add_f64 v[3:4], v[3:4], v[86:87]
	s_andn2_b32 exec_lo, exec_lo, s8
	s_cbranch_execnz .LBB35_420
; %bb.421:
	s_or_b32 exec_lo, exec_lo, s8
.LBB35_422:
	s_or_b32 exec_lo, exec_lo, s6
	v_mov_b32_e32 v12, 0
	ds_read_b128 v[84:87], v12 offset:288
	s_waitcnt lgkmcnt(0)
	v_mul_f64 v[81:82], v[3:4], v[86:87]
	v_mul_f64 v[86:87], v[1:2], v[86:87]
	v_fma_f64 v[1:2], v[1:2], v[84:85], -v[81:82]
	v_fma_f64 v[3:4], v[3:4], v[84:85], v[86:87]
	buffer_store_dword v2, off, s[0:3], 0 offset:292
	buffer_store_dword v1, off, s[0:3], 0 offset:288
	;; [unrolled: 1-line block ×4, first 2 shown]
.LBB35_423:
	s_or_b32 exec_lo, exec_lo, s4
	v_mov_b32_e32 v4, s24
	s_mov_b32 s4, exec_lo
	s_clause 0x3
	buffer_load_dword v1, v4, s[0:3], 0 offen
	buffer_load_dword v2, v4, s[0:3], 0 offen offset:4
	buffer_load_dword v3, v4, s[0:3], 0 offen offset:8
	;; [unrolled: 1-line block ×3, first 2 shown]
	s_waitcnt vmcnt(0)
	ds_write_b128 v10, v[1:4]
	s_waitcnt lgkmcnt(0)
	s_waitcnt_vscnt null, 0x0
	s_barrier
	buffer_gl0_inv
	v_cmpx_gt_u32_e32 19, v0
	s_cbranch_execz .LBB35_431
; %bb.424:
	ds_read_b128 v[1:4], v10
	v_cmp_ne_u32_e32 vcc_lo, 1, v11
	s_cbranch_vccnz .LBB35_426
; %bb.425:
	s_clause 0x3
	buffer_load_dword v81, v9, s[0:3], 0 offen offset:8
	buffer_load_dword v82, v9, s[0:3], 0 offen offset:12
	buffer_load_dword v84, v9, s[0:3], 0 offen
	buffer_load_dword v85, v9, s[0:3], 0 offen offset:4
	s_waitcnt vmcnt(2) lgkmcnt(0)
	v_mul_f64 v[86:87], v[3:4], v[81:82]
	v_mul_f64 v[81:82], v[1:2], v[81:82]
	s_waitcnt vmcnt(0)
	v_fma_f64 v[1:2], v[1:2], v[84:85], -v[86:87]
	v_fma_f64 v[3:4], v[3:4], v[84:85], v[81:82]
.LBB35_426:
	s_mov_b32 s6, exec_lo
	v_cmpx_ne_u32_e32 18, v0
	s_cbranch_execz .LBB35_430
; %bb.427:
	v_add_nc_u32_e32 v12, 0x250, v83
	v_add3_u32 v81, 0, v83, 16
	v_mov_b32_e32 v82, v0
	s_mov_b32 s8, 0
	.p2align	6
.LBB35_428:                             ; =>This Inner Loop Header: Depth=1
	s_clause 0x3
	buffer_load_dword v88, v81, s[0:3], 0 offen offset:8
	buffer_load_dword v89, v81, s[0:3], 0 offen offset:12
	buffer_load_dword v90, v81, s[0:3], 0 offen
	buffer_load_dword v91, v81, s[0:3], 0 offen offset:4
	ds_read_b128 v[84:87], v12
	v_add_nc_u32_e32 v82, 1, v82
	v_add_nc_u32_e32 v12, 16, v12
	;; [unrolled: 1-line block ×3, first 2 shown]
	v_cmp_lt_u32_e32 vcc_lo, 17, v82
	s_or_b32 s8, vcc_lo, s8
	s_waitcnt vmcnt(2) lgkmcnt(0)
	v_mul_f64 v[92:93], v[86:87], v[88:89]
	v_mul_f64 v[88:89], v[84:85], v[88:89]
	s_waitcnt vmcnt(0)
	v_fma_f64 v[84:85], v[84:85], v[90:91], -v[92:93]
	v_fma_f64 v[86:87], v[86:87], v[90:91], v[88:89]
	v_add_f64 v[1:2], v[1:2], v[84:85]
	v_add_f64 v[3:4], v[3:4], v[86:87]
	s_andn2_b32 exec_lo, exec_lo, s8
	s_cbranch_execnz .LBB35_428
; %bb.429:
	s_or_b32 exec_lo, exec_lo, s8
.LBB35_430:
	s_or_b32 exec_lo, exec_lo, s6
	v_mov_b32_e32 v12, 0
	ds_read_b128 v[84:87], v12 offset:304
	s_waitcnt lgkmcnt(0)
	v_mul_f64 v[81:82], v[3:4], v[86:87]
	v_mul_f64 v[86:87], v[1:2], v[86:87]
	v_fma_f64 v[1:2], v[1:2], v[84:85], -v[81:82]
	v_fma_f64 v[3:4], v[3:4], v[84:85], v[86:87]
	buffer_store_dword v2, off, s[0:3], 0 offset:308
	buffer_store_dword v1, off, s[0:3], 0 offset:304
	;; [unrolled: 1-line block ×4, first 2 shown]
.LBB35_431:
	s_or_b32 exec_lo, exec_lo, s4
	v_mov_b32_e32 v4, s23
	s_mov_b32 s4, exec_lo
	s_clause 0x3
	buffer_load_dword v1, v4, s[0:3], 0 offen
	buffer_load_dword v2, v4, s[0:3], 0 offen offset:4
	buffer_load_dword v3, v4, s[0:3], 0 offen offset:8
	;; [unrolled: 1-line block ×3, first 2 shown]
	s_waitcnt vmcnt(0)
	ds_write_b128 v10, v[1:4]
	s_waitcnt lgkmcnt(0)
	s_waitcnt_vscnt null, 0x0
	s_barrier
	buffer_gl0_inv
	v_cmpx_gt_u32_e32 20, v0
	s_cbranch_execz .LBB35_439
; %bb.432:
	ds_read_b128 v[1:4], v10
	v_cmp_ne_u32_e32 vcc_lo, 1, v11
	s_cbranch_vccnz .LBB35_434
; %bb.433:
	s_clause 0x3
	buffer_load_dword v81, v9, s[0:3], 0 offen offset:8
	buffer_load_dword v82, v9, s[0:3], 0 offen offset:12
	buffer_load_dword v84, v9, s[0:3], 0 offen
	buffer_load_dword v85, v9, s[0:3], 0 offen offset:4
	s_waitcnt vmcnt(2) lgkmcnt(0)
	v_mul_f64 v[86:87], v[3:4], v[81:82]
	v_mul_f64 v[81:82], v[1:2], v[81:82]
	s_waitcnt vmcnt(0)
	v_fma_f64 v[1:2], v[1:2], v[84:85], -v[86:87]
	v_fma_f64 v[3:4], v[3:4], v[84:85], v[81:82]
.LBB35_434:
	s_mov_b32 s6, exec_lo
	v_cmpx_ne_u32_e32 19, v0
	s_cbranch_execz .LBB35_438
; %bb.435:
	v_add_nc_u32_e32 v12, 0x250, v83
	v_add3_u32 v81, 0, v83, 16
	v_mov_b32_e32 v82, v0
	s_mov_b32 s8, 0
	.p2align	6
.LBB35_436:                             ; =>This Inner Loop Header: Depth=1
	s_clause 0x3
	buffer_load_dword v88, v81, s[0:3], 0 offen offset:8
	buffer_load_dword v89, v81, s[0:3], 0 offen offset:12
	buffer_load_dword v90, v81, s[0:3], 0 offen
	buffer_load_dword v91, v81, s[0:3], 0 offen offset:4
	ds_read_b128 v[84:87], v12
	v_add_nc_u32_e32 v82, 1, v82
	v_add_nc_u32_e32 v12, 16, v12
	;; [unrolled: 1-line block ×3, first 2 shown]
	v_cmp_lt_u32_e32 vcc_lo, 18, v82
	s_or_b32 s8, vcc_lo, s8
	s_waitcnt vmcnt(2) lgkmcnt(0)
	v_mul_f64 v[92:93], v[86:87], v[88:89]
	v_mul_f64 v[88:89], v[84:85], v[88:89]
	s_waitcnt vmcnt(0)
	v_fma_f64 v[84:85], v[84:85], v[90:91], -v[92:93]
	v_fma_f64 v[86:87], v[86:87], v[90:91], v[88:89]
	v_add_f64 v[1:2], v[1:2], v[84:85]
	v_add_f64 v[3:4], v[3:4], v[86:87]
	s_andn2_b32 exec_lo, exec_lo, s8
	s_cbranch_execnz .LBB35_436
; %bb.437:
	s_or_b32 exec_lo, exec_lo, s8
.LBB35_438:
	s_or_b32 exec_lo, exec_lo, s6
	v_mov_b32_e32 v12, 0
	ds_read_b128 v[84:87], v12 offset:320
	s_waitcnt lgkmcnt(0)
	v_mul_f64 v[81:82], v[3:4], v[86:87]
	v_mul_f64 v[86:87], v[1:2], v[86:87]
	v_fma_f64 v[1:2], v[1:2], v[84:85], -v[81:82]
	v_fma_f64 v[3:4], v[3:4], v[84:85], v[86:87]
	buffer_store_dword v2, off, s[0:3], 0 offset:324
	buffer_store_dword v1, off, s[0:3], 0 offset:320
	;; [unrolled: 1-line block ×4, first 2 shown]
.LBB35_439:
	s_or_b32 exec_lo, exec_lo, s4
	v_mov_b32_e32 v4, s22
	s_mov_b32 s4, exec_lo
	s_clause 0x3
	buffer_load_dword v1, v4, s[0:3], 0 offen
	buffer_load_dword v2, v4, s[0:3], 0 offen offset:4
	buffer_load_dword v3, v4, s[0:3], 0 offen offset:8
	;; [unrolled: 1-line block ×3, first 2 shown]
	s_waitcnt vmcnt(0)
	ds_write_b128 v10, v[1:4]
	s_waitcnt lgkmcnt(0)
	s_waitcnt_vscnt null, 0x0
	s_barrier
	buffer_gl0_inv
	v_cmpx_gt_u32_e32 21, v0
	s_cbranch_execz .LBB35_447
; %bb.440:
	ds_read_b128 v[1:4], v10
	v_cmp_ne_u32_e32 vcc_lo, 1, v11
	s_cbranch_vccnz .LBB35_442
; %bb.441:
	s_clause 0x3
	buffer_load_dword v81, v9, s[0:3], 0 offen offset:8
	buffer_load_dword v82, v9, s[0:3], 0 offen offset:12
	buffer_load_dword v84, v9, s[0:3], 0 offen
	buffer_load_dword v85, v9, s[0:3], 0 offen offset:4
	s_waitcnt vmcnt(2) lgkmcnt(0)
	v_mul_f64 v[86:87], v[3:4], v[81:82]
	v_mul_f64 v[81:82], v[1:2], v[81:82]
	s_waitcnt vmcnt(0)
	v_fma_f64 v[1:2], v[1:2], v[84:85], -v[86:87]
	v_fma_f64 v[3:4], v[3:4], v[84:85], v[81:82]
.LBB35_442:
	s_mov_b32 s6, exec_lo
	v_cmpx_ne_u32_e32 20, v0
	s_cbranch_execz .LBB35_446
; %bb.443:
	v_add_nc_u32_e32 v12, 0x250, v83
	v_add3_u32 v81, 0, v83, 16
	v_mov_b32_e32 v82, v0
	s_mov_b32 s8, 0
	.p2align	6
.LBB35_444:                             ; =>This Inner Loop Header: Depth=1
	s_clause 0x3
	buffer_load_dword v88, v81, s[0:3], 0 offen offset:8
	buffer_load_dword v89, v81, s[0:3], 0 offen offset:12
	buffer_load_dword v90, v81, s[0:3], 0 offen
	buffer_load_dword v91, v81, s[0:3], 0 offen offset:4
	ds_read_b128 v[84:87], v12
	v_add_nc_u32_e32 v82, 1, v82
	v_add_nc_u32_e32 v12, 16, v12
	;; [unrolled: 1-line block ×3, first 2 shown]
	v_cmp_lt_u32_e32 vcc_lo, 19, v82
	s_or_b32 s8, vcc_lo, s8
	s_waitcnt vmcnt(2) lgkmcnt(0)
	v_mul_f64 v[92:93], v[86:87], v[88:89]
	v_mul_f64 v[88:89], v[84:85], v[88:89]
	s_waitcnt vmcnt(0)
	v_fma_f64 v[84:85], v[84:85], v[90:91], -v[92:93]
	v_fma_f64 v[86:87], v[86:87], v[90:91], v[88:89]
	v_add_f64 v[1:2], v[1:2], v[84:85]
	v_add_f64 v[3:4], v[3:4], v[86:87]
	s_andn2_b32 exec_lo, exec_lo, s8
	s_cbranch_execnz .LBB35_444
; %bb.445:
	s_or_b32 exec_lo, exec_lo, s8
.LBB35_446:
	s_or_b32 exec_lo, exec_lo, s6
	v_mov_b32_e32 v12, 0
	ds_read_b128 v[84:87], v12 offset:336
	s_waitcnt lgkmcnt(0)
	v_mul_f64 v[81:82], v[3:4], v[86:87]
	v_mul_f64 v[86:87], v[1:2], v[86:87]
	v_fma_f64 v[1:2], v[1:2], v[84:85], -v[81:82]
	v_fma_f64 v[3:4], v[3:4], v[84:85], v[86:87]
	buffer_store_dword v2, off, s[0:3], 0 offset:340
	buffer_store_dword v1, off, s[0:3], 0 offset:336
	buffer_store_dword v4, off, s[0:3], 0 offset:348
	buffer_store_dword v3, off, s[0:3], 0 offset:344
.LBB35_447:
	s_or_b32 exec_lo, exec_lo, s4
	v_mov_b32_e32 v4, s21
	s_mov_b32 s4, exec_lo
	s_clause 0x3
	buffer_load_dword v1, v4, s[0:3], 0 offen
	buffer_load_dword v2, v4, s[0:3], 0 offen offset:4
	buffer_load_dword v3, v4, s[0:3], 0 offen offset:8
	;; [unrolled: 1-line block ×3, first 2 shown]
	s_waitcnt vmcnt(0)
	ds_write_b128 v10, v[1:4]
	s_waitcnt lgkmcnt(0)
	s_waitcnt_vscnt null, 0x0
	s_barrier
	buffer_gl0_inv
	v_cmpx_gt_u32_e32 22, v0
	s_cbranch_execz .LBB35_455
; %bb.448:
	ds_read_b128 v[1:4], v10
	v_cmp_ne_u32_e32 vcc_lo, 1, v11
	s_cbranch_vccnz .LBB35_450
; %bb.449:
	s_clause 0x3
	buffer_load_dword v81, v9, s[0:3], 0 offen offset:8
	buffer_load_dword v82, v9, s[0:3], 0 offen offset:12
	buffer_load_dword v84, v9, s[0:3], 0 offen
	buffer_load_dword v85, v9, s[0:3], 0 offen offset:4
	s_waitcnt vmcnt(2) lgkmcnt(0)
	v_mul_f64 v[86:87], v[3:4], v[81:82]
	v_mul_f64 v[81:82], v[1:2], v[81:82]
	s_waitcnt vmcnt(0)
	v_fma_f64 v[1:2], v[1:2], v[84:85], -v[86:87]
	v_fma_f64 v[3:4], v[3:4], v[84:85], v[81:82]
.LBB35_450:
	s_mov_b32 s6, exec_lo
	v_cmpx_ne_u32_e32 21, v0
	s_cbranch_execz .LBB35_454
; %bb.451:
	v_add_nc_u32_e32 v12, 0x250, v83
	v_add3_u32 v81, 0, v83, 16
	v_mov_b32_e32 v82, v0
	s_mov_b32 s8, 0
	.p2align	6
.LBB35_452:                             ; =>This Inner Loop Header: Depth=1
	s_clause 0x3
	buffer_load_dword v88, v81, s[0:3], 0 offen offset:8
	buffer_load_dword v89, v81, s[0:3], 0 offen offset:12
	buffer_load_dword v90, v81, s[0:3], 0 offen
	buffer_load_dword v91, v81, s[0:3], 0 offen offset:4
	ds_read_b128 v[84:87], v12
	v_add_nc_u32_e32 v82, 1, v82
	v_add_nc_u32_e32 v12, 16, v12
	;; [unrolled: 1-line block ×3, first 2 shown]
	v_cmp_lt_u32_e32 vcc_lo, 20, v82
	s_or_b32 s8, vcc_lo, s8
	s_waitcnt vmcnt(2) lgkmcnt(0)
	v_mul_f64 v[92:93], v[86:87], v[88:89]
	v_mul_f64 v[88:89], v[84:85], v[88:89]
	s_waitcnt vmcnt(0)
	v_fma_f64 v[84:85], v[84:85], v[90:91], -v[92:93]
	v_fma_f64 v[86:87], v[86:87], v[90:91], v[88:89]
	v_add_f64 v[1:2], v[1:2], v[84:85]
	v_add_f64 v[3:4], v[3:4], v[86:87]
	s_andn2_b32 exec_lo, exec_lo, s8
	s_cbranch_execnz .LBB35_452
; %bb.453:
	s_or_b32 exec_lo, exec_lo, s8
.LBB35_454:
	s_or_b32 exec_lo, exec_lo, s6
	v_mov_b32_e32 v12, 0
	ds_read_b128 v[84:87], v12 offset:352
	s_waitcnt lgkmcnt(0)
	v_mul_f64 v[81:82], v[3:4], v[86:87]
	v_mul_f64 v[86:87], v[1:2], v[86:87]
	v_fma_f64 v[1:2], v[1:2], v[84:85], -v[81:82]
	v_fma_f64 v[3:4], v[3:4], v[84:85], v[86:87]
	buffer_store_dword v2, off, s[0:3], 0 offset:356
	buffer_store_dword v1, off, s[0:3], 0 offset:352
	;; [unrolled: 1-line block ×4, first 2 shown]
.LBB35_455:
	s_or_b32 exec_lo, exec_lo, s4
	v_mov_b32_e32 v4, s20
	s_mov_b32 s4, exec_lo
	s_clause 0x3
	buffer_load_dword v1, v4, s[0:3], 0 offen
	buffer_load_dword v2, v4, s[0:3], 0 offen offset:4
	buffer_load_dword v3, v4, s[0:3], 0 offen offset:8
	;; [unrolled: 1-line block ×3, first 2 shown]
	s_waitcnt vmcnt(0)
	ds_write_b128 v10, v[1:4]
	s_waitcnt lgkmcnt(0)
	s_waitcnt_vscnt null, 0x0
	s_barrier
	buffer_gl0_inv
	v_cmpx_gt_u32_e32 23, v0
	s_cbranch_execz .LBB35_463
; %bb.456:
	ds_read_b128 v[1:4], v10
	v_cmp_ne_u32_e32 vcc_lo, 1, v11
	s_cbranch_vccnz .LBB35_458
; %bb.457:
	s_clause 0x3
	buffer_load_dword v81, v9, s[0:3], 0 offen offset:8
	buffer_load_dword v82, v9, s[0:3], 0 offen offset:12
	buffer_load_dword v84, v9, s[0:3], 0 offen
	buffer_load_dword v85, v9, s[0:3], 0 offen offset:4
	s_waitcnt vmcnt(2) lgkmcnt(0)
	v_mul_f64 v[86:87], v[3:4], v[81:82]
	v_mul_f64 v[81:82], v[1:2], v[81:82]
	s_waitcnt vmcnt(0)
	v_fma_f64 v[1:2], v[1:2], v[84:85], -v[86:87]
	v_fma_f64 v[3:4], v[3:4], v[84:85], v[81:82]
.LBB35_458:
	s_mov_b32 s6, exec_lo
	v_cmpx_ne_u32_e32 22, v0
	s_cbranch_execz .LBB35_462
; %bb.459:
	v_add_nc_u32_e32 v12, 0x250, v83
	v_add3_u32 v81, 0, v83, 16
	v_mov_b32_e32 v82, v0
	s_mov_b32 s8, 0
	.p2align	6
.LBB35_460:                             ; =>This Inner Loop Header: Depth=1
	s_clause 0x3
	buffer_load_dword v88, v81, s[0:3], 0 offen offset:8
	buffer_load_dword v89, v81, s[0:3], 0 offen offset:12
	buffer_load_dword v90, v81, s[0:3], 0 offen
	buffer_load_dword v91, v81, s[0:3], 0 offen offset:4
	ds_read_b128 v[84:87], v12
	v_add_nc_u32_e32 v82, 1, v82
	v_add_nc_u32_e32 v12, 16, v12
	;; [unrolled: 1-line block ×3, first 2 shown]
	v_cmp_lt_u32_e32 vcc_lo, 21, v82
	s_or_b32 s8, vcc_lo, s8
	s_waitcnt vmcnt(2) lgkmcnt(0)
	v_mul_f64 v[92:93], v[86:87], v[88:89]
	v_mul_f64 v[88:89], v[84:85], v[88:89]
	s_waitcnt vmcnt(0)
	v_fma_f64 v[84:85], v[84:85], v[90:91], -v[92:93]
	v_fma_f64 v[86:87], v[86:87], v[90:91], v[88:89]
	v_add_f64 v[1:2], v[1:2], v[84:85]
	v_add_f64 v[3:4], v[3:4], v[86:87]
	s_andn2_b32 exec_lo, exec_lo, s8
	s_cbranch_execnz .LBB35_460
; %bb.461:
	s_or_b32 exec_lo, exec_lo, s8
.LBB35_462:
	s_or_b32 exec_lo, exec_lo, s6
	v_mov_b32_e32 v12, 0
	ds_read_b128 v[84:87], v12 offset:368
	s_waitcnt lgkmcnt(0)
	v_mul_f64 v[81:82], v[3:4], v[86:87]
	v_mul_f64 v[86:87], v[1:2], v[86:87]
	v_fma_f64 v[1:2], v[1:2], v[84:85], -v[81:82]
	v_fma_f64 v[3:4], v[3:4], v[84:85], v[86:87]
	buffer_store_dword v2, off, s[0:3], 0 offset:372
	buffer_store_dword v1, off, s[0:3], 0 offset:368
	;; [unrolled: 1-line block ×4, first 2 shown]
.LBB35_463:
	s_or_b32 exec_lo, exec_lo, s4
	v_mov_b32_e32 v4, s19
	s_mov_b32 s4, exec_lo
	s_clause 0x3
	buffer_load_dword v1, v4, s[0:3], 0 offen
	buffer_load_dword v2, v4, s[0:3], 0 offen offset:4
	buffer_load_dword v3, v4, s[0:3], 0 offen offset:8
	;; [unrolled: 1-line block ×3, first 2 shown]
	s_waitcnt vmcnt(0)
	ds_write_b128 v10, v[1:4]
	s_waitcnt lgkmcnt(0)
	s_waitcnt_vscnt null, 0x0
	s_barrier
	buffer_gl0_inv
	v_cmpx_gt_u32_e32 24, v0
	s_cbranch_execz .LBB35_471
; %bb.464:
	ds_read_b128 v[1:4], v10
	v_cmp_ne_u32_e32 vcc_lo, 1, v11
	s_cbranch_vccnz .LBB35_466
; %bb.465:
	s_clause 0x3
	buffer_load_dword v81, v9, s[0:3], 0 offen offset:8
	buffer_load_dword v82, v9, s[0:3], 0 offen offset:12
	buffer_load_dword v84, v9, s[0:3], 0 offen
	buffer_load_dword v85, v9, s[0:3], 0 offen offset:4
	s_waitcnt vmcnt(2) lgkmcnt(0)
	v_mul_f64 v[86:87], v[3:4], v[81:82]
	v_mul_f64 v[81:82], v[1:2], v[81:82]
	s_waitcnt vmcnt(0)
	v_fma_f64 v[1:2], v[1:2], v[84:85], -v[86:87]
	v_fma_f64 v[3:4], v[3:4], v[84:85], v[81:82]
.LBB35_466:
	s_mov_b32 s6, exec_lo
	v_cmpx_ne_u32_e32 23, v0
	s_cbranch_execz .LBB35_470
; %bb.467:
	v_add_nc_u32_e32 v12, 0x250, v83
	v_add3_u32 v81, 0, v83, 16
	v_mov_b32_e32 v82, v0
	s_mov_b32 s8, 0
	.p2align	6
.LBB35_468:                             ; =>This Inner Loop Header: Depth=1
	s_clause 0x3
	buffer_load_dword v88, v81, s[0:3], 0 offen offset:8
	buffer_load_dword v89, v81, s[0:3], 0 offen offset:12
	buffer_load_dword v90, v81, s[0:3], 0 offen
	buffer_load_dword v91, v81, s[0:3], 0 offen offset:4
	ds_read_b128 v[84:87], v12
	v_add_nc_u32_e32 v82, 1, v82
	v_add_nc_u32_e32 v12, 16, v12
	;; [unrolled: 1-line block ×3, first 2 shown]
	v_cmp_lt_u32_e32 vcc_lo, 22, v82
	s_or_b32 s8, vcc_lo, s8
	s_waitcnt vmcnt(2) lgkmcnt(0)
	v_mul_f64 v[92:93], v[86:87], v[88:89]
	v_mul_f64 v[88:89], v[84:85], v[88:89]
	s_waitcnt vmcnt(0)
	v_fma_f64 v[84:85], v[84:85], v[90:91], -v[92:93]
	v_fma_f64 v[86:87], v[86:87], v[90:91], v[88:89]
	v_add_f64 v[1:2], v[1:2], v[84:85]
	v_add_f64 v[3:4], v[3:4], v[86:87]
	s_andn2_b32 exec_lo, exec_lo, s8
	s_cbranch_execnz .LBB35_468
; %bb.469:
	s_or_b32 exec_lo, exec_lo, s8
.LBB35_470:
	s_or_b32 exec_lo, exec_lo, s6
	v_mov_b32_e32 v12, 0
	ds_read_b128 v[84:87], v12 offset:384
	s_waitcnt lgkmcnt(0)
	v_mul_f64 v[81:82], v[3:4], v[86:87]
	v_mul_f64 v[86:87], v[1:2], v[86:87]
	v_fma_f64 v[1:2], v[1:2], v[84:85], -v[81:82]
	v_fma_f64 v[3:4], v[3:4], v[84:85], v[86:87]
	buffer_store_dword v2, off, s[0:3], 0 offset:388
	buffer_store_dword v1, off, s[0:3], 0 offset:384
	;; [unrolled: 1-line block ×4, first 2 shown]
.LBB35_471:
	s_or_b32 exec_lo, exec_lo, s4
	v_mov_b32_e32 v4, s18
	s_mov_b32 s4, exec_lo
	s_clause 0x3
	buffer_load_dword v1, v4, s[0:3], 0 offen
	buffer_load_dword v2, v4, s[0:3], 0 offen offset:4
	buffer_load_dword v3, v4, s[0:3], 0 offen offset:8
	;; [unrolled: 1-line block ×3, first 2 shown]
	s_waitcnt vmcnt(0)
	ds_write_b128 v10, v[1:4]
	s_waitcnt lgkmcnt(0)
	s_waitcnt_vscnt null, 0x0
	s_barrier
	buffer_gl0_inv
	v_cmpx_gt_u32_e32 25, v0
	s_cbranch_execz .LBB35_479
; %bb.472:
	ds_read_b128 v[1:4], v10
	v_cmp_ne_u32_e32 vcc_lo, 1, v11
	s_cbranch_vccnz .LBB35_474
; %bb.473:
	s_clause 0x3
	buffer_load_dword v81, v9, s[0:3], 0 offen offset:8
	buffer_load_dword v82, v9, s[0:3], 0 offen offset:12
	buffer_load_dword v84, v9, s[0:3], 0 offen
	buffer_load_dword v85, v9, s[0:3], 0 offen offset:4
	s_waitcnt vmcnt(2) lgkmcnt(0)
	v_mul_f64 v[86:87], v[3:4], v[81:82]
	v_mul_f64 v[81:82], v[1:2], v[81:82]
	s_waitcnt vmcnt(0)
	v_fma_f64 v[1:2], v[1:2], v[84:85], -v[86:87]
	v_fma_f64 v[3:4], v[3:4], v[84:85], v[81:82]
.LBB35_474:
	s_mov_b32 s6, exec_lo
	v_cmpx_ne_u32_e32 24, v0
	s_cbranch_execz .LBB35_478
; %bb.475:
	v_add_nc_u32_e32 v12, 0x250, v83
	v_add3_u32 v81, 0, v83, 16
	v_mov_b32_e32 v82, v0
	s_mov_b32 s8, 0
	.p2align	6
.LBB35_476:                             ; =>This Inner Loop Header: Depth=1
	s_clause 0x3
	buffer_load_dword v88, v81, s[0:3], 0 offen offset:8
	buffer_load_dword v89, v81, s[0:3], 0 offen offset:12
	buffer_load_dword v90, v81, s[0:3], 0 offen
	buffer_load_dword v91, v81, s[0:3], 0 offen offset:4
	ds_read_b128 v[84:87], v12
	v_add_nc_u32_e32 v82, 1, v82
	v_add_nc_u32_e32 v12, 16, v12
	;; [unrolled: 1-line block ×3, first 2 shown]
	v_cmp_lt_u32_e32 vcc_lo, 23, v82
	s_or_b32 s8, vcc_lo, s8
	s_waitcnt vmcnt(2) lgkmcnt(0)
	v_mul_f64 v[92:93], v[86:87], v[88:89]
	v_mul_f64 v[88:89], v[84:85], v[88:89]
	s_waitcnt vmcnt(0)
	v_fma_f64 v[84:85], v[84:85], v[90:91], -v[92:93]
	v_fma_f64 v[86:87], v[86:87], v[90:91], v[88:89]
	v_add_f64 v[1:2], v[1:2], v[84:85]
	v_add_f64 v[3:4], v[3:4], v[86:87]
	s_andn2_b32 exec_lo, exec_lo, s8
	s_cbranch_execnz .LBB35_476
; %bb.477:
	s_or_b32 exec_lo, exec_lo, s8
.LBB35_478:
	s_or_b32 exec_lo, exec_lo, s6
	v_mov_b32_e32 v12, 0
	ds_read_b128 v[84:87], v12 offset:400
	s_waitcnt lgkmcnt(0)
	v_mul_f64 v[81:82], v[3:4], v[86:87]
	v_mul_f64 v[86:87], v[1:2], v[86:87]
	v_fma_f64 v[1:2], v[1:2], v[84:85], -v[81:82]
	v_fma_f64 v[3:4], v[3:4], v[84:85], v[86:87]
	buffer_store_dword v2, off, s[0:3], 0 offset:404
	buffer_store_dword v1, off, s[0:3], 0 offset:400
	;; [unrolled: 1-line block ×4, first 2 shown]
.LBB35_479:
	s_or_b32 exec_lo, exec_lo, s4
	v_mov_b32_e32 v4, s17
	s_mov_b32 s4, exec_lo
	s_clause 0x3
	buffer_load_dword v1, v4, s[0:3], 0 offen
	buffer_load_dword v2, v4, s[0:3], 0 offen offset:4
	buffer_load_dword v3, v4, s[0:3], 0 offen offset:8
	;; [unrolled: 1-line block ×3, first 2 shown]
	s_waitcnt vmcnt(0)
	ds_write_b128 v10, v[1:4]
	s_waitcnt lgkmcnt(0)
	s_waitcnt_vscnt null, 0x0
	s_barrier
	buffer_gl0_inv
	v_cmpx_gt_u32_e32 26, v0
	s_cbranch_execz .LBB35_487
; %bb.480:
	ds_read_b128 v[1:4], v10
	v_cmp_ne_u32_e32 vcc_lo, 1, v11
	s_cbranch_vccnz .LBB35_482
; %bb.481:
	s_clause 0x3
	buffer_load_dword v81, v9, s[0:3], 0 offen offset:8
	buffer_load_dword v82, v9, s[0:3], 0 offen offset:12
	buffer_load_dword v84, v9, s[0:3], 0 offen
	buffer_load_dword v85, v9, s[0:3], 0 offen offset:4
	s_waitcnt vmcnt(2) lgkmcnt(0)
	v_mul_f64 v[86:87], v[3:4], v[81:82]
	v_mul_f64 v[81:82], v[1:2], v[81:82]
	s_waitcnt vmcnt(0)
	v_fma_f64 v[1:2], v[1:2], v[84:85], -v[86:87]
	v_fma_f64 v[3:4], v[3:4], v[84:85], v[81:82]
.LBB35_482:
	s_mov_b32 s6, exec_lo
	v_cmpx_ne_u32_e32 25, v0
	s_cbranch_execz .LBB35_486
; %bb.483:
	v_add_nc_u32_e32 v12, 0x250, v83
	v_add3_u32 v81, 0, v83, 16
	v_mov_b32_e32 v82, v0
	s_mov_b32 s8, 0
	.p2align	6
.LBB35_484:                             ; =>This Inner Loop Header: Depth=1
	s_clause 0x3
	buffer_load_dword v88, v81, s[0:3], 0 offen offset:8
	buffer_load_dword v89, v81, s[0:3], 0 offen offset:12
	buffer_load_dword v90, v81, s[0:3], 0 offen
	buffer_load_dword v91, v81, s[0:3], 0 offen offset:4
	ds_read_b128 v[84:87], v12
	v_add_nc_u32_e32 v82, 1, v82
	v_add_nc_u32_e32 v12, 16, v12
	;; [unrolled: 1-line block ×3, first 2 shown]
	v_cmp_lt_u32_e32 vcc_lo, 24, v82
	s_or_b32 s8, vcc_lo, s8
	s_waitcnt vmcnt(2) lgkmcnt(0)
	v_mul_f64 v[92:93], v[86:87], v[88:89]
	v_mul_f64 v[88:89], v[84:85], v[88:89]
	s_waitcnt vmcnt(0)
	v_fma_f64 v[84:85], v[84:85], v[90:91], -v[92:93]
	v_fma_f64 v[86:87], v[86:87], v[90:91], v[88:89]
	v_add_f64 v[1:2], v[1:2], v[84:85]
	v_add_f64 v[3:4], v[3:4], v[86:87]
	s_andn2_b32 exec_lo, exec_lo, s8
	s_cbranch_execnz .LBB35_484
; %bb.485:
	s_or_b32 exec_lo, exec_lo, s8
.LBB35_486:
	s_or_b32 exec_lo, exec_lo, s6
	v_mov_b32_e32 v12, 0
	ds_read_b128 v[84:87], v12 offset:416
	s_waitcnt lgkmcnt(0)
	v_mul_f64 v[81:82], v[3:4], v[86:87]
	v_mul_f64 v[86:87], v[1:2], v[86:87]
	v_fma_f64 v[1:2], v[1:2], v[84:85], -v[81:82]
	v_fma_f64 v[3:4], v[3:4], v[84:85], v[86:87]
	buffer_store_dword v2, off, s[0:3], 0 offset:420
	buffer_store_dword v1, off, s[0:3], 0 offset:416
	;; [unrolled: 1-line block ×4, first 2 shown]
.LBB35_487:
	s_or_b32 exec_lo, exec_lo, s4
	v_mov_b32_e32 v4, s16
	s_mov_b32 s4, exec_lo
	s_clause 0x3
	buffer_load_dword v1, v4, s[0:3], 0 offen
	buffer_load_dword v2, v4, s[0:3], 0 offen offset:4
	buffer_load_dword v3, v4, s[0:3], 0 offen offset:8
	;; [unrolled: 1-line block ×3, first 2 shown]
	s_waitcnt vmcnt(0)
	ds_write_b128 v10, v[1:4]
	s_waitcnt lgkmcnt(0)
	s_waitcnt_vscnt null, 0x0
	s_barrier
	buffer_gl0_inv
	v_cmpx_gt_u32_e32 27, v0
	s_cbranch_execz .LBB35_495
; %bb.488:
	ds_read_b128 v[1:4], v10
	v_cmp_ne_u32_e32 vcc_lo, 1, v11
	s_cbranch_vccnz .LBB35_490
; %bb.489:
	s_clause 0x3
	buffer_load_dword v81, v9, s[0:3], 0 offen offset:8
	buffer_load_dword v82, v9, s[0:3], 0 offen offset:12
	buffer_load_dword v84, v9, s[0:3], 0 offen
	buffer_load_dword v85, v9, s[0:3], 0 offen offset:4
	s_waitcnt vmcnt(2) lgkmcnt(0)
	v_mul_f64 v[86:87], v[3:4], v[81:82]
	v_mul_f64 v[81:82], v[1:2], v[81:82]
	s_waitcnt vmcnt(0)
	v_fma_f64 v[1:2], v[1:2], v[84:85], -v[86:87]
	v_fma_f64 v[3:4], v[3:4], v[84:85], v[81:82]
.LBB35_490:
	s_mov_b32 s6, exec_lo
	v_cmpx_ne_u32_e32 26, v0
	s_cbranch_execz .LBB35_494
; %bb.491:
	v_add_nc_u32_e32 v12, 0x250, v83
	v_add3_u32 v81, 0, v83, 16
	v_mov_b32_e32 v82, v0
	s_mov_b32 s8, 0
	.p2align	6
.LBB35_492:                             ; =>This Inner Loop Header: Depth=1
	s_clause 0x3
	buffer_load_dword v88, v81, s[0:3], 0 offen offset:8
	buffer_load_dword v89, v81, s[0:3], 0 offen offset:12
	buffer_load_dword v90, v81, s[0:3], 0 offen
	buffer_load_dword v91, v81, s[0:3], 0 offen offset:4
	ds_read_b128 v[84:87], v12
	v_add_nc_u32_e32 v82, 1, v82
	v_add_nc_u32_e32 v12, 16, v12
	;; [unrolled: 1-line block ×3, first 2 shown]
	v_cmp_lt_u32_e32 vcc_lo, 25, v82
	s_or_b32 s8, vcc_lo, s8
	s_waitcnt vmcnt(2) lgkmcnt(0)
	v_mul_f64 v[92:93], v[86:87], v[88:89]
	v_mul_f64 v[88:89], v[84:85], v[88:89]
	s_waitcnt vmcnt(0)
	v_fma_f64 v[84:85], v[84:85], v[90:91], -v[92:93]
	v_fma_f64 v[86:87], v[86:87], v[90:91], v[88:89]
	v_add_f64 v[1:2], v[1:2], v[84:85]
	v_add_f64 v[3:4], v[3:4], v[86:87]
	s_andn2_b32 exec_lo, exec_lo, s8
	s_cbranch_execnz .LBB35_492
; %bb.493:
	s_or_b32 exec_lo, exec_lo, s8
.LBB35_494:
	s_or_b32 exec_lo, exec_lo, s6
	v_mov_b32_e32 v12, 0
	ds_read_b128 v[84:87], v12 offset:432
	s_waitcnt lgkmcnt(0)
	v_mul_f64 v[81:82], v[3:4], v[86:87]
	v_mul_f64 v[86:87], v[1:2], v[86:87]
	v_fma_f64 v[1:2], v[1:2], v[84:85], -v[81:82]
	v_fma_f64 v[3:4], v[3:4], v[84:85], v[86:87]
	buffer_store_dword v2, off, s[0:3], 0 offset:436
	buffer_store_dword v1, off, s[0:3], 0 offset:432
	;; [unrolled: 1-line block ×4, first 2 shown]
.LBB35_495:
	s_or_b32 exec_lo, exec_lo, s4
	v_mov_b32_e32 v4, s15
	s_mov_b32 s4, exec_lo
	s_clause 0x3
	buffer_load_dword v1, v4, s[0:3], 0 offen
	buffer_load_dword v2, v4, s[0:3], 0 offen offset:4
	buffer_load_dword v3, v4, s[0:3], 0 offen offset:8
	;; [unrolled: 1-line block ×3, first 2 shown]
	s_waitcnt vmcnt(0)
	ds_write_b128 v10, v[1:4]
	s_waitcnt lgkmcnt(0)
	s_waitcnt_vscnt null, 0x0
	s_barrier
	buffer_gl0_inv
	v_cmpx_gt_u32_e32 28, v0
	s_cbranch_execz .LBB35_503
; %bb.496:
	ds_read_b128 v[1:4], v10
	v_cmp_ne_u32_e32 vcc_lo, 1, v11
	s_cbranch_vccnz .LBB35_498
; %bb.497:
	s_clause 0x3
	buffer_load_dword v81, v9, s[0:3], 0 offen offset:8
	buffer_load_dword v82, v9, s[0:3], 0 offen offset:12
	buffer_load_dword v84, v9, s[0:3], 0 offen
	buffer_load_dword v85, v9, s[0:3], 0 offen offset:4
	s_waitcnt vmcnt(2) lgkmcnt(0)
	v_mul_f64 v[86:87], v[3:4], v[81:82]
	v_mul_f64 v[81:82], v[1:2], v[81:82]
	s_waitcnt vmcnt(0)
	v_fma_f64 v[1:2], v[1:2], v[84:85], -v[86:87]
	v_fma_f64 v[3:4], v[3:4], v[84:85], v[81:82]
.LBB35_498:
	s_mov_b32 s6, exec_lo
	v_cmpx_ne_u32_e32 27, v0
	s_cbranch_execz .LBB35_502
; %bb.499:
	v_add_nc_u32_e32 v12, 0x250, v83
	v_add3_u32 v81, 0, v83, 16
	v_mov_b32_e32 v82, v0
	s_mov_b32 s8, 0
	.p2align	6
.LBB35_500:                             ; =>This Inner Loop Header: Depth=1
	s_clause 0x3
	buffer_load_dword v88, v81, s[0:3], 0 offen offset:8
	buffer_load_dword v89, v81, s[0:3], 0 offen offset:12
	buffer_load_dword v90, v81, s[0:3], 0 offen
	buffer_load_dword v91, v81, s[0:3], 0 offen offset:4
	ds_read_b128 v[84:87], v12
	v_add_nc_u32_e32 v82, 1, v82
	v_add_nc_u32_e32 v12, 16, v12
	;; [unrolled: 1-line block ×3, first 2 shown]
	v_cmp_lt_u32_e32 vcc_lo, 26, v82
	s_or_b32 s8, vcc_lo, s8
	s_waitcnt vmcnt(2) lgkmcnt(0)
	v_mul_f64 v[92:93], v[86:87], v[88:89]
	v_mul_f64 v[88:89], v[84:85], v[88:89]
	s_waitcnt vmcnt(0)
	v_fma_f64 v[84:85], v[84:85], v[90:91], -v[92:93]
	v_fma_f64 v[86:87], v[86:87], v[90:91], v[88:89]
	v_add_f64 v[1:2], v[1:2], v[84:85]
	v_add_f64 v[3:4], v[3:4], v[86:87]
	s_andn2_b32 exec_lo, exec_lo, s8
	s_cbranch_execnz .LBB35_500
; %bb.501:
	s_or_b32 exec_lo, exec_lo, s8
.LBB35_502:
	s_or_b32 exec_lo, exec_lo, s6
	v_mov_b32_e32 v12, 0
	ds_read_b128 v[84:87], v12 offset:448
	s_waitcnt lgkmcnt(0)
	v_mul_f64 v[81:82], v[3:4], v[86:87]
	v_mul_f64 v[86:87], v[1:2], v[86:87]
	v_fma_f64 v[1:2], v[1:2], v[84:85], -v[81:82]
	v_fma_f64 v[3:4], v[3:4], v[84:85], v[86:87]
	buffer_store_dword v2, off, s[0:3], 0 offset:452
	buffer_store_dword v1, off, s[0:3], 0 offset:448
	;; [unrolled: 1-line block ×4, first 2 shown]
.LBB35_503:
	s_or_b32 exec_lo, exec_lo, s4
	v_mov_b32_e32 v4, s14
	s_mov_b32 s4, exec_lo
	s_clause 0x3
	buffer_load_dword v1, v4, s[0:3], 0 offen
	buffer_load_dword v2, v4, s[0:3], 0 offen offset:4
	buffer_load_dword v3, v4, s[0:3], 0 offen offset:8
	;; [unrolled: 1-line block ×3, first 2 shown]
	s_waitcnt vmcnt(0)
	ds_write_b128 v10, v[1:4]
	s_waitcnt lgkmcnt(0)
	s_waitcnt_vscnt null, 0x0
	s_barrier
	buffer_gl0_inv
	v_cmpx_gt_u32_e32 29, v0
	s_cbranch_execz .LBB35_511
; %bb.504:
	ds_read_b128 v[1:4], v10
	v_cmp_ne_u32_e32 vcc_lo, 1, v11
	s_cbranch_vccnz .LBB35_506
; %bb.505:
	s_clause 0x3
	buffer_load_dword v81, v9, s[0:3], 0 offen offset:8
	buffer_load_dword v82, v9, s[0:3], 0 offen offset:12
	buffer_load_dword v84, v9, s[0:3], 0 offen
	buffer_load_dword v85, v9, s[0:3], 0 offen offset:4
	s_waitcnt vmcnt(2) lgkmcnt(0)
	v_mul_f64 v[86:87], v[3:4], v[81:82]
	v_mul_f64 v[81:82], v[1:2], v[81:82]
	s_waitcnt vmcnt(0)
	v_fma_f64 v[1:2], v[1:2], v[84:85], -v[86:87]
	v_fma_f64 v[3:4], v[3:4], v[84:85], v[81:82]
.LBB35_506:
	s_mov_b32 s6, exec_lo
	v_cmpx_ne_u32_e32 28, v0
	s_cbranch_execz .LBB35_510
; %bb.507:
	v_add_nc_u32_e32 v12, 0x250, v83
	v_add3_u32 v81, 0, v83, 16
	v_mov_b32_e32 v82, v0
	s_mov_b32 s8, 0
	.p2align	6
.LBB35_508:                             ; =>This Inner Loop Header: Depth=1
	s_clause 0x3
	buffer_load_dword v88, v81, s[0:3], 0 offen offset:8
	buffer_load_dword v89, v81, s[0:3], 0 offen offset:12
	buffer_load_dword v90, v81, s[0:3], 0 offen
	buffer_load_dword v91, v81, s[0:3], 0 offen offset:4
	ds_read_b128 v[84:87], v12
	v_add_nc_u32_e32 v82, 1, v82
	v_add_nc_u32_e32 v12, 16, v12
	;; [unrolled: 1-line block ×3, first 2 shown]
	v_cmp_lt_u32_e32 vcc_lo, 27, v82
	s_or_b32 s8, vcc_lo, s8
	s_waitcnt vmcnt(2) lgkmcnt(0)
	v_mul_f64 v[92:93], v[86:87], v[88:89]
	v_mul_f64 v[88:89], v[84:85], v[88:89]
	s_waitcnt vmcnt(0)
	v_fma_f64 v[84:85], v[84:85], v[90:91], -v[92:93]
	v_fma_f64 v[86:87], v[86:87], v[90:91], v[88:89]
	v_add_f64 v[1:2], v[1:2], v[84:85]
	v_add_f64 v[3:4], v[3:4], v[86:87]
	s_andn2_b32 exec_lo, exec_lo, s8
	s_cbranch_execnz .LBB35_508
; %bb.509:
	s_or_b32 exec_lo, exec_lo, s8
.LBB35_510:
	s_or_b32 exec_lo, exec_lo, s6
	v_mov_b32_e32 v12, 0
	ds_read_b128 v[84:87], v12 offset:464
	s_waitcnt lgkmcnt(0)
	v_mul_f64 v[81:82], v[3:4], v[86:87]
	v_mul_f64 v[86:87], v[1:2], v[86:87]
	v_fma_f64 v[1:2], v[1:2], v[84:85], -v[81:82]
	v_fma_f64 v[3:4], v[3:4], v[84:85], v[86:87]
	buffer_store_dword v2, off, s[0:3], 0 offset:468
	buffer_store_dword v1, off, s[0:3], 0 offset:464
	;; [unrolled: 1-line block ×4, first 2 shown]
.LBB35_511:
	s_or_b32 exec_lo, exec_lo, s4
	v_mov_b32_e32 v4, s13
	s_mov_b32 s4, exec_lo
	s_clause 0x3
	buffer_load_dword v1, v4, s[0:3], 0 offen
	buffer_load_dword v2, v4, s[0:3], 0 offen offset:4
	buffer_load_dword v3, v4, s[0:3], 0 offen offset:8
	;; [unrolled: 1-line block ×3, first 2 shown]
	s_waitcnt vmcnt(0)
	ds_write_b128 v10, v[1:4]
	s_waitcnt lgkmcnt(0)
	s_waitcnt_vscnt null, 0x0
	s_barrier
	buffer_gl0_inv
	v_cmpx_gt_u32_e32 30, v0
	s_cbranch_execz .LBB35_519
; %bb.512:
	ds_read_b128 v[1:4], v10
	v_cmp_ne_u32_e32 vcc_lo, 1, v11
	s_cbranch_vccnz .LBB35_514
; %bb.513:
	s_clause 0x3
	buffer_load_dword v81, v9, s[0:3], 0 offen offset:8
	buffer_load_dword v82, v9, s[0:3], 0 offen offset:12
	buffer_load_dword v84, v9, s[0:3], 0 offen
	buffer_load_dword v85, v9, s[0:3], 0 offen offset:4
	s_waitcnt vmcnt(2) lgkmcnt(0)
	v_mul_f64 v[86:87], v[3:4], v[81:82]
	v_mul_f64 v[81:82], v[1:2], v[81:82]
	s_waitcnt vmcnt(0)
	v_fma_f64 v[1:2], v[1:2], v[84:85], -v[86:87]
	v_fma_f64 v[3:4], v[3:4], v[84:85], v[81:82]
.LBB35_514:
	s_mov_b32 s6, exec_lo
	v_cmpx_ne_u32_e32 29, v0
	s_cbranch_execz .LBB35_518
; %bb.515:
	v_add_nc_u32_e32 v12, 0x250, v83
	v_add3_u32 v81, 0, v83, 16
	v_mov_b32_e32 v82, v0
	s_mov_b32 s8, 0
	.p2align	6
.LBB35_516:                             ; =>This Inner Loop Header: Depth=1
	s_clause 0x3
	buffer_load_dword v88, v81, s[0:3], 0 offen offset:8
	buffer_load_dword v89, v81, s[0:3], 0 offen offset:12
	buffer_load_dword v90, v81, s[0:3], 0 offen
	buffer_load_dword v91, v81, s[0:3], 0 offen offset:4
	ds_read_b128 v[84:87], v12
	v_add_nc_u32_e32 v82, 1, v82
	v_add_nc_u32_e32 v12, 16, v12
	;; [unrolled: 1-line block ×3, first 2 shown]
	v_cmp_lt_u32_e32 vcc_lo, 28, v82
	s_or_b32 s8, vcc_lo, s8
	s_waitcnt vmcnt(2) lgkmcnt(0)
	v_mul_f64 v[92:93], v[86:87], v[88:89]
	v_mul_f64 v[88:89], v[84:85], v[88:89]
	s_waitcnt vmcnt(0)
	v_fma_f64 v[84:85], v[84:85], v[90:91], -v[92:93]
	v_fma_f64 v[86:87], v[86:87], v[90:91], v[88:89]
	v_add_f64 v[1:2], v[1:2], v[84:85]
	v_add_f64 v[3:4], v[3:4], v[86:87]
	s_andn2_b32 exec_lo, exec_lo, s8
	s_cbranch_execnz .LBB35_516
; %bb.517:
	s_or_b32 exec_lo, exec_lo, s8
.LBB35_518:
	s_or_b32 exec_lo, exec_lo, s6
	v_mov_b32_e32 v12, 0
	ds_read_b128 v[84:87], v12 offset:480
	s_waitcnt lgkmcnt(0)
	v_mul_f64 v[81:82], v[3:4], v[86:87]
	v_mul_f64 v[86:87], v[1:2], v[86:87]
	v_fma_f64 v[1:2], v[1:2], v[84:85], -v[81:82]
	v_fma_f64 v[3:4], v[3:4], v[84:85], v[86:87]
	buffer_store_dword v2, off, s[0:3], 0 offset:484
	buffer_store_dword v1, off, s[0:3], 0 offset:480
	;; [unrolled: 1-line block ×4, first 2 shown]
.LBB35_519:
	s_or_b32 exec_lo, exec_lo, s4
	v_mov_b32_e32 v4, s12
	s_mov_b32 s4, exec_lo
	s_clause 0x3
	buffer_load_dword v1, v4, s[0:3], 0 offen
	buffer_load_dword v2, v4, s[0:3], 0 offen offset:4
	buffer_load_dword v3, v4, s[0:3], 0 offen offset:8
	buffer_load_dword v4, v4, s[0:3], 0 offen offset:12
	s_waitcnt vmcnt(0)
	ds_write_b128 v10, v[1:4]
	s_waitcnt lgkmcnt(0)
	s_waitcnt_vscnt null, 0x0
	s_barrier
	buffer_gl0_inv
	v_cmpx_gt_u32_e32 31, v0
	s_cbranch_execz .LBB35_527
; %bb.520:
	ds_read_b128 v[1:4], v10
	v_cmp_ne_u32_e32 vcc_lo, 1, v11
	s_cbranch_vccnz .LBB35_522
; %bb.521:
	s_clause 0x3
	buffer_load_dword v81, v9, s[0:3], 0 offen offset:8
	buffer_load_dword v82, v9, s[0:3], 0 offen offset:12
	buffer_load_dword v84, v9, s[0:3], 0 offen
	buffer_load_dword v85, v9, s[0:3], 0 offen offset:4
	s_waitcnt vmcnt(2) lgkmcnt(0)
	v_mul_f64 v[86:87], v[3:4], v[81:82]
	v_mul_f64 v[81:82], v[1:2], v[81:82]
	s_waitcnt vmcnt(0)
	v_fma_f64 v[1:2], v[1:2], v[84:85], -v[86:87]
	v_fma_f64 v[3:4], v[3:4], v[84:85], v[81:82]
.LBB35_522:
	s_mov_b32 s6, exec_lo
	v_cmpx_ne_u32_e32 30, v0
	s_cbranch_execz .LBB35_526
; %bb.523:
	v_add_nc_u32_e32 v12, 0x250, v83
	v_add3_u32 v81, 0, v83, 16
	v_mov_b32_e32 v82, v0
	s_mov_b32 s8, 0
	.p2align	6
.LBB35_524:                             ; =>This Inner Loop Header: Depth=1
	s_clause 0x3
	buffer_load_dword v88, v81, s[0:3], 0 offen offset:8
	buffer_load_dword v89, v81, s[0:3], 0 offen offset:12
	buffer_load_dword v90, v81, s[0:3], 0 offen
	buffer_load_dword v91, v81, s[0:3], 0 offen offset:4
	ds_read_b128 v[84:87], v12
	v_add_nc_u32_e32 v82, 1, v82
	v_add_nc_u32_e32 v12, 16, v12
	;; [unrolled: 1-line block ×3, first 2 shown]
	v_cmp_lt_u32_e32 vcc_lo, 29, v82
	s_or_b32 s8, vcc_lo, s8
	s_waitcnt vmcnt(2) lgkmcnt(0)
	v_mul_f64 v[92:93], v[86:87], v[88:89]
	v_mul_f64 v[88:89], v[84:85], v[88:89]
	s_waitcnt vmcnt(0)
	v_fma_f64 v[84:85], v[84:85], v[90:91], -v[92:93]
	v_fma_f64 v[86:87], v[86:87], v[90:91], v[88:89]
	v_add_f64 v[1:2], v[1:2], v[84:85]
	v_add_f64 v[3:4], v[3:4], v[86:87]
	s_andn2_b32 exec_lo, exec_lo, s8
	s_cbranch_execnz .LBB35_524
; %bb.525:
	s_or_b32 exec_lo, exec_lo, s8
.LBB35_526:
	s_or_b32 exec_lo, exec_lo, s6
	v_mov_b32_e32 v12, 0
	ds_read_b128 v[84:87], v12 offset:496
	s_waitcnt lgkmcnt(0)
	v_mul_f64 v[81:82], v[3:4], v[86:87]
	v_mul_f64 v[86:87], v[1:2], v[86:87]
	v_fma_f64 v[1:2], v[1:2], v[84:85], -v[81:82]
	v_fma_f64 v[3:4], v[3:4], v[84:85], v[86:87]
	buffer_store_dword v2, off, s[0:3], 0 offset:500
	buffer_store_dword v1, off, s[0:3], 0 offset:496
	;; [unrolled: 1-line block ×4, first 2 shown]
.LBB35_527:
	s_or_b32 exec_lo, exec_lo, s4
	v_mov_b32_e32 v4, s11
	s_mov_b32 s4, exec_lo
	s_clause 0x3
	buffer_load_dword v1, v4, s[0:3], 0 offen
	buffer_load_dword v2, v4, s[0:3], 0 offen offset:4
	buffer_load_dword v3, v4, s[0:3], 0 offen offset:8
	buffer_load_dword v4, v4, s[0:3], 0 offen offset:12
	s_waitcnt vmcnt(0)
	ds_write_b128 v10, v[1:4]
	s_waitcnt lgkmcnt(0)
	s_waitcnt_vscnt null, 0x0
	s_barrier
	buffer_gl0_inv
	v_cmpx_gt_u32_e32 32, v0
	s_cbranch_execz .LBB35_535
; %bb.528:
	ds_read_b128 v[1:4], v10
	v_cmp_ne_u32_e32 vcc_lo, 1, v11
	s_cbranch_vccnz .LBB35_530
; %bb.529:
	s_clause 0x3
	buffer_load_dword v81, v9, s[0:3], 0 offen offset:8
	buffer_load_dword v82, v9, s[0:3], 0 offen offset:12
	buffer_load_dword v84, v9, s[0:3], 0 offen
	buffer_load_dword v85, v9, s[0:3], 0 offen offset:4
	s_waitcnt vmcnt(2) lgkmcnt(0)
	v_mul_f64 v[86:87], v[3:4], v[81:82]
	v_mul_f64 v[81:82], v[1:2], v[81:82]
	s_waitcnt vmcnt(0)
	v_fma_f64 v[1:2], v[1:2], v[84:85], -v[86:87]
	v_fma_f64 v[3:4], v[3:4], v[84:85], v[81:82]
.LBB35_530:
	s_mov_b32 s6, exec_lo
	v_cmpx_ne_u32_e32 31, v0
	s_cbranch_execz .LBB35_534
; %bb.531:
	v_add_nc_u32_e32 v12, 0x250, v83
	v_add3_u32 v81, 0, v83, 16
	v_mov_b32_e32 v82, v0
	s_mov_b32 s8, 0
	.p2align	6
.LBB35_532:                             ; =>This Inner Loop Header: Depth=1
	s_clause 0x3
	buffer_load_dword v88, v81, s[0:3], 0 offen offset:8
	buffer_load_dword v89, v81, s[0:3], 0 offen offset:12
	buffer_load_dword v90, v81, s[0:3], 0 offen
	buffer_load_dword v91, v81, s[0:3], 0 offen offset:4
	ds_read_b128 v[84:87], v12
	v_add_nc_u32_e32 v82, 1, v82
	v_add_nc_u32_e32 v12, 16, v12
	;; [unrolled: 1-line block ×3, first 2 shown]
	v_cmp_lt_u32_e32 vcc_lo, 30, v82
	s_or_b32 s8, vcc_lo, s8
	s_waitcnt vmcnt(2) lgkmcnt(0)
	v_mul_f64 v[92:93], v[86:87], v[88:89]
	v_mul_f64 v[88:89], v[84:85], v[88:89]
	s_waitcnt vmcnt(0)
	v_fma_f64 v[84:85], v[84:85], v[90:91], -v[92:93]
	v_fma_f64 v[86:87], v[86:87], v[90:91], v[88:89]
	v_add_f64 v[1:2], v[1:2], v[84:85]
	v_add_f64 v[3:4], v[3:4], v[86:87]
	s_andn2_b32 exec_lo, exec_lo, s8
	s_cbranch_execnz .LBB35_532
; %bb.533:
	s_or_b32 exec_lo, exec_lo, s8
.LBB35_534:
	s_or_b32 exec_lo, exec_lo, s6
	v_mov_b32_e32 v12, 0
	ds_read_b128 v[84:87], v12 offset:512
	s_waitcnt lgkmcnt(0)
	v_mul_f64 v[81:82], v[3:4], v[86:87]
	v_mul_f64 v[86:87], v[1:2], v[86:87]
	v_fma_f64 v[1:2], v[1:2], v[84:85], -v[81:82]
	v_fma_f64 v[3:4], v[3:4], v[84:85], v[86:87]
	buffer_store_dword v2, off, s[0:3], 0 offset:516
	buffer_store_dword v1, off, s[0:3], 0 offset:512
	;; [unrolled: 1-line block ×4, first 2 shown]
.LBB35_535:
	s_or_b32 exec_lo, exec_lo, s4
	v_mov_b32_e32 v4, s10
	s_mov_b32 s4, exec_lo
	s_clause 0x3
	buffer_load_dword v1, v4, s[0:3], 0 offen
	buffer_load_dword v2, v4, s[0:3], 0 offen offset:4
	buffer_load_dword v3, v4, s[0:3], 0 offen offset:8
	;; [unrolled: 1-line block ×3, first 2 shown]
	s_waitcnt vmcnt(0)
	ds_write_b128 v10, v[1:4]
	s_waitcnt lgkmcnt(0)
	s_waitcnt_vscnt null, 0x0
	s_barrier
	buffer_gl0_inv
	v_cmpx_gt_u32_e32 33, v0
	s_cbranch_execz .LBB35_543
; %bb.536:
	ds_read_b128 v[1:4], v10
	v_cmp_ne_u32_e32 vcc_lo, 1, v11
	s_cbranch_vccnz .LBB35_538
; %bb.537:
	s_clause 0x3
	buffer_load_dword v81, v9, s[0:3], 0 offen offset:8
	buffer_load_dword v82, v9, s[0:3], 0 offen offset:12
	buffer_load_dword v84, v9, s[0:3], 0 offen
	buffer_load_dword v85, v9, s[0:3], 0 offen offset:4
	s_waitcnt vmcnt(2) lgkmcnt(0)
	v_mul_f64 v[86:87], v[3:4], v[81:82]
	v_mul_f64 v[81:82], v[1:2], v[81:82]
	s_waitcnt vmcnt(0)
	v_fma_f64 v[1:2], v[1:2], v[84:85], -v[86:87]
	v_fma_f64 v[3:4], v[3:4], v[84:85], v[81:82]
.LBB35_538:
	s_mov_b32 s6, exec_lo
	v_cmpx_ne_u32_e32 32, v0
	s_cbranch_execz .LBB35_542
; %bb.539:
	v_add_nc_u32_e32 v12, 0x250, v83
	v_add3_u32 v81, 0, v83, 16
	v_mov_b32_e32 v82, v0
	s_mov_b32 s8, 0
	.p2align	6
.LBB35_540:                             ; =>This Inner Loop Header: Depth=1
	s_clause 0x3
	buffer_load_dword v88, v81, s[0:3], 0 offen offset:8
	buffer_load_dword v89, v81, s[0:3], 0 offen offset:12
	buffer_load_dword v90, v81, s[0:3], 0 offen
	buffer_load_dword v91, v81, s[0:3], 0 offen offset:4
	ds_read_b128 v[84:87], v12
	v_add_nc_u32_e32 v82, 1, v82
	v_add_nc_u32_e32 v12, 16, v12
	;; [unrolled: 1-line block ×3, first 2 shown]
	v_cmp_lt_u32_e32 vcc_lo, 31, v82
	s_or_b32 s8, vcc_lo, s8
	s_waitcnt vmcnt(2) lgkmcnt(0)
	v_mul_f64 v[92:93], v[86:87], v[88:89]
	v_mul_f64 v[88:89], v[84:85], v[88:89]
	s_waitcnt vmcnt(0)
	v_fma_f64 v[84:85], v[84:85], v[90:91], -v[92:93]
	v_fma_f64 v[86:87], v[86:87], v[90:91], v[88:89]
	v_add_f64 v[1:2], v[1:2], v[84:85]
	v_add_f64 v[3:4], v[3:4], v[86:87]
	s_andn2_b32 exec_lo, exec_lo, s8
	s_cbranch_execnz .LBB35_540
; %bb.541:
	s_or_b32 exec_lo, exec_lo, s8
.LBB35_542:
	s_or_b32 exec_lo, exec_lo, s6
	v_mov_b32_e32 v12, 0
	ds_read_b128 v[84:87], v12 offset:528
	s_waitcnt lgkmcnt(0)
	v_mul_f64 v[81:82], v[3:4], v[86:87]
	v_mul_f64 v[86:87], v[1:2], v[86:87]
	v_fma_f64 v[1:2], v[1:2], v[84:85], -v[81:82]
	v_fma_f64 v[3:4], v[3:4], v[84:85], v[86:87]
	buffer_store_dword v2, off, s[0:3], 0 offset:532
	buffer_store_dword v1, off, s[0:3], 0 offset:528
	;; [unrolled: 1-line block ×4, first 2 shown]
.LBB35_543:
	s_or_b32 exec_lo, exec_lo, s4
	v_mov_b32_e32 v4, s9
	v_cmp_gt_u32_e64 s4, 34, v0
	s_clause 0x3
	buffer_load_dword v1, v4, s[0:3], 0 offen
	buffer_load_dword v2, v4, s[0:3], 0 offen offset:4
	buffer_load_dword v3, v4, s[0:3], 0 offen offset:8
	;; [unrolled: 1-line block ×3, first 2 shown]
	s_waitcnt vmcnt(0)
	ds_write_b128 v10, v[1:4]
	s_waitcnt lgkmcnt(0)
	s_waitcnt_vscnt null, 0x0
	s_barrier
	buffer_gl0_inv
	s_and_saveexec_b32 s6, s4
	s_cbranch_execz .LBB35_551
; %bb.544:
	ds_read_b128 v[1:4], v10
	v_cmp_ne_u32_e32 vcc_lo, 1, v11
	s_cbranch_vccnz .LBB35_546
; %bb.545:
	s_clause 0x3
	buffer_load_dword v81, v9, s[0:3], 0 offen offset:8
	buffer_load_dword v82, v9, s[0:3], 0 offen offset:12
	buffer_load_dword v84, v9, s[0:3], 0 offen
	buffer_load_dword v85, v9, s[0:3], 0 offen offset:4
	s_waitcnt vmcnt(2) lgkmcnt(0)
	v_mul_f64 v[86:87], v[3:4], v[81:82]
	v_mul_f64 v[81:82], v[1:2], v[81:82]
	s_waitcnt vmcnt(0)
	v_fma_f64 v[1:2], v[1:2], v[84:85], -v[86:87]
	v_fma_f64 v[3:4], v[3:4], v[84:85], v[81:82]
.LBB35_546:
	s_mov_b32 s8, exec_lo
	v_cmpx_ne_u32_e32 33, v0
	s_cbranch_execz .LBB35_550
; %bb.547:
	v_add_nc_u32_e32 v12, 0x250, v83
	v_add3_u32 v81, 0, v83, 16
	v_mov_b32_e32 v82, v0
	s_mov_b32 s44, 0
	.p2align	6
.LBB35_548:                             ; =>This Inner Loop Header: Depth=1
	s_clause 0x3
	buffer_load_dword v88, v81, s[0:3], 0 offen offset:8
	buffer_load_dword v89, v81, s[0:3], 0 offen offset:12
	buffer_load_dword v90, v81, s[0:3], 0 offen
	buffer_load_dword v91, v81, s[0:3], 0 offen offset:4
	ds_read_b128 v[84:87], v12
	v_add_nc_u32_e32 v82, 1, v82
	v_add_nc_u32_e32 v12, 16, v12
	;; [unrolled: 1-line block ×3, first 2 shown]
	v_cmp_lt_u32_e32 vcc_lo, 32, v82
	s_or_b32 s44, vcc_lo, s44
	s_waitcnt vmcnt(2) lgkmcnt(0)
	v_mul_f64 v[92:93], v[86:87], v[88:89]
	v_mul_f64 v[88:89], v[84:85], v[88:89]
	s_waitcnt vmcnt(0)
	v_fma_f64 v[84:85], v[84:85], v[90:91], -v[92:93]
	v_fma_f64 v[86:87], v[86:87], v[90:91], v[88:89]
	v_add_f64 v[1:2], v[1:2], v[84:85]
	v_add_f64 v[3:4], v[3:4], v[86:87]
	s_andn2_b32 exec_lo, exec_lo, s44
	s_cbranch_execnz .LBB35_548
; %bb.549:
	s_or_b32 exec_lo, exec_lo, s44
.LBB35_550:
	s_or_b32 exec_lo, exec_lo, s8
	v_mov_b32_e32 v12, 0
	ds_read_b128 v[84:87], v12 offset:544
	s_waitcnt lgkmcnt(0)
	v_mul_f64 v[81:82], v[3:4], v[86:87]
	v_mul_f64 v[86:87], v[1:2], v[86:87]
	v_fma_f64 v[1:2], v[1:2], v[84:85], -v[81:82]
	v_fma_f64 v[3:4], v[3:4], v[84:85], v[86:87]
	buffer_store_dword v2, off, s[0:3], 0 offset:548
	buffer_store_dword v1, off, s[0:3], 0 offset:544
	;; [unrolled: 1-line block ×4, first 2 shown]
.LBB35_551:
	s_or_b32 exec_lo, exec_lo, s6
	v_mov_b32_e32 v4, s7
	s_mov_b32 s6, exec_lo
                                        ; implicit-def: $sgpr45
	s_clause 0x3
	buffer_load_dword v1, v4, s[0:3], 0 offen
	buffer_load_dword v2, v4, s[0:3], 0 offen offset:4
	buffer_load_dword v3, v4, s[0:3], 0 offen offset:8
	;; [unrolled: 1-line block ×3, first 2 shown]
	s_waitcnt vmcnt(0)
	ds_write_b128 v10, v[1:4]
	s_waitcnt lgkmcnt(0)
	s_waitcnt_vscnt null, 0x0
	s_barrier
	buffer_gl0_inv
                                        ; implicit-def: $vgpr1_vgpr2
	v_cmpx_ne_u32_e32 35, v0
	s_cbranch_execz .LBB35_559
; %bb.552:
	ds_read_b128 v[1:4], v10
	v_cmp_ne_u32_e32 vcc_lo, 1, v11
	s_cbranch_vccnz .LBB35_554
; %bb.553:
	s_clause 0x3
	buffer_load_dword v10, v9, s[0:3], 0 offen offset:8
	buffer_load_dword v11, v9, s[0:3], 0 offen offset:12
	buffer_load_dword v81, v9, s[0:3], 0 offen
	buffer_load_dword v82, v9, s[0:3], 0 offen offset:4
	s_waitcnt vmcnt(2) lgkmcnt(0)
	v_mul_f64 v[84:85], v[3:4], v[10:11]
	v_mul_f64 v[9:10], v[1:2], v[10:11]
	s_waitcnt vmcnt(0)
	v_fma_f64 v[1:2], v[1:2], v[81:82], -v[84:85]
	v_fma_f64 v[3:4], v[3:4], v[81:82], v[9:10]
.LBB35_554:
	s_and_saveexec_b32 s8, s4
	s_cbranch_execz .LBB35_558
; %bb.555:
	v_add_nc_u32_e32 v9, 0x250, v83
	v_add3_u32 v10, 0, v83, 16
	s_mov_b32 s4, 0
	.p2align	6
.LBB35_556:                             ; =>This Inner Loop Header: Depth=1
	s_clause 0x3
	buffer_load_dword v11, v10, s[0:3], 0 offen offset:8
	buffer_load_dword v12, v10, s[0:3], 0 offen offset:12
	buffer_load_dword v85, v10, s[0:3], 0 offen
	buffer_load_dword v86, v10, s[0:3], 0 offen offset:4
	ds_read_b128 v[81:84], v9
	v_add_nc_u32_e32 v0, 1, v0
	v_add_nc_u32_e32 v9, 16, v9
	;; [unrolled: 1-line block ×3, first 2 shown]
	v_cmp_lt_u32_e32 vcc_lo, 33, v0
	s_or_b32 s4, vcc_lo, s4
	s_waitcnt vmcnt(2) lgkmcnt(0)
	v_mul_f64 v[87:88], v[83:84], v[11:12]
	v_mul_f64 v[11:12], v[81:82], v[11:12]
	s_waitcnt vmcnt(0)
	v_fma_f64 v[81:82], v[81:82], v[85:86], -v[87:88]
	v_fma_f64 v[11:12], v[83:84], v[85:86], v[11:12]
	v_add_f64 v[1:2], v[1:2], v[81:82]
	v_add_f64 v[3:4], v[3:4], v[11:12]
	s_andn2_b32 exec_lo, exec_lo, s4
	s_cbranch_execnz .LBB35_556
; %bb.557:
	s_or_b32 exec_lo, exec_lo, s4
.LBB35_558:
	s_or_b32 exec_lo, exec_lo, s8
	v_mov_b32_e32 v0, 0
	s_movk_i32 s45, 0x238
	s_or_b32 s5, s5, exec_lo
	ds_read_b128 v[9:12], v0 offset:560
	s_waitcnt lgkmcnt(0)
	v_mul_f64 v[81:82], v[3:4], v[11:12]
	v_mul_f64 v[11:12], v[1:2], v[11:12]
	v_fma_f64 v[81:82], v[1:2], v[9:10], -v[81:82]
	v_fma_f64 v[1:2], v[3:4], v[9:10], v[11:12]
	buffer_store_dword v82, off, s[0:3], 0 offset:564
	buffer_store_dword v81, off, s[0:3], 0 offset:560
.LBB35_559:
	s_or_b32 exec_lo, exec_lo, s6
.LBB35_560:
	s_and_saveexec_b32 s4, s5
	s_cbranch_execz .LBB35_562
; %bb.561:
	v_mov_b32_e32 v0, s45
	buffer_store_dword v2, v0, s[0:3], 0 offen offset:4
	buffer_store_dword v1, v0, s[0:3], 0 offen
.LBB35_562:
	s_or_b32 exec_lo, exec_lo, s4
	v_mov_b32_e32 v3, s43
	v_mov_b32_e32 v12, s41
	;; [unrolled: 1-line block ×5, first 2 shown]
	s_clause 0x13
	buffer_load_dword v0, v3, s[0:3], 0 offen
	buffer_load_dword v1, v3, s[0:3], 0 offen offset:4
	buffer_load_dword v2, v3, s[0:3], 0 offen offset:8
	buffer_load_dword v3, v3, s[0:3], 0 offen offset:12
	buffer_load_dword v9, v12, s[0:3], 0 offen
	buffer_load_dword v10, v12, s[0:3], 0 offen offset:4
	buffer_load_dword v11, v12, s[0:3], 0 offen offset:8
	buffer_load_dword v12, v12, s[0:3], 0 offen offset:12
	;; [unrolled: 4-line block ×4, first 2 shown]
	buffer_load_dword v89, off, s[0:3], 0
	buffer_load_dword v90, off, s[0:3], 0 offset:4
	buffer_load_dword v91, off, s[0:3], 0 offset:8
	;; [unrolled: 1-line block ×3, first 2 shown]
	v_mov_b32_e32 v4, s39
	v_mov_b32_e32 v99, s15
	;; [unrolled: 1-line block ×8, first 2 shown]
	s_waitcnt vmcnt(0)
	global_store_dwordx4 v[15:16], v[89:92], off
	v_mov_b32_e32 v16, s38
	s_clause 0x3
	buffer_load_dword v89, v4, s[0:3], 0 offen
	buffer_load_dword v90, v4, s[0:3], 0 offen offset:4
	buffer_load_dword v91, v4, s[0:3], 0 offen offset:8
	;; [unrolled: 1-line block ×3, first 2 shown]
	v_mov_b32_e32 v4, s37
	global_store_dwordx4 v[13:14], v[85:88], off
	s_clause 0x7
	buffer_load_dword v13, v16, s[0:3], 0 offen
	buffer_load_dword v14, v16, s[0:3], 0 offen offset:4
	buffer_load_dword v15, v16, s[0:3], 0 offen offset:8
	;; [unrolled: 1-line block ×3, first 2 shown]
	buffer_load_dword v85, v4, s[0:3], 0 offen
	buffer_load_dword v86, v4, s[0:3], 0 offen offset:4
	buffer_load_dword v87, v4, s[0:3], 0 offen offset:8
	;; [unrolled: 1-line block ×3, first 2 shown]
	global_store_dwordx4 v[77:78], v[0:3], off
	v_mov_b32_e32 v3, s36
	s_clause 0x3
	buffer_load_dword v0, v3, s[0:3], 0 offen
	buffer_load_dword v1, v3, s[0:3], 0 offen offset:4
	buffer_load_dword v2, v3, s[0:3], 0 offen offset:8
	;; [unrolled: 1-line block ×3, first 2 shown]
	v_mov_b32_e32 v4, s35
	global_store_dwordx4 v[79:80], v[9:12], off
	s_clause 0x3
	buffer_load_dword v9, v4, s[0:3], 0 offen
	buffer_load_dword v10, v4, s[0:3], 0 offen offset:4
	buffer_load_dword v11, v4, s[0:3], 0 offen offset:8
	;; [unrolled: 1-line block ×3, first 2 shown]
	v_mov_b32_e32 v4, s34
	s_clause 0x3
	buffer_load_dword v77, v4, s[0:3], 0 offen
	buffer_load_dword v78, v4, s[0:3], 0 offen offset:4
	buffer_load_dword v79, v4, s[0:3], 0 offen offset:8
	;; [unrolled: 1-line block ×3, first 2 shown]
	v_mov_b32_e32 v4, s33
	global_store_dwordx4 v[75:76], v[81:84], off
	v_mov_b32_e32 v76, s31
	s_clause 0x3
	buffer_load_dword v81, v4, s[0:3], 0 offen
	buffer_load_dword v82, v4, s[0:3], 0 offen offset:4
	buffer_load_dword v83, v4, s[0:3], 0 offen offset:8
	buffer_load_dword v84, v4, s[0:3], 0 offen offset:12
	v_mov_b32_e32 v4, s30
	s_waitcnt vmcnt(24)
	global_store_dwordx4 v[73:74], v[89:92], off
	s_clause 0x3
	buffer_load_dword v73, v76, s[0:3], 0 offen
	buffer_load_dword v74, v76, s[0:3], 0 offen offset:4
	buffer_load_dword v75, v76, s[0:3], 0 offen offset:8
	buffer_load_dword v76, v76, s[0:3], 0 offen offset:12
	v_mov_b32_e32 v92, s29
	s_waitcnt vmcnt(24)
	global_store_dwordx4 v[71:72], v[13:16], off
	s_clause 0x7
	buffer_load_dword v13, v4, s[0:3], 0 offen
	buffer_load_dword v14, v4, s[0:3], 0 offen offset:4
	buffer_load_dword v15, v4, s[0:3], 0 offen offset:8
	;; [unrolled: 1-line block ×3, first 2 shown]
	buffer_load_dword v89, v92, s[0:3], 0 offen
	buffer_load_dword v90, v92, s[0:3], 0 offen offset:4
	buffer_load_dword v91, v92, s[0:3], 0 offen offset:8
	;; [unrolled: 1-line block ×3, first 2 shown]
	v_mov_b32_e32 v4, s28
	v_mov_b32_e32 v71, s27
	s_waitcnt vmcnt(28)
	global_store_dwordx4 v[67:68], v[85:88], off
	s_clause 0x7
	buffer_load_dword v85, v4, s[0:3], 0 offen
	buffer_load_dword v86, v4, s[0:3], 0 offen offset:4
	buffer_load_dword v87, v4, s[0:3], 0 offen offset:8
	;; [unrolled: 1-line block ×3, first 2 shown]
	buffer_load_dword v93, v71, s[0:3], 0 offen
	buffer_load_dword v94, v71, s[0:3], 0 offen offset:4
	buffer_load_dword v95, v71, s[0:3], 0 offen offset:8
	;; [unrolled: 1-line block ×3, first 2 shown]
	v_mov_b32_e32 v4, s25
	s_waitcnt vmcnt(32)
	global_store_dwordx4 v[69:70], v[0:3], off
	v_mov_b32_e32 v3, s26
	s_clause 0x3
	buffer_load_dword v0, v3, s[0:3], 0 offen
	buffer_load_dword v1, v3, s[0:3], 0 offen offset:4
	buffer_load_dword v2, v3, s[0:3], 0 offen offset:8
	;; [unrolled: 1-line block ×3, first 2 shown]
	v_mov_b32_e32 v68, s24
	s_waitcnt vmcnt(32)
	global_store_dwordx4 v[65:66], v[9:12], off
	s_clause 0x7
	buffer_load_dword v9, v4, s[0:3], 0 offen
	buffer_load_dword v10, v4, s[0:3], 0 offen offset:4
	buffer_load_dword v11, v4, s[0:3], 0 offen offset:8
	;; [unrolled: 1-line block ×3, first 2 shown]
	buffer_load_dword v65, v68, s[0:3], 0 offen
	buffer_load_dword v66, v68, s[0:3], 0 offen offset:4
	buffer_load_dword v67, v68, s[0:3], 0 offen offset:8
	;; [unrolled: 1-line block ×3, first 2 shown]
	v_mov_b32_e32 v4, s23
	s_waitcnt vmcnt(36)
	global_store_dwordx4 v[63:64], v[77:80], off
	s_clause 0x3
	buffer_load_dword v69, v4, s[0:3], 0 offen
	buffer_load_dword v70, v4, s[0:3], 0 offen offset:4
	buffer_load_dword v71, v4, s[0:3], 0 offen offset:8
	;; [unrolled: 1-line block ×3, first 2 shown]
	v_mov_b32_e32 v4, s22
	v_mov_b32_e32 v64, s21
	;; [unrolled: 1-line block ×3, first 2 shown]
	s_waitcnt vmcnt(36)
	global_store_dwordx4 v[61:62], v[81:84], off
	v_mov_b32_e32 v77, s20
	v_mov_b32_e32 v84, s18
	s_waitcnt vmcnt(32)
	global_store_dwordx4 v[47:48], v[73:76], off
	s_waitcnt vmcnt(28)
	global_store_dwordx4 v[31:32], v[13:16], off
	v_mov_b32_e32 v48, s13
	s_clause 0x3
	buffer_load_dword v13, v4, s[0:3], 0 offen
	buffer_load_dword v14, v4, s[0:3], 0 offen offset:4
	buffer_load_dword v15, v4, s[0:3], 0 offen offset:8
	;; [unrolled: 1-line block ×3, first 2 shown]
	s_waitcnt vmcnt(28)
	global_store_dwordx4 v[25:26], v[89:92], off
	s_clause 0x7
	buffer_load_dword v61, v64, s[0:3], 0 offen
	buffer_load_dword v62, v64, s[0:3], 0 offen offset:4
	buffer_load_dword v63, v64, s[0:3], 0 offen offset:8
	;; [unrolled: 1-line block ×3, first 2 shown]
	buffer_load_dword v73, v77, s[0:3], 0 offen
	buffer_load_dword v74, v77, s[0:3], 0 offen offset:4
	buffer_load_dword v75, v77, s[0:3], 0 offen offset:8
	;; [unrolled: 1-line block ×3, first 2 shown]
	s_waitcnt vmcnt(32)
	global_store_dwordx4 v[19:20], v[85:88], off
	s_clause 0x7
	buffer_load_dword v77, v80, s[0:3], 0 offen
	buffer_load_dword v78, v80, s[0:3], 0 offen offset:4
	buffer_load_dword v79, v80, s[0:3], 0 offen offset:8
	;; [unrolled: 1-line block ×3, first 2 shown]
	buffer_load_dword v81, v84, s[0:3], 0 offen
	buffer_load_dword v82, v84, s[0:3], 0 offen offset:4
	buffer_load_dword v83, v84, s[0:3], 0 offen offset:8
	;; [unrolled: 1-line block ×3, first 2 shown]
	v_mov_b32_e32 v47, s14
	s_waitcnt vmcnt(36)
	global_store_dwordx4 v[5:6], v[93:96], off
	s_clause 0x7
	buffer_load_dword v85, v97, s[0:3], 0 offen
	buffer_load_dword v86, v97, s[0:3], 0 offen offset:4
	buffer_load_dword v87, v97, s[0:3], 0 offen offset:8
	buffer_load_dword v88, v97, s[0:3], 0 offen offset:12
	buffer_load_dword v89, v98, s[0:3], 0 offen
	buffer_load_dword v90, v98, s[0:3], 0 offen offset:4
	buffer_load_dword v91, v98, s[0:3], 0 offen offset:8
	buffer_load_dword v92, v98, s[0:3], 0 offen offset:12
	s_waitcnt vmcnt(40)
	global_store_dwordx4 v[27:28], v[0:3], off
	s_clause 0x7
	buffer_load_dword v0, v99, s[0:3], 0 offen
	buffer_load_dword v1, v99, s[0:3], 0 offen offset:4
	buffer_load_dword v2, v99, s[0:3], 0 offen offset:8
	buffer_load_dword v3, v99, s[0:3], 0 offen offset:12
	buffer_load_dword v25, v47, s[0:3], 0 offen
	buffer_load_dword v26, v47, s[0:3], 0 offen offset:4
	buffer_load_dword v27, v47, s[0:3], 0 offen offset:8
	buffer_load_dword v28, v47, s[0:3], 0 offen offset:12
	;; [unrolled: 11-line block ×5, first 2 shown]
	s_waitcnt vmcnt(56)
	global_store_dwordx4 v[23:24], v[13:16], off
	s_waitcnt vmcnt(52)
	global_store_dwordx4 v[33:34], v[61:64], off
	;; [unrolled: 2-line block ×15, first 2 shown]
.LBB35_563:
	s_endpgm
	.section	.rodata,"a",@progbits
	.p2align	6, 0x0
	.amdhsa_kernel _ZN9rocsolver6v33100L18trti2_kernel_smallILi36E19rocblas_complex_numIdEPS3_EEv13rocblas_fill_17rocblas_diagonal_T1_iil
		.amdhsa_group_segment_fixed_size 1152
		.amdhsa_private_segment_fixed_size 592
		.amdhsa_kernarg_size 32
		.amdhsa_user_sgpr_count 6
		.amdhsa_user_sgpr_private_segment_buffer 1
		.amdhsa_user_sgpr_dispatch_ptr 0
		.amdhsa_user_sgpr_queue_ptr 0
		.amdhsa_user_sgpr_kernarg_segment_ptr 1
		.amdhsa_user_sgpr_dispatch_id 0
		.amdhsa_user_sgpr_flat_scratch_init 0
		.amdhsa_user_sgpr_private_segment_size 0
		.amdhsa_wavefront_size32 1
		.amdhsa_uses_dynamic_stack 0
		.amdhsa_system_sgpr_private_segment_wavefront_offset 1
		.amdhsa_system_sgpr_workgroup_id_x 1
		.amdhsa_system_sgpr_workgroup_id_y 0
		.amdhsa_system_sgpr_workgroup_id_z 0
		.amdhsa_system_sgpr_workgroup_info 0
		.amdhsa_system_vgpr_workitem_id 0
		.amdhsa_next_free_vgpr 105
		.amdhsa_next_free_sgpr 59
		.amdhsa_reserve_vcc 1
		.amdhsa_reserve_flat_scratch 0
		.amdhsa_float_round_mode_32 0
		.amdhsa_float_round_mode_16_64 0
		.amdhsa_float_denorm_mode_32 3
		.amdhsa_float_denorm_mode_16_64 3
		.amdhsa_dx10_clamp 1
		.amdhsa_ieee_mode 1
		.amdhsa_fp16_overflow 0
		.amdhsa_workgroup_processor_mode 1
		.amdhsa_memory_ordered 1
		.amdhsa_forward_progress 1
		.amdhsa_shared_vgpr_count 0
		.amdhsa_exception_fp_ieee_invalid_op 0
		.amdhsa_exception_fp_denorm_src 0
		.amdhsa_exception_fp_ieee_div_zero 0
		.amdhsa_exception_fp_ieee_overflow 0
		.amdhsa_exception_fp_ieee_underflow 0
		.amdhsa_exception_fp_ieee_inexact 0
		.amdhsa_exception_int_div_zero 0
	.end_amdhsa_kernel
	.section	.text._ZN9rocsolver6v33100L18trti2_kernel_smallILi36E19rocblas_complex_numIdEPS3_EEv13rocblas_fill_17rocblas_diagonal_T1_iil,"axG",@progbits,_ZN9rocsolver6v33100L18trti2_kernel_smallILi36E19rocblas_complex_numIdEPS3_EEv13rocblas_fill_17rocblas_diagonal_T1_iil,comdat
.Lfunc_end35:
	.size	_ZN9rocsolver6v33100L18trti2_kernel_smallILi36E19rocblas_complex_numIdEPS3_EEv13rocblas_fill_17rocblas_diagonal_T1_iil, .Lfunc_end35-_ZN9rocsolver6v33100L18trti2_kernel_smallILi36E19rocblas_complex_numIdEPS3_EEv13rocblas_fill_17rocblas_diagonal_T1_iil
                                        ; -- End function
	.set _ZN9rocsolver6v33100L18trti2_kernel_smallILi36E19rocblas_complex_numIdEPS3_EEv13rocblas_fill_17rocblas_diagonal_T1_iil.num_vgpr, 105
	.set _ZN9rocsolver6v33100L18trti2_kernel_smallILi36E19rocblas_complex_numIdEPS3_EEv13rocblas_fill_17rocblas_diagonal_T1_iil.num_agpr, 0
	.set _ZN9rocsolver6v33100L18trti2_kernel_smallILi36E19rocblas_complex_numIdEPS3_EEv13rocblas_fill_17rocblas_diagonal_T1_iil.numbered_sgpr, 59
	.set _ZN9rocsolver6v33100L18trti2_kernel_smallILi36E19rocblas_complex_numIdEPS3_EEv13rocblas_fill_17rocblas_diagonal_T1_iil.num_named_barrier, 0
	.set _ZN9rocsolver6v33100L18trti2_kernel_smallILi36E19rocblas_complex_numIdEPS3_EEv13rocblas_fill_17rocblas_diagonal_T1_iil.private_seg_size, 592
	.set _ZN9rocsolver6v33100L18trti2_kernel_smallILi36E19rocblas_complex_numIdEPS3_EEv13rocblas_fill_17rocblas_diagonal_T1_iil.uses_vcc, 1
	.set _ZN9rocsolver6v33100L18trti2_kernel_smallILi36E19rocblas_complex_numIdEPS3_EEv13rocblas_fill_17rocblas_diagonal_T1_iil.uses_flat_scratch, 0
	.set _ZN9rocsolver6v33100L18trti2_kernel_smallILi36E19rocblas_complex_numIdEPS3_EEv13rocblas_fill_17rocblas_diagonal_T1_iil.has_dyn_sized_stack, 0
	.set _ZN9rocsolver6v33100L18trti2_kernel_smallILi36E19rocblas_complex_numIdEPS3_EEv13rocblas_fill_17rocblas_diagonal_T1_iil.has_recursion, 0
	.set _ZN9rocsolver6v33100L18trti2_kernel_smallILi36E19rocblas_complex_numIdEPS3_EEv13rocblas_fill_17rocblas_diagonal_T1_iil.has_indirect_call, 0
	.section	.AMDGPU.csdata,"",@progbits
; Kernel info:
; codeLenInByte = 36408
; TotalNumSgprs: 61
; NumVgprs: 105
; ScratchSize: 592
; MemoryBound: 0
; FloatMode: 240
; IeeeMode: 1
; LDSByteSize: 1152 bytes/workgroup (compile time only)
; SGPRBlocks: 0
; VGPRBlocks: 13
; NumSGPRsForWavesPerEU: 61
; NumVGPRsForWavesPerEU: 105
; Occupancy: 9
; WaveLimiterHint : 0
; COMPUTE_PGM_RSRC2:SCRATCH_EN: 1
; COMPUTE_PGM_RSRC2:USER_SGPR: 6
; COMPUTE_PGM_RSRC2:TRAP_HANDLER: 0
; COMPUTE_PGM_RSRC2:TGID_X_EN: 1
; COMPUTE_PGM_RSRC2:TGID_Y_EN: 0
; COMPUTE_PGM_RSRC2:TGID_Z_EN: 0
; COMPUTE_PGM_RSRC2:TIDIG_COMP_CNT: 0
	.section	.text._ZN9rocsolver6v33100L18trti2_kernel_smallILi37E19rocblas_complex_numIdEPS3_EEv13rocblas_fill_17rocblas_diagonal_T1_iil,"axG",@progbits,_ZN9rocsolver6v33100L18trti2_kernel_smallILi37E19rocblas_complex_numIdEPS3_EEv13rocblas_fill_17rocblas_diagonal_T1_iil,comdat
	.globl	_ZN9rocsolver6v33100L18trti2_kernel_smallILi37E19rocblas_complex_numIdEPS3_EEv13rocblas_fill_17rocblas_diagonal_T1_iil ; -- Begin function _ZN9rocsolver6v33100L18trti2_kernel_smallILi37E19rocblas_complex_numIdEPS3_EEv13rocblas_fill_17rocblas_diagonal_T1_iil
	.p2align	8
	.type	_ZN9rocsolver6v33100L18trti2_kernel_smallILi37E19rocblas_complex_numIdEPS3_EEv13rocblas_fill_17rocblas_diagonal_T1_iil,@function
_ZN9rocsolver6v33100L18trti2_kernel_smallILi37E19rocblas_complex_numIdEPS3_EEv13rocblas_fill_17rocblas_diagonal_T1_iil: ; @_ZN9rocsolver6v33100L18trti2_kernel_smallILi37E19rocblas_complex_numIdEPS3_EEv13rocblas_fill_17rocblas_diagonal_T1_iil
; %bb.0:
	s_add_u32 s0, s0, s7
	s_addc_u32 s1, s1, 0
	s_mov_b32 s7, exec_lo
	v_cmpx_gt_u32_e32 37, v0
	s_cbranch_execz .LBB36_579
; %bb.1:
	s_load_dwordx8 s[8:15], s[4:5], 0x0
	s_ashr_i32 s7, s6, 31
	v_lshlrev_b32_e32 v103, 4, v0
	s_movk_i32 s16, 0xf0
	s_movk_i32 s17, 0x100
	;; [unrolled: 1-line block ×17, first 2 shown]
	s_waitcnt lgkmcnt(0)
	s_ashr_i32 s5, s12, 31
	s_mov_b32 s4, s12
	s_mul_hi_u32 s12, s14, s6
	s_mul_i32 s7, s14, s7
	s_mul_i32 s15, s15, s6
	s_add_i32 s7, s12, s7
	v_add3_u32 v1, s13, s13, v0
	s_mul_i32 s6, s14, s6
	s_add_i32 s7, s7, s15
	s_mov_b32 s14, s13
	s_lshl_b64 s[6:7], s[6:7], 4
	v_add_nc_u32_e32 v5, s13, v1
	s_add_u32 s6, s10, s6
	v_ashrrev_i32_e32 v2, 31, v1
	s_addc_u32 s7, s11, s7
	s_lshl_b64 s[4:5], s[4:5], 4
	v_add_nc_u32_e32 v21, s13, v5
	s_add_u32 s4, s6, s4
	s_addc_u32 s5, s7, s5
	v_lshlrev_b64 v[7:8], 4, v[1:2]
	v_add_co_u32 v39, s6, s4, v103
	global_load_dwordx4 v[1:4], v103, s[4:5]
	s_ashr_i32 s15, s13, 31
	v_ashrrev_i32_e32 v6, 31, v5
	v_add_co_ci_u32_e64 v40, null, s5, 0, s6
	s_lshl_b64 s[6:7], s[14:15], 4
	v_ashrrev_i32_e32 v22, 31, v21
	v_add_co_u32 v37, vcc_lo, v39, s6
	v_lshlrev_b64 v[5:6], 4, v[5:6]
	v_add_co_ci_u32_e64 v38, null, s7, v40, vcc_lo
	v_add_co_u32 v33, vcc_lo, s4, v7
	v_add_co_ci_u32_e64 v34, null, s5, v8, vcc_lo
	v_lshlrev_b64 v[7:8], 4, v[21:22]
	global_load_dwordx4 v[17:20], v[37:38], off
	v_add_co_u32 v31, vcc_lo, s4, v5
	v_add_co_ci_u32_e64 v32, null, s5, v6, vcc_lo
	v_add_co_u32 v29, vcc_lo, s4, v7
	global_load_dwordx4 v[13:16], v[33:34], off
	v_add_co_ci_u32_e64 v30, null, s5, v8, vcc_lo
	s_clause 0x1
	global_load_dwordx4 v[9:12], v[31:32], off
	global_load_dwordx4 v[5:8], v[29:30], off
	v_add_nc_u32_e32 v21, s13, v21
	s_cmpk_lg_i32 s9, 0x84
	s_movk_i32 s6, 0x70
	s_movk_i32 s7, 0x80
	;; [unrolled: 1-line block ×3, first 2 shown]
	v_add_nc_u32_e32 v23, s13, v21
	v_ashrrev_i32_e32 v22, 31, v21
	s_movk_i32 s11, 0xa0
	s_movk_i32 s12, 0xb0
	;; [unrolled: 1-line block ×3, first 2 shown]
	v_add_nc_u32_e32 v25, s13, v23
	v_ashrrev_i32_e32 v24, 31, v23
	v_lshlrev_b64 v[21:22], 4, v[21:22]
	s_movk_i32 s15, 0xe0
	s_movk_i32 s55, 0x200
	v_add_nc_u32_e32 v27, s13, v25
	v_ashrrev_i32_e32 v26, 31, v25
	v_lshlrev_b64 v[23:24], 4, v[23:24]
	v_add_co_u32 v47, vcc_lo, s4, v21
	v_add_nc_u32_e32 v41, s13, v27
	v_lshlrev_b64 v[35:36], 4, v[25:26]
	v_add_co_ci_u32_e64 v48, null, s5, v22, vcc_lo
	v_add_co_u32 v53, vcc_lo, s4, v23
	v_ashrrev_i32_e32 v42, 31, v41
	v_add_nc_u32_e32 v45, s13, v41
	v_ashrrev_i32_e32 v28, 31, v27
	v_add_co_ci_u32_e64 v54, null, s5, v24, vcc_lo
	v_add_co_u32 v57, vcc_lo, s4, v35
	v_add_co_ci_u32_e64 v58, null, s5, v36, vcc_lo
	v_lshlrev_b64 v[35:36], 4, v[41:42]
	v_add_nc_u32_e32 v41, s13, v45
	v_ashrrev_i32_e32 v46, 31, v45
	v_lshlrev_b64 v[43:44], 4, v[27:28]
	s_clause 0x1
	global_load_dwordx4 v[25:28], v[47:48], off
	global_load_dwordx4 v[21:24], v[53:54], off
	s_movk_i32 s56, 0x210
	v_add_nc_u32_e32 v51, s13, v41
	v_lshlrev_b64 v[45:46], 4, v[45:46]
	v_ashrrev_i32_e32 v42, 31, v41
	v_add_co_u32 v49, vcc_lo, s4, v43
	v_ashrrev_i32_e32 v52, 31, v51
	v_add_nc_u32_e32 v55, s13, v51
	v_add_co_ci_u32_e64 v50, null, s5, v44, vcc_lo
	v_add_co_u32 v43, vcc_lo, s4, v35
	v_add_co_ci_u32_e64 v44, null, s5, v36, vcc_lo
	v_add_co_u32 v35, vcc_lo, s4, v45
	v_add_co_ci_u32_e64 v36, null, s5, v46, vcc_lo
	v_lshlrev_b64 v[45:46], 4, v[51:52]
	v_add_nc_u32_e32 v51, s13, v55
	v_ashrrev_i32_e32 v56, 31, v55
	v_lshlrev_b64 v[41:42], 4, v[41:42]
	s_movk_i32 s57, 0x220
	s_movk_i32 s58, 0x230
	v_add_nc_u32_e32 v59, s13, v51
	v_ashrrev_i32_e32 v52, 31, v51
	v_lshlrev_b64 v[55:56], 4, v[55:56]
	v_add_co_u32 v41, vcc_lo, s4, v41
	v_add_nc_u32_e32 v63, s13, v59
	v_lshlrev_b64 v[61:62], 4, v[51:52]
	v_add_co_ci_u32_e64 v42, null, s5, v42, vcc_lo
	v_add_co_u32 v45, vcc_lo, s4, v45
	v_ashrrev_i32_e32 v64, 31, v63
	v_add_nc_u32_e32 v65, s13, v63
	v_add_co_ci_u32_e64 v46, null, s5, v46, vcc_lo
	v_add_co_u32 v51, vcc_lo, s4, v55
	v_add_co_ci_u32_e64 v52, null, s5, v56, vcc_lo
	v_add_co_u32 v55, vcc_lo, s4, v61
	v_add_co_ci_u32_e64 v56, null, s5, v62, vcc_lo
	v_lshlrev_b64 v[61:62], 4, v[63:64]
	v_add_nc_u32_e32 v63, s13, v65
	v_ashrrev_i32_e32 v60, 31, v59
	v_ashrrev_i32_e32 v66, 31, v65
	s_movk_i32 s59, 0x240
	s_cselect_b32 s44, -1, 0
	v_add_nc_u32_e32 v67, s13, v63
	v_lshlrev_b64 v[59:60], 4, v[59:60]
	v_ashrrev_i32_e32 v64, 31, v63
	v_lshlrev_b64 v[65:66], 4, v[65:66]
	s_cmpk_eq_i32 s9, 0x84
	v_add_nc_u32_e32 v71, s13, v67
	v_ashrrev_i32_e32 v68, 31, v67
	v_add_co_u32 v59, vcc_lo, s4, v59
	v_lshlrev_b64 v[69:70], 4, v[63:64]
	v_add_co_ci_u32_e64 v60, null, s5, v60, vcc_lo
	v_add_co_u32 v61, vcc_lo, s4, v61
	v_ashrrev_i32_e32 v72, 31, v71
	v_add_nc_u32_e32 v73, s13, v71
	v_add_co_ci_u32_e64 v62, null, s5, v62, vcc_lo
	v_add_co_u32 v63, vcc_lo, s4, v65
	v_add_co_ci_u32_e64 v64, null, s5, v66, vcc_lo
	v_add_co_u32 v65, vcc_lo, s4, v69
	v_add_co_ci_u32_e64 v66, null, s5, v70, vcc_lo
	v_lshlrev_b64 v[69:70], 4, v[71:72]
	v_add_nc_u32_e32 v71, s13, v73
	v_ashrrev_i32_e32 v74, 31, v73
	v_lshlrev_b64 v[67:68], 4, v[67:68]
	v_add_nc_u32_e32 v75, s13, v71
	v_ashrrev_i32_e32 v72, 31, v71
	v_lshlrev_b64 v[73:74], 4, v[73:74]
	v_add_co_u32 v67, vcc_lo, s4, v67
	v_add_nc_u32_e32 v79, s13, v75
	v_lshlrev_b64 v[77:78], 4, v[71:72]
	v_add_co_ci_u32_e64 v68, null, s5, v68, vcc_lo
	v_add_co_u32 v69, vcc_lo, s4, v69
	v_ashrrev_i32_e32 v80, 31, v79
	v_add_nc_u32_e32 v81, s13, v79
	v_add_co_ci_u32_e64 v70, null, s5, v70, vcc_lo
	v_add_co_u32 v71, vcc_lo, s4, v73
	v_add_co_ci_u32_e64 v72, null, s5, v74, vcc_lo
	v_add_co_u32 v73, vcc_lo, s4, v77
	v_add_co_ci_u32_e64 v74, null, s5, v78, vcc_lo
	v_lshlrev_b64 v[77:78], 4, v[79:80]
	v_add_nc_u32_e32 v79, s13, v81
	v_ashrrev_i32_e32 v76, 31, v75
	v_ashrrev_i32_e32 v82, 31, v81
	v_add_nc_u32_e32 v83, s13, v79
	v_lshlrev_b64 v[75:76], 4, v[75:76]
	v_ashrrev_i32_e32 v80, 31, v79
	v_lshlrev_b64 v[81:82], 4, v[81:82]
	v_add_nc_u32_e32 v87, s13, v83
	v_ashrrev_i32_e32 v84, 31, v83
	v_add_co_u32 v75, vcc_lo, s4, v75
	v_lshlrev_b64 v[85:86], 4, v[79:80]
	v_add_co_ci_u32_e64 v76, null, s5, v76, vcc_lo
	v_add_co_u32 v77, vcc_lo, s4, v77
	v_ashrrev_i32_e32 v88, 31, v87
	v_add_nc_u32_e32 v89, s13, v87
	v_add_co_ci_u32_e64 v78, null, s5, v78, vcc_lo
	v_add_co_u32 v79, vcc_lo, s4, v81
	v_add_co_ci_u32_e64 v80, null, s5, v82, vcc_lo
	v_add_co_u32 v81, vcc_lo, s4, v85
	v_add_co_ci_u32_e64 v82, null, s5, v86, vcc_lo
	v_lshlrev_b64 v[85:86], 4, v[87:88]
	v_add_nc_u32_e32 v87, s13, v89
	v_ashrrev_i32_e32 v90, 31, v89
	v_lshlrev_b64 v[83:84], 4, v[83:84]
	v_add_nc_u32_e32 v91, s13, v87
	v_ashrrev_i32_e32 v88, 31, v87
	v_lshlrev_b64 v[89:90], 4, v[89:90]
	v_add_co_u32 v83, vcc_lo, s4, v83
	v_add_nc_u32_e32 v95, s13, v91
	v_lshlrev_b64 v[93:94], 4, v[87:88]
	v_add_co_ci_u32_e64 v84, null, s5, v84, vcc_lo
	v_add_co_u32 v85, vcc_lo, s4, v85
	v_ashrrev_i32_e32 v96, 31, v95
	v_add_nc_u32_e32 v97, s13, v95
	v_add_co_ci_u32_e64 v86, null, s5, v86, vcc_lo
	v_add_co_u32 v87, vcc_lo, s4, v89
	v_add_co_ci_u32_e64 v88, null, s5, v90, vcc_lo
	v_add_co_u32 v89, vcc_lo, s4, v93
	v_add_co_ci_u32_e64 v90, null, s5, v94, vcc_lo
	v_lshlrev_b64 v[93:94], 4, v[95:96]
	v_add_nc_u32_e32 v95, s13, v97
	v_ashrrev_i32_e32 v92, 31, v91
	v_ashrrev_i32_e32 v98, 31, v97
	v_add_nc_u32_e32 v99, s13, v95
	v_lshlrev_b64 v[91:92], 4, v[91:92]
	v_ashrrev_i32_e32 v96, 31, v95
	v_lshlrev_b64 v[97:98], 4, v[97:98]
	v_add_nc_u32_e32 v104, s13, v99
	v_ashrrev_i32_e32 v100, 31, v99
	v_add_co_u32 v91, vcc_lo, s4, v91
	v_lshlrev_b64 v[101:102], 4, v[95:96]
	v_ashrrev_i32_e32 v105, 31, v104
	v_add_co_ci_u32_e64 v92, null, s5, v92, vcc_lo
	v_add_co_u32 v93, vcc_lo, s4, v93
	v_lshlrev_b64 v[99:100], 4, v[99:100]
	v_add_co_ci_u32_e64 v94, null, s5, v94, vcc_lo
	v_add_co_u32 v95, vcc_lo, s4, v97
	v_lshlrev_b64 v[104:105], 4, v[104:105]
	v_add_co_ci_u32_e64 v96, null, s5, v98, vcc_lo
	v_add_co_u32 v97, vcc_lo, s4, v101
	v_add_co_ci_u32_e64 v98, null, s5, v102, vcc_lo
	v_add_co_u32 v101, vcc_lo, s4, v99
	;; [unrolled: 2-line block ×3, first 2 shown]
	v_add_co_ci_u32_e64 v100, null, s5, v105, vcc_lo
	global_load_dwordx4 v[104:107], v[57:58], off
	s_movk_i32 s4, 0x50
	s_movk_i32 s5, 0x60
	;; [unrolled: 1-line block ×3, first 2 shown]
	s_waitcnt vmcnt(7)
	buffer_store_dword v4, off, s[0:3], 0 offset:12
	buffer_store_dword v3, off, s[0:3], 0 offset:8
	;; [unrolled: 1-line block ×3, first 2 shown]
	buffer_store_dword v1, off, s[0:3], 0
	global_load_dwordx4 v[1:4], v[49:50], off
	s_waitcnt vmcnt(7)
	buffer_store_dword v20, off, s[0:3], 0 offset:28
	buffer_store_dword v19, off, s[0:3], 0 offset:24
	buffer_store_dword v18, off, s[0:3], 0 offset:20
	buffer_store_dword v17, off, s[0:3], 0 offset:16
	global_load_dwordx4 v[17:20], v[43:44], off
	s_waitcnt vmcnt(7)
	buffer_store_dword v16, off, s[0:3], 0 offset:44
	buffer_store_dword v15, off, s[0:3], 0 offset:40
	buffer_store_dword v14, off, s[0:3], 0 offset:36
	buffer_store_dword v13, off, s[0:3], 0 offset:32
	global_load_dwordx4 v[13:16], v[35:36], off
	s_waitcnt vmcnt(7)
	buffer_store_dword v12, off, s[0:3], 0 offset:60
	buffer_store_dword v11, off, s[0:3], 0 offset:56
	buffer_store_dword v10, off, s[0:3], 0 offset:52
	buffer_store_dword v9, off, s[0:3], 0 offset:48
	global_load_dwordx4 v[9:12], v[41:42], off
	s_waitcnt vmcnt(7)
	buffer_store_dword v8, off, s[0:3], 0 offset:76
	buffer_store_dword v7, off, s[0:3], 0 offset:72
	buffer_store_dword v6, off, s[0:3], 0 offset:68
	buffer_store_dword v5, off, s[0:3], 0 offset:64
	global_load_dwordx4 v[5:8], v[45:46], off
	s_waitcnt vmcnt(7)
	buffer_store_dword v28, off, s[0:3], 0 offset:92
	buffer_store_dword v27, off, s[0:3], 0 offset:88
	buffer_store_dword v26, off, s[0:3], 0 offset:84
	buffer_store_dword v25, off, s[0:3], 0 offset:80
	global_load_dwordx4 v[25:28], v[51:52], off
	s_waitcnt vmcnt(7)
	buffer_store_dword v24, off, s[0:3], 0 offset:108
	buffer_store_dword v23, off, s[0:3], 0 offset:104
	buffer_store_dword v22, off, s[0:3], 0 offset:100
	buffer_store_dword v21, off, s[0:3], 0 offset:96
	global_load_dwordx4 v[21:24], v[55:56], off
	s_waitcnt vmcnt(7)
	buffer_store_dword v107, off, s[0:3], 0 offset:124
	buffer_store_dword v106, off, s[0:3], 0 offset:120
	buffer_store_dword v105, off, s[0:3], 0 offset:116
	buffer_store_dword v104, off, s[0:3], 0 offset:112
	global_load_dwordx4 v[104:107], v[59:60], off
	s_waitcnt vmcnt(7)
	buffer_store_dword v4, off, s[0:3], 0 offset:140
	buffer_store_dword v3, off, s[0:3], 0 offset:136
	buffer_store_dword v2, off, s[0:3], 0 offset:132
	buffer_store_dword v1, off, s[0:3], 0 offset:128
	global_load_dwordx4 v[1:4], v[61:62], off
	s_waitcnt vmcnt(7)
	buffer_store_dword v17, off, s[0:3], 0 offset:144
	buffer_store_dword v18, off, s[0:3], 0 offset:148
	buffer_store_dword v19, off, s[0:3], 0 offset:152
	buffer_store_dword v20, off, s[0:3], 0 offset:156
	global_load_dwordx4 v[17:20], v[63:64], off
	s_waitcnt vmcnt(7)
	buffer_store_dword v13, off, s[0:3], 0 offset:160
	buffer_store_dword v14, off, s[0:3], 0 offset:164
	buffer_store_dword v15, off, s[0:3], 0 offset:168
	buffer_store_dword v16, off, s[0:3], 0 offset:172
	global_load_dwordx4 v[13:16], v[65:66], off
	s_waitcnt vmcnt(7)
	buffer_store_dword v9, off, s[0:3], 0 offset:176
	buffer_store_dword v10, off, s[0:3], 0 offset:180
	buffer_store_dword v11, off, s[0:3], 0 offset:184
	buffer_store_dword v12, off, s[0:3], 0 offset:188
	global_load_dwordx4 v[9:12], v[67:68], off
	s_waitcnt vmcnt(7)
	buffer_store_dword v8, off, s[0:3], 0 offset:204
	buffer_store_dword v7, off, s[0:3], 0 offset:200
	buffer_store_dword v6, off, s[0:3], 0 offset:196
	buffer_store_dword v5, off, s[0:3], 0 offset:192
	global_load_dwordx4 v[5:8], v[69:70], off
	s_waitcnt vmcnt(7)
	buffer_store_dword v28, off, s[0:3], 0 offset:220
	buffer_store_dword v27, off, s[0:3], 0 offset:216
	buffer_store_dword v26, off, s[0:3], 0 offset:212
	buffer_store_dword v25, off, s[0:3], 0 offset:208
	global_load_dwordx4 v[25:28], v[71:72], off
	s_waitcnt vmcnt(7)
	buffer_store_dword v24, off, s[0:3], 0 offset:236
	buffer_store_dword v23, off, s[0:3], 0 offset:232
	buffer_store_dword v22, off, s[0:3], 0 offset:228
	buffer_store_dword v21, off, s[0:3], 0 offset:224
	global_load_dwordx4 v[21:24], v[73:74], off
	s_waitcnt vmcnt(7)
	buffer_store_dword v107, off, s[0:3], 0 offset:252
	buffer_store_dword v106, off, s[0:3], 0 offset:248
	buffer_store_dword v105, off, s[0:3], 0 offset:244
	buffer_store_dword v104, off, s[0:3], 0 offset:240
	global_load_dwordx4 v[104:107], v[75:76], off
	s_waitcnt vmcnt(7)
	buffer_store_dword v4, off, s[0:3], 0 offset:268
	buffer_store_dword v3, off, s[0:3], 0 offset:264
	buffer_store_dword v2, off, s[0:3], 0 offset:260
	buffer_store_dword v1, off, s[0:3], 0 offset:256
	global_load_dwordx4 v[1:4], v[77:78], off
	s_waitcnt vmcnt(7)
	buffer_store_dword v20, off, s[0:3], 0 offset:284
	buffer_store_dword v19, off, s[0:3], 0 offset:280
	buffer_store_dword v18, off, s[0:3], 0 offset:276
	buffer_store_dword v17, off, s[0:3], 0 offset:272
	global_load_dwordx4 v[17:20], v[79:80], off
	s_waitcnt vmcnt(7)
	buffer_store_dword v16, off, s[0:3], 0 offset:300
	buffer_store_dword v15, off, s[0:3], 0 offset:296
	buffer_store_dword v14, off, s[0:3], 0 offset:292
	buffer_store_dword v13, off, s[0:3], 0 offset:288
	global_load_dwordx4 v[13:16], v[81:82], off
	s_waitcnt vmcnt(7)
	buffer_store_dword v12, off, s[0:3], 0 offset:316
	buffer_store_dword v11, off, s[0:3], 0 offset:312
	buffer_store_dword v10, off, s[0:3], 0 offset:308
	buffer_store_dword v9, off, s[0:3], 0 offset:304
	global_load_dwordx4 v[9:12], v[83:84], off
	s_waitcnt vmcnt(7)
	buffer_store_dword v8, off, s[0:3], 0 offset:332
	buffer_store_dword v7, off, s[0:3], 0 offset:328
	buffer_store_dword v6, off, s[0:3], 0 offset:324
	buffer_store_dword v5, off, s[0:3], 0 offset:320
	global_load_dwordx4 v[5:8], v[85:86], off
	s_waitcnt vmcnt(7)
	buffer_store_dword v28, off, s[0:3], 0 offset:348
	buffer_store_dword v27, off, s[0:3], 0 offset:344
	buffer_store_dword v26, off, s[0:3], 0 offset:340
	buffer_store_dword v25, off, s[0:3], 0 offset:336
	s_waitcnt vmcnt(6)
	buffer_store_dword v24, off, s[0:3], 0 offset:364
	buffer_store_dword v23, off, s[0:3], 0 offset:360
	;; [unrolled: 1-line block ×4, first 2 shown]
	s_clause 0x1
	global_load_dwordx4 v[21:24], v[87:88], off
	global_load_dwordx4 v[25:28], v[89:90], off
	s_waitcnt vmcnt(7)
	buffer_store_dword v107, off, s[0:3], 0 offset:380
	buffer_store_dword v106, off, s[0:3], 0 offset:376
	;; [unrolled: 1-line block ×4, first 2 shown]
	s_waitcnt vmcnt(6)
	buffer_store_dword v4, off, s[0:3], 0 offset:396
	buffer_store_dword v3, off, s[0:3], 0 offset:392
	;; [unrolled: 1-line block ×4, first 2 shown]
	s_clause 0x1
	global_load_dwordx4 v[1:4], v[91:92], off
	global_load_dwordx4 v[104:107], v[93:94], off
	s_waitcnt vmcnt(7)
	buffer_store_dword v20, off, s[0:3], 0 offset:412
	buffer_store_dword v19, off, s[0:3], 0 offset:408
	buffer_store_dword v18, off, s[0:3], 0 offset:404
	buffer_store_dword v17, off, s[0:3], 0 offset:400
	global_load_dwordx4 v[17:20], v[95:96], off
	s_waitcnt vmcnt(7)
	buffer_store_dword v16, off, s[0:3], 0 offset:428
	buffer_store_dword v15, off, s[0:3], 0 offset:424
	buffer_store_dword v14, off, s[0:3], 0 offset:420
	buffer_store_dword v13, off, s[0:3], 0 offset:416
	;; [unrolled: 6-line block ×5, first 2 shown]
	s_waitcnt vmcnt(6)
	buffer_store_dword v28, off, s[0:3], 0 offset:492
	buffer_store_dword v27, off, s[0:3], 0 offset:488
	buffer_store_dword v26, off, s[0:3], 0 offset:484
	buffer_store_dword v25, off, s[0:3], 0 offset:480
	s_waitcnt vmcnt(5)
	buffer_store_dword v4, off, s[0:3], 0 offset:508
	buffer_store_dword v3, off, s[0:3], 0 offset:504
	buffer_store_dword v2, off, s[0:3], 0 offset:500
	buffer_store_dword v1, off, s[0:3], 0 offset:496
	;; [unrolled: 5-line block ×7, first 2 shown]
	s_cbranch_scc1 .LBB36_7
; %bb.2:
	v_lshl_add_u32 v11, v0, 4, 0
                                        ; implicit-def: $vgpr7_vgpr8
                                        ; implicit-def: $vgpr3_vgpr4
	s_clause 0x3
	buffer_load_dword v5, v11, s[0:3], 0 offen
	buffer_load_dword v6, v11, s[0:3], 0 offen offset:4
	buffer_load_dword v9, v11, s[0:3], 0 offen offset:8
	buffer_load_dword v10, v11, s[0:3], 0 offen offset:12
	s_waitcnt vmcnt(0)
	v_cmp_ngt_f64_e64 s9, |v[5:6]|, |v[9:10]|
	s_and_saveexec_b32 s23, s9
	s_xor_b32 s9, exec_lo, s23
	s_cbranch_execz .LBB36_4
; %bb.3:
	v_div_scale_f64 v[1:2], null, v[9:10], v[9:10], v[5:6]
	v_div_scale_f64 v[12:13], vcc_lo, v[5:6], v[9:10], v[5:6]
	v_rcp_f64_e32 v[3:4], v[1:2]
	v_fma_f64 v[7:8], -v[1:2], v[3:4], 1.0
	v_fma_f64 v[3:4], v[3:4], v[7:8], v[3:4]
	v_fma_f64 v[7:8], -v[1:2], v[3:4], 1.0
	v_fma_f64 v[3:4], v[3:4], v[7:8], v[3:4]
	v_mul_f64 v[7:8], v[12:13], v[3:4]
	v_fma_f64 v[1:2], -v[1:2], v[7:8], v[12:13]
	v_div_fmas_f64 v[1:2], v[1:2], v[3:4], v[7:8]
	v_div_fixup_f64 v[1:2], v[1:2], v[9:10], v[5:6]
	v_fma_f64 v[3:4], v[5:6], v[1:2], v[9:10]
	v_div_scale_f64 v[5:6], null, v[3:4], v[3:4], 1.0
	v_div_scale_f64 v[12:13], vcc_lo, 1.0, v[3:4], 1.0
	v_rcp_f64_e32 v[7:8], v[5:6]
	v_fma_f64 v[9:10], -v[5:6], v[7:8], 1.0
	v_fma_f64 v[7:8], v[7:8], v[9:10], v[7:8]
	v_fma_f64 v[9:10], -v[5:6], v[7:8], 1.0
	v_fma_f64 v[7:8], v[7:8], v[9:10], v[7:8]
	v_mul_f64 v[9:10], v[12:13], v[7:8]
	v_fma_f64 v[5:6], -v[5:6], v[9:10], v[12:13]
	v_div_fmas_f64 v[5:6], v[5:6], v[7:8], v[9:10]
                                        ; implicit-def: $vgpr9_vgpr10
	v_div_fixup_f64 v[3:4], v[5:6], v[3:4], 1.0
                                        ; implicit-def: $vgpr5_vgpr6
	v_mul_f64 v[7:8], v[1:2], v[3:4]
	v_xor_b32_e32 v4, 0x80000000, v4
	v_xor_b32_e32 v2, 0x80000000, v8
	v_mov_b32_e32 v1, v7
.LBB36_4:
	s_andn2_saveexec_b32 s9, s9
	s_cbranch_execz .LBB36_6
; %bb.5:
	v_div_scale_f64 v[1:2], null, v[5:6], v[5:6], v[9:10]
	v_div_scale_f64 v[12:13], vcc_lo, v[9:10], v[5:6], v[9:10]
	v_rcp_f64_e32 v[3:4], v[1:2]
	v_fma_f64 v[7:8], -v[1:2], v[3:4], 1.0
	v_fma_f64 v[3:4], v[3:4], v[7:8], v[3:4]
	v_fma_f64 v[7:8], -v[1:2], v[3:4], 1.0
	v_fma_f64 v[3:4], v[3:4], v[7:8], v[3:4]
	v_mul_f64 v[7:8], v[12:13], v[3:4]
	v_fma_f64 v[1:2], -v[1:2], v[7:8], v[12:13]
	v_div_fmas_f64 v[1:2], v[1:2], v[3:4], v[7:8]
	v_div_fixup_f64 v[1:2], v[1:2], v[5:6], v[9:10]
	v_fma_f64 v[3:4], v[9:10], v[1:2], v[5:6]
	v_div_scale_f64 v[5:6], null, v[3:4], v[3:4], 1.0
	v_rcp_f64_e32 v[7:8], v[5:6]
	v_fma_f64 v[9:10], -v[5:6], v[7:8], 1.0
	v_fma_f64 v[7:8], v[7:8], v[9:10], v[7:8]
	v_fma_f64 v[9:10], -v[5:6], v[7:8], 1.0
	v_fma_f64 v[7:8], v[7:8], v[9:10], v[7:8]
	v_div_scale_f64 v[9:10], vcc_lo, 1.0, v[3:4], 1.0
	v_mul_f64 v[12:13], v[9:10], v[7:8]
	v_fma_f64 v[5:6], -v[5:6], v[12:13], v[9:10]
	v_div_fmas_f64 v[5:6], v[5:6], v[7:8], v[12:13]
	v_div_fixup_f64 v[7:8], v[5:6], v[3:4], 1.0
	v_mul_f64 v[3:4], v[1:2], -v[7:8]
	v_xor_b32_e32 v2, 0x80000000, v8
	v_mov_b32_e32 v1, v7
.LBB36_6:
	s_or_b32 exec_lo, exec_lo, s9
	buffer_store_dword v4, v11, s[0:3], 0 offen offset:12
	v_xor_b32_e32 v4, 0x80000000, v4
	buffer_store_dword v8, v11, s[0:3], 0 offen offset:4
	buffer_store_dword v7, v11, s[0:3], 0 offen
	buffer_store_dword v3, v11, s[0:3], 0 offen offset:8
	s_branch .LBB36_8
.LBB36_7:
	v_mov_b32_e32 v1, 0
	v_mov_b32_e32 v3, 0
	;; [unrolled: 1-line block ×4, first 2 shown]
.LBB36_8:
	v_add_nc_u32_e32 v6, 0x250, v103
	v_mov_b32_e32 v5, v103
	s_mov_b32 s43, 16
	s_mov_b32 s42, 32
	;; [unrolled: 1-line block ×35, first 2 shown]
	s_cmpk_eq_i32 s8, 0x79
	ds_write_b128 v103, v[1:4]
	s_cbranch_scc1 .LBB36_292
; %bb.9:
	v_mov_b32_e32 v4, s7
	v_cmp_eq_u32_e64 s4, 36, v0
	s_clause 0x3
	buffer_load_dword v1, v4, s[0:3], 0 offen
	buffer_load_dword v2, v4, s[0:3], 0 offen offset:4
	buffer_load_dword v3, v4, s[0:3], 0 offen offset:8
	buffer_load_dword v4, v4, s[0:3], 0 offen offset:12
	s_waitcnt vmcnt(0)
	ds_write_b128 v6, v[1:4]
	s_waitcnt lgkmcnt(0)
	s_waitcnt_vscnt null, 0x0
	s_barrier
	buffer_gl0_inv
	s_and_saveexec_b32 s5, s4
	s_cbranch_execz .LBB36_13
; %bb.10:
	ds_read_b128 v[1:4], v6
	s_andn2_b32 vcc_lo, exec_lo, s44
	s_cbranch_vccnz .LBB36_12
; %bb.11:
	s_clause 0x3
	buffer_load_dword v7, v5, s[0:3], 0 offen offset:8
	buffer_load_dword v8, v5, s[0:3], 0 offen offset:12
	buffer_load_dword v9, v5, s[0:3], 0 offen
	buffer_load_dword v10, v5, s[0:3], 0 offen offset:4
	s_waitcnt vmcnt(2) lgkmcnt(0)
	v_mul_f64 v[11:12], v[3:4], v[7:8]
	v_mul_f64 v[7:8], v[1:2], v[7:8]
	s_waitcnt vmcnt(0)
	v_fma_f64 v[1:2], v[1:2], v[9:10], -v[11:12]
	v_fma_f64 v[3:4], v[3:4], v[9:10], v[7:8]
.LBB36_12:
	v_mov_b32_e32 v7, 0
	ds_read_b128 v[7:10], v7 offset:560
	s_waitcnt lgkmcnt(0)
	v_mul_f64 v[11:12], v[3:4], v[9:10]
	v_mul_f64 v[9:10], v[1:2], v[9:10]
	v_fma_f64 v[1:2], v[1:2], v[7:8], -v[11:12]
	v_fma_f64 v[3:4], v[3:4], v[7:8], v[9:10]
	buffer_store_dword v2, off, s[0:3], 0 offset:564
	buffer_store_dword v1, off, s[0:3], 0 offset:560
	;; [unrolled: 1-line block ×4, first 2 shown]
.LBB36_13:
	s_or_b32 exec_lo, exec_lo, s5
	v_mov_b32_e32 v4, s9
	v_cmp_lt_u32_e64 s5, 34, v0
	s_clause 0x3
	buffer_load_dword v1, v4, s[0:3], 0 offen
	buffer_load_dword v2, v4, s[0:3], 0 offen offset:4
	buffer_load_dword v3, v4, s[0:3], 0 offen offset:8
	;; [unrolled: 1-line block ×3, first 2 shown]
	s_waitcnt vmcnt(0)
	ds_write_b128 v6, v[1:4]
	s_waitcnt lgkmcnt(0)
	s_waitcnt_vscnt null, 0x0
	s_barrier
	buffer_gl0_inv
	s_and_saveexec_b32 s8, s5
	s_cbranch_execz .LBB36_19
; %bb.14:
	ds_read_b128 v[1:4], v6
	s_andn2_b32 vcc_lo, exec_lo, s44
	s_cbranch_vccnz .LBB36_16
; %bb.15:
	s_clause 0x3
	buffer_load_dword v7, v5, s[0:3], 0 offen offset:8
	buffer_load_dword v8, v5, s[0:3], 0 offen offset:12
	buffer_load_dword v9, v5, s[0:3], 0 offen
	buffer_load_dword v10, v5, s[0:3], 0 offen offset:4
	s_waitcnt vmcnt(2) lgkmcnt(0)
	v_mul_f64 v[11:12], v[3:4], v[7:8]
	v_mul_f64 v[7:8], v[1:2], v[7:8]
	s_waitcnt vmcnt(0)
	v_fma_f64 v[1:2], v[1:2], v[9:10], -v[11:12]
	v_fma_f64 v[3:4], v[3:4], v[9:10], v[7:8]
.LBB36_16:
	s_and_saveexec_b32 s45, s4
	s_cbranch_execz .LBB36_18
; %bb.17:
	s_clause 0x3
	buffer_load_dword v11, off, s[0:3], 0 offset:568
	buffer_load_dword v12, off, s[0:3], 0 offset:572
	buffer_load_dword v13, off, s[0:3], 0 offset:560
	buffer_load_dword v14, off, s[0:3], 0 offset:564
	v_mov_b32_e32 v7, 0
	ds_read_b128 v[7:10], v7 offset:1152
	s_waitcnt vmcnt(2) lgkmcnt(0)
	v_mul_f64 v[15:16], v[7:8], v[11:12]
	v_mul_f64 v[11:12], v[9:10], v[11:12]
	s_waitcnt vmcnt(0)
	v_fma_f64 v[9:10], v[9:10], v[13:14], v[15:16]
	v_fma_f64 v[7:8], v[7:8], v[13:14], -v[11:12]
	v_add_f64 v[3:4], v[3:4], v[9:10]
	v_add_f64 v[1:2], v[1:2], v[7:8]
.LBB36_18:
	s_or_b32 exec_lo, exec_lo, s45
	v_mov_b32_e32 v7, 0
	ds_read_b128 v[7:10], v7 offset:544
	s_waitcnt lgkmcnt(0)
	v_mul_f64 v[11:12], v[3:4], v[9:10]
	v_mul_f64 v[9:10], v[1:2], v[9:10]
	v_fma_f64 v[1:2], v[1:2], v[7:8], -v[11:12]
	v_fma_f64 v[3:4], v[3:4], v[7:8], v[9:10]
	buffer_store_dword v2, off, s[0:3], 0 offset:548
	buffer_store_dword v1, off, s[0:3], 0 offset:544
	;; [unrolled: 1-line block ×4, first 2 shown]
.LBB36_19:
	s_or_b32 exec_lo, exec_lo, s8
	v_mov_b32_e32 v4, s10
	v_cmp_lt_u32_e64 s4, 33, v0
	s_clause 0x3
	buffer_load_dword v1, v4, s[0:3], 0 offen
	buffer_load_dword v2, v4, s[0:3], 0 offen offset:4
	buffer_load_dword v3, v4, s[0:3], 0 offen offset:8
	;; [unrolled: 1-line block ×3, first 2 shown]
	s_waitcnt vmcnt(0)
	ds_write_b128 v6, v[1:4]
	s_waitcnt lgkmcnt(0)
	s_waitcnt_vscnt null, 0x0
	s_barrier
	buffer_gl0_inv
	s_and_saveexec_b32 s8, s4
	s_cbranch_execz .LBB36_27
; %bb.20:
	ds_read_b128 v[1:4], v6
	s_andn2_b32 vcc_lo, exec_lo, s44
	s_cbranch_vccnz .LBB36_22
; %bb.21:
	s_clause 0x3
	buffer_load_dword v7, v5, s[0:3], 0 offen offset:8
	buffer_load_dword v8, v5, s[0:3], 0 offen offset:12
	buffer_load_dword v9, v5, s[0:3], 0 offen
	buffer_load_dword v10, v5, s[0:3], 0 offen offset:4
	s_waitcnt vmcnt(2) lgkmcnt(0)
	v_mul_f64 v[11:12], v[3:4], v[7:8]
	v_mul_f64 v[7:8], v[1:2], v[7:8]
	s_waitcnt vmcnt(0)
	v_fma_f64 v[1:2], v[1:2], v[9:10], -v[11:12]
	v_fma_f64 v[3:4], v[3:4], v[9:10], v[7:8]
.LBB36_22:
	s_and_saveexec_b32 s45, s5
	s_cbranch_execz .LBB36_26
; %bb.23:
	v_subrev_nc_u32_e32 v7, 34, v0
	s_movk_i32 s46, 0x470
	s_mov_b32 s5, 0
	s_mov_b32 s47, s9
	.p2align	6
.LBB36_24:                              ; =>This Inner Loop Header: Depth=1
	v_mov_b32_e32 v8, s47
	v_add_nc_u32_e32 v7, -1, v7
	s_add_i32 s47, s47, 16
	s_clause 0x3
	buffer_load_dword v12, v8, s[0:3], 0 offen offset:8
	buffer_load_dword v13, v8, s[0:3], 0 offen offset:12
	buffer_load_dword v14, v8, s[0:3], 0 offen
	buffer_load_dword v15, v8, s[0:3], 0 offen offset:4
	v_mov_b32_e32 v8, s46
	v_cmp_eq_u32_e32 vcc_lo, 0, v7
	s_add_i32 s46, s46, 16
	ds_read_b128 v[8:11], v8
	s_or_b32 s5, vcc_lo, s5
	s_waitcnt vmcnt(2) lgkmcnt(0)
	v_mul_f64 v[16:17], v[10:11], v[12:13]
	v_mul_f64 v[12:13], v[8:9], v[12:13]
	s_waitcnt vmcnt(0)
	v_fma_f64 v[8:9], v[8:9], v[14:15], -v[16:17]
	v_fma_f64 v[10:11], v[10:11], v[14:15], v[12:13]
	v_add_f64 v[1:2], v[1:2], v[8:9]
	v_add_f64 v[3:4], v[3:4], v[10:11]
	s_andn2_b32 exec_lo, exec_lo, s5
	s_cbranch_execnz .LBB36_24
; %bb.25:
	s_or_b32 exec_lo, exec_lo, s5
.LBB36_26:
	s_or_b32 exec_lo, exec_lo, s45
	v_mov_b32_e32 v7, 0
	ds_read_b128 v[7:10], v7 offset:528
	s_waitcnt lgkmcnt(0)
	v_mul_f64 v[11:12], v[3:4], v[9:10]
	v_mul_f64 v[9:10], v[1:2], v[9:10]
	v_fma_f64 v[1:2], v[1:2], v[7:8], -v[11:12]
	v_fma_f64 v[3:4], v[3:4], v[7:8], v[9:10]
	buffer_store_dword v2, off, s[0:3], 0 offset:532
	buffer_store_dword v1, off, s[0:3], 0 offset:528
	;; [unrolled: 1-line block ×4, first 2 shown]
.LBB36_27:
	s_or_b32 exec_lo, exec_lo, s8
	v_mov_b32_e32 v4, s11
	v_cmp_lt_u32_e64 s5, 32, v0
	s_clause 0x3
	buffer_load_dword v1, v4, s[0:3], 0 offen
	buffer_load_dword v2, v4, s[0:3], 0 offen offset:4
	buffer_load_dword v3, v4, s[0:3], 0 offen offset:8
	;; [unrolled: 1-line block ×3, first 2 shown]
	s_waitcnt vmcnt(0)
	ds_write_b128 v6, v[1:4]
	s_waitcnt lgkmcnt(0)
	s_waitcnt_vscnt null, 0x0
	s_barrier
	buffer_gl0_inv
	s_and_saveexec_b32 s8, s5
	s_cbranch_execz .LBB36_35
; %bb.28:
	ds_read_b128 v[1:4], v6
	s_andn2_b32 vcc_lo, exec_lo, s44
	s_cbranch_vccnz .LBB36_30
; %bb.29:
	s_clause 0x3
	buffer_load_dword v7, v5, s[0:3], 0 offen offset:8
	buffer_load_dword v8, v5, s[0:3], 0 offen offset:12
	buffer_load_dword v9, v5, s[0:3], 0 offen
	buffer_load_dword v10, v5, s[0:3], 0 offen offset:4
	s_waitcnt vmcnt(2) lgkmcnt(0)
	v_mul_f64 v[11:12], v[3:4], v[7:8]
	v_mul_f64 v[7:8], v[1:2], v[7:8]
	s_waitcnt vmcnt(0)
	v_fma_f64 v[1:2], v[1:2], v[9:10], -v[11:12]
	v_fma_f64 v[3:4], v[3:4], v[9:10], v[7:8]
.LBB36_30:
	s_and_saveexec_b32 s45, s4
	s_cbranch_execz .LBB36_34
; %bb.31:
	v_subrev_nc_u32_e32 v7, 33, v0
	s_movk_i32 s46, 0x460
	s_mov_b32 s4, 0
	s_mov_b32 s47, s10
	.p2align	6
.LBB36_32:                              ; =>This Inner Loop Header: Depth=1
	v_mov_b32_e32 v8, s47
	v_add_nc_u32_e32 v7, -1, v7
	s_add_i32 s47, s47, 16
	s_clause 0x3
	buffer_load_dword v12, v8, s[0:3], 0 offen offset:8
	buffer_load_dword v13, v8, s[0:3], 0 offen offset:12
	buffer_load_dword v14, v8, s[0:3], 0 offen
	buffer_load_dword v15, v8, s[0:3], 0 offen offset:4
	v_mov_b32_e32 v8, s46
	v_cmp_eq_u32_e32 vcc_lo, 0, v7
	s_add_i32 s46, s46, 16
	ds_read_b128 v[8:11], v8
	s_or_b32 s4, vcc_lo, s4
	s_waitcnt vmcnt(2) lgkmcnt(0)
	v_mul_f64 v[16:17], v[10:11], v[12:13]
	v_mul_f64 v[12:13], v[8:9], v[12:13]
	s_waitcnt vmcnt(0)
	v_fma_f64 v[8:9], v[8:9], v[14:15], -v[16:17]
	v_fma_f64 v[10:11], v[10:11], v[14:15], v[12:13]
	v_add_f64 v[1:2], v[1:2], v[8:9]
	v_add_f64 v[3:4], v[3:4], v[10:11]
	s_andn2_b32 exec_lo, exec_lo, s4
	s_cbranch_execnz .LBB36_32
; %bb.33:
	s_or_b32 exec_lo, exec_lo, s4
.LBB36_34:
	s_or_b32 exec_lo, exec_lo, s45
	v_mov_b32_e32 v7, 0
	ds_read_b128 v[7:10], v7 offset:512
	s_waitcnt lgkmcnt(0)
	v_mul_f64 v[11:12], v[3:4], v[9:10]
	v_mul_f64 v[9:10], v[1:2], v[9:10]
	v_fma_f64 v[1:2], v[1:2], v[7:8], -v[11:12]
	v_fma_f64 v[3:4], v[3:4], v[7:8], v[9:10]
	buffer_store_dword v2, off, s[0:3], 0 offset:516
	buffer_store_dword v1, off, s[0:3], 0 offset:512
	buffer_store_dword v4, off, s[0:3], 0 offset:524
	buffer_store_dword v3, off, s[0:3], 0 offset:520
.LBB36_35:
	s_or_b32 exec_lo, exec_lo, s8
	v_mov_b32_e32 v4, s12
	v_cmp_lt_u32_e64 s4, 31, v0
	s_clause 0x3
	buffer_load_dword v1, v4, s[0:3], 0 offen
	buffer_load_dword v2, v4, s[0:3], 0 offen offset:4
	buffer_load_dword v3, v4, s[0:3], 0 offen offset:8
	;; [unrolled: 1-line block ×3, first 2 shown]
	s_waitcnt vmcnt(0)
	ds_write_b128 v6, v[1:4]
	s_waitcnt lgkmcnt(0)
	s_waitcnt_vscnt null, 0x0
	s_barrier
	buffer_gl0_inv
	s_and_saveexec_b32 s8, s4
	s_cbranch_execz .LBB36_43
; %bb.36:
	ds_read_b128 v[1:4], v6
	s_andn2_b32 vcc_lo, exec_lo, s44
	s_cbranch_vccnz .LBB36_38
; %bb.37:
	s_clause 0x3
	buffer_load_dword v7, v5, s[0:3], 0 offen offset:8
	buffer_load_dword v8, v5, s[0:3], 0 offen offset:12
	buffer_load_dword v9, v5, s[0:3], 0 offen
	buffer_load_dword v10, v5, s[0:3], 0 offen offset:4
	s_waitcnt vmcnt(2) lgkmcnt(0)
	v_mul_f64 v[11:12], v[3:4], v[7:8]
	v_mul_f64 v[7:8], v[1:2], v[7:8]
	s_waitcnt vmcnt(0)
	v_fma_f64 v[1:2], v[1:2], v[9:10], -v[11:12]
	v_fma_f64 v[3:4], v[3:4], v[9:10], v[7:8]
.LBB36_38:
	s_and_saveexec_b32 s45, s5
	s_cbranch_execz .LBB36_42
; %bb.39:
	v_subrev_nc_u32_e32 v7, 32, v0
	s_movk_i32 s46, 0x450
	s_mov_b32 s5, 0
	s_mov_b32 s47, s11
	.p2align	6
.LBB36_40:                              ; =>This Inner Loop Header: Depth=1
	v_mov_b32_e32 v8, s47
	v_add_nc_u32_e32 v7, -1, v7
	s_add_i32 s47, s47, 16
	s_clause 0x3
	buffer_load_dword v12, v8, s[0:3], 0 offen offset:8
	buffer_load_dword v13, v8, s[0:3], 0 offen offset:12
	buffer_load_dword v14, v8, s[0:3], 0 offen
	buffer_load_dword v15, v8, s[0:3], 0 offen offset:4
	v_mov_b32_e32 v8, s46
	v_cmp_eq_u32_e32 vcc_lo, 0, v7
	s_add_i32 s46, s46, 16
	ds_read_b128 v[8:11], v8
	s_or_b32 s5, vcc_lo, s5
	s_waitcnt vmcnt(2) lgkmcnt(0)
	v_mul_f64 v[16:17], v[10:11], v[12:13]
	v_mul_f64 v[12:13], v[8:9], v[12:13]
	s_waitcnt vmcnt(0)
	v_fma_f64 v[8:9], v[8:9], v[14:15], -v[16:17]
	v_fma_f64 v[10:11], v[10:11], v[14:15], v[12:13]
	v_add_f64 v[1:2], v[1:2], v[8:9]
	v_add_f64 v[3:4], v[3:4], v[10:11]
	s_andn2_b32 exec_lo, exec_lo, s5
	s_cbranch_execnz .LBB36_40
; %bb.41:
	s_or_b32 exec_lo, exec_lo, s5
.LBB36_42:
	s_or_b32 exec_lo, exec_lo, s45
	v_mov_b32_e32 v7, 0
	ds_read_b128 v[7:10], v7 offset:496
	s_waitcnt lgkmcnt(0)
	v_mul_f64 v[11:12], v[3:4], v[9:10]
	v_mul_f64 v[9:10], v[1:2], v[9:10]
	v_fma_f64 v[1:2], v[1:2], v[7:8], -v[11:12]
	v_fma_f64 v[3:4], v[3:4], v[7:8], v[9:10]
	buffer_store_dword v2, off, s[0:3], 0 offset:500
	buffer_store_dword v1, off, s[0:3], 0 offset:496
	;; [unrolled: 1-line block ×4, first 2 shown]
.LBB36_43:
	s_or_b32 exec_lo, exec_lo, s8
	v_mov_b32_e32 v4, s13
	v_cmp_lt_u32_e64 s5, 30, v0
	s_clause 0x3
	buffer_load_dword v1, v4, s[0:3], 0 offen
	buffer_load_dword v2, v4, s[0:3], 0 offen offset:4
	buffer_load_dword v3, v4, s[0:3], 0 offen offset:8
	;; [unrolled: 1-line block ×3, first 2 shown]
	s_waitcnt vmcnt(0)
	ds_write_b128 v6, v[1:4]
	s_waitcnt lgkmcnt(0)
	s_waitcnt_vscnt null, 0x0
	s_barrier
	buffer_gl0_inv
	s_and_saveexec_b32 s8, s5
	s_cbranch_execz .LBB36_51
; %bb.44:
	ds_read_b128 v[1:4], v6
	s_andn2_b32 vcc_lo, exec_lo, s44
	s_cbranch_vccnz .LBB36_46
; %bb.45:
	s_clause 0x3
	buffer_load_dword v7, v5, s[0:3], 0 offen offset:8
	buffer_load_dword v8, v5, s[0:3], 0 offen offset:12
	buffer_load_dword v9, v5, s[0:3], 0 offen
	buffer_load_dword v10, v5, s[0:3], 0 offen offset:4
	s_waitcnt vmcnt(2) lgkmcnt(0)
	v_mul_f64 v[11:12], v[3:4], v[7:8]
	v_mul_f64 v[7:8], v[1:2], v[7:8]
	s_waitcnt vmcnt(0)
	v_fma_f64 v[1:2], v[1:2], v[9:10], -v[11:12]
	v_fma_f64 v[3:4], v[3:4], v[9:10], v[7:8]
.LBB36_46:
	s_and_saveexec_b32 s45, s4
	s_cbranch_execz .LBB36_50
; %bb.47:
	v_subrev_nc_u32_e32 v7, 31, v0
	s_movk_i32 s46, 0x440
	s_mov_b32 s4, 0
	s_mov_b32 s47, s12
	.p2align	6
.LBB36_48:                              ; =>This Inner Loop Header: Depth=1
	v_mov_b32_e32 v8, s47
	v_add_nc_u32_e32 v7, -1, v7
	s_add_i32 s47, s47, 16
	s_clause 0x3
	buffer_load_dword v12, v8, s[0:3], 0 offen offset:8
	buffer_load_dword v13, v8, s[0:3], 0 offen offset:12
	buffer_load_dword v14, v8, s[0:3], 0 offen
	buffer_load_dword v15, v8, s[0:3], 0 offen offset:4
	v_mov_b32_e32 v8, s46
	v_cmp_eq_u32_e32 vcc_lo, 0, v7
	s_add_i32 s46, s46, 16
	ds_read_b128 v[8:11], v8
	s_or_b32 s4, vcc_lo, s4
	s_waitcnt vmcnt(2) lgkmcnt(0)
	v_mul_f64 v[16:17], v[10:11], v[12:13]
	v_mul_f64 v[12:13], v[8:9], v[12:13]
	s_waitcnt vmcnt(0)
	v_fma_f64 v[8:9], v[8:9], v[14:15], -v[16:17]
	v_fma_f64 v[10:11], v[10:11], v[14:15], v[12:13]
	v_add_f64 v[1:2], v[1:2], v[8:9]
	v_add_f64 v[3:4], v[3:4], v[10:11]
	s_andn2_b32 exec_lo, exec_lo, s4
	s_cbranch_execnz .LBB36_48
; %bb.49:
	s_or_b32 exec_lo, exec_lo, s4
.LBB36_50:
	s_or_b32 exec_lo, exec_lo, s45
	v_mov_b32_e32 v7, 0
	ds_read_b128 v[7:10], v7 offset:480
	s_waitcnt lgkmcnt(0)
	v_mul_f64 v[11:12], v[3:4], v[9:10]
	v_mul_f64 v[9:10], v[1:2], v[9:10]
	v_fma_f64 v[1:2], v[1:2], v[7:8], -v[11:12]
	v_fma_f64 v[3:4], v[3:4], v[7:8], v[9:10]
	buffer_store_dword v2, off, s[0:3], 0 offset:484
	buffer_store_dword v1, off, s[0:3], 0 offset:480
	;; [unrolled: 1-line block ×4, first 2 shown]
.LBB36_51:
	s_or_b32 exec_lo, exec_lo, s8
	v_mov_b32_e32 v4, s14
	v_cmp_lt_u32_e64 s4, 29, v0
	s_clause 0x3
	buffer_load_dword v1, v4, s[0:3], 0 offen
	buffer_load_dword v2, v4, s[0:3], 0 offen offset:4
	buffer_load_dword v3, v4, s[0:3], 0 offen offset:8
	;; [unrolled: 1-line block ×3, first 2 shown]
	s_waitcnt vmcnt(0)
	ds_write_b128 v6, v[1:4]
	s_waitcnt lgkmcnt(0)
	s_waitcnt_vscnt null, 0x0
	s_barrier
	buffer_gl0_inv
	s_and_saveexec_b32 s8, s4
	s_cbranch_execz .LBB36_59
; %bb.52:
	ds_read_b128 v[1:4], v6
	s_andn2_b32 vcc_lo, exec_lo, s44
	s_cbranch_vccnz .LBB36_54
; %bb.53:
	s_clause 0x3
	buffer_load_dword v7, v5, s[0:3], 0 offen offset:8
	buffer_load_dword v8, v5, s[0:3], 0 offen offset:12
	buffer_load_dword v9, v5, s[0:3], 0 offen
	buffer_load_dword v10, v5, s[0:3], 0 offen offset:4
	s_waitcnt vmcnt(2) lgkmcnt(0)
	v_mul_f64 v[11:12], v[3:4], v[7:8]
	v_mul_f64 v[7:8], v[1:2], v[7:8]
	s_waitcnt vmcnt(0)
	v_fma_f64 v[1:2], v[1:2], v[9:10], -v[11:12]
	v_fma_f64 v[3:4], v[3:4], v[9:10], v[7:8]
.LBB36_54:
	s_and_saveexec_b32 s45, s5
	s_cbranch_execz .LBB36_58
; %bb.55:
	v_subrev_nc_u32_e32 v7, 30, v0
	s_movk_i32 s46, 0x430
	s_mov_b32 s5, 0
	s_mov_b32 s47, s13
	.p2align	6
.LBB36_56:                              ; =>This Inner Loop Header: Depth=1
	v_mov_b32_e32 v8, s47
	v_add_nc_u32_e32 v7, -1, v7
	s_add_i32 s47, s47, 16
	s_clause 0x3
	buffer_load_dword v12, v8, s[0:3], 0 offen offset:8
	buffer_load_dword v13, v8, s[0:3], 0 offen offset:12
	buffer_load_dword v14, v8, s[0:3], 0 offen
	buffer_load_dword v15, v8, s[0:3], 0 offen offset:4
	v_mov_b32_e32 v8, s46
	v_cmp_eq_u32_e32 vcc_lo, 0, v7
	s_add_i32 s46, s46, 16
	ds_read_b128 v[8:11], v8
	s_or_b32 s5, vcc_lo, s5
	s_waitcnt vmcnt(2) lgkmcnt(0)
	v_mul_f64 v[16:17], v[10:11], v[12:13]
	v_mul_f64 v[12:13], v[8:9], v[12:13]
	s_waitcnt vmcnt(0)
	v_fma_f64 v[8:9], v[8:9], v[14:15], -v[16:17]
	v_fma_f64 v[10:11], v[10:11], v[14:15], v[12:13]
	v_add_f64 v[1:2], v[1:2], v[8:9]
	v_add_f64 v[3:4], v[3:4], v[10:11]
	s_andn2_b32 exec_lo, exec_lo, s5
	s_cbranch_execnz .LBB36_56
; %bb.57:
	s_or_b32 exec_lo, exec_lo, s5
.LBB36_58:
	s_or_b32 exec_lo, exec_lo, s45
	v_mov_b32_e32 v7, 0
	ds_read_b128 v[7:10], v7 offset:464
	s_waitcnt lgkmcnt(0)
	v_mul_f64 v[11:12], v[3:4], v[9:10]
	v_mul_f64 v[9:10], v[1:2], v[9:10]
	v_fma_f64 v[1:2], v[1:2], v[7:8], -v[11:12]
	v_fma_f64 v[3:4], v[3:4], v[7:8], v[9:10]
	buffer_store_dword v2, off, s[0:3], 0 offset:468
	buffer_store_dword v1, off, s[0:3], 0 offset:464
	;; [unrolled: 1-line block ×4, first 2 shown]
.LBB36_59:
	s_or_b32 exec_lo, exec_lo, s8
	v_mov_b32_e32 v4, s15
	v_cmp_lt_u32_e64 s5, 28, v0
	s_clause 0x3
	buffer_load_dword v1, v4, s[0:3], 0 offen
	buffer_load_dword v2, v4, s[0:3], 0 offen offset:4
	buffer_load_dword v3, v4, s[0:3], 0 offen offset:8
	;; [unrolled: 1-line block ×3, first 2 shown]
	s_waitcnt vmcnt(0)
	ds_write_b128 v6, v[1:4]
	s_waitcnt lgkmcnt(0)
	s_waitcnt_vscnt null, 0x0
	s_barrier
	buffer_gl0_inv
	s_and_saveexec_b32 s8, s5
	s_cbranch_execz .LBB36_67
; %bb.60:
	ds_read_b128 v[1:4], v6
	s_andn2_b32 vcc_lo, exec_lo, s44
	s_cbranch_vccnz .LBB36_62
; %bb.61:
	s_clause 0x3
	buffer_load_dword v7, v5, s[0:3], 0 offen offset:8
	buffer_load_dword v8, v5, s[0:3], 0 offen offset:12
	buffer_load_dword v9, v5, s[0:3], 0 offen
	buffer_load_dword v10, v5, s[0:3], 0 offen offset:4
	s_waitcnt vmcnt(2) lgkmcnt(0)
	v_mul_f64 v[11:12], v[3:4], v[7:8]
	v_mul_f64 v[7:8], v[1:2], v[7:8]
	s_waitcnt vmcnt(0)
	v_fma_f64 v[1:2], v[1:2], v[9:10], -v[11:12]
	v_fma_f64 v[3:4], v[3:4], v[9:10], v[7:8]
.LBB36_62:
	s_and_saveexec_b32 s45, s4
	s_cbranch_execz .LBB36_66
; %bb.63:
	v_subrev_nc_u32_e32 v7, 29, v0
	s_movk_i32 s46, 0x420
	s_mov_b32 s4, 0
	s_mov_b32 s47, s14
	.p2align	6
.LBB36_64:                              ; =>This Inner Loop Header: Depth=1
	v_mov_b32_e32 v8, s47
	v_add_nc_u32_e32 v7, -1, v7
	s_add_i32 s47, s47, 16
	s_clause 0x3
	buffer_load_dword v12, v8, s[0:3], 0 offen offset:8
	buffer_load_dword v13, v8, s[0:3], 0 offen offset:12
	buffer_load_dword v14, v8, s[0:3], 0 offen
	buffer_load_dword v15, v8, s[0:3], 0 offen offset:4
	v_mov_b32_e32 v8, s46
	v_cmp_eq_u32_e32 vcc_lo, 0, v7
	s_add_i32 s46, s46, 16
	ds_read_b128 v[8:11], v8
	s_or_b32 s4, vcc_lo, s4
	s_waitcnt vmcnt(2) lgkmcnt(0)
	v_mul_f64 v[16:17], v[10:11], v[12:13]
	v_mul_f64 v[12:13], v[8:9], v[12:13]
	s_waitcnt vmcnt(0)
	v_fma_f64 v[8:9], v[8:9], v[14:15], -v[16:17]
	v_fma_f64 v[10:11], v[10:11], v[14:15], v[12:13]
	v_add_f64 v[1:2], v[1:2], v[8:9]
	v_add_f64 v[3:4], v[3:4], v[10:11]
	s_andn2_b32 exec_lo, exec_lo, s4
	s_cbranch_execnz .LBB36_64
; %bb.65:
	s_or_b32 exec_lo, exec_lo, s4
.LBB36_66:
	s_or_b32 exec_lo, exec_lo, s45
	v_mov_b32_e32 v7, 0
	ds_read_b128 v[7:10], v7 offset:448
	s_waitcnt lgkmcnt(0)
	v_mul_f64 v[11:12], v[3:4], v[9:10]
	v_mul_f64 v[9:10], v[1:2], v[9:10]
	v_fma_f64 v[1:2], v[1:2], v[7:8], -v[11:12]
	v_fma_f64 v[3:4], v[3:4], v[7:8], v[9:10]
	buffer_store_dword v2, off, s[0:3], 0 offset:452
	buffer_store_dword v1, off, s[0:3], 0 offset:448
	;; [unrolled: 1-line block ×4, first 2 shown]
.LBB36_67:
	s_or_b32 exec_lo, exec_lo, s8
	v_mov_b32_e32 v4, s16
	v_cmp_lt_u32_e64 s4, 27, v0
	s_clause 0x3
	buffer_load_dword v1, v4, s[0:3], 0 offen
	buffer_load_dword v2, v4, s[0:3], 0 offen offset:4
	buffer_load_dword v3, v4, s[0:3], 0 offen offset:8
	;; [unrolled: 1-line block ×3, first 2 shown]
	s_waitcnt vmcnt(0)
	ds_write_b128 v6, v[1:4]
	s_waitcnt lgkmcnt(0)
	s_waitcnt_vscnt null, 0x0
	s_barrier
	buffer_gl0_inv
	s_and_saveexec_b32 s8, s4
	s_cbranch_execz .LBB36_75
; %bb.68:
	ds_read_b128 v[1:4], v6
	s_andn2_b32 vcc_lo, exec_lo, s44
	s_cbranch_vccnz .LBB36_70
; %bb.69:
	s_clause 0x3
	buffer_load_dword v7, v5, s[0:3], 0 offen offset:8
	buffer_load_dword v8, v5, s[0:3], 0 offen offset:12
	buffer_load_dword v9, v5, s[0:3], 0 offen
	buffer_load_dword v10, v5, s[0:3], 0 offen offset:4
	s_waitcnt vmcnt(2) lgkmcnt(0)
	v_mul_f64 v[11:12], v[3:4], v[7:8]
	v_mul_f64 v[7:8], v[1:2], v[7:8]
	s_waitcnt vmcnt(0)
	v_fma_f64 v[1:2], v[1:2], v[9:10], -v[11:12]
	v_fma_f64 v[3:4], v[3:4], v[9:10], v[7:8]
.LBB36_70:
	s_and_saveexec_b32 s45, s5
	s_cbranch_execz .LBB36_74
; %bb.71:
	v_subrev_nc_u32_e32 v7, 28, v0
	s_movk_i32 s46, 0x410
	s_mov_b32 s5, 0
	s_mov_b32 s47, s15
	.p2align	6
.LBB36_72:                              ; =>This Inner Loop Header: Depth=1
	v_mov_b32_e32 v8, s47
	v_add_nc_u32_e32 v7, -1, v7
	s_add_i32 s47, s47, 16
	s_clause 0x3
	buffer_load_dword v12, v8, s[0:3], 0 offen offset:8
	buffer_load_dword v13, v8, s[0:3], 0 offen offset:12
	buffer_load_dword v14, v8, s[0:3], 0 offen
	buffer_load_dword v15, v8, s[0:3], 0 offen offset:4
	v_mov_b32_e32 v8, s46
	v_cmp_eq_u32_e32 vcc_lo, 0, v7
	s_add_i32 s46, s46, 16
	ds_read_b128 v[8:11], v8
	s_or_b32 s5, vcc_lo, s5
	s_waitcnt vmcnt(2) lgkmcnt(0)
	v_mul_f64 v[16:17], v[10:11], v[12:13]
	v_mul_f64 v[12:13], v[8:9], v[12:13]
	s_waitcnt vmcnt(0)
	v_fma_f64 v[8:9], v[8:9], v[14:15], -v[16:17]
	v_fma_f64 v[10:11], v[10:11], v[14:15], v[12:13]
	v_add_f64 v[1:2], v[1:2], v[8:9]
	v_add_f64 v[3:4], v[3:4], v[10:11]
	s_andn2_b32 exec_lo, exec_lo, s5
	s_cbranch_execnz .LBB36_72
; %bb.73:
	s_or_b32 exec_lo, exec_lo, s5
.LBB36_74:
	s_or_b32 exec_lo, exec_lo, s45
	v_mov_b32_e32 v7, 0
	ds_read_b128 v[7:10], v7 offset:432
	s_waitcnt lgkmcnt(0)
	v_mul_f64 v[11:12], v[3:4], v[9:10]
	v_mul_f64 v[9:10], v[1:2], v[9:10]
	v_fma_f64 v[1:2], v[1:2], v[7:8], -v[11:12]
	v_fma_f64 v[3:4], v[3:4], v[7:8], v[9:10]
	buffer_store_dword v2, off, s[0:3], 0 offset:436
	buffer_store_dword v1, off, s[0:3], 0 offset:432
	;; [unrolled: 1-line block ×4, first 2 shown]
.LBB36_75:
	s_or_b32 exec_lo, exec_lo, s8
	v_mov_b32_e32 v4, s17
	v_cmp_lt_u32_e64 s5, 26, v0
	s_clause 0x3
	buffer_load_dword v1, v4, s[0:3], 0 offen
	buffer_load_dword v2, v4, s[0:3], 0 offen offset:4
	buffer_load_dword v3, v4, s[0:3], 0 offen offset:8
	;; [unrolled: 1-line block ×3, first 2 shown]
	s_waitcnt vmcnt(0)
	ds_write_b128 v6, v[1:4]
	s_waitcnt lgkmcnt(0)
	s_waitcnt_vscnt null, 0x0
	s_barrier
	buffer_gl0_inv
	s_and_saveexec_b32 s8, s5
	s_cbranch_execz .LBB36_83
; %bb.76:
	ds_read_b128 v[1:4], v6
	s_andn2_b32 vcc_lo, exec_lo, s44
	s_cbranch_vccnz .LBB36_78
; %bb.77:
	s_clause 0x3
	buffer_load_dword v7, v5, s[0:3], 0 offen offset:8
	buffer_load_dword v8, v5, s[0:3], 0 offen offset:12
	buffer_load_dword v9, v5, s[0:3], 0 offen
	buffer_load_dword v10, v5, s[0:3], 0 offen offset:4
	s_waitcnt vmcnt(2) lgkmcnt(0)
	v_mul_f64 v[11:12], v[3:4], v[7:8]
	v_mul_f64 v[7:8], v[1:2], v[7:8]
	s_waitcnt vmcnt(0)
	v_fma_f64 v[1:2], v[1:2], v[9:10], -v[11:12]
	v_fma_f64 v[3:4], v[3:4], v[9:10], v[7:8]
.LBB36_78:
	s_and_saveexec_b32 s45, s4
	s_cbranch_execz .LBB36_82
; %bb.79:
	v_subrev_nc_u32_e32 v7, 27, v0
	s_movk_i32 s46, 0x400
	s_mov_b32 s4, 0
	s_mov_b32 s47, s16
	.p2align	6
.LBB36_80:                              ; =>This Inner Loop Header: Depth=1
	v_mov_b32_e32 v8, s47
	v_add_nc_u32_e32 v7, -1, v7
	s_add_i32 s47, s47, 16
	s_clause 0x3
	buffer_load_dword v12, v8, s[0:3], 0 offen offset:8
	buffer_load_dword v13, v8, s[0:3], 0 offen offset:12
	buffer_load_dword v14, v8, s[0:3], 0 offen
	buffer_load_dword v15, v8, s[0:3], 0 offen offset:4
	v_mov_b32_e32 v8, s46
	v_cmp_eq_u32_e32 vcc_lo, 0, v7
	s_add_i32 s46, s46, 16
	ds_read_b128 v[8:11], v8
	s_or_b32 s4, vcc_lo, s4
	s_waitcnt vmcnt(2) lgkmcnt(0)
	v_mul_f64 v[16:17], v[10:11], v[12:13]
	v_mul_f64 v[12:13], v[8:9], v[12:13]
	s_waitcnt vmcnt(0)
	v_fma_f64 v[8:9], v[8:9], v[14:15], -v[16:17]
	v_fma_f64 v[10:11], v[10:11], v[14:15], v[12:13]
	v_add_f64 v[1:2], v[1:2], v[8:9]
	v_add_f64 v[3:4], v[3:4], v[10:11]
	s_andn2_b32 exec_lo, exec_lo, s4
	s_cbranch_execnz .LBB36_80
; %bb.81:
	s_or_b32 exec_lo, exec_lo, s4
.LBB36_82:
	s_or_b32 exec_lo, exec_lo, s45
	v_mov_b32_e32 v7, 0
	ds_read_b128 v[7:10], v7 offset:416
	s_waitcnt lgkmcnt(0)
	v_mul_f64 v[11:12], v[3:4], v[9:10]
	v_mul_f64 v[9:10], v[1:2], v[9:10]
	v_fma_f64 v[1:2], v[1:2], v[7:8], -v[11:12]
	v_fma_f64 v[3:4], v[3:4], v[7:8], v[9:10]
	buffer_store_dword v2, off, s[0:3], 0 offset:420
	buffer_store_dword v1, off, s[0:3], 0 offset:416
	;; [unrolled: 1-line block ×4, first 2 shown]
.LBB36_83:
	s_or_b32 exec_lo, exec_lo, s8
	v_mov_b32_e32 v4, s18
	v_cmp_lt_u32_e64 s4, 25, v0
	s_clause 0x3
	buffer_load_dword v1, v4, s[0:3], 0 offen
	buffer_load_dword v2, v4, s[0:3], 0 offen offset:4
	buffer_load_dword v3, v4, s[0:3], 0 offen offset:8
	;; [unrolled: 1-line block ×3, first 2 shown]
	s_waitcnt vmcnt(0)
	ds_write_b128 v6, v[1:4]
	s_waitcnt lgkmcnt(0)
	s_waitcnt_vscnt null, 0x0
	s_barrier
	buffer_gl0_inv
	s_and_saveexec_b32 s8, s4
	s_cbranch_execz .LBB36_91
; %bb.84:
	ds_read_b128 v[1:4], v6
	s_andn2_b32 vcc_lo, exec_lo, s44
	s_cbranch_vccnz .LBB36_86
; %bb.85:
	s_clause 0x3
	buffer_load_dword v7, v5, s[0:3], 0 offen offset:8
	buffer_load_dword v8, v5, s[0:3], 0 offen offset:12
	buffer_load_dword v9, v5, s[0:3], 0 offen
	buffer_load_dword v10, v5, s[0:3], 0 offen offset:4
	s_waitcnt vmcnt(2) lgkmcnt(0)
	v_mul_f64 v[11:12], v[3:4], v[7:8]
	v_mul_f64 v[7:8], v[1:2], v[7:8]
	s_waitcnt vmcnt(0)
	v_fma_f64 v[1:2], v[1:2], v[9:10], -v[11:12]
	v_fma_f64 v[3:4], v[3:4], v[9:10], v[7:8]
.LBB36_86:
	s_and_saveexec_b32 s45, s5
	s_cbranch_execz .LBB36_90
; %bb.87:
	v_subrev_nc_u32_e32 v7, 26, v0
	s_movk_i32 s46, 0x3f0
	s_mov_b32 s5, 0
	s_mov_b32 s47, s17
	.p2align	6
.LBB36_88:                              ; =>This Inner Loop Header: Depth=1
	v_mov_b32_e32 v8, s47
	v_add_nc_u32_e32 v7, -1, v7
	s_add_i32 s47, s47, 16
	s_clause 0x3
	buffer_load_dword v12, v8, s[0:3], 0 offen offset:8
	buffer_load_dword v13, v8, s[0:3], 0 offen offset:12
	buffer_load_dword v14, v8, s[0:3], 0 offen
	buffer_load_dword v15, v8, s[0:3], 0 offen offset:4
	v_mov_b32_e32 v8, s46
	v_cmp_eq_u32_e32 vcc_lo, 0, v7
	s_add_i32 s46, s46, 16
	ds_read_b128 v[8:11], v8
	s_or_b32 s5, vcc_lo, s5
	s_waitcnt vmcnt(2) lgkmcnt(0)
	v_mul_f64 v[16:17], v[10:11], v[12:13]
	v_mul_f64 v[12:13], v[8:9], v[12:13]
	s_waitcnt vmcnt(0)
	v_fma_f64 v[8:9], v[8:9], v[14:15], -v[16:17]
	v_fma_f64 v[10:11], v[10:11], v[14:15], v[12:13]
	v_add_f64 v[1:2], v[1:2], v[8:9]
	v_add_f64 v[3:4], v[3:4], v[10:11]
	s_andn2_b32 exec_lo, exec_lo, s5
	s_cbranch_execnz .LBB36_88
; %bb.89:
	s_or_b32 exec_lo, exec_lo, s5
.LBB36_90:
	s_or_b32 exec_lo, exec_lo, s45
	v_mov_b32_e32 v7, 0
	ds_read_b128 v[7:10], v7 offset:400
	s_waitcnt lgkmcnt(0)
	v_mul_f64 v[11:12], v[3:4], v[9:10]
	v_mul_f64 v[9:10], v[1:2], v[9:10]
	v_fma_f64 v[1:2], v[1:2], v[7:8], -v[11:12]
	v_fma_f64 v[3:4], v[3:4], v[7:8], v[9:10]
	buffer_store_dword v2, off, s[0:3], 0 offset:404
	buffer_store_dword v1, off, s[0:3], 0 offset:400
	;; [unrolled: 1-line block ×4, first 2 shown]
.LBB36_91:
	s_or_b32 exec_lo, exec_lo, s8
	v_mov_b32_e32 v4, s19
	v_cmp_lt_u32_e64 s5, 24, v0
	s_clause 0x3
	buffer_load_dword v1, v4, s[0:3], 0 offen
	buffer_load_dword v2, v4, s[0:3], 0 offen offset:4
	buffer_load_dword v3, v4, s[0:3], 0 offen offset:8
	;; [unrolled: 1-line block ×3, first 2 shown]
	s_waitcnt vmcnt(0)
	ds_write_b128 v6, v[1:4]
	s_waitcnt lgkmcnt(0)
	s_waitcnt_vscnt null, 0x0
	s_barrier
	buffer_gl0_inv
	s_and_saveexec_b32 s8, s5
	s_cbranch_execz .LBB36_99
; %bb.92:
	ds_read_b128 v[1:4], v6
	s_andn2_b32 vcc_lo, exec_lo, s44
	s_cbranch_vccnz .LBB36_94
; %bb.93:
	s_clause 0x3
	buffer_load_dword v7, v5, s[0:3], 0 offen offset:8
	buffer_load_dword v8, v5, s[0:3], 0 offen offset:12
	buffer_load_dword v9, v5, s[0:3], 0 offen
	buffer_load_dword v10, v5, s[0:3], 0 offen offset:4
	s_waitcnt vmcnt(2) lgkmcnt(0)
	v_mul_f64 v[11:12], v[3:4], v[7:8]
	v_mul_f64 v[7:8], v[1:2], v[7:8]
	s_waitcnt vmcnt(0)
	v_fma_f64 v[1:2], v[1:2], v[9:10], -v[11:12]
	v_fma_f64 v[3:4], v[3:4], v[9:10], v[7:8]
.LBB36_94:
	s_and_saveexec_b32 s45, s4
	s_cbranch_execz .LBB36_98
; %bb.95:
	v_subrev_nc_u32_e32 v7, 25, v0
	s_movk_i32 s46, 0x3e0
	s_mov_b32 s4, 0
	s_mov_b32 s47, s18
	.p2align	6
.LBB36_96:                              ; =>This Inner Loop Header: Depth=1
	v_mov_b32_e32 v8, s47
	v_add_nc_u32_e32 v7, -1, v7
	s_add_i32 s47, s47, 16
	s_clause 0x3
	buffer_load_dword v12, v8, s[0:3], 0 offen offset:8
	buffer_load_dword v13, v8, s[0:3], 0 offen offset:12
	buffer_load_dword v14, v8, s[0:3], 0 offen
	buffer_load_dword v15, v8, s[0:3], 0 offen offset:4
	v_mov_b32_e32 v8, s46
	v_cmp_eq_u32_e32 vcc_lo, 0, v7
	s_add_i32 s46, s46, 16
	ds_read_b128 v[8:11], v8
	s_or_b32 s4, vcc_lo, s4
	s_waitcnt vmcnt(2) lgkmcnt(0)
	v_mul_f64 v[16:17], v[10:11], v[12:13]
	v_mul_f64 v[12:13], v[8:9], v[12:13]
	s_waitcnt vmcnt(0)
	v_fma_f64 v[8:9], v[8:9], v[14:15], -v[16:17]
	v_fma_f64 v[10:11], v[10:11], v[14:15], v[12:13]
	v_add_f64 v[1:2], v[1:2], v[8:9]
	v_add_f64 v[3:4], v[3:4], v[10:11]
	s_andn2_b32 exec_lo, exec_lo, s4
	s_cbranch_execnz .LBB36_96
; %bb.97:
	s_or_b32 exec_lo, exec_lo, s4
.LBB36_98:
	s_or_b32 exec_lo, exec_lo, s45
	v_mov_b32_e32 v7, 0
	ds_read_b128 v[7:10], v7 offset:384
	s_waitcnt lgkmcnt(0)
	v_mul_f64 v[11:12], v[3:4], v[9:10]
	v_mul_f64 v[9:10], v[1:2], v[9:10]
	v_fma_f64 v[1:2], v[1:2], v[7:8], -v[11:12]
	v_fma_f64 v[3:4], v[3:4], v[7:8], v[9:10]
	buffer_store_dword v2, off, s[0:3], 0 offset:388
	buffer_store_dword v1, off, s[0:3], 0 offset:384
	;; [unrolled: 1-line block ×4, first 2 shown]
.LBB36_99:
	s_or_b32 exec_lo, exec_lo, s8
	v_mov_b32_e32 v4, s20
	v_cmp_lt_u32_e64 s4, 23, v0
	s_clause 0x3
	buffer_load_dword v1, v4, s[0:3], 0 offen
	buffer_load_dword v2, v4, s[0:3], 0 offen offset:4
	buffer_load_dword v3, v4, s[0:3], 0 offen offset:8
	;; [unrolled: 1-line block ×3, first 2 shown]
	s_waitcnt vmcnt(0)
	ds_write_b128 v6, v[1:4]
	s_waitcnt lgkmcnt(0)
	s_waitcnt_vscnt null, 0x0
	s_barrier
	buffer_gl0_inv
	s_and_saveexec_b32 s8, s4
	s_cbranch_execz .LBB36_107
; %bb.100:
	ds_read_b128 v[1:4], v6
	s_andn2_b32 vcc_lo, exec_lo, s44
	s_cbranch_vccnz .LBB36_102
; %bb.101:
	s_clause 0x3
	buffer_load_dword v7, v5, s[0:3], 0 offen offset:8
	buffer_load_dword v8, v5, s[0:3], 0 offen offset:12
	buffer_load_dword v9, v5, s[0:3], 0 offen
	buffer_load_dword v10, v5, s[0:3], 0 offen offset:4
	s_waitcnt vmcnt(2) lgkmcnt(0)
	v_mul_f64 v[11:12], v[3:4], v[7:8]
	v_mul_f64 v[7:8], v[1:2], v[7:8]
	s_waitcnt vmcnt(0)
	v_fma_f64 v[1:2], v[1:2], v[9:10], -v[11:12]
	v_fma_f64 v[3:4], v[3:4], v[9:10], v[7:8]
.LBB36_102:
	s_and_saveexec_b32 s45, s5
	s_cbranch_execz .LBB36_106
; %bb.103:
	v_subrev_nc_u32_e32 v7, 24, v0
	s_movk_i32 s46, 0x3d0
	s_mov_b32 s5, 0
	s_mov_b32 s47, s19
	.p2align	6
.LBB36_104:                             ; =>This Inner Loop Header: Depth=1
	v_mov_b32_e32 v8, s47
	v_add_nc_u32_e32 v7, -1, v7
	s_add_i32 s47, s47, 16
	s_clause 0x3
	buffer_load_dword v12, v8, s[0:3], 0 offen offset:8
	buffer_load_dword v13, v8, s[0:3], 0 offen offset:12
	buffer_load_dword v14, v8, s[0:3], 0 offen
	buffer_load_dword v15, v8, s[0:3], 0 offen offset:4
	v_mov_b32_e32 v8, s46
	v_cmp_eq_u32_e32 vcc_lo, 0, v7
	s_add_i32 s46, s46, 16
	ds_read_b128 v[8:11], v8
	s_or_b32 s5, vcc_lo, s5
	s_waitcnt vmcnt(2) lgkmcnt(0)
	v_mul_f64 v[16:17], v[10:11], v[12:13]
	v_mul_f64 v[12:13], v[8:9], v[12:13]
	s_waitcnt vmcnt(0)
	v_fma_f64 v[8:9], v[8:9], v[14:15], -v[16:17]
	v_fma_f64 v[10:11], v[10:11], v[14:15], v[12:13]
	v_add_f64 v[1:2], v[1:2], v[8:9]
	v_add_f64 v[3:4], v[3:4], v[10:11]
	s_andn2_b32 exec_lo, exec_lo, s5
	s_cbranch_execnz .LBB36_104
; %bb.105:
	s_or_b32 exec_lo, exec_lo, s5
.LBB36_106:
	s_or_b32 exec_lo, exec_lo, s45
	v_mov_b32_e32 v7, 0
	ds_read_b128 v[7:10], v7 offset:368
	s_waitcnt lgkmcnt(0)
	v_mul_f64 v[11:12], v[3:4], v[9:10]
	v_mul_f64 v[9:10], v[1:2], v[9:10]
	v_fma_f64 v[1:2], v[1:2], v[7:8], -v[11:12]
	v_fma_f64 v[3:4], v[3:4], v[7:8], v[9:10]
	buffer_store_dword v2, off, s[0:3], 0 offset:372
	buffer_store_dword v1, off, s[0:3], 0 offset:368
	;; [unrolled: 1-line block ×4, first 2 shown]
.LBB36_107:
	s_or_b32 exec_lo, exec_lo, s8
	v_mov_b32_e32 v4, s21
	v_cmp_lt_u32_e64 s5, 22, v0
	s_clause 0x3
	buffer_load_dword v1, v4, s[0:3], 0 offen
	buffer_load_dword v2, v4, s[0:3], 0 offen offset:4
	buffer_load_dword v3, v4, s[0:3], 0 offen offset:8
	;; [unrolled: 1-line block ×3, first 2 shown]
	s_waitcnt vmcnt(0)
	ds_write_b128 v6, v[1:4]
	s_waitcnt lgkmcnt(0)
	s_waitcnt_vscnt null, 0x0
	s_barrier
	buffer_gl0_inv
	s_and_saveexec_b32 s8, s5
	s_cbranch_execz .LBB36_115
; %bb.108:
	ds_read_b128 v[1:4], v6
	s_andn2_b32 vcc_lo, exec_lo, s44
	s_cbranch_vccnz .LBB36_110
; %bb.109:
	s_clause 0x3
	buffer_load_dword v7, v5, s[0:3], 0 offen offset:8
	buffer_load_dword v8, v5, s[0:3], 0 offen offset:12
	buffer_load_dword v9, v5, s[0:3], 0 offen
	buffer_load_dword v10, v5, s[0:3], 0 offen offset:4
	s_waitcnt vmcnt(2) lgkmcnt(0)
	v_mul_f64 v[11:12], v[3:4], v[7:8]
	v_mul_f64 v[7:8], v[1:2], v[7:8]
	s_waitcnt vmcnt(0)
	v_fma_f64 v[1:2], v[1:2], v[9:10], -v[11:12]
	v_fma_f64 v[3:4], v[3:4], v[9:10], v[7:8]
.LBB36_110:
	s_and_saveexec_b32 s45, s4
	s_cbranch_execz .LBB36_114
; %bb.111:
	v_subrev_nc_u32_e32 v7, 23, v0
	s_movk_i32 s46, 0x3c0
	s_mov_b32 s4, 0
	s_mov_b32 s47, s20
	.p2align	6
.LBB36_112:                             ; =>This Inner Loop Header: Depth=1
	v_mov_b32_e32 v8, s47
	v_add_nc_u32_e32 v7, -1, v7
	s_add_i32 s47, s47, 16
	s_clause 0x3
	buffer_load_dword v12, v8, s[0:3], 0 offen offset:8
	buffer_load_dword v13, v8, s[0:3], 0 offen offset:12
	buffer_load_dword v14, v8, s[0:3], 0 offen
	buffer_load_dword v15, v8, s[0:3], 0 offen offset:4
	v_mov_b32_e32 v8, s46
	v_cmp_eq_u32_e32 vcc_lo, 0, v7
	s_add_i32 s46, s46, 16
	ds_read_b128 v[8:11], v8
	s_or_b32 s4, vcc_lo, s4
	s_waitcnt vmcnt(2) lgkmcnt(0)
	v_mul_f64 v[16:17], v[10:11], v[12:13]
	v_mul_f64 v[12:13], v[8:9], v[12:13]
	s_waitcnt vmcnt(0)
	v_fma_f64 v[8:9], v[8:9], v[14:15], -v[16:17]
	v_fma_f64 v[10:11], v[10:11], v[14:15], v[12:13]
	v_add_f64 v[1:2], v[1:2], v[8:9]
	v_add_f64 v[3:4], v[3:4], v[10:11]
	s_andn2_b32 exec_lo, exec_lo, s4
	s_cbranch_execnz .LBB36_112
; %bb.113:
	s_or_b32 exec_lo, exec_lo, s4
.LBB36_114:
	s_or_b32 exec_lo, exec_lo, s45
	v_mov_b32_e32 v7, 0
	ds_read_b128 v[7:10], v7 offset:352
	s_waitcnt lgkmcnt(0)
	v_mul_f64 v[11:12], v[3:4], v[9:10]
	v_mul_f64 v[9:10], v[1:2], v[9:10]
	v_fma_f64 v[1:2], v[1:2], v[7:8], -v[11:12]
	v_fma_f64 v[3:4], v[3:4], v[7:8], v[9:10]
	buffer_store_dword v2, off, s[0:3], 0 offset:356
	buffer_store_dword v1, off, s[0:3], 0 offset:352
	;; [unrolled: 1-line block ×4, first 2 shown]
.LBB36_115:
	s_or_b32 exec_lo, exec_lo, s8
	v_mov_b32_e32 v4, s22
	v_cmp_lt_u32_e64 s4, 21, v0
	s_clause 0x3
	buffer_load_dword v1, v4, s[0:3], 0 offen
	buffer_load_dword v2, v4, s[0:3], 0 offen offset:4
	buffer_load_dword v3, v4, s[0:3], 0 offen offset:8
	;; [unrolled: 1-line block ×3, first 2 shown]
	s_waitcnt vmcnt(0)
	ds_write_b128 v6, v[1:4]
	s_waitcnt lgkmcnt(0)
	s_waitcnt_vscnt null, 0x0
	s_barrier
	buffer_gl0_inv
	s_and_saveexec_b32 s8, s4
	s_cbranch_execz .LBB36_123
; %bb.116:
	ds_read_b128 v[1:4], v6
	s_andn2_b32 vcc_lo, exec_lo, s44
	s_cbranch_vccnz .LBB36_118
; %bb.117:
	s_clause 0x3
	buffer_load_dword v7, v5, s[0:3], 0 offen offset:8
	buffer_load_dword v8, v5, s[0:3], 0 offen offset:12
	buffer_load_dword v9, v5, s[0:3], 0 offen
	buffer_load_dword v10, v5, s[0:3], 0 offen offset:4
	s_waitcnt vmcnt(2) lgkmcnt(0)
	v_mul_f64 v[11:12], v[3:4], v[7:8]
	v_mul_f64 v[7:8], v[1:2], v[7:8]
	s_waitcnt vmcnt(0)
	v_fma_f64 v[1:2], v[1:2], v[9:10], -v[11:12]
	v_fma_f64 v[3:4], v[3:4], v[9:10], v[7:8]
.LBB36_118:
	s_and_saveexec_b32 s45, s5
	s_cbranch_execz .LBB36_122
; %bb.119:
	v_subrev_nc_u32_e32 v7, 22, v0
	s_movk_i32 s46, 0x3b0
	s_mov_b32 s5, 0
	s_mov_b32 s47, s21
	.p2align	6
.LBB36_120:                             ; =>This Inner Loop Header: Depth=1
	v_mov_b32_e32 v8, s47
	v_add_nc_u32_e32 v7, -1, v7
	s_add_i32 s47, s47, 16
	s_clause 0x3
	buffer_load_dword v12, v8, s[0:3], 0 offen offset:8
	buffer_load_dword v13, v8, s[0:3], 0 offen offset:12
	buffer_load_dword v14, v8, s[0:3], 0 offen
	buffer_load_dword v15, v8, s[0:3], 0 offen offset:4
	v_mov_b32_e32 v8, s46
	v_cmp_eq_u32_e32 vcc_lo, 0, v7
	s_add_i32 s46, s46, 16
	ds_read_b128 v[8:11], v8
	s_or_b32 s5, vcc_lo, s5
	s_waitcnt vmcnt(2) lgkmcnt(0)
	v_mul_f64 v[16:17], v[10:11], v[12:13]
	v_mul_f64 v[12:13], v[8:9], v[12:13]
	s_waitcnt vmcnt(0)
	v_fma_f64 v[8:9], v[8:9], v[14:15], -v[16:17]
	v_fma_f64 v[10:11], v[10:11], v[14:15], v[12:13]
	v_add_f64 v[1:2], v[1:2], v[8:9]
	v_add_f64 v[3:4], v[3:4], v[10:11]
	s_andn2_b32 exec_lo, exec_lo, s5
	s_cbranch_execnz .LBB36_120
; %bb.121:
	s_or_b32 exec_lo, exec_lo, s5
.LBB36_122:
	s_or_b32 exec_lo, exec_lo, s45
	v_mov_b32_e32 v7, 0
	ds_read_b128 v[7:10], v7 offset:336
	s_waitcnt lgkmcnt(0)
	v_mul_f64 v[11:12], v[3:4], v[9:10]
	v_mul_f64 v[9:10], v[1:2], v[9:10]
	v_fma_f64 v[1:2], v[1:2], v[7:8], -v[11:12]
	v_fma_f64 v[3:4], v[3:4], v[7:8], v[9:10]
	buffer_store_dword v2, off, s[0:3], 0 offset:340
	buffer_store_dword v1, off, s[0:3], 0 offset:336
	;; [unrolled: 1-line block ×4, first 2 shown]
.LBB36_123:
	s_or_b32 exec_lo, exec_lo, s8
	v_mov_b32_e32 v4, s23
	v_cmp_lt_u32_e64 s5, 20, v0
	s_clause 0x3
	buffer_load_dword v1, v4, s[0:3], 0 offen
	buffer_load_dword v2, v4, s[0:3], 0 offen offset:4
	buffer_load_dword v3, v4, s[0:3], 0 offen offset:8
	;; [unrolled: 1-line block ×3, first 2 shown]
	s_waitcnt vmcnt(0)
	ds_write_b128 v6, v[1:4]
	s_waitcnt lgkmcnt(0)
	s_waitcnt_vscnt null, 0x0
	s_barrier
	buffer_gl0_inv
	s_and_saveexec_b32 s8, s5
	s_cbranch_execz .LBB36_131
; %bb.124:
	ds_read_b128 v[1:4], v6
	s_andn2_b32 vcc_lo, exec_lo, s44
	s_cbranch_vccnz .LBB36_126
; %bb.125:
	s_clause 0x3
	buffer_load_dword v7, v5, s[0:3], 0 offen offset:8
	buffer_load_dword v8, v5, s[0:3], 0 offen offset:12
	buffer_load_dword v9, v5, s[0:3], 0 offen
	buffer_load_dword v10, v5, s[0:3], 0 offen offset:4
	s_waitcnt vmcnt(2) lgkmcnt(0)
	v_mul_f64 v[11:12], v[3:4], v[7:8]
	v_mul_f64 v[7:8], v[1:2], v[7:8]
	s_waitcnt vmcnt(0)
	v_fma_f64 v[1:2], v[1:2], v[9:10], -v[11:12]
	v_fma_f64 v[3:4], v[3:4], v[9:10], v[7:8]
.LBB36_126:
	s_and_saveexec_b32 s45, s4
	s_cbranch_execz .LBB36_130
; %bb.127:
	v_subrev_nc_u32_e32 v7, 21, v0
	s_movk_i32 s46, 0x3a0
	s_mov_b32 s4, 0
	s_mov_b32 s47, s22
	.p2align	6
.LBB36_128:                             ; =>This Inner Loop Header: Depth=1
	v_mov_b32_e32 v8, s47
	v_add_nc_u32_e32 v7, -1, v7
	s_add_i32 s47, s47, 16
	s_clause 0x3
	buffer_load_dword v12, v8, s[0:3], 0 offen offset:8
	buffer_load_dword v13, v8, s[0:3], 0 offen offset:12
	buffer_load_dword v14, v8, s[0:3], 0 offen
	buffer_load_dword v15, v8, s[0:3], 0 offen offset:4
	v_mov_b32_e32 v8, s46
	v_cmp_eq_u32_e32 vcc_lo, 0, v7
	s_add_i32 s46, s46, 16
	ds_read_b128 v[8:11], v8
	s_or_b32 s4, vcc_lo, s4
	s_waitcnt vmcnt(2) lgkmcnt(0)
	v_mul_f64 v[16:17], v[10:11], v[12:13]
	v_mul_f64 v[12:13], v[8:9], v[12:13]
	s_waitcnt vmcnt(0)
	v_fma_f64 v[8:9], v[8:9], v[14:15], -v[16:17]
	v_fma_f64 v[10:11], v[10:11], v[14:15], v[12:13]
	v_add_f64 v[1:2], v[1:2], v[8:9]
	v_add_f64 v[3:4], v[3:4], v[10:11]
	s_andn2_b32 exec_lo, exec_lo, s4
	s_cbranch_execnz .LBB36_128
; %bb.129:
	s_or_b32 exec_lo, exec_lo, s4
.LBB36_130:
	s_or_b32 exec_lo, exec_lo, s45
	v_mov_b32_e32 v7, 0
	ds_read_b128 v[7:10], v7 offset:320
	s_waitcnt lgkmcnt(0)
	v_mul_f64 v[11:12], v[3:4], v[9:10]
	v_mul_f64 v[9:10], v[1:2], v[9:10]
	v_fma_f64 v[1:2], v[1:2], v[7:8], -v[11:12]
	v_fma_f64 v[3:4], v[3:4], v[7:8], v[9:10]
	buffer_store_dword v2, off, s[0:3], 0 offset:324
	buffer_store_dword v1, off, s[0:3], 0 offset:320
	;; [unrolled: 1-line block ×4, first 2 shown]
.LBB36_131:
	s_or_b32 exec_lo, exec_lo, s8
	v_mov_b32_e32 v4, s24
	v_cmp_lt_u32_e64 s4, 19, v0
	s_clause 0x3
	buffer_load_dword v1, v4, s[0:3], 0 offen
	buffer_load_dword v2, v4, s[0:3], 0 offen offset:4
	buffer_load_dword v3, v4, s[0:3], 0 offen offset:8
	;; [unrolled: 1-line block ×3, first 2 shown]
	s_waitcnt vmcnt(0)
	ds_write_b128 v6, v[1:4]
	s_waitcnt lgkmcnt(0)
	s_waitcnt_vscnt null, 0x0
	s_barrier
	buffer_gl0_inv
	s_and_saveexec_b32 s8, s4
	s_cbranch_execz .LBB36_139
; %bb.132:
	ds_read_b128 v[1:4], v6
	s_andn2_b32 vcc_lo, exec_lo, s44
	s_cbranch_vccnz .LBB36_134
; %bb.133:
	s_clause 0x3
	buffer_load_dword v7, v5, s[0:3], 0 offen offset:8
	buffer_load_dword v8, v5, s[0:3], 0 offen offset:12
	buffer_load_dword v9, v5, s[0:3], 0 offen
	buffer_load_dword v10, v5, s[0:3], 0 offen offset:4
	s_waitcnt vmcnt(2) lgkmcnt(0)
	v_mul_f64 v[11:12], v[3:4], v[7:8]
	v_mul_f64 v[7:8], v[1:2], v[7:8]
	s_waitcnt vmcnt(0)
	v_fma_f64 v[1:2], v[1:2], v[9:10], -v[11:12]
	v_fma_f64 v[3:4], v[3:4], v[9:10], v[7:8]
.LBB36_134:
	s_and_saveexec_b32 s45, s5
	s_cbranch_execz .LBB36_138
; %bb.135:
	v_subrev_nc_u32_e32 v7, 20, v0
	s_movk_i32 s46, 0x390
	s_mov_b32 s5, 0
	s_mov_b32 s47, s23
	.p2align	6
.LBB36_136:                             ; =>This Inner Loop Header: Depth=1
	v_mov_b32_e32 v8, s47
	v_add_nc_u32_e32 v7, -1, v7
	s_add_i32 s47, s47, 16
	s_clause 0x3
	buffer_load_dword v12, v8, s[0:3], 0 offen offset:8
	buffer_load_dword v13, v8, s[0:3], 0 offen offset:12
	buffer_load_dword v14, v8, s[0:3], 0 offen
	buffer_load_dword v15, v8, s[0:3], 0 offen offset:4
	v_mov_b32_e32 v8, s46
	v_cmp_eq_u32_e32 vcc_lo, 0, v7
	s_add_i32 s46, s46, 16
	ds_read_b128 v[8:11], v8
	s_or_b32 s5, vcc_lo, s5
	s_waitcnt vmcnt(2) lgkmcnt(0)
	v_mul_f64 v[16:17], v[10:11], v[12:13]
	v_mul_f64 v[12:13], v[8:9], v[12:13]
	s_waitcnt vmcnt(0)
	v_fma_f64 v[8:9], v[8:9], v[14:15], -v[16:17]
	v_fma_f64 v[10:11], v[10:11], v[14:15], v[12:13]
	v_add_f64 v[1:2], v[1:2], v[8:9]
	v_add_f64 v[3:4], v[3:4], v[10:11]
	s_andn2_b32 exec_lo, exec_lo, s5
	s_cbranch_execnz .LBB36_136
; %bb.137:
	s_or_b32 exec_lo, exec_lo, s5
.LBB36_138:
	s_or_b32 exec_lo, exec_lo, s45
	v_mov_b32_e32 v7, 0
	ds_read_b128 v[7:10], v7 offset:304
	s_waitcnt lgkmcnt(0)
	v_mul_f64 v[11:12], v[3:4], v[9:10]
	v_mul_f64 v[9:10], v[1:2], v[9:10]
	v_fma_f64 v[1:2], v[1:2], v[7:8], -v[11:12]
	v_fma_f64 v[3:4], v[3:4], v[7:8], v[9:10]
	buffer_store_dword v2, off, s[0:3], 0 offset:308
	buffer_store_dword v1, off, s[0:3], 0 offset:304
	;; [unrolled: 1-line block ×4, first 2 shown]
.LBB36_139:
	s_or_b32 exec_lo, exec_lo, s8
	v_mov_b32_e32 v4, s25
	v_cmp_lt_u32_e64 s5, 18, v0
	s_clause 0x3
	buffer_load_dword v1, v4, s[0:3], 0 offen
	buffer_load_dword v2, v4, s[0:3], 0 offen offset:4
	buffer_load_dword v3, v4, s[0:3], 0 offen offset:8
	;; [unrolled: 1-line block ×3, first 2 shown]
	s_waitcnt vmcnt(0)
	ds_write_b128 v6, v[1:4]
	s_waitcnt lgkmcnt(0)
	s_waitcnt_vscnt null, 0x0
	s_barrier
	buffer_gl0_inv
	s_and_saveexec_b32 s8, s5
	s_cbranch_execz .LBB36_147
; %bb.140:
	ds_read_b128 v[1:4], v6
	s_andn2_b32 vcc_lo, exec_lo, s44
	s_cbranch_vccnz .LBB36_142
; %bb.141:
	s_clause 0x3
	buffer_load_dword v7, v5, s[0:3], 0 offen offset:8
	buffer_load_dword v8, v5, s[0:3], 0 offen offset:12
	buffer_load_dword v9, v5, s[0:3], 0 offen
	buffer_load_dword v10, v5, s[0:3], 0 offen offset:4
	s_waitcnt vmcnt(2) lgkmcnt(0)
	v_mul_f64 v[11:12], v[3:4], v[7:8]
	v_mul_f64 v[7:8], v[1:2], v[7:8]
	s_waitcnt vmcnt(0)
	v_fma_f64 v[1:2], v[1:2], v[9:10], -v[11:12]
	v_fma_f64 v[3:4], v[3:4], v[9:10], v[7:8]
.LBB36_142:
	s_and_saveexec_b32 s45, s4
	s_cbranch_execz .LBB36_146
; %bb.143:
	v_subrev_nc_u32_e32 v7, 19, v0
	s_movk_i32 s46, 0x380
	s_mov_b32 s4, 0
	s_mov_b32 s47, s24
	.p2align	6
.LBB36_144:                             ; =>This Inner Loop Header: Depth=1
	v_mov_b32_e32 v8, s47
	v_add_nc_u32_e32 v7, -1, v7
	s_add_i32 s47, s47, 16
	s_clause 0x3
	buffer_load_dword v12, v8, s[0:3], 0 offen offset:8
	buffer_load_dword v13, v8, s[0:3], 0 offen offset:12
	buffer_load_dword v14, v8, s[0:3], 0 offen
	buffer_load_dword v15, v8, s[0:3], 0 offen offset:4
	v_mov_b32_e32 v8, s46
	v_cmp_eq_u32_e32 vcc_lo, 0, v7
	s_add_i32 s46, s46, 16
	ds_read_b128 v[8:11], v8
	s_or_b32 s4, vcc_lo, s4
	s_waitcnt vmcnt(2) lgkmcnt(0)
	v_mul_f64 v[16:17], v[10:11], v[12:13]
	v_mul_f64 v[12:13], v[8:9], v[12:13]
	s_waitcnt vmcnt(0)
	v_fma_f64 v[8:9], v[8:9], v[14:15], -v[16:17]
	v_fma_f64 v[10:11], v[10:11], v[14:15], v[12:13]
	v_add_f64 v[1:2], v[1:2], v[8:9]
	v_add_f64 v[3:4], v[3:4], v[10:11]
	s_andn2_b32 exec_lo, exec_lo, s4
	s_cbranch_execnz .LBB36_144
; %bb.145:
	s_or_b32 exec_lo, exec_lo, s4
.LBB36_146:
	s_or_b32 exec_lo, exec_lo, s45
	v_mov_b32_e32 v7, 0
	ds_read_b128 v[7:10], v7 offset:288
	s_waitcnt lgkmcnt(0)
	v_mul_f64 v[11:12], v[3:4], v[9:10]
	v_mul_f64 v[9:10], v[1:2], v[9:10]
	v_fma_f64 v[1:2], v[1:2], v[7:8], -v[11:12]
	v_fma_f64 v[3:4], v[3:4], v[7:8], v[9:10]
	buffer_store_dword v2, off, s[0:3], 0 offset:292
	buffer_store_dword v1, off, s[0:3], 0 offset:288
	;; [unrolled: 1-line block ×4, first 2 shown]
.LBB36_147:
	s_or_b32 exec_lo, exec_lo, s8
	v_mov_b32_e32 v4, s26
	v_cmp_lt_u32_e64 s4, 17, v0
	s_clause 0x3
	buffer_load_dword v1, v4, s[0:3], 0 offen
	buffer_load_dword v2, v4, s[0:3], 0 offen offset:4
	buffer_load_dword v3, v4, s[0:3], 0 offen offset:8
	buffer_load_dword v4, v4, s[0:3], 0 offen offset:12
	s_waitcnt vmcnt(0)
	ds_write_b128 v6, v[1:4]
	s_waitcnt lgkmcnt(0)
	s_waitcnt_vscnt null, 0x0
	s_barrier
	buffer_gl0_inv
	s_and_saveexec_b32 s8, s4
	s_cbranch_execz .LBB36_155
; %bb.148:
	ds_read_b128 v[1:4], v6
	s_andn2_b32 vcc_lo, exec_lo, s44
	s_cbranch_vccnz .LBB36_150
; %bb.149:
	s_clause 0x3
	buffer_load_dword v7, v5, s[0:3], 0 offen offset:8
	buffer_load_dword v8, v5, s[0:3], 0 offen offset:12
	buffer_load_dword v9, v5, s[0:3], 0 offen
	buffer_load_dword v10, v5, s[0:3], 0 offen offset:4
	s_waitcnt vmcnt(2) lgkmcnt(0)
	v_mul_f64 v[11:12], v[3:4], v[7:8]
	v_mul_f64 v[7:8], v[1:2], v[7:8]
	s_waitcnt vmcnt(0)
	v_fma_f64 v[1:2], v[1:2], v[9:10], -v[11:12]
	v_fma_f64 v[3:4], v[3:4], v[9:10], v[7:8]
.LBB36_150:
	s_and_saveexec_b32 s45, s5
	s_cbranch_execz .LBB36_154
; %bb.151:
	v_subrev_nc_u32_e32 v7, 18, v0
	s_movk_i32 s46, 0x370
	s_mov_b32 s5, 0
	s_mov_b32 s47, s25
	.p2align	6
.LBB36_152:                             ; =>This Inner Loop Header: Depth=1
	v_mov_b32_e32 v8, s47
	v_add_nc_u32_e32 v7, -1, v7
	s_add_i32 s47, s47, 16
	s_clause 0x3
	buffer_load_dword v12, v8, s[0:3], 0 offen offset:8
	buffer_load_dword v13, v8, s[0:3], 0 offen offset:12
	buffer_load_dword v14, v8, s[0:3], 0 offen
	buffer_load_dword v15, v8, s[0:3], 0 offen offset:4
	v_mov_b32_e32 v8, s46
	v_cmp_eq_u32_e32 vcc_lo, 0, v7
	s_add_i32 s46, s46, 16
	ds_read_b128 v[8:11], v8
	s_or_b32 s5, vcc_lo, s5
	s_waitcnt vmcnt(2) lgkmcnt(0)
	v_mul_f64 v[16:17], v[10:11], v[12:13]
	v_mul_f64 v[12:13], v[8:9], v[12:13]
	s_waitcnt vmcnt(0)
	v_fma_f64 v[8:9], v[8:9], v[14:15], -v[16:17]
	v_fma_f64 v[10:11], v[10:11], v[14:15], v[12:13]
	v_add_f64 v[1:2], v[1:2], v[8:9]
	v_add_f64 v[3:4], v[3:4], v[10:11]
	s_andn2_b32 exec_lo, exec_lo, s5
	s_cbranch_execnz .LBB36_152
; %bb.153:
	s_or_b32 exec_lo, exec_lo, s5
.LBB36_154:
	s_or_b32 exec_lo, exec_lo, s45
	v_mov_b32_e32 v7, 0
	ds_read_b128 v[7:10], v7 offset:272
	s_waitcnt lgkmcnt(0)
	v_mul_f64 v[11:12], v[3:4], v[9:10]
	v_mul_f64 v[9:10], v[1:2], v[9:10]
	v_fma_f64 v[1:2], v[1:2], v[7:8], -v[11:12]
	v_fma_f64 v[3:4], v[3:4], v[7:8], v[9:10]
	buffer_store_dword v2, off, s[0:3], 0 offset:276
	buffer_store_dword v1, off, s[0:3], 0 offset:272
	;; [unrolled: 1-line block ×4, first 2 shown]
.LBB36_155:
	s_or_b32 exec_lo, exec_lo, s8
	v_mov_b32_e32 v4, s27
	v_cmp_lt_u32_e64 s5, 16, v0
	s_clause 0x3
	buffer_load_dword v1, v4, s[0:3], 0 offen
	buffer_load_dword v2, v4, s[0:3], 0 offen offset:4
	buffer_load_dword v3, v4, s[0:3], 0 offen offset:8
	;; [unrolled: 1-line block ×3, first 2 shown]
	s_waitcnt vmcnt(0)
	ds_write_b128 v6, v[1:4]
	s_waitcnt lgkmcnt(0)
	s_waitcnt_vscnt null, 0x0
	s_barrier
	buffer_gl0_inv
	s_and_saveexec_b32 s8, s5
	s_cbranch_execz .LBB36_163
; %bb.156:
	ds_read_b128 v[1:4], v6
	s_andn2_b32 vcc_lo, exec_lo, s44
	s_cbranch_vccnz .LBB36_158
; %bb.157:
	s_clause 0x3
	buffer_load_dword v7, v5, s[0:3], 0 offen offset:8
	buffer_load_dword v8, v5, s[0:3], 0 offen offset:12
	buffer_load_dword v9, v5, s[0:3], 0 offen
	buffer_load_dword v10, v5, s[0:3], 0 offen offset:4
	s_waitcnt vmcnt(2) lgkmcnt(0)
	v_mul_f64 v[11:12], v[3:4], v[7:8]
	v_mul_f64 v[7:8], v[1:2], v[7:8]
	s_waitcnt vmcnt(0)
	v_fma_f64 v[1:2], v[1:2], v[9:10], -v[11:12]
	v_fma_f64 v[3:4], v[3:4], v[9:10], v[7:8]
.LBB36_158:
	s_and_saveexec_b32 s45, s4
	s_cbranch_execz .LBB36_162
; %bb.159:
	v_subrev_nc_u32_e32 v7, 17, v0
	s_movk_i32 s46, 0x360
	s_mov_b32 s4, 0
	s_mov_b32 s47, s26
	.p2align	6
.LBB36_160:                             ; =>This Inner Loop Header: Depth=1
	v_mov_b32_e32 v8, s47
	v_add_nc_u32_e32 v7, -1, v7
	s_add_i32 s47, s47, 16
	s_clause 0x3
	buffer_load_dword v12, v8, s[0:3], 0 offen offset:8
	buffer_load_dword v13, v8, s[0:3], 0 offen offset:12
	buffer_load_dword v14, v8, s[0:3], 0 offen
	buffer_load_dword v15, v8, s[0:3], 0 offen offset:4
	v_mov_b32_e32 v8, s46
	v_cmp_eq_u32_e32 vcc_lo, 0, v7
	s_add_i32 s46, s46, 16
	ds_read_b128 v[8:11], v8
	s_or_b32 s4, vcc_lo, s4
	s_waitcnt vmcnt(2) lgkmcnt(0)
	v_mul_f64 v[16:17], v[10:11], v[12:13]
	v_mul_f64 v[12:13], v[8:9], v[12:13]
	s_waitcnt vmcnt(0)
	v_fma_f64 v[8:9], v[8:9], v[14:15], -v[16:17]
	v_fma_f64 v[10:11], v[10:11], v[14:15], v[12:13]
	v_add_f64 v[1:2], v[1:2], v[8:9]
	v_add_f64 v[3:4], v[3:4], v[10:11]
	s_andn2_b32 exec_lo, exec_lo, s4
	s_cbranch_execnz .LBB36_160
; %bb.161:
	s_or_b32 exec_lo, exec_lo, s4
.LBB36_162:
	s_or_b32 exec_lo, exec_lo, s45
	v_mov_b32_e32 v7, 0
	ds_read_b128 v[7:10], v7 offset:256
	s_waitcnt lgkmcnt(0)
	v_mul_f64 v[11:12], v[3:4], v[9:10]
	v_mul_f64 v[9:10], v[1:2], v[9:10]
	v_fma_f64 v[1:2], v[1:2], v[7:8], -v[11:12]
	v_fma_f64 v[3:4], v[3:4], v[7:8], v[9:10]
	buffer_store_dword v2, off, s[0:3], 0 offset:260
	buffer_store_dword v1, off, s[0:3], 0 offset:256
	;; [unrolled: 1-line block ×4, first 2 shown]
.LBB36_163:
	s_or_b32 exec_lo, exec_lo, s8
	v_mov_b32_e32 v4, s28
	v_cmp_lt_u32_e64 s4, 15, v0
	s_clause 0x3
	buffer_load_dword v1, v4, s[0:3], 0 offen
	buffer_load_dword v2, v4, s[0:3], 0 offen offset:4
	buffer_load_dword v3, v4, s[0:3], 0 offen offset:8
	;; [unrolled: 1-line block ×3, first 2 shown]
	s_waitcnt vmcnt(0)
	ds_write_b128 v6, v[1:4]
	s_waitcnt lgkmcnt(0)
	s_waitcnt_vscnt null, 0x0
	s_barrier
	buffer_gl0_inv
	s_and_saveexec_b32 s8, s4
	s_cbranch_execz .LBB36_171
; %bb.164:
	ds_read_b128 v[1:4], v6
	s_andn2_b32 vcc_lo, exec_lo, s44
	s_cbranch_vccnz .LBB36_166
; %bb.165:
	s_clause 0x3
	buffer_load_dword v7, v5, s[0:3], 0 offen offset:8
	buffer_load_dword v8, v5, s[0:3], 0 offen offset:12
	buffer_load_dword v9, v5, s[0:3], 0 offen
	buffer_load_dword v10, v5, s[0:3], 0 offen offset:4
	s_waitcnt vmcnt(2) lgkmcnt(0)
	v_mul_f64 v[11:12], v[3:4], v[7:8]
	v_mul_f64 v[7:8], v[1:2], v[7:8]
	s_waitcnt vmcnt(0)
	v_fma_f64 v[1:2], v[1:2], v[9:10], -v[11:12]
	v_fma_f64 v[3:4], v[3:4], v[9:10], v[7:8]
.LBB36_166:
	s_and_saveexec_b32 s45, s5
	s_cbranch_execz .LBB36_170
; %bb.167:
	v_add_nc_u32_e32 v7, -16, v0
	s_movk_i32 s46, 0x350
	s_mov_b32 s5, 0
	s_mov_b32 s47, s27
	.p2align	6
.LBB36_168:                             ; =>This Inner Loop Header: Depth=1
	v_mov_b32_e32 v8, s47
	v_add_nc_u32_e32 v7, -1, v7
	s_add_i32 s47, s47, 16
	s_clause 0x3
	buffer_load_dword v12, v8, s[0:3], 0 offen offset:8
	buffer_load_dword v13, v8, s[0:3], 0 offen offset:12
	buffer_load_dword v14, v8, s[0:3], 0 offen
	buffer_load_dword v15, v8, s[0:3], 0 offen offset:4
	v_mov_b32_e32 v8, s46
	v_cmp_eq_u32_e32 vcc_lo, 0, v7
	s_add_i32 s46, s46, 16
	ds_read_b128 v[8:11], v8
	s_or_b32 s5, vcc_lo, s5
	s_waitcnt vmcnt(2) lgkmcnt(0)
	v_mul_f64 v[16:17], v[10:11], v[12:13]
	v_mul_f64 v[12:13], v[8:9], v[12:13]
	s_waitcnt vmcnt(0)
	v_fma_f64 v[8:9], v[8:9], v[14:15], -v[16:17]
	v_fma_f64 v[10:11], v[10:11], v[14:15], v[12:13]
	v_add_f64 v[1:2], v[1:2], v[8:9]
	v_add_f64 v[3:4], v[3:4], v[10:11]
	s_andn2_b32 exec_lo, exec_lo, s5
	s_cbranch_execnz .LBB36_168
; %bb.169:
	s_or_b32 exec_lo, exec_lo, s5
.LBB36_170:
	s_or_b32 exec_lo, exec_lo, s45
	v_mov_b32_e32 v7, 0
	ds_read_b128 v[7:10], v7 offset:240
	s_waitcnt lgkmcnt(0)
	v_mul_f64 v[11:12], v[3:4], v[9:10]
	v_mul_f64 v[9:10], v[1:2], v[9:10]
	v_fma_f64 v[1:2], v[1:2], v[7:8], -v[11:12]
	v_fma_f64 v[3:4], v[3:4], v[7:8], v[9:10]
	buffer_store_dword v2, off, s[0:3], 0 offset:244
	buffer_store_dword v1, off, s[0:3], 0 offset:240
	;; [unrolled: 1-line block ×4, first 2 shown]
.LBB36_171:
	s_or_b32 exec_lo, exec_lo, s8
	v_mov_b32_e32 v4, s29
	v_cmp_lt_u32_e64 s5, 14, v0
	s_clause 0x3
	buffer_load_dword v1, v4, s[0:3], 0 offen
	buffer_load_dword v2, v4, s[0:3], 0 offen offset:4
	buffer_load_dword v3, v4, s[0:3], 0 offen offset:8
	;; [unrolled: 1-line block ×3, first 2 shown]
	s_waitcnt vmcnt(0)
	ds_write_b128 v6, v[1:4]
	s_waitcnt lgkmcnt(0)
	s_waitcnt_vscnt null, 0x0
	s_barrier
	buffer_gl0_inv
	s_and_saveexec_b32 s8, s5
	s_cbranch_execz .LBB36_179
; %bb.172:
	ds_read_b128 v[1:4], v6
	s_andn2_b32 vcc_lo, exec_lo, s44
	s_cbranch_vccnz .LBB36_174
; %bb.173:
	s_clause 0x3
	buffer_load_dword v7, v5, s[0:3], 0 offen offset:8
	buffer_load_dword v8, v5, s[0:3], 0 offen offset:12
	buffer_load_dword v9, v5, s[0:3], 0 offen
	buffer_load_dword v10, v5, s[0:3], 0 offen offset:4
	s_waitcnt vmcnt(2) lgkmcnt(0)
	v_mul_f64 v[11:12], v[3:4], v[7:8]
	v_mul_f64 v[7:8], v[1:2], v[7:8]
	s_waitcnt vmcnt(0)
	v_fma_f64 v[1:2], v[1:2], v[9:10], -v[11:12]
	v_fma_f64 v[3:4], v[3:4], v[9:10], v[7:8]
.LBB36_174:
	s_and_saveexec_b32 s45, s4
	s_cbranch_execz .LBB36_178
; %bb.175:
	v_add_nc_u32_e32 v7, -15, v0
	s_movk_i32 s46, 0x340
	s_mov_b32 s4, 0
	s_mov_b32 s47, s28
	.p2align	6
.LBB36_176:                             ; =>This Inner Loop Header: Depth=1
	v_mov_b32_e32 v8, s47
	v_add_nc_u32_e32 v7, -1, v7
	s_add_i32 s47, s47, 16
	s_clause 0x3
	buffer_load_dword v12, v8, s[0:3], 0 offen offset:8
	buffer_load_dword v13, v8, s[0:3], 0 offen offset:12
	buffer_load_dword v14, v8, s[0:3], 0 offen
	buffer_load_dword v15, v8, s[0:3], 0 offen offset:4
	v_mov_b32_e32 v8, s46
	v_cmp_eq_u32_e32 vcc_lo, 0, v7
	s_add_i32 s46, s46, 16
	ds_read_b128 v[8:11], v8
	s_or_b32 s4, vcc_lo, s4
	s_waitcnt vmcnt(2) lgkmcnt(0)
	v_mul_f64 v[16:17], v[10:11], v[12:13]
	v_mul_f64 v[12:13], v[8:9], v[12:13]
	s_waitcnt vmcnt(0)
	v_fma_f64 v[8:9], v[8:9], v[14:15], -v[16:17]
	v_fma_f64 v[10:11], v[10:11], v[14:15], v[12:13]
	v_add_f64 v[1:2], v[1:2], v[8:9]
	v_add_f64 v[3:4], v[3:4], v[10:11]
	s_andn2_b32 exec_lo, exec_lo, s4
	s_cbranch_execnz .LBB36_176
; %bb.177:
	s_or_b32 exec_lo, exec_lo, s4
.LBB36_178:
	s_or_b32 exec_lo, exec_lo, s45
	v_mov_b32_e32 v7, 0
	ds_read_b128 v[7:10], v7 offset:224
	s_waitcnt lgkmcnt(0)
	v_mul_f64 v[11:12], v[3:4], v[9:10]
	v_mul_f64 v[9:10], v[1:2], v[9:10]
	v_fma_f64 v[1:2], v[1:2], v[7:8], -v[11:12]
	v_fma_f64 v[3:4], v[3:4], v[7:8], v[9:10]
	buffer_store_dword v2, off, s[0:3], 0 offset:228
	buffer_store_dword v1, off, s[0:3], 0 offset:224
	;; [unrolled: 1-line block ×4, first 2 shown]
.LBB36_179:
	s_or_b32 exec_lo, exec_lo, s8
	v_mov_b32_e32 v4, s30
	v_cmp_lt_u32_e64 s4, 13, v0
	s_clause 0x3
	buffer_load_dword v1, v4, s[0:3], 0 offen
	buffer_load_dword v2, v4, s[0:3], 0 offen offset:4
	buffer_load_dword v3, v4, s[0:3], 0 offen offset:8
	;; [unrolled: 1-line block ×3, first 2 shown]
	s_waitcnt vmcnt(0)
	ds_write_b128 v6, v[1:4]
	s_waitcnt lgkmcnt(0)
	s_waitcnt_vscnt null, 0x0
	s_barrier
	buffer_gl0_inv
	s_and_saveexec_b32 s8, s4
	s_cbranch_execz .LBB36_187
; %bb.180:
	ds_read_b128 v[1:4], v6
	s_andn2_b32 vcc_lo, exec_lo, s44
	s_cbranch_vccnz .LBB36_182
; %bb.181:
	s_clause 0x3
	buffer_load_dword v7, v5, s[0:3], 0 offen offset:8
	buffer_load_dword v8, v5, s[0:3], 0 offen offset:12
	buffer_load_dword v9, v5, s[0:3], 0 offen
	buffer_load_dword v10, v5, s[0:3], 0 offen offset:4
	s_waitcnt vmcnt(2) lgkmcnt(0)
	v_mul_f64 v[11:12], v[3:4], v[7:8]
	v_mul_f64 v[7:8], v[1:2], v[7:8]
	s_waitcnt vmcnt(0)
	v_fma_f64 v[1:2], v[1:2], v[9:10], -v[11:12]
	v_fma_f64 v[3:4], v[3:4], v[9:10], v[7:8]
.LBB36_182:
	s_and_saveexec_b32 s45, s5
	s_cbranch_execz .LBB36_186
; %bb.183:
	v_add_nc_u32_e32 v7, -14, v0
	s_movk_i32 s46, 0x330
	s_mov_b32 s5, 0
	s_mov_b32 s47, s29
	.p2align	6
.LBB36_184:                             ; =>This Inner Loop Header: Depth=1
	v_mov_b32_e32 v8, s47
	v_add_nc_u32_e32 v7, -1, v7
	s_add_i32 s47, s47, 16
	s_clause 0x3
	buffer_load_dword v12, v8, s[0:3], 0 offen offset:8
	buffer_load_dword v13, v8, s[0:3], 0 offen offset:12
	buffer_load_dword v14, v8, s[0:3], 0 offen
	buffer_load_dword v15, v8, s[0:3], 0 offen offset:4
	v_mov_b32_e32 v8, s46
	v_cmp_eq_u32_e32 vcc_lo, 0, v7
	s_add_i32 s46, s46, 16
	ds_read_b128 v[8:11], v8
	s_or_b32 s5, vcc_lo, s5
	s_waitcnt vmcnt(2) lgkmcnt(0)
	v_mul_f64 v[16:17], v[10:11], v[12:13]
	v_mul_f64 v[12:13], v[8:9], v[12:13]
	s_waitcnt vmcnt(0)
	v_fma_f64 v[8:9], v[8:9], v[14:15], -v[16:17]
	v_fma_f64 v[10:11], v[10:11], v[14:15], v[12:13]
	v_add_f64 v[1:2], v[1:2], v[8:9]
	v_add_f64 v[3:4], v[3:4], v[10:11]
	s_andn2_b32 exec_lo, exec_lo, s5
	s_cbranch_execnz .LBB36_184
; %bb.185:
	s_or_b32 exec_lo, exec_lo, s5
.LBB36_186:
	s_or_b32 exec_lo, exec_lo, s45
	v_mov_b32_e32 v7, 0
	ds_read_b128 v[7:10], v7 offset:208
	s_waitcnt lgkmcnt(0)
	v_mul_f64 v[11:12], v[3:4], v[9:10]
	v_mul_f64 v[9:10], v[1:2], v[9:10]
	v_fma_f64 v[1:2], v[1:2], v[7:8], -v[11:12]
	v_fma_f64 v[3:4], v[3:4], v[7:8], v[9:10]
	buffer_store_dword v2, off, s[0:3], 0 offset:212
	buffer_store_dword v1, off, s[0:3], 0 offset:208
	;; [unrolled: 1-line block ×4, first 2 shown]
.LBB36_187:
	s_or_b32 exec_lo, exec_lo, s8
	v_mov_b32_e32 v4, s31
	v_cmp_lt_u32_e64 s5, 12, v0
	s_clause 0x3
	buffer_load_dword v1, v4, s[0:3], 0 offen
	buffer_load_dword v2, v4, s[0:3], 0 offen offset:4
	buffer_load_dword v3, v4, s[0:3], 0 offen offset:8
	;; [unrolled: 1-line block ×3, first 2 shown]
	s_waitcnt vmcnt(0)
	ds_write_b128 v6, v[1:4]
	s_waitcnt lgkmcnt(0)
	s_waitcnt_vscnt null, 0x0
	s_barrier
	buffer_gl0_inv
	s_and_saveexec_b32 s8, s5
	s_cbranch_execz .LBB36_195
; %bb.188:
	ds_read_b128 v[1:4], v6
	s_andn2_b32 vcc_lo, exec_lo, s44
	s_cbranch_vccnz .LBB36_190
; %bb.189:
	s_clause 0x3
	buffer_load_dword v7, v5, s[0:3], 0 offen offset:8
	buffer_load_dword v8, v5, s[0:3], 0 offen offset:12
	buffer_load_dword v9, v5, s[0:3], 0 offen
	buffer_load_dword v10, v5, s[0:3], 0 offen offset:4
	s_waitcnt vmcnt(2) lgkmcnt(0)
	v_mul_f64 v[11:12], v[3:4], v[7:8]
	v_mul_f64 v[7:8], v[1:2], v[7:8]
	s_waitcnt vmcnt(0)
	v_fma_f64 v[1:2], v[1:2], v[9:10], -v[11:12]
	v_fma_f64 v[3:4], v[3:4], v[9:10], v[7:8]
.LBB36_190:
	s_and_saveexec_b32 s45, s4
	s_cbranch_execz .LBB36_194
; %bb.191:
	v_add_nc_u32_e32 v7, -13, v0
	s_movk_i32 s46, 0x320
	s_mov_b32 s4, 0
	s_mov_b32 s47, s30
	.p2align	6
.LBB36_192:                             ; =>This Inner Loop Header: Depth=1
	v_mov_b32_e32 v8, s47
	v_add_nc_u32_e32 v7, -1, v7
	s_add_i32 s47, s47, 16
	s_clause 0x3
	buffer_load_dword v12, v8, s[0:3], 0 offen offset:8
	buffer_load_dword v13, v8, s[0:3], 0 offen offset:12
	buffer_load_dword v14, v8, s[0:3], 0 offen
	buffer_load_dword v15, v8, s[0:3], 0 offen offset:4
	v_mov_b32_e32 v8, s46
	v_cmp_eq_u32_e32 vcc_lo, 0, v7
	s_add_i32 s46, s46, 16
	ds_read_b128 v[8:11], v8
	s_or_b32 s4, vcc_lo, s4
	s_waitcnt vmcnt(2) lgkmcnt(0)
	v_mul_f64 v[16:17], v[10:11], v[12:13]
	v_mul_f64 v[12:13], v[8:9], v[12:13]
	s_waitcnt vmcnt(0)
	v_fma_f64 v[8:9], v[8:9], v[14:15], -v[16:17]
	v_fma_f64 v[10:11], v[10:11], v[14:15], v[12:13]
	v_add_f64 v[1:2], v[1:2], v[8:9]
	v_add_f64 v[3:4], v[3:4], v[10:11]
	s_andn2_b32 exec_lo, exec_lo, s4
	s_cbranch_execnz .LBB36_192
; %bb.193:
	s_or_b32 exec_lo, exec_lo, s4
.LBB36_194:
	s_or_b32 exec_lo, exec_lo, s45
	v_mov_b32_e32 v7, 0
	ds_read_b128 v[7:10], v7 offset:192
	s_waitcnt lgkmcnt(0)
	v_mul_f64 v[11:12], v[3:4], v[9:10]
	v_mul_f64 v[9:10], v[1:2], v[9:10]
	v_fma_f64 v[1:2], v[1:2], v[7:8], -v[11:12]
	v_fma_f64 v[3:4], v[3:4], v[7:8], v[9:10]
	buffer_store_dword v2, off, s[0:3], 0 offset:196
	buffer_store_dword v1, off, s[0:3], 0 offset:192
	;; [unrolled: 1-line block ×4, first 2 shown]
.LBB36_195:
	s_or_b32 exec_lo, exec_lo, s8
	v_mov_b32_e32 v4, s33
	v_cmp_lt_u32_e64 s4, 11, v0
	s_clause 0x3
	buffer_load_dword v1, v4, s[0:3], 0 offen
	buffer_load_dword v2, v4, s[0:3], 0 offen offset:4
	buffer_load_dword v3, v4, s[0:3], 0 offen offset:8
	;; [unrolled: 1-line block ×3, first 2 shown]
	s_waitcnt vmcnt(0)
	ds_write_b128 v6, v[1:4]
	s_waitcnt lgkmcnt(0)
	s_waitcnt_vscnt null, 0x0
	s_barrier
	buffer_gl0_inv
	s_and_saveexec_b32 s8, s4
	s_cbranch_execz .LBB36_203
; %bb.196:
	ds_read_b128 v[1:4], v6
	s_andn2_b32 vcc_lo, exec_lo, s44
	s_cbranch_vccnz .LBB36_198
; %bb.197:
	s_clause 0x3
	buffer_load_dword v7, v5, s[0:3], 0 offen offset:8
	buffer_load_dword v8, v5, s[0:3], 0 offen offset:12
	buffer_load_dword v9, v5, s[0:3], 0 offen
	buffer_load_dword v10, v5, s[0:3], 0 offen offset:4
	s_waitcnt vmcnt(2) lgkmcnt(0)
	v_mul_f64 v[11:12], v[3:4], v[7:8]
	v_mul_f64 v[7:8], v[1:2], v[7:8]
	s_waitcnt vmcnt(0)
	v_fma_f64 v[1:2], v[1:2], v[9:10], -v[11:12]
	v_fma_f64 v[3:4], v[3:4], v[9:10], v[7:8]
.LBB36_198:
	s_and_saveexec_b32 s45, s5
	s_cbranch_execz .LBB36_202
; %bb.199:
	v_add_nc_u32_e32 v7, -12, v0
	s_movk_i32 s46, 0x310
	s_mov_b32 s5, 0
	s_mov_b32 s47, s31
	.p2align	6
.LBB36_200:                             ; =>This Inner Loop Header: Depth=1
	v_mov_b32_e32 v8, s47
	v_add_nc_u32_e32 v7, -1, v7
	s_add_i32 s47, s47, 16
	s_clause 0x3
	buffer_load_dword v12, v8, s[0:3], 0 offen offset:8
	buffer_load_dword v13, v8, s[0:3], 0 offen offset:12
	buffer_load_dword v14, v8, s[0:3], 0 offen
	buffer_load_dword v15, v8, s[0:3], 0 offen offset:4
	v_mov_b32_e32 v8, s46
	v_cmp_eq_u32_e32 vcc_lo, 0, v7
	s_add_i32 s46, s46, 16
	ds_read_b128 v[8:11], v8
	s_or_b32 s5, vcc_lo, s5
	s_waitcnt vmcnt(2) lgkmcnt(0)
	v_mul_f64 v[16:17], v[10:11], v[12:13]
	v_mul_f64 v[12:13], v[8:9], v[12:13]
	s_waitcnt vmcnt(0)
	v_fma_f64 v[8:9], v[8:9], v[14:15], -v[16:17]
	v_fma_f64 v[10:11], v[10:11], v[14:15], v[12:13]
	v_add_f64 v[1:2], v[1:2], v[8:9]
	v_add_f64 v[3:4], v[3:4], v[10:11]
	s_andn2_b32 exec_lo, exec_lo, s5
	s_cbranch_execnz .LBB36_200
; %bb.201:
	s_or_b32 exec_lo, exec_lo, s5
.LBB36_202:
	s_or_b32 exec_lo, exec_lo, s45
	v_mov_b32_e32 v7, 0
	ds_read_b128 v[7:10], v7 offset:176
	s_waitcnt lgkmcnt(0)
	v_mul_f64 v[11:12], v[3:4], v[9:10]
	v_mul_f64 v[9:10], v[1:2], v[9:10]
	v_fma_f64 v[1:2], v[1:2], v[7:8], -v[11:12]
	v_fma_f64 v[3:4], v[3:4], v[7:8], v[9:10]
	buffer_store_dword v2, off, s[0:3], 0 offset:180
	buffer_store_dword v1, off, s[0:3], 0 offset:176
	buffer_store_dword v4, off, s[0:3], 0 offset:188
	buffer_store_dword v3, off, s[0:3], 0 offset:184
.LBB36_203:
	s_or_b32 exec_lo, exec_lo, s8
	v_mov_b32_e32 v4, s34
	v_cmp_lt_u32_e64 s5, 10, v0
	s_clause 0x3
	buffer_load_dword v1, v4, s[0:3], 0 offen
	buffer_load_dword v2, v4, s[0:3], 0 offen offset:4
	buffer_load_dword v3, v4, s[0:3], 0 offen offset:8
	buffer_load_dword v4, v4, s[0:3], 0 offen offset:12
	s_waitcnt vmcnt(0)
	ds_write_b128 v6, v[1:4]
	s_waitcnt lgkmcnt(0)
	s_waitcnt_vscnt null, 0x0
	s_barrier
	buffer_gl0_inv
	s_and_saveexec_b32 s8, s5
	s_cbranch_execz .LBB36_211
; %bb.204:
	ds_read_b128 v[1:4], v6
	s_andn2_b32 vcc_lo, exec_lo, s44
	s_cbranch_vccnz .LBB36_206
; %bb.205:
	s_clause 0x3
	buffer_load_dword v7, v5, s[0:3], 0 offen offset:8
	buffer_load_dword v8, v5, s[0:3], 0 offen offset:12
	buffer_load_dword v9, v5, s[0:3], 0 offen
	buffer_load_dword v10, v5, s[0:3], 0 offen offset:4
	s_waitcnt vmcnt(2) lgkmcnt(0)
	v_mul_f64 v[11:12], v[3:4], v[7:8]
	v_mul_f64 v[7:8], v[1:2], v[7:8]
	s_waitcnt vmcnt(0)
	v_fma_f64 v[1:2], v[1:2], v[9:10], -v[11:12]
	v_fma_f64 v[3:4], v[3:4], v[9:10], v[7:8]
.LBB36_206:
	s_and_saveexec_b32 s45, s4
	s_cbranch_execz .LBB36_210
; %bb.207:
	v_add_nc_u32_e32 v7, -11, v0
	s_movk_i32 s46, 0x300
	s_mov_b32 s4, 0
	s_mov_b32 s47, s33
	.p2align	6
.LBB36_208:                             ; =>This Inner Loop Header: Depth=1
	v_mov_b32_e32 v8, s47
	v_add_nc_u32_e32 v7, -1, v7
	s_add_i32 s47, s47, 16
	s_clause 0x3
	buffer_load_dword v12, v8, s[0:3], 0 offen offset:8
	buffer_load_dword v13, v8, s[0:3], 0 offen offset:12
	buffer_load_dword v14, v8, s[0:3], 0 offen
	buffer_load_dword v15, v8, s[0:3], 0 offen offset:4
	v_mov_b32_e32 v8, s46
	v_cmp_eq_u32_e32 vcc_lo, 0, v7
	s_add_i32 s46, s46, 16
	ds_read_b128 v[8:11], v8
	s_or_b32 s4, vcc_lo, s4
	s_waitcnt vmcnt(2) lgkmcnt(0)
	v_mul_f64 v[16:17], v[10:11], v[12:13]
	v_mul_f64 v[12:13], v[8:9], v[12:13]
	s_waitcnt vmcnt(0)
	v_fma_f64 v[8:9], v[8:9], v[14:15], -v[16:17]
	v_fma_f64 v[10:11], v[10:11], v[14:15], v[12:13]
	v_add_f64 v[1:2], v[1:2], v[8:9]
	v_add_f64 v[3:4], v[3:4], v[10:11]
	s_andn2_b32 exec_lo, exec_lo, s4
	s_cbranch_execnz .LBB36_208
; %bb.209:
	s_or_b32 exec_lo, exec_lo, s4
.LBB36_210:
	s_or_b32 exec_lo, exec_lo, s45
	v_mov_b32_e32 v7, 0
	ds_read_b128 v[7:10], v7 offset:160
	s_waitcnt lgkmcnt(0)
	v_mul_f64 v[11:12], v[3:4], v[9:10]
	v_mul_f64 v[9:10], v[1:2], v[9:10]
	v_fma_f64 v[1:2], v[1:2], v[7:8], -v[11:12]
	v_fma_f64 v[3:4], v[3:4], v[7:8], v[9:10]
	buffer_store_dword v2, off, s[0:3], 0 offset:164
	buffer_store_dword v1, off, s[0:3], 0 offset:160
	;; [unrolled: 1-line block ×4, first 2 shown]
.LBB36_211:
	s_or_b32 exec_lo, exec_lo, s8
	v_mov_b32_e32 v4, s35
	v_cmp_lt_u32_e64 s4, 9, v0
	s_clause 0x3
	buffer_load_dword v1, v4, s[0:3], 0 offen
	buffer_load_dword v2, v4, s[0:3], 0 offen offset:4
	buffer_load_dword v3, v4, s[0:3], 0 offen offset:8
	;; [unrolled: 1-line block ×3, first 2 shown]
	s_waitcnt vmcnt(0)
	ds_write_b128 v6, v[1:4]
	s_waitcnt lgkmcnt(0)
	s_waitcnt_vscnt null, 0x0
	s_barrier
	buffer_gl0_inv
	s_and_saveexec_b32 s8, s4
	s_cbranch_execz .LBB36_219
; %bb.212:
	ds_read_b128 v[1:4], v6
	s_andn2_b32 vcc_lo, exec_lo, s44
	s_cbranch_vccnz .LBB36_214
; %bb.213:
	s_clause 0x3
	buffer_load_dword v7, v5, s[0:3], 0 offen offset:8
	buffer_load_dword v8, v5, s[0:3], 0 offen offset:12
	buffer_load_dword v9, v5, s[0:3], 0 offen
	buffer_load_dword v10, v5, s[0:3], 0 offen offset:4
	s_waitcnt vmcnt(2) lgkmcnt(0)
	v_mul_f64 v[11:12], v[3:4], v[7:8]
	v_mul_f64 v[7:8], v[1:2], v[7:8]
	s_waitcnt vmcnt(0)
	v_fma_f64 v[1:2], v[1:2], v[9:10], -v[11:12]
	v_fma_f64 v[3:4], v[3:4], v[9:10], v[7:8]
.LBB36_214:
	s_and_saveexec_b32 s45, s5
	s_cbranch_execz .LBB36_218
; %bb.215:
	v_add_nc_u32_e32 v7, -10, v0
	s_movk_i32 s46, 0x2f0
	s_mov_b32 s5, 0
	s_mov_b32 s47, s34
	.p2align	6
.LBB36_216:                             ; =>This Inner Loop Header: Depth=1
	v_mov_b32_e32 v8, s47
	v_add_nc_u32_e32 v7, -1, v7
	s_add_i32 s47, s47, 16
	s_clause 0x3
	buffer_load_dword v12, v8, s[0:3], 0 offen offset:8
	buffer_load_dword v13, v8, s[0:3], 0 offen offset:12
	buffer_load_dword v14, v8, s[0:3], 0 offen
	buffer_load_dword v15, v8, s[0:3], 0 offen offset:4
	v_mov_b32_e32 v8, s46
	v_cmp_eq_u32_e32 vcc_lo, 0, v7
	s_add_i32 s46, s46, 16
	ds_read_b128 v[8:11], v8
	s_or_b32 s5, vcc_lo, s5
	s_waitcnt vmcnt(2) lgkmcnt(0)
	v_mul_f64 v[16:17], v[10:11], v[12:13]
	v_mul_f64 v[12:13], v[8:9], v[12:13]
	s_waitcnt vmcnt(0)
	v_fma_f64 v[8:9], v[8:9], v[14:15], -v[16:17]
	v_fma_f64 v[10:11], v[10:11], v[14:15], v[12:13]
	v_add_f64 v[1:2], v[1:2], v[8:9]
	v_add_f64 v[3:4], v[3:4], v[10:11]
	s_andn2_b32 exec_lo, exec_lo, s5
	s_cbranch_execnz .LBB36_216
; %bb.217:
	s_or_b32 exec_lo, exec_lo, s5
.LBB36_218:
	s_or_b32 exec_lo, exec_lo, s45
	v_mov_b32_e32 v7, 0
	ds_read_b128 v[7:10], v7 offset:144
	s_waitcnt lgkmcnt(0)
	v_mul_f64 v[11:12], v[3:4], v[9:10]
	v_mul_f64 v[9:10], v[1:2], v[9:10]
	v_fma_f64 v[1:2], v[1:2], v[7:8], -v[11:12]
	v_fma_f64 v[3:4], v[3:4], v[7:8], v[9:10]
	buffer_store_dword v2, off, s[0:3], 0 offset:148
	buffer_store_dword v1, off, s[0:3], 0 offset:144
	;; [unrolled: 1-line block ×4, first 2 shown]
.LBB36_219:
	s_or_b32 exec_lo, exec_lo, s8
	v_mov_b32_e32 v4, s36
	v_cmp_lt_u32_e64 s5, 8, v0
	s_clause 0x3
	buffer_load_dword v1, v4, s[0:3], 0 offen
	buffer_load_dword v2, v4, s[0:3], 0 offen offset:4
	buffer_load_dword v3, v4, s[0:3], 0 offen offset:8
	;; [unrolled: 1-line block ×3, first 2 shown]
	s_waitcnt vmcnt(0)
	ds_write_b128 v6, v[1:4]
	s_waitcnt lgkmcnt(0)
	s_waitcnt_vscnt null, 0x0
	s_barrier
	buffer_gl0_inv
	s_and_saveexec_b32 s8, s5
	s_cbranch_execz .LBB36_227
; %bb.220:
	ds_read_b128 v[1:4], v6
	s_andn2_b32 vcc_lo, exec_lo, s44
	s_cbranch_vccnz .LBB36_222
; %bb.221:
	s_clause 0x3
	buffer_load_dword v7, v5, s[0:3], 0 offen offset:8
	buffer_load_dword v8, v5, s[0:3], 0 offen offset:12
	buffer_load_dword v9, v5, s[0:3], 0 offen
	buffer_load_dword v10, v5, s[0:3], 0 offen offset:4
	s_waitcnt vmcnt(2) lgkmcnt(0)
	v_mul_f64 v[11:12], v[3:4], v[7:8]
	v_mul_f64 v[7:8], v[1:2], v[7:8]
	s_waitcnt vmcnt(0)
	v_fma_f64 v[1:2], v[1:2], v[9:10], -v[11:12]
	v_fma_f64 v[3:4], v[3:4], v[9:10], v[7:8]
.LBB36_222:
	s_and_saveexec_b32 s45, s4
	s_cbranch_execz .LBB36_226
; %bb.223:
	v_add_nc_u32_e32 v7, -9, v0
	s_movk_i32 s46, 0x2e0
	s_mov_b32 s4, 0
	s_mov_b32 s47, s35
	.p2align	6
.LBB36_224:                             ; =>This Inner Loop Header: Depth=1
	v_mov_b32_e32 v8, s47
	v_add_nc_u32_e32 v7, -1, v7
	s_add_i32 s47, s47, 16
	s_clause 0x3
	buffer_load_dword v12, v8, s[0:3], 0 offen offset:8
	buffer_load_dword v13, v8, s[0:3], 0 offen offset:12
	buffer_load_dword v14, v8, s[0:3], 0 offen
	buffer_load_dword v15, v8, s[0:3], 0 offen offset:4
	v_mov_b32_e32 v8, s46
	v_cmp_eq_u32_e32 vcc_lo, 0, v7
	s_add_i32 s46, s46, 16
	ds_read_b128 v[8:11], v8
	s_or_b32 s4, vcc_lo, s4
	s_waitcnt vmcnt(2) lgkmcnt(0)
	v_mul_f64 v[16:17], v[10:11], v[12:13]
	v_mul_f64 v[12:13], v[8:9], v[12:13]
	s_waitcnt vmcnt(0)
	v_fma_f64 v[8:9], v[8:9], v[14:15], -v[16:17]
	v_fma_f64 v[10:11], v[10:11], v[14:15], v[12:13]
	v_add_f64 v[1:2], v[1:2], v[8:9]
	v_add_f64 v[3:4], v[3:4], v[10:11]
	s_andn2_b32 exec_lo, exec_lo, s4
	s_cbranch_execnz .LBB36_224
; %bb.225:
	s_or_b32 exec_lo, exec_lo, s4
.LBB36_226:
	s_or_b32 exec_lo, exec_lo, s45
	v_mov_b32_e32 v7, 0
	ds_read_b128 v[7:10], v7 offset:128
	s_waitcnt lgkmcnt(0)
	v_mul_f64 v[11:12], v[3:4], v[9:10]
	v_mul_f64 v[9:10], v[1:2], v[9:10]
	v_fma_f64 v[1:2], v[1:2], v[7:8], -v[11:12]
	v_fma_f64 v[3:4], v[3:4], v[7:8], v[9:10]
	buffer_store_dword v2, off, s[0:3], 0 offset:132
	buffer_store_dword v1, off, s[0:3], 0 offset:128
	;; [unrolled: 1-line block ×4, first 2 shown]
.LBB36_227:
	s_or_b32 exec_lo, exec_lo, s8
	v_mov_b32_e32 v4, s37
	v_cmp_lt_u32_e64 s4, 7, v0
	s_clause 0x3
	buffer_load_dword v1, v4, s[0:3], 0 offen
	buffer_load_dword v2, v4, s[0:3], 0 offen offset:4
	buffer_load_dword v3, v4, s[0:3], 0 offen offset:8
	;; [unrolled: 1-line block ×3, first 2 shown]
	s_waitcnt vmcnt(0)
	ds_write_b128 v6, v[1:4]
	s_waitcnt lgkmcnt(0)
	s_waitcnt_vscnt null, 0x0
	s_barrier
	buffer_gl0_inv
	s_and_saveexec_b32 s8, s4
	s_cbranch_execz .LBB36_235
; %bb.228:
	ds_read_b128 v[1:4], v6
	s_andn2_b32 vcc_lo, exec_lo, s44
	s_cbranch_vccnz .LBB36_230
; %bb.229:
	s_clause 0x3
	buffer_load_dword v7, v5, s[0:3], 0 offen offset:8
	buffer_load_dword v8, v5, s[0:3], 0 offen offset:12
	buffer_load_dword v9, v5, s[0:3], 0 offen
	buffer_load_dword v10, v5, s[0:3], 0 offen offset:4
	s_waitcnt vmcnt(2) lgkmcnt(0)
	v_mul_f64 v[11:12], v[3:4], v[7:8]
	v_mul_f64 v[7:8], v[1:2], v[7:8]
	s_waitcnt vmcnt(0)
	v_fma_f64 v[1:2], v[1:2], v[9:10], -v[11:12]
	v_fma_f64 v[3:4], v[3:4], v[9:10], v[7:8]
.LBB36_230:
	s_and_saveexec_b32 s45, s5
	s_cbranch_execz .LBB36_234
; %bb.231:
	v_add_nc_u32_e32 v7, -8, v0
	s_movk_i32 s46, 0x2d0
	s_mov_b32 s5, 0
	s_mov_b32 s47, s36
	.p2align	6
.LBB36_232:                             ; =>This Inner Loop Header: Depth=1
	v_mov_b32_e32 v8, s47
	v_add_nc_u32_e32 v7, -1, v7
	s_add_i32 s47, s47, 16
	s_clause 0x3
	buffer_load_dword v12, v8, s[0:3], 0 offen offset:8
	buffer_load_dword v13, v8, s[0:3], 0 offen offset:12
	buffer_load_dword v14, v8, s[0:3], 0 offen
	buffer_load_dword v15, v8, s[0:3], 0 offen offset:4
	v_mov_b32_e32 v8, s46
	v_cmp_eq_u32_e32 vcc_lo, 0, v7
	s_add_i32 s46, s46, 16
	ds_read_b128 v[8:11], v8
	s_or_b32 s5, vcc_lo, s5
	s_waitcnt vmcnt(2) lgkmcnt(0)
	v_mul_f64 v[16:17], v[10:11], v[12:13]
	v_mul_f64 v[12:13], v[8:9], v[12:13]
	s_waitcnt vmcnt(0)
	v_fma_f64 v[8:9], v[8:9], v[14:15], -v[16:17]
	v_fma_f64 v[10:11], v[10:11], v[14:15], v[12:13]
	v_add_f64 v[1:2], v[1:2], v[8:9]
	v_add_f64 v[3:4], v[3:4], v[10:11]
	s_andn2_b32 exec_lo, exec_lo, s5
	s_cbranch_execnz .LBB36_232
; %bb.233:
	s_or_b32 exec_lo, exec_lo, s5
.LBB36_234:
	s_or_b32 exec_lo, exec_lo, s45
	v_mov_b32_e32 v7, 0
	ds_read_b128 v[7:10], v7 offset:112
	s_waitcnt lgkmcnt(0)
	v_mul_f64 v[11:12], v[3:4], v[9:10]
	v_mul_f64 v[9:10], v[1:2], v[9:10]
	v_fma_f64 v[1:2], v[1:2], v[7:8], -v[11:12]
	v_fma_f64 v[3:4], v[3:4], v[7:8], v[9:10]
	buffer_store_dword v2, off, s[0:3], 0 offset:116
	buffer_store_dword v1, off, s[0:3], 0 offset:112
	;; [unrolled: 1-line block ×4, first 2 shown]
.LBB36_235:
	s_or_b32 exec_lo, exec_lo, s8
	v_mov_b32_e32 v4, s38
	v_cmp_lt_u32_e64 s5, 6, v0
	s_clause 0x3
	buffer_load_dword v1, v4, s[0:3], 0 offen
	buffer_load_dword v2, v4, s[0:3], 0 offen offset:4
	buffer_load_dword v3, v4, s[0:3], 0 offen offset:8
	;; [unrolled: 1-line block ×3, first 2 shown]
	s_waitcnt vmcnt(0)
	ds_write_b128 v6, v[1:4]
	s_waitcnt lgkmcnt(0)
	s_waitcnt_vscnt null, 0x0
	s_barrier
	buffer_gl0_inv
	s_and_saveexec_b32 s8, s5
	s_cbranch_execz .LBB36_243
; %bb.236:
	ds_read_b128 v[1:4], v6
	s_andn2_b32 vcc_lo, exec_lo, s44
	s_cbranch_vccnz .LBB36_238
; %bb.237:
	s_clause 0x3
	buffer_load_dword v7, v5, s[0:3], 0 offen offset:8
	buffer_load_dword v8, v5, s[0:3], 0 offen offset:12
	buffer_load_dword v9, v5, s[0:3], 0 offen
	buffer_load_dword v10, v5, s[0:3], 0 offen offset:4
	s_waitcnt vmcnt(2) lgkmcnt(0)
	v_mul_f64 v[11:12], v[3:4], v[7:8]
	v_mul_f64 v[7:8], v[1:2], v[7:8]
	s_waitcnt vmcnt(0)
	v_fma_f64 v[1:2], v[1:2], v[9:10], -v[11:12]
	v_fma_f64 v[3:4], v[3:4], v[9:10], v[7:8]
.LBB36_238:
	s_and_saveexec_b32 s45, s4
	s_cbranch_execz .LBB36_242
; %bb.239:
	v_add_nc_u32_e32 v7, -7, v0
	s_movk_i32 s46, 0x2c0
	s_mov_b32 s4, 0
	s_mov_b32 s47, s37
	.p2align	6
.LBB36_240:                             ; =>This Inner Loop Header: Depth=1
	v_mov_b32_e32 v8, s47
	v_add_nc_u32_e32 v7, -1, v7
	s_add_i32 s47, s47, 16
	s_clause 0x3
	buffer_load_dword v12, v8, s[0:3], 0 offen offset:8
	buffer_load_dword v13, v8, s[0:3], 0 offen offset:12
	buffer_load_dword v14, v8, s[0:3], 0 offen
	buffer_load_dword v15, v8, s[0:3], 0 offen offset:4
	v_mov_b32_e32 v8, s46
	v_cmp_eq_u32_e32 vcc_lo, 0, v7
	s_add_i32 s46, s46, 16
	ds_read_b128 v[8:11], v8
	s_or_b32 s4, vcc_lo, s4
	s_waitcnt vmcnt(2) lgkmcnt(0)
	v_mul_f64 v[16:17], v[10:11], v[12:13]
	v_mul_f64 v[12:13], v[8:9], v[12:13]
	s_waitcnt vmcnt(0)
	v_fma_f64 v[8:9], v[8:9], v[14:15], -v[16:17]
	v_fma_f64 v[10:11], v[10:11], v[14:15], v[12:13]
	v_add_f64 v[1:2], v[1:2], v[8:9]
	v_add_f64 v[3:4], v[3:4], v[10:11]
	s_andn2_b32 exec_lo, exec_lo, s4
	s_cbranch_execnz .LBB36_240
; %bb.241:
	s_or_b32 exec_lo, exec_lo, s4
.LBB36_242:
	s_or_b32 exec_lo, exec_lo, s45
	v_mov_b32_e32 v7, 0
	ds_read_b128 v[7:10], v7 offset:96
	s_waitcnt lgkmcnt(0)
	v_mul_f64 v[11:12], v[3:4], v[9:10]
	v_mul_f64 v[9:10], v[1:2], v[9:10]
	v_fma_f64 v[1:2], v[1:2], v[7:8], -v[11:12]
	v_fma_f64 v[3:4], v[3:4], v[7:8], v[9:10]
	buffer_store_dword v2, off, s[0:3], 0 offset:100
	buffer_store_dword v1, off, s[0:3], 0 offset:96
	;; [unrolled: 1-line block ×4, first 2 shown]
.LBB36_243:
	s_or_b32 exec_lo, exec_lo, s8
	v_mov_b32_e32 v4, s39
	v_cmp_lt_u32_e64 s4, 5, v0
	s_clause 0x3
	buffer_load_dword v1, v4, s[0:3], 0 offen
	buffer_load_dword v2, v4, s[0:3], 0 offen offset:4
	buffer_load_dword v3, v4, s[0:3], 0 offen offset:8
	;; [unrolled: 1-line block ×3, first 2 shown]
	s_waitcnt vmcnt(0)
	ds_write_b128 v6, v[1:4]
	s_waitcnt lgkmcnt(0)
	s_waitcnt_vscnt null, 0x0
	s_barrier
	buffer_gl0_inv
	s_and_saveexec_b32 s8, s4
	s_cbranch_execz .LBB36_251
; %bb.244:
	ds_read_b128 v[1:4], v6
	s_andn2_b32 vcc_lo, exec_lo, s44
	s_cbranch_vccnz .LBB36_246
; %bb.245:
	s_clause 0x3
	buffer_load_dword v7, v5, s[0:3], 0 offen offset:8
	buffer_load_dword v8, v5, s[0:3], 0 offen offset:12
	buffer_load_dword v9, v5, s[0:3], 0 offen
	buffer_load_dword v10, v5, s[0:3], 0 offen offset:4
	s_waitcnt vmcnt(2) lgkmcnt(0)
	v_mul_f64 v[11:12], v[3:4], v[7:8]
	v_mul_f64 v[7:8], v[1:2], v[7:8]
	s_waitcnt vmcnt(0)
	v_fma_f64 v[1:2], v[1:2], v[9:10], -v[11:12]
	v_fma_f64 v[3:4], v[3:4], v[9:10], v[7:8]
.LBB36_246:
	s_and_saveexec_b32 s45, s5
	s_cbranch_execz .LBB36_250
; %bb.247:
	v_add_nc_u32_e32 v7, -6, v0
	s_movk_i32 s46, 0x2b0
	s_mov_b32 s5, 0
	s_mov_b32 s47, s38
	.p2align	6
.LBB36_248:                             ; =>This Inner Loop Header: Depth=1
	v_mov_b32_e32 v8, s47
	v_add_nc_u32_e32 v7, -1, v7
	s_add_i32 s47, s47, 16
	s_clause 0x3
	buffer_load_dword v12, v8, s[0:3], 0 offen offset:8
	buffer_load_dword v13, v8, s[0:3], 0 offen offset:12
	buffer_load_dword v14, v8, s[0:3], 0 offen
	buffer_load_dword v15, v8, s[0:3], 0 offen offset:4
	v_mov_b32_e32 v8, s46
	v_cmp_eq_u32_e32 vcc_lo, 0, v7
	s_add_i32 s46, s46, 16
	ds_read_b128 v[8:11], v8
	s_or_b32 s5, vcc_lo, s5
	s_waitcnt vmcnt(2) lgkmcnt(0)
	v_mul_f64 v[16:17], v[10:11], v[12:13]
	v_mul_f64 v[12:13], v[8:9], v[12:13]
	s_waitcnt vmcnt(0)
	v_fma_f64 v[8:9], v[8:9], v[14:15], -v[16:17]
	v_fma_f64 v[10:11], v[10:11], v[14:15], v[12:13]
	v_add_f64 v[1:2], v[1:2], v[8:9]
	v_add_f64 v[3:4], v[3:4], v[10:11]
	s_andn2_b32 exec_lo, exec_lo, s5
	s_cbranch_execnz .LBB36_248
; %bb.249:
	s_or_b32 exec_lo, exec_lo, s5
.LBB36_250:
	s_or_b32 exec_lo, exec_lo, s45
	v_mov_b32_e32 v7, 0
	ds_read_b128 v[7:10], v7 offset:80
	s_waitcnt lgkmcnt(0)
	v_mul_f64 v[11:12], v[3:4], v[9:10]
	v_mul_f64 v[9:10], v[1:2], v[9:10]
	v_fma_f64 v[1:2], v[1:2], v[7:8], -v[11:12]
	v_fma_f64 v[3:4], v[3:4], v[7:8], v[9:10]
	buffer_store_dword v2, off, s[0:3], 0 offset:84
	buffer_store_dword v1, off, s[0:3], 0 offset:80
	;; [unrolled: 1-line block ×4, first 2 shown]
.LBB36_251:
	s_or_b32 exec_lo, exec_lo, s8
	v_mov_b32_e32 v4, s40
	v_cmp_lt_u32_e64 s5, 4, v0
	s_clause 0x3
	buffer_load_dword v1, v4, s[0:3], 0 offen
	buffer_load_dword v2, v4, s[0:3], 0 offen offset:4
	buffer_load_dword v3, v4, s[0:3], 0 offen offset:8
	;; [unrolled: 1-line block ×3, first 2 shown]
	s_waitcnt vmcnt(0)
	ds_write_b128 v6, v[1:4]
	s_waitcnt lgkmcnt(0)
	s_waitcnt_vscnt null, 0x0
	s_barrier
	buffer_gl0_inv
	s_and_saveexec_b32 s8, s5
	s_cbranch_execz .LBB36_259
; %bb.252:
	ds_read_b128 v[1:4], v6
	s_andn2_b32 vcc_lo, exec_lo, s44
	s_cbranch_vccnz .LBB36_254
; %bb.253:
	s_clause 0x3
	buffer_load_dword v7, v5, s[0:3], 0 offen offset:8
	buffer_load_dword v8, v5, s[0:3], 0 offen offset:12
	buffer_load_dword v9, v5, s[0:3], 0 offen
	buffer_load_dword v10, v5, s[0:3], 0 offen offset:4
	s_waitcnt vmcnt(2) lgkmcnt(0)
	v_mul_f64 v[11:12], v[3:4], v[7:8]
	v_mul_f64 v[7:8], v[1:2], v[7:8]
	s_waitcnt vmcnt(0)
	v_fma_f64 v[1:2], v[1:2], v[9:10], -v[11:12]
	v_fma_f64 v[3:4], v[3:4], v[9:10], v[7:8]
.LBB36_254:
	s_and_saveexec_b32 s45, s4
	s_cbranch_execz .LBB36_258
; %bb.255:
	v_add_nc_u32_e32 v7, -5, v0
	s_movk_i32 s46, 0x2a0
	s_mov_b32 s4, 0
	s_mov_b32 s47, s39
	.p2align	6
.LBB36_256:                             ; =>This Inner Loop Header: Depth=1
	v_mov_b32_e32 v8, s47
	v_add_nc_u32_e32 v7, -1, v7
	s_add_i32 s47, s47, 16
	s_clause 0x3
	buffer_load_dword v12, v8, s[0:3], 0 offen offset:8
	buffer_load_dword v13, v8, s[0:3], 0 offen offset:12
	buffer_load_dword v14, v8, s[0:3], 0 offen
	buffer_load_dword v15, v8, s[0:3], 0 offen offset:4
	v_mov_b32_e32 v8, s46
	v_cmp_eq_u32_e32 vcc_lo, 0, v7
	s_add_i32 s46, s46, 16
	ds_read_b128 v[8:11], v8
	s_or_b32 s4, vcc_lo, s4
	s_waitcnt vmcnt(2) lgkmcnt(0)
	v_mul_f64 v[16:17], v[10:11], v[12:13]
	v_mul_f64 v[12:13], v[8:9], v[12:13]
	s_waitcnt vmcnt(0)
	v_fma_f64 v[8:9], v[8:9], v[14:15], -v[16:17]
	v_fma_f64 v[10:11], v[10:11], v[14:15], v[12:13]
	v_add_f64 v[1:2], v[1:2], v[8:9]
	v_add_f64 v[3:4], v[3:4], v[10:11]
	s_andn2_b32 exec_lo, exec_lo, s4
	s_cbranch_execnz .LBB36_256
; %bb.257:
	s_or_b32 exec_lo, exec_lo, s4
.LBB36_258:
	s_or_b32 exec_lo, exec_lo, s45
	v_mov_b32_e32 v7, 0
	ds_read_b128 v[7:10], v7 offset:64
	s_waitcnt lgkmcnt(0)
	v_mul_f64 v[11:12], v[3:4], v[9:10]
	v_mul_f64 v[9:10], v[1:2], v[9:10]
	v_fma_f64 v[1:2], v[1:2], v[7:8], -v[11:12]
	v_fma_f64 v[3:4], v[3:4], v[7:8], v[9:10]
	buffer_store_dword v2, off, s[0:3], 0 offset:68
	buffer_store_dword v1, off, s[0:3], 0 offset:64
	;; [unrolled: 1-line block ×4, first 2 shown]
.LBB36_259:
	s_or_b32 exec_lo, exec_lo, s8
	v_mov_b32_e32 v4, s41
	v_cmp_lt_u32_e64 s4, 3, v0
	s_clause 0x3
	buffer_load_dword v1, v4, s[0:3], 0 offen
	buffer_load_dword v2, v4, s[0:3], 0 offen offset:4
	buffer_load_dword v3, v4, s[0:3], 0 offen offset:8
	;; [unrolled: 1-line block ×3, first 2 shown]
	s_waitcnt vmcnt(0)
	ds_write_b128 v6, v[1:4]
	s_waitcnt lgkmcnt(0)
	s_waitcnt_vscnt null, 0x0
	s_barrier
	buffer_gl0_inv
	s_and_saveexec_b32 s8, s4
	s_cbranch_execz .LBB36_267
; %bb.260:
	ds_read_b128 v[1:4], v6
	s_andn2_b32 vcc_lo, exec_lo, s44
	s_cbranch_vccnz .LBB36_262
; %bb.261:
	s_clause 0x3
	buffer_load_dword v7, v5, s[0:3], 0 offen offset:8
	buffer_load_dword v8, v5, s[0:3], 0 offen offset:12
	buffer_load_dword v9, v5, s[0:3], 0 offen
	buffer_load_dword v10, v5, s[0:3], 0 offen offset:4
	s_waitcnt vmcnt(2) lgkmcnt(0)
	v_mul_f64 v[11:12], v[3:4], v[7:8]
	v_mul_f64 v[7:8], v[1:2], v[7:8]
	s_waitcnt vmcnt(0)
	v_fma_f64 v[1:2], v[1:2], v[9:10], -v[11:12]
	v_fma_f64 v[3:4], v[3:4], v[9:10], v[7:8]
.LBB36_262:
	s_and_saveexec_b32 s45, s5
	s_cbranch_execz .LBB36_266
; %bb.263:
	v_add_nc_u32_e32 v7, -4, v0
	s_movk_i32 s46, 0x290
	s_mov_b32 s5, 0
	s_mov_b32 s47, s40
	.p2align	6
.LBB36_264:                             ; =>This Inner Loop Header: Depth=1
	v_mov_b32_e32 v8, s47
	v_add_nc_u32_e32 v7, -1, v7
	s_add_i32 s47, s47, 16
	s_clause 0x3
	buffer_load_dword v12, v8, s[0:3], 0 offen offset:8
	buffer_load_dword v13, v8, s[0:3], 0 offen offset:12
	buffer_load_dword v14, v8, s[0:3], 0 offen
	buffer_load_dword v15, v8, s[0:3], 0 offen offset:4
	v_mov_b32_e32 v8, s46
	v_cmp_eq_u32_e32 vcc_lo, 0, v7
	s_add_i32 s46, s46, 16
	ds_read_b128 v[8:11], v8
	s_or_b32 s5, vcc_lo, s5
	s_waitcnt vmcnt(2) lgkmcnt(0)
	v_mul_f64 v[16:17], v[10:11], v[12:13]
	v_mul_f64 v[12:13], v[8:9], v[12:13]
	s_waitcnt vmcnt(0)
	v_fma_f64 v[8:9], v[8:9], v[14:15], -v[16:17]
	v_fma_f64 v[10:11], v[10:11], v[14:15], v[12:13]
	v_add_f64 v[1:2], v[1:2], v[8:9]
	v_add_f64 v[3:4], v[3:4], v[10:11]
	s_andn2_b32 exec_lo, exec_lo, s5
	s_cbranch_execnz .LBB36_264
; %bb.265:
	s_or_b32 exec_lo, exec_lo, s5
.LBB36_266:
	s_or_b32 exec_lo, exec_lo, s45
	v_mov_b32_e32 v7, 0
	ds_read_b128 v[7:10], v7 offset:48
	s_waitcnt lgkmcnt(0)
	v_mul_f64 v[11:12], v[3:4], v[9:10]
	v_mul_f64 v[9:10], v[1:2], v[9:10]
	v_fma_f64 v[1:2], v[1:2], v[7:8], -v[11:12]
	v_fma_f64 v[3:4], v[3:4], v[7:8], v[9:10]
	buffer_store_dword v2, off, s[0:3], 0 offset:52
	buffer_store_dword v1, off, s[0:3], 0 offset:48
	;; [unrolled: 1-line block ×4, first 2 shown]
.LBB36_267:
	s_or_b32 exec_lo, exec_lo, s8
	v_mov_b32_e32 v4, s42
	v_cmp_lt_u32_e64 s5, 2, v0
	s_clause 0x3
	buffer_load_dword v1, v4, s[0:3], 0 offen
	buffer_load_dword v2, v4, s[0:3], 0 offen offset:4
	buffer_load_dword v3, v4, s[0:3], 0 offen offset:8
	;; [unrolled: 1-line block ×3, first 2 shown]
	s_waitcnt vmcnt(0)
	ds_write_b128 v6, v[1:4]
	s_waitcnt lgkmcnt(0)
	s_waitcnt_vscnt null, 0x0
	s_barrier
	buffer_gl0_inv
	s_and_saveexec_b32 s8, s5
	s_cbranch_execz .LBB36_275
; %bb.268:
	ds_read_b128 v[1:4], v6
	s_andn2_b32 vcc_lo, exec_lo, s44
	s_cbranch_vccnz .LBB36_270
; %bb.269:
	s_clause 0x3
	buffer_load_dword v7, v5, s[0:3], 0 offen offset:8
	buffer_load_dword v8, v5, s[0:3], 0 offen offset:12
	buffer_load_dword v9, v5, s[0:3], 0 offen
	buffer_load_dword v10, v5, s[0:3], 0 offen offset:4
	s_waitcnt vmcnt(2) lgkmcnt(0)
	v_mul_f64 v[11:12], v[3:4], v[7:8]
	v_mul_f64 v[7:8], v[1:2], v[7:8]
	s_waitcnt vmcnt(0)
	v_fma_f64 v[1:2], v[1:2], v[9:10], -v[11:12]
	v_fma_f64 v[3:4], v[3:4], v[9:10], v[7:8]
.LBB36_270:
	s_and_saveexec_b32 s45, s4
	s_cbranch_execz .LBB36_274
; %bb.271:
	v_add_nc_u32_e32 v7, -3, v0
	s_movk_i32 s46, 0x280
	s_mov_b32 s4, 0
	s_mov_b32 s47, s41
	.p2align	6
.LBB36_272:                             ; =>This Inner Loop Header: Depth=1
	v_mov_b32_e32 v8, s47
	v_add_nc_u32_e32 v7, -1, v7
	s_add_i32 s47, s47, 16
	s_clause 0x3
	buffer_load_dword v12, v8, s[0:3], 0 offen offset:8
	buffer_load_dword v13, v8, s[0:3], 0 offen offset:12
	buffer_load_dword v14, v8, s[0:3], 0 offen
	buffer_load_dword v15, v8, s[0:3], 0 offen offset:4
	v_mov_b32_e32 v8, s46
	v_cmp_eq_u32_e32 vcc_lo, 0, v7
	s_add_i32 s46, s46, 16
	ds_read_b128 v[8:11], v8
	s_or_b32 s4, vcc_lo, s4
	s_waitcnt vmcnt(2) lgkmcnt(0)
	v_mul_f64 v[16:17], v[10:11], v[12:13]
	v_mul_f64 v[12:13], v[8:9], v[12:13]
	s_waitcnt vmcnt(0)
	v_fma_f64 v[8:9], v[8:9], v[14:15], -v[16:17]
	v_fma_f64 v[10:11], v[10:11], v[14:15], v[12:13]
	v_add_f64 v[1:2], v[1:2], v[8:9]
	v_add_f64 v[3:4], v[3:4], v[10:11]
	s_andn2_b32 exec_lo, exec_lo, s4
	s_cbranch_execnz .LBB36_272
; %bb.273:
	s_or_b32 exec_lo, exec_lo, s4
.LBB36_274:
	s_or_b32 exec_lo, exec_lo, s45
	v_mov_b32_e32 v7, 0
	ds_read_b128 v[7:10], v7 offset:32
	s_waitcnt lgkmcnt(0)
	v_mul_f64 v[11:12], v[3:4], v[9:10]
	v_mul_f64 v[9:10], v[1:2], v[9:10]
	v_fma_f64 v[1:2], v[1:2], v[7:8], -v[11:12]
	v_fma_f64 v[3:4], v[3:4], v[7:8], v[9:10]
	buffer_store_dword v2, off, s[0:3], 0 offset:36
	buffer_store_dword v1, off, s[0:3], 0 offset:32
	;; [unrolled: 1-line block ×4, first 2 shown]
.LBB36_275:
	s_or_b32 exec_lo, exec_lo, s8
	v_mov_b32_e32 v4, s43
	v_cmp_lt_u32_e64 s4, 1, v0
	s_clause 0x3
	buffer_load_dword v1, v4, s[0:3], 0 offen
	buffer_load_dword v2, v4, s[0:3], 0 offen offset:4
	buffer_load_dword v3, v4, s[0:3], 0 offen offset:8
	;; [unrolled: 1-line block ×3, first 2 shown]
	s_waitcnt vmcnt(0)
	ds_write_b128 v6, v[1:4]
	s_waitcnt lgkmcnt(0)
	s_waitcnt_vscnt null, 0x0
	s_barrier
	buffer_gl0_inv
	s_and_saveexec_b32 s8, s4
	s_cbranch_execz .LBB36_283
; %bb.276:
	ds_read_b128 v[1:4], v6
	s_andn2_b32 vcc_lo, exec_lo, s44
	s_cbranch_vccnz .LBB36_278
; %bb.277:
	s_clause 0x3
	buffer_load_dword v7, v5, s[0:3], 0 offen offset:8
	buffer_load_dword v8, v5, s[0:3], 0 offen offset:12
	buffer_load_dword v9, v5, s[0:3], 0 offen
	buffer_load_dword v10, v5, s[0:3], 0 offen offset:4
	s_waitcnt vmcnt(2) lgkmcnt(0)
	v_mul_f64 v[11:12], v[3:4], v[7:8]
	v_mul_f64 v[7:8], v[1:2], v[7:8]
	s_waitcnt vmcnt(0)
	v_fma_f64 v[1:2], v[1:2], v[9:10], -v[11:12]
	v_fma_f64 v[3:4], v[3:4], v[9:10], v[7:8]
.LBB36_278:
	s_and_saveexec_b32 s45, s5
	s_cbranch_execz .LBB36_282
; %bb.279:
	v_add_nc_u32_e32 v7, -2, v0
	s_movk_i32 s46, 0x270
	s_mov_b32 s5, 0
	s_mov_b32 s47, s42
	.p2align	6
.LBB36_280:                             ; =>This Inner Loop Header: Depth=1
	v_mov_b32_e32 v8, s47
	v_add_nc_u32_e32 v7, -1, v7
	s_add_i32 s47, s47, 16
	s_clause 0x3
	buffer_load_dword v12, v8, s[0:3], 0 offen offset:8
	buffer_load_dword v13, v8, s[0:3], 0 offen offset:12
	buffer_load_dword v14, v8, s[0:3], 0 offen
	buffer_load_dword v15, v8, s[0:3], 0 offen offset:4
	v_mov_b32_e32 v8, s46
	v_cmp_eq_u32_e32 vcc_lo, 0, v7
	s_add_i32 s46, s46, 16
	ds_read_b128 v[8:11], v8
	s_or_b32 s5, vcc_lo, s5
	s_waitcnt vmcnt(2) lgkmcnt(0)
	v_mul_f64 v[16:17], v[10:11], v[12:13]
	v_mul_f64 v[12:13], v[8:9], v[12:13]
	s_waitcnt vmcnt(0)
	v_fma_f64 v[8:9], v[8:9], v[14:15], -v[16:17]
	v_fma_f64 v[10:11], v[10:11], v[14:15], v[12:13]
	v_add_f64 v[1:2], v[1:2], v[8:9]
	v_add_f64 v[3:4], v[3:4], v[10:11]
	s_andn2_b32 exec_lo, exec_lo, s5
	s_cbranch_execnz .LBB36_280
; %bb.281:
	s_or_b32 exec_lo, exec_lo, s5
.LBB36_282:
	s_or_b32 exec_lo, exec_lo, s45
	v_mov_b32_e32 v7, 0
	ds_read_b128 v[7:10], v7 offset:16
	s_waitcnt lgkmcnt(0)
	v_mul_f64 v[11:12], v[3:4], v[9:10]
	v_mul_f64 v[9:10], v[1:2], v[9:10]
	v_fma_f64 v[1:2], v[1:2], v[7:8], -v[11:12]
	v_fma_f64 v[3:4], v[3:4], v[7:8], v[9:10]
	buffer_store_dword v2, off, s[0:3], 0 offset:20
	buffer_store_dword v1, off, s[0:3], 0 offset:16
	;; [unrolled: 1-line block ×4, first 2 shown]
.LBB36_283:
	s_or_b32 exec_lo, exec_lo, s8
	s_clause 0x3
	buffer_load_dword v1, off, s[0:3], 0
	buffer_load_dword v2, off, s[0:3], 0 offset:4
	buffer_load_dword v3, off, s[0:3], 0 offset:8
	;; [unrolled: 1-line block ×3, first 2 shown]
	s_mov_b32 s8, 0
	s_mov_b32 s5, 0
	s_mov_b32 s45, exec_lo
                                        ; implicit-def: $sgpr46
	s_waitcnt vmcnt(0)
	ds_write_b128 v6, v[1:4]
	s_waitcnt lgkmcnt(0)
	s_waitcnt_vscnt null, 0x0
	s_barrier
	buffer_gl0_inv
                                        ; implicit-def: $vgpr1_vgpr2
	v_cmpx_ne_u32_e32 0, v0
	s_cbranch_execz .LBB36_291
; %bb.284:
	ds_read_b128 v[1:4], v6
	s_andn2_b32 vcc_lo, exec_lo, s44
	s_cbranch_vccnz .LBB36_286
; %bb.285:
	s_clause 0x3
	buffer_load_dword v7, v5, s[0:3], 0 offen offset:8
	buffer_load_dword v8, v5, s[0:3], 0 offen offset:12
	buffer_load_dword v9, v5, s[0:3], 0 offen
	buffer_load_dword v10, v5, s[0:3], 0 offen offset:4
	s_waitcnt vmcnt(2) lgkmcnt(0)
	v_mul_f64 v[11:12], v[3:4], v[7:8]
	v_mul_f64 v[7:8], v[1:2], v[7:8]
	s_waitcnt vmcnt(0)
	v_fma_f64 v[1:2], v[1:2], v[9:10], -v[11:12]
	v_fma_f64 v[3:4], v[3:4], v[9:10], v[7:8]
.LBB36_286:
	s_and_saveexec_b32 s5, s4
	s_cbranch_execz .LBB36_290
; %bb.287:
	v_add_nc_u32_e32 v7, -1, v0
	s_movk_i32 s46, 0x260
	s_mov_b32 s4, 0
	s_mov_b32 s47, s43
	.p2align	6
.LBB36_288:                             ; =>This Inner Loop Header: Depth=1
	v_mov_b32_e32 v8, s47
	v_add_nc_u32_e32 v7, -1, v7
	s_add_i32 s47, s47, 16
	s_clause 0x3
	buffer_load_dword v12, v8, s[0:3], 0 offen offset:8
	buffer_load_dword v13, v8, s[0:3], 0 offen offset:12
	buffer_load_dword v14, v8, s[0:3], 0 offen
	buffer_load_dword v15, v8, s[0:3], 0 offen offset:4
	v_mov_b32_e32 v8, s46
	v_cmp_eq_u32_e32 vcc_lo, 0, v7
	s_add_i32 s46, s46, 16
	ds_read_b128 v[8:11], v8
	s_or_b32 s4, vcc_lo, s4
	s_waitcnt vmcnt(2) lgkmcnt(0)
	v_mul_f64 v[16:17], v[10:11], v[12:13]
	v_mul_f64 v[12:13], v[8:9], v[12:13]
	s_waitcnt vmcnt(0)
	v_fma_f64 v[8:9], v[8:9], v[14:15], -v[16:17]
	v_fma_f64 v[10:11], v[10:11], v[14:15], v[12:13]
	v_add_f64 v[1:2], v[1:2], v[8:9]
	v_add_f64 v[3:4], v[3:4], v[10:11]
	s_andn2_b32 exec_lo, exec_lo, s4
	s_cbranch_execnz .LBB36_288
; %bb.289:
	s_or_b32 exec_lo, exec_lo, s4
.LBB36_290:
	s_or_b32 exec_lo, exec_lo, s5
	v_mov_b32_e32 v7, 0
	s_mov_b32 s5, exec_lo
	s_or_b32 s46, 0, 8
	ds_read_b128 v[7:10], v7
	s_waitcnt lgkmcnt(0)
	v_mul_f64 v[11:12], v[3:4], v[9:10]
	v_mul_f64 v[9:10], v[1:2], v[9:10]
	v_fma_f64 v[11:12], v[1:2], v[7:8], -v[11:12]
	v_fma_f64 v[1:2], v[3:4], v[7:8], v[9:10]
	buffer_store_dword v12, off, s[0:3], 0 offset:4
	buffer_store_dword v11, off, s[0:3], 0
.LBB36_291:
	s_or_b32 exec_lo, exec_lo, s45
	s_and_b32 vcc_lo, exec_lo, s8
	s_cbranch_vccnz .LBB36_293
	s_branch .LBB36_576
.LBB36_292:
	s_mov_b32 s5, 0
                                        ; implicit-def: $vgpr1_vgpr2
                                        ; implicit-def: $sgpr46
	s_cbranch_execz .LBB36_576
.LBB36_293:
	v_mov_b32_e32 v4, s43
	v_cmp_eq_u32_e64 s4, 0, v0
	v_cndmask_b32_e64 v7, 0, 1, s44
	s_clause 0x3
	buffer_load_dword v1, v4, s[0:3], 0 offen
	buffer_load_dword v2, v4, s[0:3], 0 offen offset:4
	buffer_load_dword v3, v4, s[0:3], 0 offen offset:8
	buffer_load_dword v4, v4, s[0:3], 0 offen offset:12
	s_waitcnt vmcnt(0)
	ds_write_b128 v6, v[1:4]
	s_waitcnt lgkmcnt(0)
	s_waitcnt_vscnt null, 0x0
	s_barrier
	buffer_gl0_inv
	s_and_saveexec_b32 s8, s4
	s_cbranch_execz .LBB36_297
; %bb.294:
	ds_read_b128 v[1:4], v6
	s_andn2_b32 vcc_lo, exec_lo, s44
	s_cbranch_vccnz .LBB36_296
; %bb.295:
	s_clause 0x3
	buffer_load_dword v8, v5, s[0:3], 0 offen offset:8
	buffer_load_dword v9, v5, s[0:3], 0 offen offset:12
	buffer_load_dword v10, v5, s[0:3], 0 offen
	buffer_load_dword v11, v5, s[0:3], 0 offen offset:4
	s_waitcnt vmcnt(2) lgkmcnt(0)
	v_mul_f64 v[12:13], v[3:4], v[8:9]
	v_mul_f64 v[8:9], v[1:2], v[8:9]
	s_waitcnt vmcnt(0)
	v_fma_f64 v[1:2], v[1:2], v[10:11], -v[12:13]
	v_fma_f64 v[3:4], v[3:4], v[10:11], v[8:9]
.LBB36_296:
	v_mov_b32_e32 v8, 0
	ds_read_b128 v[8:11], v8 offset:16
	s_waitcnt lgkmcnt(0)
	v_mul_f64 v[12:13], v[3:4], v[10:11]
	v_mul_f64 v[10:11], v[1:2], v[10:11]
	v_fma_f64 v[1:2], v[1:2], v[8:9], -v[12:13]
	v_fma_f64 v[3:4], v[3:4], v[8:9], v[10:11]
	buffer_store_dword v2, off, s[0:3], 0 offset:20
	buffer_store_dword v1, off, s[0:3], 0 offset:16
	;; [unrolled: 1-line block ×4, first 2 shown]
.LBB36_297:
	s_or_b32 exec_lo, exec_lo, s8
	v_mov_b32_e32 v4, s42
	s_mov_b32 s8, exec_lo
	s_clause 0x3
	buffer_load_dword v1, v4, s[0:3], 0 offen
	buffer_load_dword v2, v4, s[0:3], 0 offen offset:4
	buffer_load_dword v3, v4, s[0:3], 0 offen offset:8
	;; [unrolled: 1-line block ×3, first 2 shown]
	s_waitcnt vmcnt(0)
	ds_write_b128 v6, v[1:4]
	s_waitcnt lgkmcnt(0)
	s_waitcnt_vscnt null, 0x0
	s_barrier
	buffer_gl0_inv
	v_cmpx_gt_u32_e32 2, v0
	s_cbranch_execz .LBB36_303
; %bb.298:
	ds_read_b128 v[1:4], v6
	v_cmp_ne_u32_e32 vcc_lo, 1, v7
	s_cbranch_vccnz .LBB36_300
; %bb.299:
	s_clause 0x3
	buffer_load_dword v8, v5, s[0:3], 0 offen offset:8
	buffer_load_dword v9, v5, s[0:3], 0 offen offset:12
	buffer_load_dword v10, v5, s[0:3], 0 offen
	buffer_load_dword v11, v5, s[0:3], 0 offen offset:4
	s_waitcnt vmcnt(2) lgkmcnt(0)
	v_mul_f64 v[12:13], v[3:4], v[8:9]
	v_mul_f64 v[8:9], v[1:2], v[8:9]
	s_waitcnt vmcnt(0)
	v_fma_f64 v[1:2], v[1:2], v[10:11], -v[12:13]
	v_fma_f64 v[3:4], v[3:4], v[10:11], v[8:9]
.LBB36_300:
	s_and_saveexec_b32 s44, s4
	s_cbranch_execz .LBB36_302
; %bb.301:
	s_clause 0x3
	buffer_load_dword v12, off, s[0:3], 0 offset:24
	buffer_load_dword v13, off, s[0:3], 0 offset:28
	;; [unrolled: 1-line block ×4, first 2 shown]
	v_mov_b32_e32 v8, 0
	ds_read_b128 v[8:11], v8 offset:608
	s_waitcnt vmcnt(2) lgkmcnt(0)
	v_mul_f64 v[16:17], v[10:11], v[12:13]
	v_mul_f64 v[12:13], v[8:9], v[12:13]
	s_waitcnt vmcnt(0)
	v_fma_f64 v[8:9], v[8:9], v[14:15], -v[16:17]
	v_fma_f64 v[10:11], v[10:11], v[14:15], v[12:13]
	v_add_f64 v[1:2], v[1:2], v[8:9]
	v_add_f64 v[3:4], v[3:4], v[10:11]
.LBB36_302:
	s_or_b32 exec_lo, exec_lo, s44
	v_mov_b32_e32 v8, 0
	ds_read_b128 v[8:11], v8 offset:32
	s_waitcnt lgkmcnt(0)
	v_mul_f64 v[12:13], v[3:4], v[10:11]
	v_mul_f64 v[10:11], v[1:2], v[10:11]
	v_fma_f64 v[1:2], v[1:2], v[8:9], -v[12:13]
	v_fma_f64 v[3:4], v[3:4], v[8:9], v[10:11]
	buffer_store_dword v2, off, s[0:3], 0 offset:36
	buffer_store_dword v1, off, s[0:3], 0 offset:32
	;; [unrolled: 1-line block ×4, first 2 shown]
.LBB36_303:
	s_or_b32 exec_lo, exec_lo, s8
	v_mov_b32_e32 v4, s41
	s_mov_b32 s8, exec_lo
	s_clause 0x3
	buffer_load_dword v1, v4, s[0:3], 0 offen
	buffer_load_dword v2, v4, s[0:3], 0 offen offset:4
	buffer_load_dword v3, v4, s[0:3], 0 offen offset:8
	;; [unrolled: 1-line block ×3, first 2 shown]
	s_waitcnt vmcnt(0)
	ds_write_b128 v6, v[1:4]
	s_waitcnt lgkmcnt(0)
	s_waitcnt_vscnt null, 0x0
	s_barrier
	buffer_gl0_inv
	v_cmpx_gt_u32_e32 3, v0
	s_cbranch_execz .LBB36_311
; %bb.304:
	ds_read_b128 v[1:4], v6
	v_cmp_ne_u32_e32 vcc_lo, 1, v7
	s_cbranch_vccnz .LBB36_306
; %bb.305:
	s_clause 0x3
	buffer_load_dword v8, v5, s[0:3], 0 offen offset:8
	buffer_load_dword v9, v5, s[0:3], 0 offen offset:12
	buffer_load_dword v10, v5, s[0:3], 0 offen
	buffer_load_dword v11, v5, s[0:3], 0 offen offset:4
	s_waitcnt vmcnt(2) lgkmcnt(0)
	v_mul_f64 v[12:13], v[3:4], v[8:9]
	v_mul_f64 v[8:9], v[1:2], v[8:9]
	s_waitcnt vmcnt(0)
	v_fma_f64 v[1:2], v[1:2], v[10:11], -v[12:13]
	v_fma_f64 v[3:4], v[3:4], v[10:11], v[8:9]
.LBB36_306:
	s_mov_b32 s44, exec_lo
	v_cmpx_ne_u32_e32 2, v0
	s_cbranch_execz .LBB36_310
; %bb.307:
	s_clause 0x3
	buffer_load_dword v12, v5, s[0:3], 0 offen offset:24
	buffer_load_dword v13, v5, s[0:3], 0 offen offset:28
	;; [unrolled: 1-line block ×4, first 2 shown]
	ds_read_b128 v[8:11], v6 offset:16
	s_waitcnt vmcnt(2) lgkmcnt(0)
	v_mul_f64 v[16:17], v[10:11], v[12:13]
	v_mul_f64 v[12:13], v[8:9], v[12:13]
	s_waitcnt vmcnt(0)
	v_fma_f64 v[8:9], v[8:9], v[14:15], -v[16:17]
	v_fma_f64 v[10:11], v[10:11], v[14:15], v[12:13]
	v_add_f64 v[1:2], v[1:2], v[8:9]
	v_add_f64 v[3:4], v[3:4], v[10:11]
	s_and_saveexec_b32 s45, s4
	s_cbranch_execz .LBB36_309
; %bb.308:
	s_clause 0x3
	buffer_load_dword v12, off, s[0:3], 0 offset:40
	buffer_load_dword v13, off, s[0:3], 0 offset:44
	buffer_load_dword v14, off, s[0:3], 0 offset:32
	buffer_load_dword v15, off, s[0:3], 0 offset:36
	v_mov_b32_e32 v8, 0
	ds_read_b128 v[8:11], v8 offset:624
	s_waitcnt vmcnt(2) lgkmcnt(0)
	v_mul_f64 v[16:17], v[8:9], v[12:13]
	v_mul_f64 v[12:13], v[10:11], v[12:13]
	s_waitcnt vmcnt(0)
	v_fma_f64 v[10:11], v[10:11], v[14:15], v[16:17]
	v_fma_f64 v[8:9], v[8:9], v[14:15], -v[12:13]
	v_add_f64 v[3:4], v[3:4], v[10:11]
	v_add_f64 v[1:2], v[1:2], v[8:9]
.LBB36_309:
	s_or_b32 exec_lo, exec_lo, s45
.LBB36_310:
	s_or_b32 exec_lo, exec_lo, s44
	v_mov_b32_e32 v8, 0
	ds_read_b128 v[8:11], v8 offset:48
	s_waitcnt lgkmcnt(0)
	v_mul_f64 v[12:13], v[3:4], v[10:11]
	v_mul_f64 v[10:11], v[1:2], v[10:11]
	v_fma_f64 v[1:2], v[1:2], v[8:9], -v[12:13]
	v_fma_f64 v[3:4], v[3:4], v[8:9], v[10:11]
	buffer_store_dword v2, off, s[0:3], 0 offset:52
	buffer_store_dword v1, off, s[0:3], 0 offset:48
	;; [unrolled: 1-line block ×4, first 2 shown]
.LBB36_311:
	s_or_b32 exec_lo, exec_lo, s8
	v_mov_b32_e32 v4, s40
	s_mov_b32 s4, exec_lo
	s_clause 0x3
	buffer_load_dword v1, v4, s[0:3], 0 offen
	buffer_load_dword v2, v4, s[0:3], 0 offen offset:4
	buffer_load_dword v3, v4, s[0:3], 0 offen offset:8
	buffer_load_dword v4, v4, s[0:3], 0 offen offset:12
	s_waitcnt vmcnt(0)
	ds_write_b128 v6, v[1:4]
	s_waitcnt lgkmcnt(0)
	s_waitcnt_vscnt null, 0x0
	s_barrier
	buffer_gl0_inv
	v_cmpx_gt_u32_e32 4, v0
	s_cbranch_execz .LBB36_319
; %bb.312:
	ds_read_b128 v[1:4], v6
	v_cmp_ne_u32_e32 vcc_lo, 1, v7
	s_cbranch_vccnz .LBB36_314
; %bb.313:
	s_clause 0x3
	buffer_load_dword v8, v5, s[0:3], 0 offen offset:8
	buffer_load_dword v9, v5, s[0:3], 0 offen offset:12
	buffer_load_dword v10, v5, s[0:3], 0 offen
	buffer_load_dword v11, v5, s[0:3], 0 offen offset:4
	s_waitcnt vmcnt(2) lgkmcnt(0)
	v_mul_f64 v[12:13], v[3:4], v[8:9]
	v_mul_f64 v[8:9], v[1:2], v[8:9]
	s_waitcnt vmcnt(0)
	v_fma_f64 v[1:2], v[1:2], v[10:11], -v[12:13]
	v_fma_f64 v[3:4], v[3:4], v[10:11], v[8:9]
.LBB36_314:
	s_mov_b32 s8, exec_lo
	v_cmpx_ne_u32_e32 3, v0
	s_cbranch_execz .LBB36_318
; %bb.315:
	v_add_nc_u32_e32 v8, 0x260, v103
	v_add3_u32 v9, 0, v103, 16
	v_mov_b32_e32 v10, v0
	s_mov_b32 s44, 0
	.p2align	6
.LBB36_316:                             ; =>This Inner Loop Header: Depth=1
	s_clause 0x3
	buffer_load_dword v15, v9, s[0:3], 0 offen offset:8
	buffer_load_dword v16, v9, s[0:3], 0 offen offset:12
	buffer_load_dword v17, v9, s[0:3], 0 offen
	buffer_load_dword v18, v9, s[0:3], 0 offen offset:4
	ds_read_b128 v[11:14], v8
	v_add_nc_u32_e32 v10, 1, v10
	v_add_nc_u32_e32 v8, 16, v8
	v_add_nc_u32_e32 v9, 16, v9
	v_cmp_lt_u32_e32 vcc_lo, 2, v10
	s_or_b32 s44, vcc_lo, s44
	s_waitcnt vmcnt(2) lgkmcnt(0)
	v_mul_f64 v[19:20], v[13:14], v[15:16]
	v_mul_f64 v[15:16], v[11:12], v[15:16]
	s_waitcnt vmcnt(0)
	v_fma_f64 v[11:12], v[11:12], v[17:18], -v[19:20]
	v_fma_f64 v[13:14], v[13:14], v[17:18], v[15:16]
	v_add_f64 v[1:2], v[1:2], v[11:12]
	v_add_f64 v[3:4], v[3:4], v[13:14]
	s_andn2_b32 exec_lo, exec_lo, s44
	s_cbranch_execnz .LBB36_316
; %bb.317:
	s_or_b32 exec_lo, exec_lo, s44
.LBB36_318:
	s_or_b32 exec_lo, exec_lo, s8
	v_mov_b32_e32 v8, 0
	ds_read_b128 v[8:11], v8 offset:64
	s_waitcnt lgkmcnt(0)
	v_mul_f64 v[12:13], v[3:4], v[10:11]
	v_mul_f64 v[10:11], v[1:2], v[10:11]
	v_fma_f64 v[1:2], v[1:2], v[8:9], -v[12:13]
	v_fma_f64 v[3:4], v[3:4], v[8:9], v[10:11]
	buffer_store_dword v2, off, s[0:3], 0 offset:68
	buffer_store_dword v1, off, s[0:3], 0 offset:64
	;; [unrolled: 1-line block ×4, first 2 shown]
.LBB36_319:
	s_or_b32 exec_lo, exec_lo, s4
	v_mov_b32_e32 v4, s39
	s_mov_b32 s4, exec_lo
	s_clause 0x3
	buffer_load_dword v1, v4, s[0:3], 0 offen
	buffer_load_dword v2, v4, s[0:3], 0 offen offset:4
	buffer_load_dword v3, v4, s[0:3], 0 offen offset:8
	;; [unrolled: 1-line block ×3, first 2 shown]
	s_waitcnt vmcnt(0)
	ds_write_b128 v6, v[1:4]
	s_waitcnt lgkmcnt(0)
	s_waitcnt_vscnt null, 0x0
	s_barrier
	buffer_gl0_inv
	v_cmpx_gt_u32_e32 5, v0
	s_cbranch_execz .LBB36_327
; %bb.320:
	ds_read_b128 v[1:4], v6
	v_cmp_ne_u32_e32 vcc_lo, 1, v7
	s_cbranch_vccnz .LBB36_322
; %bb.321:
	s_clause 0x3
	buffer_load_dword v8, v5, s[0:3], 0 offen offset:8
	buffer_load_dword v9, v5, s[0:3], 0 offen offset:12
	buffer_load_dword v10, v5, s[0:3], 0 offen
	buffer_load_dword v11, v5, s[0:3], 0 offen offset:4
	s_waitcnt vmcnt(2) lgkmcnt(0)
	v_mul_f64 v[12:13], v[3:4], v[8:9]
	v_mul_f64 v[8:9], v[1:2], v[8:9]
	s_waitcnt vmcnt(0)
	v_fma_f64 v[1:2], v[1:2], v[10:11], -v[12:13]
	v_fma_f64 v[3:4], v[3:4], v[10:11], v[8:9]
.LBB36_322:
	s_mov_b32 s8, exec_lo
	v_cmpx_ne_u32_e32 4, v0
	s_cbranch_execz .LBB36_326
; %bb.323:
	v_add_nc_u32_e32 v8, 0x260, v103
	v_add3_u32 v9, 0, v103, 16
	v_mov_b32_e32 v10, v0
	s_mov_b32 s44, 0
	.p2align	6
.LBB36_324:                             ; =>This Inner Loop Header: Depth=1
	s_clause 0x3
	buffer_load_dword v15, v9, s[0:3], 0 offen offset:8
	buffer_load_dword v16, v9, s[0:3], 0 offen offset:12
	buffer_load_dword v17, v9, s[0:3], 0 offen
	buffer_load_dword v18, v9, s[0:3], 0 offen offset:4
	ds_read_b128 v[11:14], v8
	v_add_nc_u32_e32 v10, 1, v10
	v_add_nc_u32_e32 v8, 16, v8
	;; [unrolled: 1-line block ×3, first 2 shown]
	v_cmp_lt_u32_e32 vcc_lo, 3, v10
	s_or_b32 s44, vcc_lo, s44
	s_waitcnt vmcnt(2) lgkmcnt(0)
	v_mul_f64 v[19:20], v[13:14], v[15:16]
	v_mul_f64 v[15:16], v[11:12], v[15:16]
	s_waitcnt vmcnt(0)
	v_fma_f64 v[11:12], v[11:12], v[17:18], -v[19:20]
	v_fma_f64 v[13:14], v[13:14], v[17:18], v[15:16]
	v_add_f64 v[1:2], v[1:2], v[11:12]
	v_add_f64 v[3:4], v[3:4], v[13:14]
	s_andn2_b32 exec_lo, exec_lo, s44
	s_cbranch_execnz .LBB36_324
; %bb.325:
	s_or_b32 exec_lo, exec_lo, s44
.LBB36_326:
	s_or_b32 exec_lo, exec_lo, s8
	v_mov_b32_e32 v8, 0
	ds_read_b128 v[8:11], v8 offset:80
	s_waitcnt lgkmcnt(0)
	v_mul_f64 v[12:13], v[3:4], v[10:11]
	v_mul_f64 v[10:11], v[1:2], v[10:11]
	v_fma_f64 v[1:2], v[1:2], v[8:9], -v[12:13]
	v_fma_f64 v[3:4], v[3:4], v[8:9], v[10:11]
	buffer_store_dword v2, off, s[0:3], 0 offset:84
	buffer_store_dword v1, off, s[0:3], 0 offset:80
	;; [unrolled: 1-line block ×4, first 2 shown]
.LBB36_327:
	s_or_b32 exec_lo, exec_lo, s4
	v_mov_b32_e32 v4, s38
	s_mov_b32 s4, exec_lo
	s_clause 0x3
	buffer_load_dword v1, v4, s[0:3], 0 offen
	buffer_load_dword v2, v4, s[0:3], 0 offen offset:4
	buffer_load_dword v3, v4, s[0:3], 0 offen offset:8
	;; [unrolled: 1-line block ×3, first 2 shown]
	s_waitcnt vmcnt(0)
	ds_write_b128 v6, v[1:4]
	s_waitcnt lgkmcnt(0)
	s_waitcnt_vscnt null, 0x0
	s_barrier
	buffer_gl0_inv
	v_cmpx_gt_u32_e32 6, v0
	s_cbranch_execz .LBB36_335
; %bb.328:
	ds_read_b128 v[1:4], v6
	v_cmp_ne_u32_e32 vcc_lo, 1, v7
	s_cbranch_vccnz .LBB36_330
; %bb.329:
	s_clause 0x3
	buffer_load_dword v8, v5, s[0:3], 0 offen offset:8
	buffer_load_dword v9, v5, s[0:3], 0 offen offset:12
	buffer_load_dword v10, v5, s[0:3], 0 offen
	buffer_load_dword v11, v5, s[0:3], 0 offen offset:4
	s_waitcnt vmcnt(2) lgkmcnt(0)
	v_mul_f64 v[12:13], v[3:4], v[8:9]
	v_mul_f64 v[8:9], v[1:2], v[8:9]
	s_waitcnt vmcnt(0)
	v_fma_f64 v[1:2], v[1:2], v[10:11], -v[12:13]
	v_fma_f64 v[3:4], v[3:4], v[10:11], v[8:9]
.LBB36_330:
	s_mov_b32 s8, exec_lo
	v_cmpx_ne_u32_e32 5, v0
	s_cbranch_execz .LBB36_334
; %bb.331:
	v_add_nc_u32_e32 v8, 0x260, v103
	v_add3_u32 v9, 0, v103, 16
	v_mov_b32_e32 v10, v0
	s_mov_b32 s44, 0
	.p2align	6
.LBB36_332:                             ; =>This Inner Loop Header: Depth=1
	s_clause 0x3
	buffer_load_dword v15, v9, s[0:3], 0 offen offset:8
	buffer_load_dword v16, v9, s[0:3], 0 offen offset:12
	buffer_load_dword v17, v9, s[0:3], 0 offen
	buffer_load_dword v18, v9, s[0:3], 0 offen offset:4
	ds_read_b128 v[11:14], v8
	v_add_nc_u32_e32 v10, 1, v10
	v_add_nc_u32_e32 v8, 16, v8
	;; [unrolled: 1-line block ×3, first 2 shown]
	v_cmp_lt_u32_e32 vcc_lo, 4, v10
	s_or_b32 s44, vcc_lo, s44
	s_waitcnt vmcnt(2) lgkmcnt(0)
	v_mul_f64 v[19:20], v[13:14], v[15:16]
	v_mul_f64 v[15:16], v[11:12], v[15:16]
	s_waitcnt vmcnt(0)
	v_fma_f64 v[11:12], v[11:12], v[17:18], -v[19:20]
	v_fma_f64 v[13:14], v[13:14], v[17:18], v[15:16]
	v_add_f64 v[1:2], v[1:2], v[11:12]
	v_add_f64 v[3:4], v[3:4], v[13:14]
	s_andn2_b32 exec_lo, exec_lo, s44
	s_cbranch_execnz .LBB36_332
; %bb.333:
	s_or_b32 exec_lo, exec_lo, s44
.LBB36_334:
	s_or_b32 exec_lo, exec_lo, s8
	v_mov_b32_e32 v8, 0
	ds_read_b128 v[8:11], v8 offset:96
	s_waitcnt lgkmcnt(0)
	v_mul_f64 v[12:13], v[3:4], v[10:11]
	v_mul_f64 v[10:11], v[1:2], v[10:11]
	v_fma_f64 v[1:2], v[1:2], v[8:9], -v[12:13]
	v_fma_f64 v[3:4], v[3:4], v[8:9], v[10:11]
	buffer_store_dword v2, off, s[0:3], 0 offset:100
	buffer_store_dword v1, off, s[0:3], 0 offset:96
	;; [unrolled: 1-line block ×4, first 2 shown]
.LBB36_335:
	s_or_b32 exec_lo, exec_lo, s4
	v_mov_b32_e32 v4, s37
	s_mov_b32 s4, exec_lo
	s_clause 0x3
	buffer_load_dword v1, v4, s[0:3], 0 offen
	buffer_load_dword v2, v4, s[0:3], 0 offen offset:4
	buffer_load_dword v3, v4, s[0:3], 0 offen offset:8
	;; [unrolled: 1-line block ×3, first 2 shown]
	s_waitcnt vmcnt(0)
	ds_write_b128 v6, v[1:4]
	s_waitcnt lgkmcnt(0)
	s_waitcnt_vscnt null, 0x0
	s_barrier
	buffer_gl0_inv
	v_cmpx_gt_u32_e32 7, v0
	s_cbranch_execz .LBB36_343
; %bb.336:
	ds_read_b128 v[1:4], v6
	v_cmp_ne_u32_e32 vcc_lo, 1, v7
	s_cbranch_vccnz .LBB36_338
; %bb.337:
	s_clause 0x3
	buffer_load_dword v8, v5, s[0:3], 0 offen offset:8
	buffer_load_dword v9, v5, s[0:3], 0 offen offset:12
	buffer_load_dword v10, v5, s[0:3], 0 offen
	buffer_load_dword v11, v5, s[0:3], 0 offen offset:4
	s_waitcnt vmcnt(2) lgkmcnt(0)
	v_mul_f64 v[12:13], v[3:4], v[8:9]
	v_mul_f64 v[8:9], v[1:2], v[8:9]
	s_waitcnt vmcnt(0)
	v_fma_f64 v[1:2], v[1:2], v[10:11], -v[12:13]
	v_fma_f64 v[3:4], v[3:4], v[10:11], v[8:9]
.LBB36_338:
	s_mov_b32 s8, exec_lo
	v_cmpx_ne_u32_e32 6, v0
	s_cbranch_execz .LBB36_342
; %bb.339:
	v_add_nc_u32_e32 v8, 0x260, v103
	v_add3_u32 v9, 0, v103, 16
	v_mov_b32_e32 v10, v0
	s_mov_b32 s44, 0
	.p2align	6
.LBB36_340:                             ; =>This Inner Loop Header: Depth=1
	s_clause 0x3
	buffer_load_dword v15, v9, s[0:3], 0 offen offset:8
	buffer_load_dword v16, v9, s[0:3], 0 offen offset:12
	buffer_load_dword v17, v9, s[0:3], 0 offen
	buffer_load_dword v18, v9, s[0:3], 0 offen offset:4
	ds_read_b128 v[11:14], v8
	v_add_nc_u32_e32 v10, 1, v10
	v_add_nc_u32_e32 v8, 16, v8
	;; [unrolled: 1-line block ×3, first 2 shown]
	v_cmp_lt_u32_e32 vcc_lo, 5, v10
	s_or_b32 s44, vcc_lo, s44
	s_waitcnt vmcnt(2) lgkmcnt(0)
	v_mul_f64 v[19:20], v[13:14], v[15:16]
	v_mul_f64 v[15:16], v[11:12], v[15:16]
	s_waitcnt vmcnt(0)
	v_fma_f64 v[11:12], v[11:12], v[17:18], -v[19:20]
	v_fma_f64 v[13:14], v[13:14], v[17:18], v[15:16]
	v_add_f64 v[1:2], v[1:2], v[11:12]
	v_add_f64 v[3:4], v[3:4], v[13:14]
	s_andn2_b32 exec_lo, exec_lo, s44
	s_cbranch_execnz .LBB36_340
; %bb.341:
	s_or_b32 exec_lo, exec_lo, s44
.LBB36_342:
	s_or_b32 exec_lo, exec_lo, s8
	v_mov_b32_e32 v8, 0
	ds_read_b128 v[8:11], v8 offset:112
	s_waitcnt lgkmcnt(0)
	v_mul_f64 v[12:13], v[3:4], v[10:11]
	v_mul_f64 v[10:11], v[1:2], v[10:11]
	v_fma_f64 v[1:2], v[1:2], v[8:9], -v[12:13]
	v_fma_f64 v[3:4], v[3:4], v[8:9], v[10:11]
	buffer_store_dword v2, off, s[0:3], 0 offset:116
	buffer_store_dword v1, off, s[0:3], 0 offset:112
	;; [unrolled: 1-line block ×4, first 2 shown]
.LBB36_343:
	s_or_b32 exec_lo, exec_lo, s4
	v_mov_b32_e32 v4, s36
	s_mov_b32 s4, exec_lo
	s_clause 0x3
	buffer_load_dword v1, v4, s[0:3], 0 offen
	buffer_load_dword v2, v4, s[0:3], 0 offen offset:4
	buffer_load_dword v3, v4, s[0:3], 0 offen offset:8
	;; [unrolled: 1-line block ×3, first 2 shown]
	s_waitcnt vmcnt(0)
	ds_write_b128 v6, v[1:4]
	s_waitcnt lgkmcnt(0)
	s_waitcnt_vscnt null, 0x0
	s_barrier
	buffer_gl0_inv
	v_cmpx_gt_u32_e32 8, v0
	s_cbranch_execz .LBB36_351
; %bb.344:
	ds_read_b128 v[1:4], v6
	v_cmp_ne_u32_e32 vcc_lo, 1, v7
	s_cbranch_vccnz .LBB36_346
; %bb.345:
	s_clause 0x3
	buffer_load_dword v8, v5, s[0:3], 0 offen offset:8
	buffer_load_dword v9, v5, s[0:3], 0 offen offset:12
	buffer_load_dword v10, v5, s[0:3], 0 offen
	buffer_load_dword v11, v5, s[0:3], 0 offen offset:4
	s_waitcnt vmcnt(2) lgkmcnt(0)
	v_mul_f64 v[12:13], v[3:4], v[8:9]
	v_mul_f64 v[8:9], v[1:2], v[8:9]
	s_waitcnt vmcnt(0)
	v_fma_f64 v[1:2], v[1:2], v[10:11], -v[12:13]
	v_fma_f64 v[3:4], v[3:4], v[10:11], v[8:9]
.LBB36_346:
	s_mov_b32 s8, exec_lo
	v_cmpx_ne_u32_e32 7, v0
	s_cbranch_execz .LBB36_350
; %bb.347:
	v_add_nc_u32_e32 v8, 0x260, v103
	v_add3_u32 v9, 0, v103, 16
	v_mov_b32_e32 v10, v0
	s_mov_b32 s44, 0
	.p2align	6
.LBB36_348:                             ; =>This Inner Loop Header: Depth=1
	s_clause 0x3
	buffer_load_dword v15, v9, s[0:3], 0 offen offset:8
	buffer_load_dword v16, v9, s[0:3], 0 offen offset:12
	buffer_load_dword v17, v9, s[0:3], 0 offen
	buffer_load_dword v18, v9, s[0:3], 0 offen offset:4
	ds_read_b128 v[11:14], v8
	v_add_nc_u32_e32 v10, 1, v10
	v_add_nc_u32_e32 v8, 16, v8
	;; [unrolled: 1-line block ×3, first 2 shown]
	v_cmp_lt_u32_e32 vcc_lo, 6, v10
	s_or_b32 s44, vcc_lo, s44
	s_waitcnt vmcnt(2) lgkmcnt(0)
	v_mul_f64 v[19:20], v[13:14], v[15:16]
	v_mul_f64 v[15:16], v[11:12], v[15:16]
	s_waitcnt vmcnt(0)
	v_fma_f64 v[11:12], v[11:12], v[17:18], -v[19:20]
	v_fma_f64 v[13:14], v[13:14], v[17:18], v[15:16]
	v_add_f64 v[1:2], v[1:2], v[11:12]
	v_add_f64 v[3:4], v[3:4], v[13:14]
	s_andn2_b32 exec_lo, exec_lo, s44
	s_cbranch_execnz .LBB36_348
; %bb.349:
	s_or_b32 exec_lo, exec_lo, s44
.LBB36_350:
	s_or_b32 exec_lo, exec_lo, s8
	v_mov_b32_e32 v8, 0
	ds_read_b128 v[8:11], v8 offset:128
	s_waitcnt lgkmcnt(0)
	v_mul_f64 v[12:13], v[3:4], v[10:11]
	v_mul_f64 v[10:11], v[1:2], v[10:11]
	v_fma_f64 v[1:2], v[1:2], v[8:9], -v[12:13]
	v_fma_f64 v[3:4], v[3:4], v[8:9], v[10:11]
	buffer_store_dword v2, off, s[0:3], 0 offset:132
	buffer_store_dword v1, off, s[0:3], 0 offset:128
	;; [unrolled: 1-line block ×4, first 2 shown]
.LBB36_351:
	s_or_b32 exec_lo, exec_lo, s4
	v_mov_b32_e32 v4, s35
	s_mov_b32 s4, exec_lo
	s_clause 0x3
	buffer_load_dword v1, v4, s[0:3], 0 offen
	buffer_load_dword v2, v4, s[0:3], 0 offen offset:4
	buffer_load_dword v3, v4, s[0:3], 0 offen offset:8
	;; [unrolled: 1-line block ×3, first 2 shown]
	s_waitcnt vmcnt(0)
	ds_write_b128 v6, v[1:4]
	s_waitcnt lgkmcnt(0)
	s_waitcnt_vscnt null, 0x0
	s_barrier
	buffer_gl0_inv
	v_cmpx_gt_u32_e32 9, v0
	s_cbranch_execz .LBB36_359
; %bb.352:
	ds_read_b128 v[1:4], v6
	v_cmp_ne_u32_e32 vcc_lo, 1, v7
	s_cbranch_vccnz .LBB36_354
; %bb.353:
	s_clause 0x3
	buffer_load_dword v8, v5, s[0:3], 0 offen offset:8
	buffer_load_dword v9, v5, s[0:3], 0 offen offset:12
	buffer_load_dword v10, v5, s[0:3], 0 offen
	buffer_load_dword v11, v5, s[0:3], 0 offen offset:4
	s_waitcnt vmcnt(2) lgkmcnt(0)
	v_mul_f64 v[12:13], v[3:4], v[8:9]
	v_mul_f64 v[8:9], v[1:2], v[8:9]
	s_waitcnt vmcnt(0)
	v_fma_f64 v[1:2], v[1:2], v[10:11], -v[12:13]
	v_fma_f64 v[3:4], v[3:4], v[10:11], v[8:9]
.LBB36_354:
	s_mov_b32 s8, exec_lo
	v_cmpx_ne_u32_e32 8, v0
	s_cbranch_execz .LBB36_358
; %bb.355:
	v_add_nc_u32_e32 v8, 0x260, v103
	v_add3_u32 v9, 0, v103, 16
	v_mov_b32_e32 v10, v0
	s_mov_b32 s44, 0
	.p2align	6
.LBB36_356:                             ; =>This Inner Loop Header: Depth=1
	s_clause 0x3
	buffer_load_dword v15, v9, s[0:3], 0 offen offset:8
	buffer_load_dword v16, v9, s[0:3], 0 offen offset:12
	buffer_load_dword v17, v9, s[0:3], 0 offen
	buffer_load_dword v18, v9, s[0:3], 0 offen offset:4
	ds_read_b128 v[11:14], v8
	v_add_nc_u32_e32 v10, 1, v10
	v_add_nc_u32_e32 v8, 16, v8
	;; [unrolled: 1-line block ×3, first 2 shown]
	v_cmp_lt_u32_e32 vcc_lo, 7, v10
	s_or_b32 s44, vcc_lo, s44
	s_waitcnt vmcnt(2) lgkmcnt(0)
	v_mul_f64 v[19:20], v[13:14], v[15:16]
	v_mul_f64 v[15:16], v[11:12], v[15:16]
	s_waitcnt vmcnt(0)
	v_fma_f64 v[11:12], v[11:12], v[17:18], -v[19:20]
	v_fma_f64 v[13:14], v[13:14], v[17:18], v[15:16]
	v_add_f64 v[1:2], v[1:2], v[11:12]
	v_add_f64 v[3:4], v[3:4], v[13:14]
	s_andn2_b32 exec_lo, exec_lo, s44
	s_cbranch_execnz .LBB36_356
; %bb.357:
	s_or_b32 exec_lo, exec_lo, s44
.LBB36_358:
	s_or_b32 exec_lo, exec_lo, s8
	v_mov_b32_e32 v8, 0
	ds_read_b128 v[8:11], v8 offset:144
	s_waitcnt lgkmcnt(0)
	v_mul_f64 v[12:13], v[3:4], v[10:11]
	v_mul_f64 v[10:11], v[1:2], v[10:11]
	v_fma_f64 v[1:2], v[1:2], v[8:9], -v[12:13]
	v_fma_f64 v[3:4], v[3:4], v[8:9], v[10:11]
	buffer_store_dword v2, off, s[0:3], 0 offset:148
	buffer_store_dword v1, off, s[0:3], 0 offset:144
	;; [unrolled: 1-line block ×4, first 2 shown]
.LBB36_359:
	s_or_b32 exec_lo, exec_lo, s4
	v_mov_b32_e32 v4, s34
	s_mov_b32 s4, exec_lo
	s_clause 0x3
	buffer_load_dword v1, v4, s[0:3], 0 offen
	buffer_load_dword v2, v4, s[0:3], 0 offen offset:4
	buffer_load_dword v3, v4, s[0:3], 0 offen offset:8
	;; [unrolled: 1-line block ×3, first 2 shown]
	s_waitcnt vmcnt(0)
	ds_write_b128 v6, v[1:4]
	s_waitcnt lgkmcnt(0)
	s_waitcnt_vscnt null, 0x0
	s_barrier
	buffer_gl0_inv
	v_cmpx_gt_u32_e32 10, v0
	s_cbranch_execz .LBB36_367
; %bb.360:
	ds_read_b128 v[1:4], v6
	v_cmp_ne_u32_e32 vcc_lo, 1, v7
	s_cbranch_vccnz .LBB36_362
; %bb.361:
	s_clause 0x3
	buffer_load_dword v8, v5, s[0:3], 0 offen offset:8
	buffer_load_dword v9, v5, s[0:3], 0 offen offset:12
	buffer_load_dword v10, v5, s[0:3], 0 offen
	buffer_load_dword v11, v5, s[0:3], 0 offen offset:4
	s_waitcnt vmcnt(2) lgkmcnt(0)
	v_mul_f64 v[12:13], v[3:4], v[8:9]
	v_mul_f64 v[8:9], v[1:2], v[8:9]
	s_waitcnt vmcnt(0)
	v_fma_f64 v[1:2], v[1:2], v[10:11], -v[12:13]
	v_fma_f64 v[3:4], v[3:4], v[10:11], v[8:9]
.LBB36_362:
	s_mov_b32 s8, exec_lo
	v_cmpx_ne_u32_e32 9, v0
	s_cbranch_execz .LBB36_366
; %bb.363:
	v_add_nc_u32_e32 v8, 0x260, v103
	v_add3_u32 v9, 0, v103, 16
	v_mov_b32_e32 v10, v0
	s_mov_b32 s44, 0
	.p2align	6
.LBB36_364:                             ; =>This Inner Loop Header: Depth=1
	s_clause 0x3
	buffer_load_dword v15, v9, s[0:3], 0 offen offset:8
	buffer_load_dword v16, v9, s[0:3], 0 offen offset:12
	buffer_load_dword v17, v9, s[0:3], 0 offen
	buffer_load_dword v18, v9, s[0:3], 0 offen offset:4
	ds_read_b128 v[11:14], v8
	v_add_nc_u32_e32 v10, 1, v10
	v_add_nc_u32_e32 v8, 16, v8
	;; [unrolled: 1-line block ×3, first 2 shown]
	v_cmp_lt_u32_e32 vcc_lo, 8, v10
	s_or_b32 s44, vcc_lo, s44
	s_waitcnt vmcnt(2) lgkmcnt(0)
	v_mul_f64 v[19:20], v[13:14], v[15:16]
	v_mul_f64 v[15:16], v[11:12], v[15:16]
	s_waitcnt vmcnt(0)
	v_fma_f64 v[11:12], v[11:12], v[17:18], -v[19:20]
	v_fma_f64 v[13:14], v[13:14], v[17:18], v[15:16]
	v_add_f64 v[1:2], v[1:2], v[11:12]
	v_add_f64 v[3:4], v[3:4], v[13:14]
	s_andn2_b32 exec_lo, exec_lo, s44
	s_cbranch_execnz .LBB36_364
; %bb.365:
	s_or_b32 exec_lo, exec_lo, s44
.LBB36_366:
	s_or_b32 exec_lo, exec_lo, s8
	v_mov_b32_e32 v8, 0
	ds_read_b128 v[8:11], v8 offset:160
	s_waitcnt lgkmcnt(0)
	v_mul_f64 v[12:13], v[3:4], v[10:11]
	v_mul_f64 v[10:11], v[1:2], v[10:11]
	v_fma_f64 v[1:2], v[1:2], v[8:9], -v[12:13]
	v_fma_f64 v[3:4], v[3:4], v[8:9], v[10:11]
	buffer_store_dword v2, off, s[0:3], 0 offset:164
	buffer_store_dword v1, off, s[0:3], 0 offset:160
	;; [unrolled: 1-line block ×4, first 2 shown]
.LBB36_367:
	s_or_b32 exec_lo, exec_lo, s4
	v_mov_b32_e32 v4, s33
	s_mov_b32 s4, exec_lo
	s_clause 0x3
	buffer_load_dword v1, v4, s[0:3], 0 offen
	buffer_load_dword v2, v4, s[0:3], 0 offen offset:4
	buffer_load_dword v3, v4, s[0:3], 0 offen offset:8
	;; [unrolled: 1-line block ×3, first 2 shown]
	s_waitcnt vmcnt(0)
	ds_write_b128 v6, v[1:4]
	s_waitcnt lgkmcnt(0)
	s_waitcnt_vscnt null, 0x0
	s_barrier
	buffer_gl0_inv
	v_cmpx_gt_u32_e32 11, v0
	s_cbranch_execz .LBB36_375
; %bb.368:
	ds_read_b128 v[1:4], v6
	v_cmp_ne_u32_e32 vcc_lo, 1, v7
	s_cbranch_vccnz .LBB36_370
; %bb.369:
	s_clause 0x3
	buffer_load_dword v8, v5, s[0:3], 0 offen offset:8
	buffer_load_dword v9, v5, s[0:3], 0 offen offset:12
	buffer_load_dword v10, v5, s[0:3], 0 offen
	buffer_load_dword v11, v5, s[0:3], 0 offen offset:4
	s_waitcnt vmcnt(2) lgkmcnt(0)
	v_mul_f64 v[12:13], v[3:4], v[8:9]
	v_mul_f64 v[8:9], v[1:2], v[8:9]
	s_waitcnt vmcnt(0)
	v_fma_f64 v[1:2], v[1:2], v[10:11], -v[12:13]
	v_fma_f64 v[3:4], v[3:4], v[10:11], v[8:9]
.LBB36_370:
	s_mov_b32 s8, exec_lo
	v_cmpx_ne_u32_e32 10, v0
	s_cbranch_execz .LBB36_374
; %bb.371:
	v_add_nc_u32_e32 v8, 0x260, v103
	v_add3_u32 v9, 0, v103, 16
	v_mov_b32_e32 v10, v0
	s_mov_b32 s44, 0
	.p2align	6
.LBB36_372:                             ; =>This Inner Loop Header: Depth=1
	s_clause 0x3
	buffer_load_dword v15, v9, s[0:3], 0 offen offset:8
	buffer_load_dword v16, v9, s[0:3], 0 offen offset:12
	buffer_load_dword v17, v9, s[0:3], 0 offen
	buffer_load_dword v18, v9, s[0:3], 0 offen offset:4
	ds_read_b128 v[11:14], v8
	v_add_nc_u32_e32 v10, 1, v10
	v_add_nc_u32_e32 v8, 16, v8
	;; [unrolled: 1-line block ×3, first 2 shown]
	v_cmp_lt_u32_e32 vcc_lo, 9, v10
	s_or_b32 s44, vcc_lo, s44
	s_waitcnt vmcnt(2) lgkmcnt(0)
	v_mul_f64 v[19:20], v[13:14], v[15:16]
	v_mul_f64 v[15:16], v[11:12], v[15:16]
	s_waitcnt vmcnt(0)
	v_fma_f64 v[11:12], v[11:12], v[17:18], -v[19:20]
	v_fma_f64 v[13:14], v[13:14], v[17:18], v[15:16]
	v_add_f64 v[1:2], v[1:2], v[11:12]
	v_add_f64 v[3:4], v[3:4], v[13:14]
	s_andn2_b32 exec_lo, exec_lo, s44
	s_cbranch_execnz .LBB36_372
; %bb.373:
	s_or_b32 exec_lo, exec_lo, s44
.LBB36_374:
	s_or_b32 exec_lo, exec_lo, s8
	v_mov_b32_e32 v8, 0
	ds_read_b128 v[8:11], v8 offset:176
	s_waitcnt lgkmcnt(0)
	v_mul_f64 v[12:13], v[3:4], v[10:11]
	v_mul_f64 v[10:11], v[1:2], v[10:11]
	v_fma_f64 v[1:2], v[1:2], v[8:9], -v[12:13]
	v_fma_f64 v[3:4], v[3:4], v[8:9], v[10:11]
	buffer_store_dword v2, off, s[0:3], 0 offset:180
	buffer_store_dword v1, off, s[0:3], 0 offset:176
	buffer_store_dword v4, off, s[0:3], 0 offset:188
	buffer_store_dword v3, off, s[0:3], 0 offset:184
.LBB36_375:
	s_or_b32 exec_lo, exec_lo, s4
	v_mov_b32_e32 v4, s31
	s_mov_b32 s4, exec_lo
	s_clause 0x3
	buffer_load_dword v1, v4, s[0:3], 0 offen
	buffer_load_dword v2, v4, s[0:3], 0 offen offset:4
	buffer_load_dword v3, v4, s[0:3], 0 offen offset:8
	;; [unrolled: 1-line block ×3, first 2 shown]
	s_waitcnt vmcnt(0)
	ds_write_b128 v6, v[1:4]
	s_waitcnt lgkmcnt(0)
	s_waitcnt_vscnt null, 0x0
	s_barrier
	buffer_gl0_inv
	v_cmpx_gt_u32_e32 12, v0
	s_cbranch_execz .LBB36_383
; %bb.376:
	ds_read_b128 v[1:4], v6
	v_cmp_ne_u32_e32 vcc_lo, 1, v7
	s_cbranch_vccnz .LBB36_378
; %bb.377:
	s_clause 0x3
	buffer_load_dword v8, v5, s[0:3], 0 offen offset:8
	buffer_load_dword v9, v5, s[0:3], 0 offen offset:12
	buffer_load_dword v10, v5, s[0:3], 0 offen
	buffer_load_dword v11, v5, s[0:3], 0 offen offset:4
	s_waitcnt vmcnt(2) lgkmcnt(0)
	v_mul_f64 v[12:13], v[3:4], v[8:9]
	v_mul_f64 v[8:9], v[1:2], v[8:9]
	s_waitcnt vmcnt(0)
	v_fma_f64 v[1:2], v[1:2], v[10:11], -v[12:13]
	v_fma_f64 v[3:4], v[3:4], v[10:11], v[8:9]
.LBB36_378:
	s_mov_b32 s8, exec_lo
	v_cmpx_ne_u32_e32 11, v0
	s_cbranch_execz .LBB36_382
; %bb.379:
	v_add_nc_u32_e32 v8, 0x260, v103
	v_add3_u32 v9, 0, v103, 16
	v_mov_b32_e32 v10, v0
	s_mov_b32 s44, 0
	.p2align	6
.LBB36_380:                             ; =>This Inner Loop Header: Depth=1
	s_clause 0x3
	buffer_load_dword v15, v9, s[0:3], 0 offen offset:8
	buffer_load_dword v16, v9, s[0:3], 0 offen offset:12
	buffer_load_dword v17, v9, s[0:3], 0 offen
	buffer_load_dword v18, v9, s[0:3], 0 offen offset:4
	ds_read_b128 v[11:14], v8
	v_add_nc_u32_e32 v10, 1, v10
	v_add_nc_u32_e32 v8, 16, v8
	;; [unrolled: 1-line block ×3, first 2 shown]
	v_cmp_lt_u32_e32 vcc_lo, 10, v10
	s_or_b32 s44, vcc_lo, s44
	s_waitcnt vmcnt(2) lgkmcnt(0)
	v_mul_f64 v[19:20], v[13:14], v[15:16]
	v_mul_f64 v[15:16], v[11:12], v[15:16]
	s_waitcnt vmcnt(0)
	v_fma_f64 v[11:12], v[11:12], v[17:18], -v[19:20]
	v_fma_f64 v[13:14], v[13:14], v[17:18], v[15:16]
	v_add_f64 v[1:2], v[1:2], v[11:12]
	v_add_f64 v[3:4], v[3:4], v[13:14]
	s_andn2_b32 exec_lo, exec_lo, s44
	s_cbranch_execnz .LBB36_380
; %bb.381:
	s_or_b32 exec_lo, exec_lo, s44
.LBB36_382:
	s_or_b32 exec_lo, exec_lo, s8
	v_mov_b32_e32 v8, 0
	ds_read_b128 v[8:11], v8 offset:192
	s_waitcnt lgkmcnt(0)
	v_mul_f64 v[12:13], v[3:4], v[10:11]
	v_mul_f64 v[10:11], v[1:2], v[10:11]
	v_fma_f64 v[1:2], v[1:2], v[8:9], -v[12:13]
	v_fma_f64 v[3:4], v[3:4], v[8:9], v[10:11]
	buffer_store_dword v2, off, s[0:3], 0 offset:196
	buffer_store_dword v1, off, s[0:3], 0 offset:192
	;; [unrolled: 1-line block ×4, first 2 shown]
.LBB36_383:
	s_or_b32 exec_lo, exec_lo, s4
	v_mov_b32_e32 v4, s30
	s_mov_b32 s4, exec_lo
	s_clause 0x3
	buffer_load_dword v1, v4, s[0:3], 0 offen
	buffer_load_dword v2, v4, s[0:3], 0 offen offset:4
	buffer_load_dword v3, v4, s[0:3], 0 offen offset:8
	;; [unrolled: 1-line block ×3, first 2 shown]
	s_waitcnt vmcnt(0)
	ds_write_b128 v6, v[1:4]
	s_waitcnt lgkmcnt(0)
	s_waitcnt_vscnt null, 0x0
	s_barrier
	buffer_gl0_inv
	v_cmpx_gt_u32_e32 13, v0
	s_cbranch_execz .LBB36_391
; %bb.384:
	ds_read_b128 v[1:4], v6
	v_cmp_ne_u32_e32 vcc_lo, 1, v7
	s_cbranch_vccnz .LBB36_386
; %bb.385:
	s_clause 0x3
	buffer_load_dword v8, v5, s[0:3], 0 offen offset:8
	buffer_load_dword v9, v5, s[0:3], 0 offen offset:12
	buffer_load_dword v10, v5, s[0:3], 0 offen
	buffer_load_dword v11, v5, s[0:3], 0 offen offset:4
	s_waitcnt vmcnt(2) lgkmcnt(0)
	v_mul_f64 v[12:13], v[3:4], v[8:9]
	v_mul_f64 v[8:9], v[1:2], v[8:9]
	s_waitcnt vmcnt(0)
	v_fma_f64 v[1:2], v[1:2], v[10:11], -v[12:13]
	v_fma_f64 v[3:4], v[3:4], v[10:11], v[8:9]
.LBB36_386:
	s_mov_b32 s8, exec_lo
	v_cmpx_ne_u32_e32 12, v0
	s_cbranch_execz .LBB36_390
; %bb.387:
	v_add_nc_u32_e32 v8, 0x260, v103
	v_add3_u32 v9, 0, v103, 16
	v_mov_b32_e32 v10, v0
	s_mov_b32 s44, 0
	.p2align	6
.LBB36_388:                             ; =>This Inner Loop Header: Depth=1
	s_clause 0x3
	buffer_load_dword v15, v9, s[0:3], 0 offen offset:8
	buffer_load_dword v16, v9, s[0:3], 0 offen offset:12
	buffer_load_dword v17, v9, s[0:3], 0 offen
	buffer_load_dword v18, v9, s[0:3], 0 offen offset:4
	ds_read_b128 v[11:14], v8
	v_add_nc_u32_e32 v10, 1, v10
	v_add_nc_u32_e32 v8, 16, v8
	;; [unrolled: 1-line block ×3, first 2 shown]
	v_cmp_lt_u32_e32 vcc_lo, 11, v10
	s_or_b32 s44, vcc_lo, s44
	s_waitcnt vmcnt(2) lgkmcnt(0)
	v_mul_f64 v[19:20], v[13:14], v[15:16]
	v_mul_f64 v[15:16], v[11:12], v[15:16]
	s_waitcnt vmcnt(0)
	v_fma_f64 v[11:12], v[11:12], v[17:18], -v[19:20]
	v_fma_f64 v[13:14], v[13:14], v[17:18], v[15:16]
	v_add_f64 v[1:2], v[1:2], v[11:12]
	v_add_f64 v[3:4], v[3:4], v[13:14]
	s_andn2_b32 exec_lo, exec_lo, s44
	s_cbranch_execnz .LBB36_388
; %bb.389:
	s_or_b32 exec_lo, exec_lo, s44
.LBB36_390:
	s_or_b32 exec_lo, exec_lo, s8
	v_mov_b32_e32 v8, 0
	ds_read_b128 v[8:11], v8 offset:208
	s_waitcnt lgkmcnt(0)
	v_mul_f64 v[12:13], v[3:4], v[10:11]
	v_mul_f64 v[10:11], v[1:2], v[10:11]
	v_fma_f64 v[1:2], v[1:2], v[8:9], -v[12:13]
	v_fma_f64 v[3:4], v[3:4], v[8:9], v[10:11]
	buffer_store_dword v2, off, s[0:3], 0 offset:212
	buffer_store_dword v1, off, s[0:3], 0 offset:208
	;; [unrolled: 1-line block ×4, first 2 shown]
.LBB36_391:
	s_or_b32 exec_lo, exec_lo, s4
	v_mov_b32_e32 v4, s29
	s_mov_b32 s4, exec_lo
	s_clause 0x3
	buffer_load_dword v1, v4, s[0:3], 0 offen
	buffer_load_dword v2, v4, s[0:3], 0 offen offset:4
	buffer_load_dword v3, v4, s[0:3], 0 offen offset:8
	;; [unrolled: 1-line block ×3, first 2 shown]
	s_waitcnt vmcnt(0)
	ds_write_b128 v6, v[1:4]
	s_waitcnt lgkmcnt(0)
	s_waitcnt_vscnt null, 0x0
	s_barrier
	buffer_gl0_inv
	v_cmpx_gt_u32_e32 14, v0
	s_cbranch_execz .LBB36_399
; %bb.392:
	ds_read_b128 v[1:4], v6
	v_cmp_ne_u32_e32 vcc_lo, 1, v7
	s_cbranch_vccnz .LBB36_394
; %bb.393:
	s_clause 0x3
	buffer_load_dword v8, v5, s[0:3], 0 offen offset:8
	buffer_load_dword v9, v5, s[0:3], 0 offen offset:12
	buffer_load_dword v10, v5, s[0:3], 0 offen
	buffer_load_dword v11, v5, s[0:3], 0 offen offset:4
	s_waitcnt vmcnt(2) lgkmcnt(0)
	v_mul_f64 v[12:13], v[3:4], v[8:9]
	v_mul_f64 v[8:9], v[1:2], v[8:9]
	s_waitcnt vmcnt(0)
	v_fma_f64 v[1:2], v[1:2], v[10:11], -v[12:13]
	v_fma_f64 v[3:4], v[3:4], v[10:11], v[8:9]
.LBB36_394:
	s_mov_b32 s8, exec_lo
	v_cmpx_ne_u32_e32 13, v0
	s_cbranch_execz .LBB36_398
; %bb.395:
	v_add_nc_u32_e32 v8, 0x260, v103
	v_add3_u32 v9, 0, v103, 16
	v_mov_b32_e32 v10, v0
	s_mov_b32 s44, 0
	.p2align	6
.LBB36_396:                             ; =>This Inner Loop Header: Depth=1
	s_clause 0x3
	buffer_load_dword v15, v9, s[0:3], 0 offen offset:8
	buffer_load_dword v16, v9, s[0:3], 0 offen offset:12
	buffer_load_dword v17, v9, s[0:3], 0 offen
	buffer_load_dword v18, v9, s[0:3], 0 offen offset:4
	ds_read_b128 v[11:14], v8
	v_add_nc_u32_e32 v10, 1, v10
	v_add_nc_u32_e32 v8, 16, v8
	v_add_nc_u32_e32 v9, 16, v9
	v_cmp_lt_u32_e32 vcc_lo, 12, v10
	s_or_b32 s44, vcc_lo, s44
	s_waitcnt vmcnt(2) lgkmcnt(0)
	v_mul_f64 v[19:20], v[13:14], v[15:16]
	v_mul_f64 v[15:16], v[11:12], v[15:16]
	s_waitcnt vmcnt(0)
	v_fma_f64 v[11:12], v[11:12], v[17:18], -v[19:20]
	v_fma_f64 v[13:14], v[13:14], v[17:18], v[15:16]
	v_add_f64 v[1:2], v[1:2], v[11:12]
	v_add_f64 v[3:4], v[3:4], v[13:14]
	s_andn2_b32 exec_lo, exec_lo, s44
	s_cbranch_execnz .LBB36_396
; %bb.397:
	s_or_b32 exec_lo, exec_lo, s44
.LBB36_398:
	s_or_b32 exec_lo, exec_lo, s8
	v_mov_b32_e32 v8, 0
	ds_read_b128 v[8:11], v8 offset:224
	s_waitcnt lgkmcnt(0)
	v_mul_f64 v[12:13], v[3:4], v[10:11]
	v_mul_f64 v[10:11], v[1:2], v[10:11]
	v_fma_f64 v[1:2], v[1:2], v[8:9], -v[12:13]
	v_fma_f64 v[3:4], v[3:4], v[8:9], v[10:11]
	buffer_store_dword v2, off, s[0:3], 0 offset:228
	buffer_store_dword v1, off, s[0:3], 0 offset:224
	buffer_store_dword v4, off, s[0:3], 0 offset:236
	buffer_store_dword v3, off, s[0:3], 0 offset:232
.LBB36_399:
	s_or_b32 exec_lo, exec_lo, s4
	v_mov_b32_e32 v4, s28
	s_mov_b32 s4, exec_lo
	s_clause 0x3
	buffer_load_dword v1, v4, s[0:3], 0 offen
	buffer_load_dword v2, v4, s[0:3], 0 offen offset:4
	buffer_load_dword v3, v4, s[0:3], 0 offen offset:8
	;; [unrolled: 1-line block ×3, first 2 shown]
	s_waitcnt vmcnt(0)
	ds_write_b128 v6, v[1:4]
	s_waitcnt lgkmcnt(0)
	s_waitcnt_vscnt null, 0x0
	s_barrier
	buffer_gl0_inv
	v_cmpx_gt_u32_e32 15, v0
	s_cbranch_execz .LBB36_407
; %bb.400:
	ds_read_b128 v[1:4], v6
	v_cmp_ne_u32_e32 vcc_lo, 1, v7
	s_cbranch_vccnz .LBB36_402
; %bb.401:
	s_clause 0x3
	buffer_load_dword v8, v5, s[0:3], 0 offen offset:8
	buffer_load_dword v9, v5, s[0:3], 0 offen offset:12
	buffer_load_dword v10, v5, s[0:3], 0 offen
	buffer_load_dword v11, v5, s[0:3], 0 offen offset:4
	s_waitcnt vmcnt(2) lgkmcnt(0)
	v_mul_f64 v[12:13], v[3:4], v[8:9]
	v_mul_f64 v[8:9], v[1:2], v[8:9]
	s_waitcnt vmcnt(0)
	v_fma_f64 v[1:2], v[1:2], v[10:11], -v[12:13]
	v_fma_f64 v[3:4], v[3:4], v[10:11], v[8:9]
.LBB36_402:
	s_mov_b32 s8, exec_lo
	v_cmpx_ne_u32_e32 14, v0
	s_cbranch_execz .LBB36_406
; %bb.403:
	v_add_nc_u32_e32 v8, 0x260, v103
	v_add3_u32 v9, 0, v103, 16
	v_mov_b32_e32 v10, v0
	s_mov_b32 s44, 0
	.p2align	6
.LBB36_404:                             ; =>This Inner Loop Header: Depth=1
	s_clause 0x3
	buffer_load_dword v15, v9, s[0:3], 0 offen offset:8
	buffer_load_dword v16, v9, s[0:3], 0 offen offset:12
	buffer_load_dword v17, v9, s[0:3], 0 offen
	buffer_load_dword v18, v9, s[0:3], 0 offen offset:4
	ds_read_b128 v[11:14], v8
	v_add_nc_u32_e32 v10, 1, v10
	v_add_nc_u32_e32 v8, 16, v8
	;; [unrolled: 1-line block ×3, first 2 shown]
	v_cmp_lt_u32_e32 vcc_lo, 13, v10
	s_or_b32 s44, vcc_lo, s44
	s_waitcnt vmcnt(2) lgkmcnt(0)
	v_mul_f64 v[19:20], v[13:14], v[15:16]
	v_mul_f64 v[15:16], v[11:12], v[15:16]
	s_waitcnt vmcnt(0)
	v_fma_f64 v[11:12], v[11:12], v[17:18], -v[19:20]
	v_fma_f64 v[13:14], v[13:14], v[17:18], v[15:16]
	v_add_f64 v[1:2], v[1:2], v[11:12]
	v_add_f64 v[3:4], v[3:4], v[13:14]
	s_andn2_b32 exec_lo, exec_lo, s44
	s_cbranch_execnz .LBB36_404
; %bb.405:
	s_or_b32 exec_lo, exec_lo, s44
.LBB36_406:
	s_or_b32 exec_lo, exec_lo, s8
	v_mov_b32_e32 v8, 0
	ds_read_b128 v[8:11], v8 offset:240
	s_waitcnt lgkmcnt(0)
	v_mul_f64 v[12:13], v[3:4], v[10:11]
	v_mul_f64 v[10:11], v[1:2], v[10:11]
	v_fma_f64 v[1:2], v[1:2], v[8:9], -v[12:13]
	v_fma_f64 v[3:4], v[3:4], v[8:9], v[10:11]
	buffer_store_dword v2, off, s[0:3], 0 offset:244
	buffer_store_dword v1, off, s[0:3], 0 offset:240
	buffer_store_dword v4, off, s[0:3], 0 offset:252
	buffer_store_dword v3, off, s[0:3], 0 offset:248
.LBB36_407:
	s_or_b32 exec_lo, exec_lo, s4
	v_mov_b32_e32 v4, s27
	s_mov_b32 s4, exec_lo
	s_clause 0x3
	buffer_load_dword v1, v4, s[0:3], 0 offen
	buffer_load_dword v2, v4, s[0:3], 0 offen offset:4
	buffer_load_dword v3, v4, s[0:3], 0 offen offset:8
	;; [unrolled: 1-line block ×3, first 2 shown]
	s_waitcnt vmcnt(0)
	ds_write_b128 v6, v[1:4]
	s_waitcnt lgkmcnt(0)
	s_waitcnt_vscnt null, 0x0
	s_barrier
	buffer_gl0_inv
	v_cmpx_gt_u32_e32 16, v0
	s_cbranch_execz .LBB36_415
; %bb.408:
	ds_read_b128 v[1:4], v6
	v_cmp_ne_u32_e32 vcc_lo, 1, v7
	s_cbranch_vccnz .LBB36_410
; %bb.409:
	s_clause 0x3
	buffer_load_dword v8, v5, s[0:3], 0 offen offset:8
	buffer_load_dword v9, v5, s[0:3], 0 offen offset:12
	buffer_load_dword v10, v5, s[0:3], 0 offen
	buffer_load_dword v11, v5, s[0:3], 0 offen offset:4
	s_waitcnt vmcnt(2) lgkmcnt(0)
	v_mul_f64 v[12:13], v[3:4], v[8:9]
	v_mul_f64 v[8:9], v[1:2], v[8:9]
	s_waitcnt vmcnt(0)
	v_fma_f64 v[1:2], v[1:2], v[10:11], -v[12:13]
	v_fma_f64 v[3:4], v[3:4], v[10:11], v[8:9]
.LBB36_410:
	s_mov_b32 s8, exec_lo
	v_cmpx_ne_u32_e32 15, v0
	s_cbranch_execz .LBB36_414
; %bb.411:
	v_add_nc_u32_e32 v8, 0x260, v103
	v_add3_u32 v9, 0, v103, 16
	v_mov_b32_e32 v10, v0
	s_mov_b32 s44, 0
	.p2align	6
.LBB36_412:                             ; =>This Inner Loop Header: Depth=1
	s_clause 0x3
	buffer_load_dword v15, v9, s[0:3], 0 offen offset:8
	buffer_load_dword v16, v9, s[0:3], 0 offen offset:12
	buffer_load_dword v17, v9, s[0:3], 0 offen
	buffer_load_dword v18, v9, s[0:3], 0 offen offset:4
	ds_read_b128 v[11:14], v8
	v_add_nc_u32_e32 v10, 1, v10
	v_add_nc_u32_e32 v8, 16, v8
	v_add_nc_u32_e32 v9, 16, v9
	v_cmp_lt_u32_e32 vcc_lo, 14, v10
	s_or_b32 s44, vcc_lo, s44
	s_waitcnt vmcnt(2) lgkmcnt(0)
	v_mul_f64 v[19:20], v[13:14], v[15:16]
	v_mul_f64 v[15:16], v[11:12], v[15:16]
	s_waitcnt vmcnt(0)
	v_fma_f64 v[11:12], v[11:12], v[17:18], -v[19:20]
	v_fma_f64 v[13:14], v[13:14], v[17:18], v[15:16]
	v_add_f64 v[1:2], v[1:2], v[11:12]
	v_add_f64 v[3:4], v[3:4], v[13:14]
	s_andn2_b32 exec_lo, exec_lo, s44
	s_cbranch_execnz .LBB36_412
; %bb.413:
	s_or_b32 exec_lo, exec_lo, s44
.LBB36_414:
	s_or_b32 exec_lo, exec_lo, s8
	v_mov_b32_e32 v8, 0
	ds_read_b128 v[8:11], v8 offset:256
	s_waitcnt lgkmcnt(0)
	v_mul_f64 v[12:13], v[3:4], v[10:11]
	v_mul_f64 v[10:11], v[1:2], v[10:11]
	v_fma_f64 v[1:2], v[1:2], v[8:9], -v[12:13]
	v_fma_f64 v[3:4], v[3:4], v[8:9], v[10:11]
	buffer_store_dword v2, off, s[0:3], 0 offset:260
	buffer_store_dword v1, off, s[0:3], 0 offset:256
	buffer_store_dword v4, off, s[0:3], 0 offset:268
	buffer_store_dword v3, off, s[0:3], 0 offset:264
.LBB36_415:
	s_or_b32 exec_lo, exec_lo, s4
	v_mov_b32_e32 v4, s26
	s_mov_b32 s4, exec_lo
	s_clause 0x3
	buffer_load_dword v1, v4, s[0:3], 0 offen
	buffer_load_dword v2, v4, s[0:3], 0 offen offset:4
	buffer_load_dword v3, v4, s[0:3], 0 offen offset:8
	;; [unrolled: 1-line block ×3, first 2 shown]
	s_waitcnt vmcnt(0)
	ds_write_b128 v6, v[1:4]
	s_waitcnt lgkmcnt(0)
	s_waitcnt_vscnt null, 0x0
	s_barrier
	buffer_gl0_inv
	v_cmpx_gt_u32_e32 17, v0
	s_cbranch_execz .LBB36_423
; %bb.416:
	ds_read_b128 v[1:4], v6
	v_cmp_ne_u32_e32 vcc_lo, 1, v7
	s_cbranch_vccnz .LBB36_418
; %bb.417:
	s_clause 0x3
	buffer_load_dword v8, v5, s[0:3], 0 offen offset:8
	buffer_load_dword v9, v5, s[0:3], 0 offen offset:12
	buffer_load_dword v10, v5, s[0:3], 0 offen
	buffer_load_dword v11, v5, s[0:3], 0 offen offset:4
	s_waitcnt vmcnt(2) lgkmcnt(0)
	v_mul_f64 v[12:13], v[3:4], v[8:9]
	v_mul_f64 v[8:9], v[1:2], v[8:9]
	s_waitcnt vmcnt(0)
	v_fma_f64 v[1:2], v[1:2], v[10:11], -v[12:13]
	v_fma_f64 v[3:4], v[3:4], v[10:11], v[8:9]
.LBB36_418:
	s_mov_b32 s8, exec_lo
	v_cmpx_ne_u32_e32 16, v0
	s_cbranch_execz .LBB36_422
; %bb.419:
	v_add_nc_u32_e32 v8, 0x260, v103
	v_add3_u32 v9, 0, v103, 16
	v_mov_b32_e32 v10, v0
	s_mov_b32 s44, 0
	.p2align	6
.LBB36_420:                             ; =>This Inner Loop Header: Depth=1
	s_clause 0x3
	buffer_load_dword v15, v9, s[0:3], 0 offen offset:8
	buffer_load_dword v16, v9, s[0:3], 0 offen offset:12
	buffer_load_dword v17, v9, s[0:3], 0 offen
	buffer_load_dword v18, v9, s[0:3], 0 offen offset:4
	ds_read_b128 v[11:14], v8
	v_add_nc_u32_e32 v10, 1, v10
	v_add_nc_u32_e32 v8, 16, v8
	;; [unrolled: 1-line block ×3, first 2 shown]
	v_cmp_lt_u32_e32 vcc_lo, 15, v10
	s_or_b32 s44, vcc_lo, s44
	s_waitcnt vmcnt(2) lgkmcnt(0)
	v_mul_f64 v[19:20], v[13:14], v[15:16]
	v_mul_f64 v[15:16], v[11:12], v[15:16]
	s_waitcnt vmcnt(0)
	v_fma_f64 v[11:12], v[11:12], v[17:18], -v[19:20]
	v_fma_f64 v[13:14], v[13:14], v[17:18], v[15:16]
	v_add_f64 v[1:2], v[1:2], v[11:12]
	v_add_f64 v[3:4], v[3:4], v[13:14]
	s_andn2_b32 exec_lo, exec_lo, s44
	s_cbranch_execnz .LBB36_420
; %bb.421:
	s_or_b32 exec_lo, exec_lo, s44
.LBB36_422:
	s_or_b32 exec_lo, exec_lo, s8
	v_mov_b32_e32 v8, 0
	ds_read_b128 v[8:11], v8 offset:272
	s_waitcnt lgkmcnt(0)
	v_mul_f64 v[12:13], v[3:4], v[10:11]
	v_mul_f64 v[10:11], v[1:2], v[10:11]
	v_fma_f64 v[1:2], v[1:2], v[8:9], -v[12:13]
	v_fma_f64 v[3:4], v[3:4], v[8:9], v[10:11]
	buffer_store_dword v2, off, s[0:3], 0 offset:276
	buffer_store_dword v1, off, s[0:3], 0 offset:272
	;; [unrolled: 1-line block ×4, first 2 shown]
.LBB36_423:
	s_or_b32 exec_lo, exec_lo, s4
	v_mov_b32_e32 v4, s25
	s_mov_b32 s4, exec_lo
	s_clause 0x3
	buffer_load_dword v1, v4, s[0:3], 0 offen
	buffer_load_dword v2, v4, s[0:3], 0 offen offset:4
	buffer_load_dword v3, v4, s[0:3], 0 offen offset:8
	;; [unrolled: 1-line block ×3, first 2 shown]
	s_waitcnt vmcnt(0)
	ds_write_b128 v6, v[1:4]
	s_waitcnt lgkmcnt(0)
	s_waitcnt_vscnt null, 0x0
	s_barrier
	buffer_gl0_inv
	v_cmpx_gt_u32_e32 18, v0
	s_cbranch_execz .LBB36_431
; %bb.424:
	ds_read_b128 v[1:4], v6
	v_cmp_ne_u32_e32 vcc_lo, 1, v7
	s_cbranch_vccnz .LBB36_426
; %bb.425:
	s_clause 0x3
	buffer_load_dword v8, v5, s[0:3], 0 offen offset:8
	buffer_load_dword v9, v5, s[0:3], 0 offen offset:12
	buffer_load_dword v10, v5, s[0:3], 0 offen
	buffer_load_dword v11, v5, s[0:3], 0 offen offset:4
	s_waitcnt vmcnt(2) lgkmcnt(0)
	v_mul_f64 v[12:13], v[3:4], v[8:9]
	v_mul_f64 v[8:9], v[1:2], v[8:9]
	s_waitcnt vmcnt(0)
	v_fma_f64 v[1:2], v[1:2], v[10:11], -v[12:13]
	v_fma_f64 v[3:4], v[3:4], v[10:11], v[8:9]
.LBB36_426:
	s_mov_b32 s8, exec_lo
	v_cmpx_ne_u32_e32 17, v0
	s_cbranch_execz .LBB36_430
; %bb.427:
	v_add_nc_u32_e32 v8, 0x260, v103
	v_add3_u32 v9, 0, v103, 16
	v_mov_b32_e32 v10, v0
	s_mov_b32 s44, 0
	.p2align	6
.LBB36_428:                             ; =>This Inner Loop Header: Depth=1
	s_clause 0x3
	buffer_load_dword v15, v9, s[0:3], 0 offen offset:8
	buffer_load_dword v16, v9, s[0:3], 0 offen offset:12
	buffer_load_dword v17, v9, s[0:3], 0 offen
	buffer_load_dword v18, v9, s[0:3], 0 offen offset:4
	ds_read_b128 v[11:14], v8
	v_add_nc_u32_e32 v10, 1, v10
	v_add_nc_u32_e32 v8, 16, v8
	;; [unrolled: 1-line block ×3, first 2 shown]
	v_cmp_lt_u32_e32 vcc_lo, 16, v10
	s_or_b32 s44, vcc_lo, s44
	s_waitcnt vmcnt(2) lgkmcnt(0)
	v_mul_f64 v[19:20], v[13:14], v[15:16]
	v_mul_f64 v[15:16], v[11:12], v[15:16]
	s_waitcnt vmcnt(0)
	v_fma_f64 v[11:12], v[11:12], v[17:18], -v[19:20]
	v_fma_f64 v[13:14], v[13:14], v[17:18], v[15:16]
	v_add_f64 v[1:2], v[1:2], v[11:12]
	v_add_f64 v[3:4], v[3:4], v[13:14]
	s_andn2_b32 exec_lo, exec_lo, s44
	s_cbranch_execnz .LBB36_428
; %bb.429:
	s_or_b32 exec_lo, exec_lo, s44
.LBB36_430:
	s_or_b32 exec_lo, exec_lo, s8
	v_mov_b32_e32 v8, 0
	ds_read_b128 v[8:11], v8 offset:288
	s_waitcnt lgkmcnt(0)
	v_mul_f64 v[12:13], v[3:4], v[10:11]
	v_mul_f64 v[10:11], v[1:2], v[10:11]
	v_fma_f64 v[1:2], v[1:2], v[8:9], -v[12:13]
	v_fma_f64 v[3:4], v[3:4], v[8:9], v[10:11]
	buffer_store_dword v2, off, s[0:3], 0 offset:292
	buffer_store_dword v1, off, s[0:3], 0 offset:288
	;; [unrolled: 1-line block ×4, first 2 shown]
.LBB36_431:
	s_or_b32 exec_lo, exec_lo, s4
	v_mov_b32_e32 v4, s24
	s_mov_b32 s4, exec_lo
	s_clause 0x3
	buffer_load_dword v1, v4, s[0:3], 0 offen
	buffer_load_dword v2, v4, s[0:3], 0 offen offset:4
	buffer_load_dword v3, v4, s[0:3], 0 offen offset:8
	;; [unrolled: 1-line block ×3, first 2 shown]
	s_waitcnt vmcnt(0)
	ds_write_b128 v6, v[1:4]
	s_waitcnt lgkmcnt(0)
	s_waitcnt_vscnt null, 0x0
	s_barrier
	buffer_gl0_inv
	v_cmpx_gt_u32_e32 19, v0
	s_cbranch_execz .LBB36_439
; %bb.432:
	ds_read_b128 v[1:4], v6
	v_cmp_ne_u32_e32 vcc_lo, 1, v7
	s_cbranch_vccnz .LBB36_434
; %bb.433:
	s_clause 0x3
	buffer_load_dword v8, v5, s[0:3], 0 offen offset:8
	buffer_load_dword v9, v5, s[0:3], 0 offen offset:12
	buffer_load_dword v10, v5, s[0:3], 0 offen
	buffer_load_dword v11, v5, s[0:3], 0 offen offset:4
	s_waitcnt vmcnt(2) lgkmcnt(0)
	v_mul_f64 v[12:13], v[3:4], v[8:9]
	v_mul_f64 v[8:9], v[1:2], v[8:9]
	s_waitcnt vmcnt(0)
	v_fma_f64 v[1:2], v[1:2], v[10:11], -v[12:13]
	v_fma_f64 v[3:4], v[3:4], v[10:11], v[8:9]
.LBB36_434:
	s_mov_b32 s8, exec_lo
	v_cmpx_ne_u32_e32 18, v0
	s_cbranch_execz .LBB36_438
; %bb.435:
	v_add_nc_u32_e32 v8, 0x260, v103
	v_add3_u32 v9, 0, v103, 16
	v_mov_b32_e32 v10, v0
	s_mov_b32 s44, 0
	.p2align	6
.LBB36_436:                             ; =>This Inner Loop Header: Depth=1
	s_clause 0x3
	buffer_load_dword v15, v9, s[0:3], 0 offen offset:8
	buffer_load_dword v16, v9, s[0:3], 0 offen offset:12
	buffer_load_dword v17, v9, s[0:3], 0 offen
	buffer_load_dword v18, v9, s[0:3], 0 offen offset:4
	ds_read_b128 v[11:14], v8
	v_add_nc_u32_e32 v10, 1, v10
	v_add_nc_u32_e32 v8, 16, v8
	;; [unrolled: 1-line block ×3, first 2 shown]
	v_cmp_lt_u32_e32 vcc_lo, 17, v10
	s_or_b32 s44, vcc_lo, s44
	s_waitcnt vmcnt(2) lgkmcnt(0)
	v_mul_f64 v[19:20], v[13:14], v[15:16]
	v_mul_f64 v[15:16], v[11:12], v[15:16]
	s_waitcnt vmcnt(0)
	v_fma_f64 v[11:12], v[11:12], v[17:18], -v[19:20]
	v_fma_f64 v[13:14], v[13:14], v[17:18], v[15:16]
	v_add_f64 v[1:2], v[1:2], v[11:12]
	v_add_f64 v[3:4], v[3:4], v[13:14]
	s_andn2_b32 exec_lo, exec_lo, s44
	s_cbranch_execnz .LBB36_436
; %bb.437:
	s_or_b32 exec_lo, exec_lo, s44
.LBB36_438:
	s_or_b32 exec_lo, exec_lo, s8
	v_mov_b32_e32 v8, 0
	ds_read_b128 v[8:11], v8 offset:304
	s_waitcnt lgkmcnt(0)
	v_mul_f64 v[12:13], v[3:4], v[10:11]
	v_mul_f64 v[10:11], v[1:2], v[10:11]
	v_fma_f64 v[1:2], v[1:2], v[8:9], -v[12:13]
	v_fma_f64 v[3:4], v[3:4], v[8:9], v[10:11]
	buffer_store_dword v2, off, s[0:3], 0 offset:308
	buffer_store_dword v1, off, s[0:3], 0 offset:304
	;; [unrolled: 1-line block ×4, first 2 shown]
.LBB36_439:
	s_or_b32 exec_lo, exec_lo, s4
	v_mov_b32_e32 v4, s23
	s_mov_b32 s4, exec_lo
	s_clause 0x3
	buffer_load_dword v1, v4, s[0:3], 0 offen
	buffer_load_dword v2, v4, s[0:3], 0 offen offset:4
	buffer_load_dword v3, v4, s[0:3], 0 offen offset:8
	;; [unrolled: 1-line block ×3, first 2 shown]
	s_waitcnt vmcnt(0)
	ds_write_b128 v6, v[1:4]
	s_waitcnt lgkmcnt(0)
	s_waitcnt_vscnt null, 0x0
	s_barrier
	buffer_gl0_inv
	v_cmpx_gt_u32_e32 20, v0
	s_cbranch_execz .LBB36_447
; %bb.440:
	ds_read_b128 v[1:4], v6
	v_cmp_ne_u32_e32 vcc_lo, 1, v7
	s_cbranch_vccnz .LBB36_442
; %bb.441:
	s_clause 0x3
	buffer_load_dword v8, v5, s[0:3], 0 offen offset:8
	buffer_load_dword v9, v5, s[0:3], 0 offen offset:12
	buffer_load_dword v10, v5, s[0:3], 0 offen
	buffer_load_dword v11, v5, s[0:3], 0 offen offset:4
	s_waitcnt vmcnt(2) lgkmcnt(0)
	v_mul_f64 v[12:13], v[3:4], v[8:9]
	v_mul_f64 v[8:9], v[1:2], v[8:9]
	s_waitcnt vmcnt(0)
	v_fma_f64 v[1:2], v[1:2], v[10:11], -v[12:13]
	v_fma_f64 v[3:4], v[3:4], v[10:11], v[8:9]
.LBB36_442:
	s_mov_b32 s8, exec_lo
	v_cmpx_ne_u32_e32 19, v0
	s_cbranch_execz .LBB36_446
; %bb.443:
	v_add_nc_u32_e32 v8, 0x260, v103
	v_add3_u32 v9, 0, v103, 16
	v_mov_b32_e32 v10, v0
	s_mov_b32 s44, 0
	.p2align	6
.LBB36_444:                             ; =>This Inner Loop Header: Depth=1
	s_clause 0x3
	buffer_load_dword v15, v9, s[0:3], 0 offen offset:8
	buffer_load_dword v16, v9, s[0:3], 0 offen offset:12
	buffer_load_dword v17, v9, s[0:3], 0 offen
	buffer_load_dword v18, v9, s[0:3], 0 offen offset:4
	ds_read_b128 v[11:14], v8
	v_add_nc_u32_e32 v10, 1, v10
	v_add_nc_u32_e32 v8, 16, v8
	;; [unrolled: 1-line block ×3, first 2 shown]
	v_cmp_lt_u32_e32 vcc_lo, 18, v10
	s_or_b32 s44, vcc_lo, s44
	s_waitcnt vmcnt(2) lgkmcnt(0)
	v_mul_f64 v[19:20], v[13:14], v[15:16]
	v_mul_f64 v[15:16], v[11:12], v[15:16]
	s_waitcnt vmcnt(0)
	v_fma_f64 v[11:12], v[11:12], v[17:18], -v[19:20]
	v_fma_f64 v[13:14], v[13:14], v[17:18], v[15:16]
	v_add_f64 v[1:2], v[1:2], v[11:12]
	v_add_f64 v[3:4], v[3:4], v[13:14]
	s_andn2_b32 exec_lo, exec_lo, s44
	s_cbranch_execnz .LBB36_444
; %bb.445:
	s_or_b32 exec_lo, exec_lo, s44
.LBB36_446:
	s_or_b32 exec_lo, exec_lo, s8
	v_mov_b32_e32 v8, 0
	ds_read_b128 v[8:11], v8 offset:320
	s_waitcnt lgkmcnt(0)
	v_mul_f64 v[12:13], v[3:4], v[10:11]
	v_mul_f64 v[10:11], v[1:2], v[10:11]
	v_fma_f64 v[1:2], v[1:2], v[8:9], -v[12:13]
	v_fma_f64 v[3:4], v[3:4], v[8:9], v[10:11]
	buffer_store_dword v2, off, s[0:3], 0 offset:324
	buffer_store_dword v1, off, s[0:3], 0 offset:320
	;; [unrolled: 1-line block ×4, first 2 shown]
.LBB36_447:
	s_or_b32 exec_lo, exec_lo, s4
	v_mov_b32_e32 v4, s22
	s_mov_b32 s4, exec_lo
	s_clause 0x3
	buffer_load_dword v1, v4, s[0:3], 0 offen
	buffer_load_dword v2, v4, s[0:3], 0 offen offset:4
	buffer_load_dword v3, v4, s[0:3], 0 offen offset:8
	buffer_load_dword v4, v4, s[0:3], 0 offen offset:12
	s_waitcnt vmcnt(0)
	ds_write_b128 v6, v[1:4]
	s_waitcnt lgkmcnt(0)
	s_waitcnt_vscnt null, 0x0
	s_barrier
	buffer_gl0_inv
	v_cmpx_gt_u32_e32 21, v0
	s_cbranch_execz .LBB36_455
; %bb.448:
	ds_read_b128 v[1:4], v6
	v_cmp_ne_u32_e32 vcc_lo, 1, v7
	s_cbranch_vccnz .LBB36_450
; %bb.449:
	s_clause 0x3
	buffer_load_dword v8, v5, s[0:3], 0 offen offset:8
	buffer_load_dword v9, v5, s[0:3], 0 offen offset:12
	buffer_load_dword v10, v5, s[0:3], 0 offen
	buffer_load_dword v11, v5, s[0:3], 0 offen offset:4
	s_waitcnt vmcnt(2) lgkmcnt(0)
	v_mul_f64 v[12:13], v[3:4], v[8:9]
	v_mul_f64 v[8:9], v[1:2], v[8:9]
	s_waitcnt vmcnt(0)
	v_fma_f64 v[1:2], v[1:2], v[10:11], -v[12:13]
	v_fma_f64 v[3:4], v[3:4], v[10:11], v[8:9]
.LBB36_450:
	s_mov_b32 s8, exec_lo
	v_cmpx_ne_u32_e32 20, v0
	s_cbranch_execz .LBB36_454
; %bb.451:
	v_add_nc_u32_e32 v8, 0x260, v103
	v_add3_u32 v9, 0, v103, 16
	v_mov_b32_e32 v10, v0
	s_mov_b32 s44, 0
	.p2align	6
.LBB36_452:                             ; =>This Inner Loop Header: Depth=1
	s_clause 0x3
	buffer_load_dword v15, v9, s[0:3], 0 offen offset:8
	buffer_load_dword v16, v9, s[0:3], 0 offen offset:12
	buffer_load_dword v17, v9, s[0:3], 0 offen
	buffer_load_dword v18, v9, s[0:3], 0 offen offset:4
	ds_read_b128 v[11:14], v8
	v_add_nc_u32_e32 v10, 1, v10
	v_add_nc_u32_e32 v8, 16, v8
	;; [unrolled: 1-line block ×3, first 2 shown]
	v_cmp_lt_u32_e32 vcc_lo, 19, v10
	s_or_b32 s44, vcc_lo, s44
	s_waitcnt vmcnt(2) lgkmcnt(0)
	v_mul_f64 v[19:20], v[13:14], v[15:16]
	v_mul_f64 v[15:16], v[11:12], v[15:16]
	s_waitcnt vmcnt(0)
	v_fma_f64 v[11:12], v[11:12], v[17:18], -v[19:20]
	v_fma_f64 v[13:14], v[13:14], v[17:18], v[15:16]
	v_add_f64 v[1:2], v[1:2], v[11:12]
	v_add_f64 v[3:4], v[3:4], v[13:14]
	s_andn2_b32 exec_lo, exec_lo, s44
	s_cbranch_execnz .LBB36_452
; %bb.453:
	s_or_b32 exec_lo, exec_lo, s44
.LBB36_454:
	s_or_b32 exec_lo, exec_lo, s8
	v_mov_b32_e32 v8, 0
	ds_read_b128 v[8:11], v8 offset:336
	s_waitcnt lgkmcnt(0)
	v_mul_f64 v[12:13], v[3:4], v[10:11]
	v_mul_f64 v[10:11], v[1:2], v[10:11]
	v_fma_f64 v[1:2], v[1:2], v[8:9], -v[12:13]
	v_fma_f64 v[3:4], v[3:4], v[8:9], v[10:11]
	buffer_store_dword v2, off, s[0:3], 0 offset:340
	buffer_store_dword v1, off, s[0:3], 0 offset:336
	buffer_store_dword v4, off, s[0:3], 0 offset:348
	buffer_store_dword v3, off, s[0:3], 0 offset:344
.LBB36_455:
	s_or_b32 exec_lo, exec_lo, s4
	v_mov_b32_e32 v4, s21
	s_mov_b32 s4, exec_lo
	s_clause 0x3
	buffer_load_dword v1, v4, s[0:3], 0 offen
	buffer_load_dword v2, v4, s[0:3], 0 offen offset:4
	buffer_load_dword v3, v4, s[0:3], 0 offen offset:8
	;; [unrolled: 1-line block ×3, first 2 shown]
	s_waitcnt vmcnt(0)
	ds_write_b128 v6, v[1:4]
	s_waitcnt lgkmcnt(0)
	s_waitcnt_vscnt null, 0x0
	s_barrier
	buffer_gl0_inv
	v_cmpx_gt_u32_e32 22, v0
	s_cbranch_execz .LBB36_463
; %bb.456:
	ds_read_b128 v[1:4], v6
	v_cmp_ne_u32_e32 vcc_lo, 1, v7
	s_cbranch_vccnz .LBB36_458
; %bb.457:
	s_clause 0x3
	buffer_load_dword v8, v5, s[0:3], 0 offen offset:8
	buffer_load_dword v9, v5, s[0:3], 0 offen offset:12
	buffer_load_dword v10, v5, s[0:3], 0 offen
	buffer_load_dword v11, v5, s[0:3], 0 offen offset:4
	s_waitcnt vmcnt(2) lgkmcnt(0)
	v_mul_f64 v[12:13], v[3:4], v[8:9]
	v_mul_f64 v[8:9], v[1:2], v[8:9]
	s_waitcnt vmcnt(0)
	v_fma_f64 v[1:2], v[1:2], v[10:11], -v[12:13]
	v_fma_f64 v[3:4], v[3:4], v[10:11], v[8:9]
.LBB36_458:
	s_mov_b32 s8, exec_lo
	v_cmpx_ne_u32_e32 21, v0
	s_cbranch_execz .LBB36_462
; %bb.459:
	v_add_nc_u32_e32 v8, 0x260, v103
	v_add3_u32 v9, 0, v103, 16
	v_mov_b32_e32 v10, v0
	s_mov_b32 s44, 0
	.p2align	6
.LBB36_460:                             ; =>This Inner Loop Header: Depth=1
	s_clause 0x3
	buffer_load_dword v15, v9, s[0:3], 0 offen offset:8
	buffer_load_dword v16, v9, s[0:3], 0 offen offset:12
	buffer_load_dword v17, v9, s[0:3], 0 offen
	buffer_load_dword v18, v9, s[0:3], 0 offen offset:4
	ds_read_b128 v[11:14], v8
	v_add_nc_u32_e32 v10, 1, v10
	v_add_nc_u32_e32 v8, 16, v8
	;; [unrolled: 1-line block ×3, first 2 shown]
	v_cmp_lt_u32_e32 vcc_lo, 20, v10
	s_or_b32 s44, vcc_lo, s44
	s_waitcnt vmcnt(2) lgkmcnt(0)
	v_mul_f64 v[19:20], v[13:14], v[15:16]
	v_mul_f64 v[15:16], v[11:12], v[15:16]
	s_waitcnt vmcnt(0)
	v_fma_f64 v[11:12], v[11:12], v[17:18], -v[19:20]
	v_fma_f64 v[13:14], v[13:14], v[17:18], v[15:16]
	v_add_f64 v[1:2], v[1:2], v[11:12]
	v_add_f64 v[3:4], v[3:4], v[13:14]
	s_andn2_b32 exec_lo, exec_lo, s44
	s_cbranch_execnz .LBB36_460
; %bb.461:
	s_or_b32 exec_lo, exec_lo, s44
.LBB36_462:
	s_or_b32 exec_lo, exec_lo, s8
	v_mov_b32_e32 v8, 0
	ds_read_b128 v[8:11], v8 offset:352
	s_waitcnt lgkmcnt(0)
	v_mul_f64 v[12:13], v[3:4], v[10:11]
	v_mul_f64 v[10:11], v[1:2], v[10:11]
	v_fma_f64 v[1:2], v[1:2], v[8:9], -v[12:13]
	v_fma_f64 v[3:4], v[3:4], v[8:9], v[10:11]
	buffer_store_dword v2, off, s[0:3], 0 offset:356
	buffer_store_dword v1, off, s[0:3], 0 offset:352
	;; [unrolled: 1-line block ×4, first 2 shown]
.LBB36_463:
	s_or_b32 exec_lo, exec_lo, s4
	v_mov_b32_e32 v4, s20
	s_mov_b32 s4, exec_lo
	s_clause 0x3
	buffer_load_dword v1, v4, s[0:3], 0 offen
	buffer_load_dword v2, v4, s[0:3], 0 offen offset:4
	buffer_load_dword v3, v4, s[0:3], 0 offen offset:8
	;; [unrolled: 1-line block ×3, first 2 shown]
	s_waitcnt vmcnt(0)
	ds_write_b128 v6, v[1:4]
	s_waitcnt lgkmcnt(0)
	s_waitcnt_vscnt null, 0x0
	s_barrier
	buffer_gl0_inv
	v_cmpx_gt_u32_e32 23, v0
	s_cbranch_execz .LBB36_471
; %bb.464:
	ds_read_b128 v[1:4], v6
	v_cmp_ne_u32_e32 vcc_lo, 1, v7
	s_cbranch_vccnz .LBB36_466
; %bb.465:
	s_clause 0x3
	buffer_load_dword v8, v5, s[0:3], 0 offen offset:8
	buffer_load_dword v9, v5, s[0:3], 0 offen offset:12
	buffer_load_dword v10, v5, s[0:3], 0 offen
	buffer_load_dword v11, v5, s[0:3], 0 offen offset:4
	s_waitcnt vmcnt(2) lgkmcnt(0)
	v_mul_f64 v[12:13], v[3:4], v[8:9]
	v_mul_f64 v[8:9], v[1:2], v[8:9]
	s_waitcnt vmcnt(0)
	v_fma_f64 v[1:2], v[1:2], v[10:11], -v[12:13]
	v_fma_f64 v[3:4], v[3:4], v[10:11], v[8:9]
.LBB36_466:
	s_mov_b32 s8, exec_lo
	v_cmpx_ne_u32_e32 22, v0
	s_cbranch_execz .LBB36_470
; %bb.467:
	v_add_nc_u32_e32 v8, 0x260, v103
	v_add3_u32 v9, 0, v103, 16
	v_mov_b32_e32 v10, v0
	s_mov_b32 s44, 0
	.p2align	6
.LBB36_468:                             ; =>This Inner Loop Header: Depth=1
	s_clause 0x3
	buffer_load_dword v15, v9, s[0:3], 0 offen offset:8
	buffer_load_dword v16, v9, s[0:3], 0 offen offset:12
	buffer_load_dword v17, v9, s[0:3], 0 offen
	buffer_load_dword v18, v9, s[0:3], 0 offen offset:4
	ds_read_b128 v[11:14], v8
	v_add_nc_u32_e32 v10, 1, v10
	v_add_nc_u32_e32 v8, 16, v8
	;; [unrolled: 1-line block ×3, first 2 shown]
	v_cmp_lt_u32_e32 vcc_lo, 21, v10
	s_or_b32 s44, vcc_lo, s44
	s_waitcnt vmcnt(2) lgkmcnt(0)
	v_mul_f64 v[19:20], v[13:14], v[15:16]
	v_mul_f64 v[15:16], v[11:12], v[15:16]
	s_waitcnt vmcnt(0)
	v_fma_f64 v[11:12], v[11:12], v[17:18], -v[19:20]
	v_fma_f64 v[13:14], v[13:14], v[17:18], v[15:16]
	v_add_f64 v[1:2], v[1:2], v[11:12]
	v_add_f64 v[3:4], v[3:4], v[13:14]
	s_andn2_b32 exec_lo, exec_lo, s44
	s_cbranch_execnz .LBB36_468
; %bb.469:
	s_or_b32 exec_lo, exec_lo, s44
.LBB36_470:
	s_or_b32 exec_lo, exec_lo, s8
	v_mov_b32_e32 v8, 0
	ds_read_b128 v[8:11], v8 offset:368
	s_waitcnt lgkmcnt(0)
	v_mul_f64 v[12:13], v[3:4], v[10:11]
	v_mul_f64 v[10:11], v[1:2], v[10:11]
	v_fma_f64 v[1:2], v[1:2], v[8:9], -v[12:13]
	v_fma_f64 v[3:4], v[3:4], v[8:9], v[10:11]
	buffer_store_dword v2, off, s[0:3], 0 offset:372
	buffer_store_dword v1, off, s[0:3], 0 offset:368
	;; [unrolled: 1-line block ×4, first 2 shown]
.LBB36_471:
	s_or_b32 exec_lo, exec_lo, s4
	v_mov_b32_e32 v4, s19
	s_mov_b32 s4, exec_lo
	s_clause 0x3
	buffer_load_dword v1, v4, s[0:3], 0 offen
	buffer_load_dword v2, v4, s[0:3], 0 offen offset:4
	buffer_load_dword v3, v4, s[0:3], 0 offen offset:8
	;; [unrolled: 1-line block ×3, first 2 shown]
	s_waitcnt vmcnt(0)
	ds_write_b128 v6, v[1:4]
	s_waitcnt lgkmcnt(0)
	s_waitcnt_vscnt null, 0x0
	s_barrier
	buffer_gl0_inv
	v_cmpx_gt_u32_e32 24, v0
	s_cbranch_execz .LBB36_479
; %bb.472:
	ds_read_b128 v[1:4], v6
	v_cmp_ne_u32_e32 vcc_lo, 1, v7
	s_cbranch_vccnz .LBB36_474
; %bb.473:
	s_clause 0x3
	buffer_load_dword v8, v5, s[0:3], 0 offen offset:8
	buffer_load_dword v9, v5, s[0:3], 0 offen offset:12
	buffer_load_dword v10, v5, s[0:3], 0 offen
	buffer_load_dword v11, v5, s[0:3], 0 offen offset:4
	s_waitcnt vmcnt(2) lgkmcnt(0)
	v_mul_f64 v[12:13], v[3:4], v[8:9]
	v_mul_f64 v[8:9], v[1:2], v[8:9]
	s_waitcnt vmcnt(0)
	v_fma_f64 v[1:2], v[1:2], v[10:11], -v[12:13]
	v_fma_f64 v[3:4], v[3:4], v[10:11], v[8:9]
.LBB36_474:
	s_mov_b32 s8, exec_lo
	v_cmpx_ne_u32_e32 23, v0
	s_cbranch_execz .LBB36_478
; %bb.475:
	v_add_nc_u32_e32 v8, 0x260, v103
	v_add3_u32 v9, 0, v103, 16
	v_mov_b32_e32 v10, v0
	s_mov_b32 s44, 0
	.p2align	6
.LBB36_476:                             ; =>This Inner Loop Header: Depth=1
	s_clause 0x3
	buffer_load_dword v15, v9, s[0:3], 0 offen offset:8
	buffer_load_dword v16, v9, s[0:3], 0 offen offset:12
	buffer_load_dword v17, v9, s[0:3], 0 offen
	buffer_load_dword v18, v9, s[0:3], 0 offen offset:4
	ds_read_b128 v[11:14], v8
	v_add_nc_u32_e32 v10, 1, v10
	v_add_nc_u32_e32 v8, 16, v8
	;; [unrolled: 1-line block ×3, first 2 shown]
	v_cmp_lt_u32_e32 vcc_lo, 22, v10
	s_or_b32 s44, vcc_lo, s44
	s_waitcnt vmcnt(2) lgkmcnt(0)
	v_mul_f64 v[19:20], v[13:14], v[15:16]
	v_mul_f64 v[15:16], v[11:12], v[15:16]
	s_waitcnt vmcnt(0)
	v_fma_f64 v[11:12], v[11:12], v[17:18], -v[19:20]
	v_fma_f64 v[13:14], v[13:14], v[17:18], v[15:16]
	v_add_f64 v[1:2], v[1:2], v[11:12]
	v_add_f64 v[3:4], v[3:4], v[13:14]
	s_andn2_b32 exec_lo, exec_lo, s44
	s_cbranch_execnz .LBB36_476
; %bb.477:
	s_or_b32 exec_lo, exec_lo, s44
.LBB36_478:
	s_or_b32 exec_lo, exec_lo, s8
	v_mov_b32_e32 v8, 0
	ds_read_b128 v[8:11], v8 offset:384
	s_waitcnt lgkmcnt(0)
	v_mul_f64 v[12:13], v[3:4], v[10:11]
	v_mul_f64 v[10:11], v[1:2], v[10:11]
	v_fma_f64 v[1:2], v[1:2], v[8:9], -v[12:13]
	v_fma_f64 v[3:4], v[3:4], v[8:9], v[10:11]
	buffer_store_dword v2, off, s[0:3], 0 offset:388
	buffer_store_dword v1, off, s[0:3], 0 offset:384
	;; [unrolled: 1-line block ×4, first 2 shown]
.LBB36_479:
	s_or_b32 exec_lo, exec_lo, s4
	v_mov_b32_e32 v4, s18
	s_mov_b32 s4, exec_lo
	s_clause 0x3
	buffer_load_dword v1, v4, s[0:3], 0 offen
	buffer_load_dword v2, v4, s[0:3], 0 offen offset:4
	buffer_load_dword v3, v4, s[0:3], 0 offen offset:8
	;; [unrolled: 1-line block ×3, first 2 shown]
	s_waitcnt vmcnt(0)
	ds_write_b128 v6, v[1:4]
	s_waitcnt lgkmcnt(0)
	s_waitcnt_vscnt null, 0x0
	s_barrier
	buffer_gl0_inv
	v_cmpx_gt_u32_e32 25, v0
	s_cbranch_execz .LBB36_487
; %bb.480:
	ds_read_b128 v[1:4], v6
	v_cmp_ne_u32_e32 vcc_lo, 1, v7
	s_cbranch_vccnz .LBB36_482
; %bb.481:
	s_clause 0x3
	buffer_load_dword v8, v5, s[0:3], 0 offen offset:8
	buffer_load_dword v9, v5, s[0:3], 0 offen offset:12
	buffer_load_dword v10, v5, s[0:3], 0 offen
	buffer_load_dword v11, v5, s[0:3], 0 offen offset:4
	s_waitcnt vmcnt(2) lgkmcnt(0)
	v_mul_f64 v[12:13], v[3:4], v[8:9]
	v_mul_f64 v[8:9], v[1:2], v[8:9]
	s_waitcnt vmcnt(0)
	v_fma_f64 v[1:2], v[1:2], v[10:11], -v[12:13]
	v_fma_f64 v[3:4], v[3:4], v[10:11], v[8:9]
.LBB36_482:
	s_mov_b32 s8, exec_lo
	v_cmpx_ne_u32_e32 24, v0
	s_cbranch_execz .LBB36_486
; %bb.483:
	v_add_nc_u32_e32 v8, 0x260, v103
	v_add3_u32 v9, 0, v103, 16
	v_mov_b32_e32 v10, v0
	s_mov_b32 s44, 0
	.p2align	6
.LBB36_484:                             ; =>This Inner Loop Header: Depth=1
	s_clause 0x3
	buffer_load_dword v15, v9, s[0:3], 0 offen offset:8
	buffer_load_dword v16, v9, s[0:3], 0 offen offset:12
	buffer_load_dword v17, v9, s[0:3], 0 offen
	buffer_load_dword v18, v9, s[0:3], 0 offen offset:4
	ds_read_b128 v[11:14], v8
	v_add_nc_u32_e32 v10, 1, v10
	v_add_nc_u32_e32 v8, 16, v8
	;; [unrolled: 1-line block ×3, first 2 shown]
	v_cmp_lt_u32_e32 vcc_lo, 23, v10
	s_or_b32 s44, vcc_lo, s44
	s_waitcnt vmcnt(2) lgkmcnt(0)
	v_mul_f64 v[19:20], v[13:14], v[15:16]
	v_mul_f64 v[15:16], v[11:12], v[15:16]
	s_waitcnt vmcnt(0)
	v_fma_f64 v[11:12], v[11:12], v[17:18], -v[19:20]
	v_fma_f64 v[13:14], v[13:14], v[17:18], v[15:16]
	v_add_f64 v[1:2], v[1:2], v[11:12]
	v_add_f64 v[3:4], v[3:4], v[13:14]
	s_andn2_b32 exec_lo, exec_lo, s44
	s_cbranch_execnz .LBB36_484
; %bb.485:
	s_or_b32 exec_lo, exec_lo, s44
.LBB36_486:
	s_or_b32 exec_lo, exec_lo, s8
	v_mov_b32_e32 v8, 0
	ds_read_b128 v[8:11], v8 offset:400
	s_waitcnt lgkmcnt(0)
	v_mul_f64 v[12:13], v[3:4], v[10:11]
	v_mul_f64 v[10:11], v[1:2], v[10:11]
	v_fma_f64 v[1:2], v[1:2], v[8:9], -v[12:13]
	v_fma_f64 v[3:4], v[3:4], v[8:9], v[10:11]
	buffer_store_dword v2, off, s[0:3], 0 offset:404
	buffer_store_dword v1, off, s[0:3], 0 offset:400
	;; [unrolled: 1-line block ×4, first 2 shown]
.LBB36_487:
	s_or_b32 exec_lo, exec_lo, s4
	v_mov_b32_e32 v4, s17
	s_mov_b32 s4, exec_lo
	s_clause 0x3
	buffer_load_dword v1, v4, s[0:3], 0 offen
	buffer_load_dword v2, v4, s[0:3], 0 offen offset:4
	buffer_load_dword v3, v4, s[0:3], 0 offen offset:8
	buffer_load_dword v4, v4, s[0:3], 0 offen offset:12
	s_waitcnt vmcnt(0)
	ds_write_b128 v6, v[1:4]
	s_waitcnt lgkmcnt(0)
	s_waitcnt_vscnt null, 0x0
	s_barrier
	buffer_gl0_inv
	v_cmpx_gt_u32_e32 26, v0
	s_cbranch_execz .LBB36_495
; %bb.488:
	ds_read_b128 v[1:4], v6
	v_cmp_ne_u32_e32 vcc_lo, 1, v7
	s_cbranch_vccnz .LBB36_490
; %bb.489:
	s_clause 0x3
	buffer_load_dword v8, v5, s[0:3], 0 offen offset:8
	buffer_load_dword v9, v5, s[0:3], 0 offen offset:12
	buffer_load_dword v10, v5, s[0:3], 0 offen
	buffer_load_dword v11, v5, s[0:3], 0 offen offset:4
	s_waitcnt vmcnt(2) lgkmcnt(0)
	v_mul_f64 v[12:13], v[3:4], v[8:9]
	v_mul_f64 v[8:9], v[1:2], v[8:9]
	s_waitcnt vmcnt(0)
	v_fma_f64 v[1:2], v[1:2], v[10:11], -v[12:13]
	v_fma_f64 v[3:4], v[3:4], v[10:11], v[8:9]
.LBB36_490:
	s_mov_b32 s8, exec_lo
	v_cmpx_ne_u32_e32 25, v0
	s_cbranch_execz .LBB36_494
; %bb.491:
	v_add_nc_u32_e32 v8, 0x260, v103
	v_add3_u32 v9, 0, v103, 16
	v_mov_b32_e32 v10, v0
	s_mov_b32 s44, 0
	.p2align	6
.LBB36_492:                             ; =>This Inner Loop Header: Depth=1
	s_clause 0x3
	buffer_load_dword v15, v9, s[0:3], 0 offen offset:8
	buffer_load_dword v16, v9, s[0:3], 0 offen offset:12
	buffer_load_dword v17, v9, s[0:3], 0 offen
	buffer_load_dword v18, v9, s[0:3], 0 offen offset:4
	ds_read_b128 v[11:14], v8
	v_add_nc_u32_e32 v10, 1, v10
	v_add_nc_u32_e32 v8, 16, v8
	;; [unrolled: 1-line block ×3, first 2 shown]
	v_cmp_lt_u32_e32 vcc_lo, 24, v10
	s_or_b32 s44, vcc_lo, s44
	s_waitcnt vmcnt(2) lgkmcnt(0)
	v_mul_f64 v[19:20], v[13:14], v[15:16]
	v_mul_f64 v[15:16], v[11:12], v[15:16]
	s_waitcnt vmcnt(0)
	v_fma_f64 v[11:12], v[11:12], v[17:18], -v[19:20]
	v_fma_f64 v[13:14], v[13:14], v[17:18], v[15:16]
	v_add_f64 v[1:2], v[1:2], v[11:12]
	v_add_f64 v[3:4], v[3:4], v[13:14]
	s_andn2_b32 exec_lo, exec_lo, s44
	s_cbranch_execnz .LBB36_492
; %bb.493:
	s_or_b32 exec_lo, exec_lo, s44
.LBB36_494:
	s_or_b32 exec_lo, exec_lo, s8
	v_mov_b32_e32 v8, 0
	ds_read_b128 v[8:11], v8 offset:416
	s_waitcnt lgkmcnt(0)
	v_mul_f64 v[12:13], v[3:4], v[10:11]
	v_mul_f64 v[10:11], v[1:2], v[10:11]
	v_fma_f64 v[1:2], v[1:2], v[8:9], -v[12:13]
	v_fma_f64 v[3:4], v[3:4], v[8:9], v[10:11]
	buffer_store_dword v2, off, s[0:3], 0 offset:420
	buffer_store_dword v1, off, s[0:3], 0 offset:416
	;; [unrolled: 1-line block ×4, first 2 shown]
.LBB36_495:
	s_or_b32 exec_lo, exec_lo, s4
	v_mov_b32_e32 v4, s16
	s_mov_b32 s4, exec_lo
	s_clause 0x3
	buffer_load_dword v1, v4, s[0:3], 0 offen
	buffer_load_dword v2, v4, s[0:3], 0 offen offset:4
	buffer_load_dword v3, v4, s[0:3], 0 offen offset:8
	;; [unrolled: 1-line block ×3, first 2 shown]
	s_waitcnt vmcnt(0)
	ds_write_b128 v6, v[1:4]
	s_waitcnt lgkmcnt(0)
	s_waitcnt_vscnt null, 0x0
	s_barrier
	buffer_gl0_inv
	v_cmpx_gt_u32_e32 27, v0
	s_cbranch_execz .LBB36_503
; %bb.496:
	ds_read_b128 v[1:4], v6
	v_cmp_ne_u32_e32 vcc_lo, 1, v7
	s_cbranch_vccnz .LBB36_498
; %bb.497:
	s_clause 0x3
	buffer_load_dword v8, v5, s[0:3], 0 offen offset:8
	buffer_load_dword v9, v5, s[0:3], 0 offen offset:12
	buffer_load_dword v10, v5, s[0:3], 0 offen
	buffer_load_dword v11, v5, s[0:3], 0 offen offset:4
	s_waitcnt vmcnt(2) lgkmcnt(0)
	v_mul_f64 v[12:13], v[3:4], v[8:9]
	v_mul_f64 v[8:9], v[1:2], v[8:9]
	s_waitcnt vmcnt(0)
	v_fma_f64 v[1:2], v[1:2], v[10:11], -v[12:13]
	v_fma_f64 v[3:4], v[3:4], v[10:11], v[8:9]
.LBB36_498:
	s_mov_b32 s8, exec_lo
	v_cmpx_ne_u32_e32 26, v0
	s_cbranch_execz .LBB36_502
; %bb.499:
	v_add_nc_u32_e32 v8, 0x260, v103
	v_add3_u32 v9, 0, v103, 16
	v_mov_b32_e32 v10, v0
	s_mov_b32 s44, 0
	.p2align	6
.LBB36_500:                             ; =>This Inner Loop Header: Depth=1
	s_clause 0x3
	buffer_load_dword v15, v9, s[0:3], 0 offen offset:8
	buffer_load_dword v16, v9, s[0:3], 0 offen offset:12
	buffer_load_dword v17, v9, s[0:3], 0 offen
	buffer_load_dword v18, v9, s[0:3], 0 offen offset:4
	ds_read_b128 v[11:14], v8
	v_add_nc_u32_e32 v10, 1, v10
	v_add_nc_u32_e32 v8, 16, v8
	;; [unrolled: 1-line block ×3, first 2 shown]
	v_cmp_lt_u32_e32 vcc_lo, 25, v10
	s_or_b32 s44, vcc_lo, s44
	s_waitcnt vmcnt(2) lgkmcnt(0)
	v_mul_f64 v[19:20], v[13:14], v[15:16]
	v_mul_f64 v[15:16], v[11:12], v[15:16]
	s_waitcnt vmcnt(0)
	v_fma_f64 v[11:12], v[11:12], v[17:18], -v[19:20]
	v_fma_f64 v[13:14], v[13:14], v[17:18], v[15:16]
	v_add_f64 v[1:2], v[1:2], v[11:12]
	v_add_f64 v[3:4], v[3:4], v[13:14]
	s_andn2_b32 exec_lo, exec_lo, s44
	s_cbranch_execnz .LBB36_500
; %bb.501:
	s_or_b32 exec_lo, exec_lo, s44
.LBB36_502:
	s_or_b32 exec_lo, exec_lo, s8
	v_mov_b32_e32 v8, 0
	ds_read_b128 v[8:11], v8 offset:432
	s_waitcnt lgkmcnt(0)
	v_mul_f64 v[12:13], v[3:4], v[10:11]
	v_mul_f64 v[10:11], v[1:2], v[10:11]
	v_fma_f64 v[1:2], v[1:2], v[8:9], -v[12:13]
	v_fma_f64 v[3:4], v[3:4], v[8:9], v[10:11]
	buffer_store_dword v2, off, s[0:3], 0 offset:436
	buffer_store_dword v1, off, s[0:3], 0 offset:432
	;; [unrolled: 1-line block ×4, first 2 shown]
.LBB36_503:
	s_or_b32 exec_lo, exec_lo, s4
	v_mov_b32_e32 v4, s15
	s_mov_b32 s4, exec_lo
	s_clause 0x3
	buffer_load_dword v1, v4, s[0:3], 0 offen
	buffer_load_dword v2, v4, s[0:3], 0 offen offset:4
	buffer_load_dword v3, v4, s[0:3], 0 offen offset:8
	;; [unrolled: 1-line block ×3, first 2 shown]
	s_waitcnt vmcnt(0)
	ds_write_b128 v6, v[1:4]
	s_waitcnt lgkmcnt(0)
	s_waitcnt_vscnt null, 0x0
	s_barrier
	buffer_gl0_inv
	v_cmpx_gt_u32_e32 28, v0
	s_cbranch_execz .LBB36_511
; %bb.504:
	ds_read_b128 v[1:4], v6
	v_cmp_ne_u32_e32 vcc_lo, 1, v7
	s_cbranch_vccnz .LBB36_506
; %bb.505:
	s_clause 0x3
	buffer_load_dword v8, v5, s[0:3], 0 offen offset:8
	buffer_load_dword v9, v5, s[0:3], 0 offen offset:12
	buffer_load_dword v10, v5, s[0:3], 0 offen
	buffer_load_dword v11, v5, s[0:3], 0 offen offset:4
	s_waitcnt vmcnt(2) lgkmcnt(0)
	v_mul_f64 v[12:13], v[3:4], v[8:9]
	v_mul_f64 v[8:9], v[1:2], v[8:9]
	s_waitcnt vmcnt(0)
	v_fma_f64 v[1:2], v[1:2], v[10:11], -v[12:13]
	v_fma_f64 v[3:4], v[3:4], v[10:11], v[8:9]
.LBB36_506:
	s_mov_b32 s8, exec_lo
	v_cmpx_ne_u32_e32 27, v0
	s_cbranch_execz .LBB36_510
; %bb.507:
	v_add_nc_u32_e32 v8, 0x260, v103
	v_add3_u32 v9, 0, v103, 16
	v_mov_b32_e32 v10, v0
	s_mov_b32 s44, 0
	.p2align	6
.LBB36_508:                             ; =>This Inner Loop Header: Depth=1
	s_clause 0x3
	buffer_load_dword v15, v9, s[0:3], 0 offen offset:8
	buffer_load_dword v16, v9, s[0:3], 0 offen offset:12
	buffer_load_dword v17, v9, s[0:3], 0 offen
	buffer_load_dword v18, v9, s[0:3], 0 offen offset:4
	ds_read_b128 v[11:14], v8
	v_add_nc_u32_e32 v10, 1, v10
	v_add_nc_u32_e32 v8, 16, v8
	;; [unrolled: 1-line block ×3, first 2 shown]
	v_cmp_lt_u32_e32 vcc_lo, 26, v10
	s_or_b32 s44, vcc_lo, s44
	s_waitcnt vmcnt(2) lgkmcnt(0)
	v_mul_f64 v[19:20], v[13:14], v[15:16]
	v_mul_f64 v[15:16], v[11:12], v[15:16]
	s_waitcnt vmcnt(0)
	v_fma_f64 v[11:12], v[11:12], v[17:18], -v[19:20]
	v_fma_f64 v[13:14], v[13:14], v[17:18], v[15:16]
	v_add_f64 v[1:2], v[1:2], v[11:12]
	v_add_f64 v[3:4], v[3:4], v[13:14]
	s_andn2_b32 exec_lo, exec_lo, s44
	s_cbranch_execnz .LBB36_508
; %bb.509:
	s_or_b32 exec_lo, exec_lo, s44
.LBB36_510:
	s_or_b32 exec_lo, exec_lo, s8
	v_mov_b32_e32 v8, 0
	ds_read_b128 v[8:11], v8 offset:448
	s_waitcnt lgkmcnt(0)
	v_mul_f64 v[12:13], v[3:4], v[10:11]
	v_mul_f64 v[10:11], v[1:2], v[10:11]
	v_fma_f64 v[1:2], v[1:2], v[8:9], -v[12:13]
	v_fma_f64 v[3:4], v[3:4], v[8:9], v[10:11]
	buffer_store_dword v2, off, s[0:3], 0 offset:452
	buffer_store_dword v1, off, s[0:3], 0 offset:448
	;; [unrolled: 1-line block ×4, first 2 shown]
.LBB36_511:
	s_or_b32 exec_lo, exec_lo, s4
	v_mov_b32_e32 v4, s14
	s_mov_b32 s4, exec_lo
	s_clause 0x3
	buffer_load_dword v1, v4, s[0:3], 0 offen
	buffer_load_dword v2, v4, s[0:3], 0 offen offset:4
	buffer_load_dword v3, v4, s[0:3], 0 offen offset:8
	;; [unrolled: 1-line block ×3, first 2 shown]
	s_waitcnt vmcnt(0)
	ds_write_b128 v6, v[1:4]
	s_waitcnt lgkmcnt(0)
	s_waitcnt_vscnt null, 0x0
	s_barrier
	buffer_gl0_inv
	v_cmpx_gt_u32_e32 29, v0
	s_cbranch_execz .LBB36_519
; %bb.512:
	ds_read_b128 v[1:4], v6
	v_cmp_ne_u32_e32 vcc_lo, 1, v7
	s_cbranch_vccnz .LBB36_514
; %bb.513:
	s_clause 0x3
	buffer_load_dword v8, v5, s[0:3], 0 offen offset:8
	buffer_load_dword v9, v5, s[0:3], 0 offen offset:12
	buffer_load_dword v10, v5, s[0:3], 0 offen
	buffer_load_dword v11, v5, s[0:3], 0 offen offset:4
	s_waitcnt vmcnt(2) lgkmcnt(0)
	v_mul_f64 v[12:13], v[3:4], v[8:9]
	v_mul_f64 v[8:9], v[1:2], v[8:9]
	s_waitcnt vmcnt(0)
	v_fma_f64 v[1:2], v[1:2], v[10:11], -v[12:13]
	v_fma_f64 v[3:4], v[3:4], v[10:11], v[8:9]
.LBB36_514:
	s_mov_b32 s8, exec_lo
	v_cmpx_ne_u32_e32 28, v0
	s_cbranch_execz .LBB36_518
; %bb.515:
	v_add_nc_u32_e32 v8, 0x260, v103
	v_add3_u32 v9, 0, v103, 16
	v_mov_b32_e32 v10, v0
	s_mov_b32 s44, 0
	.p2align	6
.LBB36_516:                             ; =>This Inner Loop Header: Depth=1
	s_clause 0x3
	buffer_load_dword v15, v9, s[0:3], 0 offen offset:8
	buffer_load_dword v16, v9, s[0:3], 0 offen offset:12
	buffer_load_dword v17, v9, s[0:3], 0 offen
	buffer_load_dword v18, v9, s[0:3], 0 offen offset:4
	ds_read_b128 v[11:14], v8
	v_add_nc_u32_e32 v10, 1, v10
	v_add_nc_u32_e32 v8, 16, v8
	;; [unrolled: 1-line block ×3, first 2 shown]
	v_cmp_lt_u32_e32 vcc_lo, 27, v10
	s_or_b32 s44, vcc_lo, s44
	s_waitcnt vmcnt(2) lgkmcnt(0)
	v_mul_f64 v[19:20], v[13:14], v[15:16]
	v_mul_f64 v[15:16], v[11:12], v[15:16]
	s_waitcnt vmcnt(0)
	v_fma_f64 v[11:12], v[11:12], v[17:18], -v[19:20]
	v_fma_f64 v[13:14], v[13:14], v[17:18], v[15:16]
	v_add_f64 v[1:2], v[1:2], v[11:12]
	v_add_f64 v[3:4], v[3:4], v[13:14]
	s_andn2_b32 exec_lo, exec_lo, s44
	s_cbranch_execnz .LBB36_516
; %bb.517:
	s_or_b32 exec_lo, exec_lo, s44
.LBB36_518:
	s_or_b32 exec_lo, exec_lo, s8
	v_mov_b32_e32 v8, 0
	ds_read_b128 v[8:11], v8 offset:464
	s_waitcnt lgkmcnt(0)
	v_mul_f64 v[12:13], v[3:4], v[10:11]
	v_mul_f64 v[10:11], v[1:2], v[10:11]
	v_fma_f64 v[1:2], v[1:2], v[8:9], -v[12:13]
	v_fma_f64 v[3:4], v[3:4], v[8:9], v[10:11]
	buffer_store_dword v2, off, s[0:3], 0 offset:468
	buffer_store_dword v1, off, s[0:3], 0 offset:464
	buffer_store_dword v4, off, s[0:3], 0 offset:476
	buffer_store_dword v3, off, s[0:3], 0 offset:472
.LBB36_519:
	s_or_b32 exec_lo, exec_lo, s4
	v_mov_b32_e32 v4, s13
	s_mov_b32 s4, exec_lo
	s_clause 0x3
	buffer_load_dword v1, v4, s[0:3], 0 offen
	buffer_load_dword v2, v4, s[0:3], 0 offen offset:4
	buffer_load_dword v3, v4, s[0:3], 0 offen offset:8
	;; [unrolled: 1-line block ×3, first 2 shown]
	s_waitcnt vmcnt(0)
	ds_write_b128 v6, v[1:4]
	s_waitcnt lgkmcnt(0)
	s_waitcnt_vscnt null, 0x0
	s_barrier
	buffer_gl0_inv
	v_cmpx_gt_u32_e32 30, v0
	s_cbranch_execz .LBB36_527
; %bb.520:
	ds_read_b128 v[1:4], v6
	v_cmp_ne_u32_e32 vcc_lo, 1, v7
	s_cbranch_vccnz .LBB36_522
; %bb.521:
	s_clause 0x3
	buffer_load_dword v8, v5, s[0:3], 0 offen offset:8
	buffer_load_dword v9, v5, s[0:3], 0 offen offset:12
	buffer_load_dword v10, v5, s[0:3], 0 offen
	buffer_load_dword v11, v5, s[0:3], 0 offen offset:4
	s_waitcnt vmcnt(2) lgkmcnt(0)
	v_mul_f64 v[12:13], v[3:4], v[8:9]
	v_mul_f64 v[8:9], v[1:2], v[8:9]
	s_waitcnt vmcnt(0)
	v_fma_f64 v[1:2], v[1:2], v[10:11], -v[12:13]
	v_fma_f64 v[3:4], v[3:4], v[10:11], v[8:9]
.LBB36_522:
	s_mov_b32 s8, exec_lo
	v_cmpx_ne_u32_e32 29, v0
	s_cbranch_execz .LBB36_526
; %bb.523:
	v_add_nc_u32_e32 v8, 0x260, v103
	v_add3_u32 v9, 0, v103, 16
	v_mov_b32_e32 v10, v0
	s_mov_b32 s44, 0
	.p2align	6
.LBB36_524:                             ; =>This Inner Loop Header: Depth=1
	s_clause 0x3
	buffer_load_dword v15, v9, s[0:3], 0 offen offset:8
	buffer_load_dword v16, v9, s[0:3], 0 offen offset:12
	buffer_load_dword v17, v9, s[0:3], 0 offen
	buffer_load_dword v18, v9, s[0:3], 0 offen offset:4
	ds_read_b128 v[11:14], v8
	v_add_nc_u32_e32 v10, 1, v10
	v_add_nc_u32_e32 v8, 16, v8
	;; [unrolled: 1-line block ×3, first 2 shown]
	v_cmp_lt_u32_e32 vcc_lo, 28, v10
	s_or_b32 s44, vcc_lo, s44
	s_waitcnt vmcnt(2) lgkmcnt(0)
	v_mul_f64 v[19:20], v[13:14], v[15:16]
	v_mul_f64 v[15:16], v[11:12], v[15:16]
	s_waitcnt vmcnt(0)
	v_fma_f64 v[11:12], v[11:12], v[17:18], -v[19:20]
	v_fma_f64 v[13:14], v[13:14], v[17:18], v[15:16]
	v_add_f64 v[1:2], v[1:2], v[11:12]
	v_add_f64 v[3:4], v[3:4], v[13:14]
	s_andn2_b32 exec_lo, exec_lo, s44
	s_cbranch_execnz .LBB36_524
; %bb.525:
	s_or_b32 exec_lo, exec_lo, s44
.LBB36_526:
	s_or_b32 exec_lo, exec_lo, s8
	v_mov_b32_e32 v8, 0
	ds_read_b128 v[8:11], v8 offset:480
	s_waitcnt lgkmcnt(0)
	v_mul_f64 v[12:13], v[3:4], v[10:11]
	v_mul_f64 v[10:11], v[1:2], v[10:11]
	v_fma_f64 v[1:2], v[1:2], v[8:9], -v[12:13]
	v_fma_f64 v[3:4], v[3:4], v[8:9], v[10:11]
	buffer_store_dword v2, off, s[0:3], 0 offset:484
	buffer_store_dword v1, off, s[0:3], 0 offset:480
	;; [unrolled: 1-line block ×4, first 2 shown]
.LBB36_527:
	s_or_b32 exec_lo, exec_lo, s4
	v_mov_b32_e32 v4, s12
	s_mov_b32 s4, exec_lo
	s_clause 0x3
	buffer_load_dword v1, v4, s[0:3], 0 offen
	buffer_load_dword v2, v4, s[0:3], 0 offen offset:4
	buffer_load_dword v3, v4, s[0:3], 0 offen offset:8
	buffer_load_dword v4, v4, s[0:3], 0 offen offset:12
	s_waitcnt vmcnt(0)
	ds_write_b128 v6, v[1:4]
	s_waitcnt lgkmcnt(0)
	s_waitcnt_vscnt null, 0x0
	s_barrier
	buffer_gl0_inv
	v_cmpx_gt_u32_e32 31, v0
	s_cbranch_execz .LBB36_535
; %bb.528:
	ds_read_b128 v[1:4], v6
	v_cmp_ne_u32_e32 vcc_lo, 1, v7
	s_cbranch_vccnz .LBB36_530
; %bb.529:
	s_clause 0x3
	buffer_load_dword v8, v5, s[0:3], 0 offen offset:8
	buffer_load_dword v9, v5, s[0:3], 0 offen offset:12
	buffer_load_dword v10, v5, s[0:3], 0 offen
	buffer_load_dword v11, v5, s[0:3], 0 offen offset:4
	s_waitcnt vmcnt(2) lgkmcnt(0)
	v_mul_f64 v[12:13], v[3:4], v[8:9]
	v_mul_f64 v[8:9], v[1:2], v[8:9]
	s_waitcnt vmcnt(0)
	v_fma_f64 v[1:2], v[1:2], v[10:11], -v[12:13]
	v_fma_f64 v[3:4], v[3:4], v[10:11], v[8:9]
.LBB36_530:
	s_mov_b32 s8, exec_lo
	v_cmpx_ne_u32_e32 30, v0
	s_cbranch_execz .LBB36_534
; %bb.531:
	v_add_nc_u32_e32 v8, 0x260, v103
	v_add3_u32 v9, 0, v103, 16
	v_mov_b32_e32 v10, v0
	s_mov_b32 s44, 0
	.p2align	6
.LBB36_532:                             ; =>This Inner Loop Header: Depth=1
	s_clause 0x3
	buffer_load_dword v15, v9, s[0:3], 0 offen offset:8
	buffer_load_dword v16, v9, s[0:3], 0 offen offset:12
	buffer_load_dword v17, v9, s[0:3], 0 offen
	buffer_load_dword v18, v9, s[0:3], 0 offen offset:4
	ds_read_b128 v[11:14], v8
	v_add_nc_u32_e32 v10, 1, v10
	v_add_nc_u32_e32 v8, 16, v8
	;; [unrolled: 1-line block ×3, first 2 shown]
	v_cmp_lt_u32_e32 vcc_lo, 29, v10
	s_or_b32 s44, vcc_lo, s44
	s_waitcnt vmcnt(2) lgkmcnt(0)
	v_mul_f64 v[19:20], v[13:14], v[15:16]
	v_mul_f64 v[15:16], v[11:12], v[15:16]
	s_waitcnt vmcnt(0)
	v_fma_f64 v[11:12], v[11:12], v[17:18], -v[19:20]
	v_fma_f64 v[13:14], v[13:14], v[17:18], v[15:16]
	v_add_f64 v[1:2], v[1:2], v[11:12]
	v_add_f64 v[3:4], v[3:4], v[13:14]
	s_andn2_b32 exec_lo, exec_lo, s44
	s_cbranch_execnz .LBB36_532
; %bb.533:
	s_or_b32 exec_lo, exec_lo, s44
.LBB36_534:
	s_or_b32 exec_lo, exec_lo, s8
	v_mov_b32_e32 v8, 0
	ds_read_b128 v[8:11], v8 offset:496
	s_waitcnt lgkmcnt(0)
	v_mul_f64 v[12:13], v[3:4], v[10:11]
	v_mul_f64 v[10:11], v[1:2], v[10:11]
	v_fma_f64 v[1:2], v[1:2], v[8:9], -v[12:13]
	v_fma_f64 v[3:4], v[3:4], v[8:9], v[10:11]
	buffer_store_dword v2, off, s[0:3], 0 offset:500
	buffer_store_dword v1, off, s[0:3], 0 offset:496
	;; [unrolled: 1-line block ×4, first 2 shown]
.LBB36_535:
	s_or_b32 exec_lo, exec_lo, s4
	v_mov_b32_e32 v4, s11
	s_mov_b32 s4, exec_lo
	s_clause 0x3
	buffer_load_dword v1, v4, s[0:3], 0 offen
	buffer_load_dword v2, v4, s[0:3], 0 offen offset:4
	buffer_load_dword v3, v4, s[0:3], 0 offen offset:8
	;; [unrolled: 1-line block ×3, first 2 shown]
	s_waitcnt vmcnt(0)
	ds_write_b128 v6, v[1:4]
	s_waitcnt lgkmcnt(0)
	s_waitcnt_vscnt null, 0x0
	s_barrier
	buffer_gl0_inv
	v_cmpx_gt_u32_e32 32, v0
	s_cbranch_execz .LBB36_543
; %bb.536:
	ds_read_b128 v[1:4], v6
	v_cmp_ne_u32_e32 vcc_lo, 1, v7
	s_cbranch_vccnz .LBB36_538
; %bb.537:
	s_clause 0x3
	buffer_load_dword v8, v5, s[0:3], 0 offen offset:8
	buffer_load_dword v9, v5, s[0:3], 0 offen offset:12
	buffer_load_dword v10, v5, s[0:3], 0 offen
	buffer_load_dword v11, v5, s[0:3], 0 offen offset:4
	s_waitcnt vmcnt(2) lgkmcnt(0)
	v_mul_f64 v[12:13], v[3:4], v[8:9]
	v_mul_f64 v[8:9], v[1:2], v[8:9]
	s_waitcnt vmcnt(0)
	v_fma_f64 v[1:2], v[1:2], v[10:11], -v[12:13]
	v_fma_f64 v[3:4], v[3:4], v[10:11], v[8:9]
.LBB36_538:
	s_mov_b32 s8, exec_lo
	v_cmpx_ne_u32_e32 31, v0
	s_cbranch_execz .LBB36_542
; %bb.539:
	v_add_nc_u32_e32 v8, 0x260, v103
	v_add3_u32 v9, 0, v103, 16
	v_mov_b32_e32 v10, v0
	s_mov_b32 s44, 0
	.p2align	6
.LBB36_540:                             ; =>This Inner Loop Header: Depth=1
	s_clause 0x3
	buffer_load_dword v15, v9, s[0:3], 0 offen offset:8
	buffer_load_dword v16, v9, s[0:3], 0 offen offset:12
	buffer_load_dword v17, v9, s[0:3], 0 offen
	buffer_load_dword v18, v9, s[0:3], 0 offen offset:4
	ds_read_b128 v[11:14], v8
	v_add_nc_u32_e32 v10, 1, v10
	v_add_nc_u32_e32 v8, 16, v8
	;; [unrolled: 1-line block ×3, first 2 shown]
	v_cmp_lt_u32_e32 vcc_lo, 30, v10
	s_or_b32 s44, vcc_lo, s44
	s_waitcnt vmcnt(2) lgkmcnt(0)
	v_mul_f64 v[19:20], v[13:14], v[15:16]
	v_mul_f64 v[15:16], v[11:12], v[15:16]
	s_waitcnt vmcnt(0)
	v_fma_f64 v[11:12], v[11:12], v[17:18], -v[19:20]
	v_fma_f64 v[13:14], v[13:14], v[17:18], v[15:16]
	v_add_f64 v[1:2], v[1:2], v[11:12]
	v_add_f64 v[3:4], v[3:4], v[13:14]
	s_andn2_b32 exec_lo, exec_lo, s44
	s_cbranch_execnz .LBB36_540
; %bb.541:
	s_or_b32 exec_lo, exec_lo, s44
.LBB36_542:
	s_or_b32 exec_lo, exec_lo, s8
	v_mov_b32_e32 v8, 0
	ds_read_b128 v[8:11], v8 offset:512
	s_waitcnt lgkmcnt(0)
	v_mul_f64 v[12:13], v[3:4], v[10:11]
	v_mul_f64 v[10:11], v[1:2], v[10:11]
	v_fma_f64 v[1:2], v[1:2], v[8:9], -v[12:13]
	v_fma_f64 v[3:4], v[3:4], v[8:9], v[10:11]
	buffer_store_dword v2, off, s[0:3], 0 offset:516
	buffer_store_dword v1, off, s[0:3], 0 offset:512
	;; [unrolled: 1-line block ×4, first 2 shown]
.LBB36_543:
	s_or_b32 exec_lo, exec_lo, s4
	v_mov_b32_e32 v4, s10
	s_mov_b32 s4, exec_lo
	s_clause 0x3
	buffer_load_dword v1, v4, s[0:3], 0 offen
	buffer_load_dword v2, v4, s[0:3], 0 offen offset:4
	buffer_load_dword v3, v4, s[0:3], 0 offen offset:8
	;; [unrolled: 1-line block ×3, first 2 shown]
	s_waitcnt vmcnt(0)
	ds_write_b128 v6, v[1:4]
	s_waitcnt lgkmcnt(0)
	s_waitcnt_vscnt null, 0x0
	s_barrier
	buffer_gl0_inv
	v_cmpx_gt_u32_e32 33, v0
	s_cbranch_execz .LBB36_551
; %bb.544:
	ds_read_b128 v[1:4], v6
	v_cmp_ne_u32_e32 vcc_lo, 1, v7
	s_cbranch_vccnz .LBB36_546
; %bb.545:
	s_clause 0x3
	buffer_load_dword v8, v5, s[0:3], 0 offen offset:8
	buffer_load_dword v9, v5, s[0:3], 0 offen offset:12
	buffer_load_dword v10, v5, s[0:3], 0 offen
	buffer_load_dword v11, v5, s[0:3], 0 offen offset:4
	s_waitcnt vmcnt(2) lgkmcnt(0)
	v_mul_f64 v[12:13], v[3:4], v[8:9]
	v_mul_f64 v[8:9], v[1:2], v[8:9]
	s_waitcnt vmcnt(0)
	v_fma_f64 v[1:2], v[1:2], v[10:11], -v[12:13]
	v_fma_f64 v[3:4], v[3:4], v[10:11], v[8:9]
.LBB36_546:
	s_mov_b32 s8, exec_lo
	v_cmpx_ne_u32_e32 32, v0
	s_cbranch_execz .LBB36_550
; %bb.547:
	v_add_nc_u32_e32 v8, 0x260, v103
	v_add3_u32 v9, 0, v103, 16
	v_mov_b32_e32 v10, v0
	s_mov_b32 s44, 0
	.p2align	6
.LBB36_548:                             ; =>This Inner Loop Header: Depth=1
	s_clause 0x3
	buffer_load_dword v15, v9, s[0:3], 0 offen offset:8
	buffer_load_dword v16, v9, s[0:3], 0 offen offset:12
	buffer_load_dword v17, v9, s[0:3], 0 offen
	buffer_load_dword v18, v9, s[0:3], 0 offen offset:4
	ds_read_b128 v[11:14], v8
	v_add_nc_u32_e32 v10, 1, v10
	v_add_nc_u32_e32 v8, 16, v8
	;; [unrolled: 1-line block ×3, first 2 shown]
	v_cmp_lt_u32_e32 vcc_lo, 31, v10
	s_or_b32 s44, vcc_lo, s44
	s_waitcnt vmcnt(2) lgkmcnt(0)
	v_mul_f64 v[19:20], v[13:14], v[15:16]
	v_mul_f64 v[15:16], v[11:12], v[15:16]
	s_waitcnt vmcnt(0)
	v_fma_f64 v[11:12], v[11:12], v[17:18], -v[19:20]
	v_fma_f64 v[13:14], v[13:14], v[17:18], v[15:16]
	v_add_f64 v[1:2], v[1:2], v[11:12]
	v_add_f64 v[3:4], v[3:4], v[13:14]
	s_andn2_b32 exec_lo, exec_lo, s44
	s_cbranch_execnz .LBB36_548
; %bb.549:
	s_or_b32 exec_lo, exec_lo, s44
.LBB36_550:
	s_or_b32 exec_lo, exec_lo, s8
	v_mov_b32_e32 v8, 0
	ds_read_b128 v[8:11], v8 offset:528
	s_waitcnt lgkmcnt(0)
	v_mul_f64 v[12:13], v[3:4], v[10:11]
	v_mul_f64 v[10:11], v[1:2], v[10:11]
	v_fma_f64 v[1:2], v[1:2], v[8:9], -v[12:13]
	v_fma_f64 v[3:4], v[3:4], v[8:9], v[10:11]
	buffer_store_dword v2, off, s[0:3], 0 offset:532
	buffer_store_dword v1, off, s[0:3], 0 offset:528
	;; [unrolled: 1-line block ×4, first 2 shown]
.LBB36_551:
	s_or_b32 exec_lo, exec_lo, s4
	v_mov_b32_e32 v4, s9
	s_mov_b32 s4, exec_lo
	s_clause 0x3
	buffer_load_dword v1, v4, s[0:3], 0 offen
	buffer_load_dword v2, v4, s[0:3], 0 offen offset:4
	buffer_load_dword v3, v4, s[0:3], 0 offen offset:8
	;; [unrolled: 1-line block ×3, first 2 shown]
	s_waitcnt vmcnt(0)
	ds_write_b128 v6, v[1:4]
	s_waitcnt lgkmcnt(0)
	s_waitcnt_vscnt null, 0x0
	s_barrier
	buffer_gl0_inv
	v_cmpx_gt_u32_e32 34, v0
	s_cbranch_execz .LBB36_559
; %bb.552:
	ds_read_b128 v[1:4], v6
	v_cmp_ne_u32_e32 vcc_lo, 1, v7
	s_cbranch_vccnz .LBB36_554
; %bb.553:
	s_clause 0x3
	buffer_load_dword v8, v5, s[0:3], 0 offen offset:8
	buffer_load_dword v9, v5, s[0:3], 0 offen offset:12
	buffer_load_dword v10, v5, s[0:3], 0 offen
	buffer_load_dword v11, v5, s[0:3], 0 offen offset:4
	s_waitcnt vmcnt(2) lgkmcnt(0)
	v_mul_f64 v[12:13], v[3:4], v[8:9]
	v_mul_f64 v[8:9], v[1:2], v[8:9]
	s_waitcnt vmcnt(0)
	v_fma_f64 v[1:2], v[1:2], v[10:11], -v[12:13]
	v_fma_f64 v[3:4], v[3:4], v[10:11], v[8:9]
.LBB36_554:
	s_mov_b32 s8, exec_lo
	v_cmpx_ne_u32_e32 33, v0
	s_cbranch_execz .LBB36_558
; %bb.555:
	v_add_nc_u32_e32 v8, 0x260, v103
	v_add3_u32 v9, 0, v103, 16
	v_mov_b32_e32 v10, v0
	s_mov_b32 s44, 0
	.p2align	6
.LBB36_556:                             ; =>This Inner Loop Header: Depth=1
	s_clause 0x3
	buffer_load_dword v15, v9, s[0:3], 0 offen offset:8
	buffer_load_dword v16, v9, s[0:3], 0 offen offset:12
	buffer_load_dword v17, v9, s[0:3], 0 offen
	buffer_load_dword v18, v9, s[0:3], 0 offen offset:4
	ds_read_b128 v[11:14], v8
	v_add_nc_u32_e32 v10, 1, v10
	v_add_nc_u32_e32 v8, 16, v8
	;; [unrolled: 1-line block ×3, first 2 shown]
	v_cmp_lt_u32_e32 vcc_lo, 32, v10
	s_or_b32 s44, vcc_lo, s44
	s_waitcnt vmcnt(2) lgkmcnt(0)
	v_mul_f64 v[19:20], v[13:14], v[15:16]
	v_mul_f64 v[15:16], v[11:12], v[15:16]
	s_waitcnt vmcnt(0)
	v_fma_f64 v[11:12], v[11:12], v[17:18], -v[19:20]
	v_fma_f64 v[13:14], v[13:14], v[17:18], v[15:16]
	v_add_f64 v[1:2], v[1:2], v[11:12]
	v_add_f64 v[3:4], v[3:4], v[13:14]
	s_andn2_b32 exec_lo, exec_lo, s44
	s_cbranch_execnz .LBB36_556
; %bb.557:
	s_or_b32 exec_lo, exec_lo, s44
.LBB36_558:
	s_or_b32 exec_lo, exec_lo, s8
	v_mov_b32_e32 v8, 0
	ds_read_b128 v[8:11], v8 offset:544
	s_waitcnt lgkmcnt(0)
	v_mul_f64 v[12:13], v[3:4], v[10:11]
	v_mul_f64 v[10:11], v[1:2], v[10:11]
	v_fma_f64 v[1:2], v[1:2], v[8:9], -v[12:13]
	v_fma_f64 v[3:4], v[3:4], v[8:9], v[10:11]
	buffer_store_dword v2, off, s[0:3], 0 offset:548
	buffer_store_dword v1, off, s[0:3], 0 offset:544
	;; [unrolled: 1-line block ×4, first 2 shown]
.LBB36_559:
	s_or_b32 exec_lo, exec_lo, s4
	v_mov_b32_e32 v4, s7
	v_cmp_gt_u32_e64 s4, 35, v0
	s_clause 0x3
	buffer_load_dword v1, v4, s[0:3], 0 offen
	buffer_load_dword v2, v4, s[0:3], 0 offen offset:4
	buffer_load_dword v3, v4, s[0:3], 0 offen offset:8
	;; [unrolled: 1-line block ×3, first 2 shown]
	s_waitcnt vmcnt(0)
	ds_write_b128 v6, v[1:4]
	s_waitcnt lgkmcnt(0)
	s_waitcnt_vscnt null, 0x0
	s_barrier
	buffer_gl0_inv
	s_and_saveexec_b32 s8, s4
	s_cbranch_execz .LBB36_567
; %bb.560:
	ds_read_b128 v[1:4], v6
	v_cmp_ne_u32_e32 vcc_lo, 1, v7
	s_cbranch_vccnz .LBB36_562
; %bb.561:
	s_clause 0x3
	buffer_load_dword v8, v5, s[0:3], 0 offen offset:8
	buffer_load_dword v9, v5, s[0:3], 0 offen offset:12
	buffer_load_dword v10, v5, s[0:3], 0 offen
	buffer_load_dword v11, v5, s[0:3], 0 offen offset:4
	s_waitcnt vmcnt(2) lgkmcnt(0)
	v_mul_f64 v[12:13], v[3:4], v[8:9]
	v_mul_f64 v[8:9], v[1:2], v[8:9]
	s_waitcnt vmcnt(0)
	v_fma_f64 v[1:2], v[1:2], v[10:11], -v[12:13]
	v_fma_f64 v[3:4], v[3:4], v[10:11], v[8:9]
.LBB36_562:
	s_mov_b32 s44, exec_lo
	v_cmpx_ne_u32_e32 34, v0
	s_cbranch_execz .LBB36_566
; %bb.563:
	v_add_nc_u32_e32 v8, 0x260, v103
	v_add3_u32 v9, 0, v103, 16
	v_mov_b32_e32 v10, v0
	s_mov_b32 s45, 0
	.p2align	6
.LBB36_564:                             ; =>This Inner Loop Header: Depth=1
	s_clause 0x3
	buffer_load_dword v15, v9, s[0:3], 0 offen offset:8
	buffer_load_dword v16, v9, s[0:3], 0 offen offset:12
	buffer_load_dword v17, v9, s[0:3], 0 offen
	buffer_load_dword v18, v9, s[0:3], 0 offen offset:4
	ds_read_b128 v[11:14], v8
	v_add_nc_u32_e32 v10, 1, v10
	v_add_nc_u32_e32 v8, 16, v8
	;; [unrolled: 1-line block ×3, first 2 shown]
	v_cmp_lt_u32_e32 vcc_lo, 33, v10
	s_or_b32 s45, vcc_lo, s45
	s_waitcnt vmcnt(2) lgkmcnt(0)
	v_mul_f64 v[19:20], v[13:14], v[15:16]
	v_mul_f64 v[15:16], v[11:12], v[15:16]
	s_waitcnt vmcnt(0)
	v_fma_f64 v[11:12], v[11:12], v[17:18], -v[19:20]
	v_fma_f64 v[13:14], v[13:14], v[17:18], v[15:16]
	v_add_f64 v[1:2], v[1:2], v[11:12]
	v_add_f64 v[3:4], v[3:4], v[13:14]
	s_andn2_b32 exec_lo, exec_lo, s45
	s_cbranch_execnz .LBB36_564
; %bb.565:
	s_or_b32 exec_lo, exec_lo, s45
.LBB36_566:
	s_or_b32 exec_lo, exec_lo, s44
	v_mov_b32_e32 v8, 0
	ds_read_b128 v[8:11], v8 offset:560
	s_waitcnt lgkmcnt(0)
	v_mul_f64 v[12:13], v[3:4], v[10:11]
	v_mul_f64 v[10:11], v[1:2], v[10:11]
	v_fma_f64 v[1:2], v[1:2], v[8:9], -v[12:13]
	v_fma_f64 v[3:4], v[3:4], v[8:9], v[10:11]
	buffer_store_dword v2, off, s[0:3], 0 offset:564
	buffer_store_dword v1, off, s[0:3], 0 offset:560
	;; [unrolled: 1-line block ×4, first 2 shown]
.LBB36_567:
	s_or_b32 exec_lo, exec_lo, s8
	v_mov_b32_e32 v4, s6
	s_mov_b32 s8, exec_lo
                                        ; implicit-def: $sgpr46
	s_clause 0x3
	buffer_load_dword v1, v4, s[0:3], 0 offen
	buffer_load_dword v2, v4, s[0:3], 0 offen offset:4
	buffer_load_dword v3, v4, s[0:3], 0 offen offset:8
	;; [unrolled: 1-line block ×3, first 2 shown]
	s_waitcnt vmcnt(0)
	ds_write_b128 v6, v[1:4]
	s_waitcnt lgkmcnt(0)
	s_waitcnt_vscnt null, 0x0
	s_barrier
	buffer_gl0_inv
                                        ; implicit-def: $vgpr1_vgpr2
	v_cmpx_ne_u32_e32 36, v0
	s_cbranch_execz .LBB36_575
; %bb.568:
	ds_read_b128 v[1:4], v6
	v_cmp_ne_u32_e32 vcc_lo, 1, v7
	s_cbranch_vccnz .LBB36_570
; %bb.569:
	s_clause 0x3
	buffer_load_dword v6, v5, s[0:3], 0 offen offset:8
	buffer_load_dword v7, v5, s[0:3], 0 offen offset:12
	buffer_load_dword v8, v5, s[0:3], 0 offen
	buffer_load_dword v9, v5, s[0:3], 0 offen offset:4
	s_waitcnt vmcnt(2) lgkmcnt(0)
	v_mul_f64 v[10:11], v[3:4], v[6:7]
	v_mul_f64 v[5:6], v[1:2], v[6:7]
	s_waitcnt vmcnt(0)
	v_fma_f64 v[1:2], v[1:2], v[8:9], -v[10:11]
	v_fma_f64 v[3:4], v[3:4], v[8:9], v[5:6]
.LBB36_570:
	s_and_saveexec_b32 s44, s4
	s_cbranch_execz .LBB36_574
; %bb.571:
	v_add_nc_u32_e32 v5, 0x260, v103
	v_add3_u32 v6, 0, v103, 16
	s_mov_b32 s4, 0
	.p2align	6
.LBB36_572:                             ; =>This Inner Loop Header: Depth=1
	s_clause 0x3
	buffer_load_dword v11, v6, s[0:3], 0 offen offset:8
	buffer_load_dword v12, v6, s[0:3], 0 offen offset:12
	buffer_load_dword v13, v6, s[0:3], 0 offen
	buffer_load_dword v14, v6, s[0:3], 0 offen offset:4
	ds_read_b128 v[7:10], v5
	v_add_nc_u32_e32 v0, 1, v0
	v_add_nc_u32_e32 v5, 16, v5
	;; [unrolled: 1-line block ×3, first 2 shown]
	v_cmp_lt_u32_e32 vcc_lo, 34, v0
	s_or_b32 s4, vcc_lo, s4
	s_waitcnt vmcnt(2) lgkmcnt(0)
	v_mul_f64 v[15:16], v[9:10], v[11:12]
	v_mul_f64 v[11:12], v[7:8], v[11:12]
	s_waitcnt vmcnt(0)
	v_fma_f64 v[7:8], v[7:8], v[13:14], -v[15:16]
	v_fma_f64 v[9:10], v[9:10], v[13:14], v[11:12]
	v_add_f64 v[1:2], v[1:2], v[7:8]
	v_add_f64 v[3:4], v[3:4], v[9:10]
	s_andn2_b32 exec_lo, exec_lo, s4
	s_cbranch_execnz .LBB36_572
; %bb.573:
	s_or_b32 exec_lo, exec_lo, s4
.LBB36_574:
	s_or_b32 exec_lo, exec_lo, s44
	v_mov_b32_e32 v0, 0
	s_movk_i32 s46, 0x248
	s_or_b32 s5, s5, exec_lo
	ds_read_b128 v[5:8], v0 offset:576
	s_waitcnt lgkmcnt(0)
	v_mul_f64 v[9:10], v[3:4], v[7:8]
	v_mul_f64 v[7:8], v[1:2], v[7:8]
	v_fma_f64 v[9:10], v[1:2], v[5:6], -v[9:10]
	v_fma_f64 v[1:2], v[3:4], v[5:6], v[7:8]
	buffer_store_dword v10, off, s[0:3], 0 offset:580
	buffer_store_dword v9, off, s[0:3], 0 offset:576
.LBB36_575:
	s_or_b32 exec_lo, exec_lo, s8
.LBB36_576:
	s_and_saveexec_b32 s4, s5
	s_cbranch_execz .LBB36_578
; %bb.577:
	v_mov_b32_e32 v0, s46
	buffer_store_dword v2, v0, s[0:3], 0 offen offset:4
	buffer_store_dword v1, v0, s[0:3], 0 offen
.LBB36_578:
	s_or_b32 exec_lo, exec_lo, s4
	v_mov_b32_e32 v7, s43
	s_clause 0x7
	buffer_load_dword v0, off, s[0:3], 0
	buffer_load_dword v1, off, s[0:3], 0 offset:4
	buffer_load_dword v2, off, s[0:3], 0 offset:8
	;; [unrolled: 1-line block ×3, first 2 shown]
	buffer_load_dword v4, v7, s[0:3], 0 offen
	buffer_load_dword v5, v7, s[0:3], 0 offen offset:4
	buffer_load_dword v6, v7, s[0:3], 0 offen offset:8
	;; [unrolled: 1-line block ×3, first 2 shown]
	v_mov_b32_e32 v11, s42
	v_mov_b32_e32 v15, s41
	;; [unrolled: 1-line block ×3, first 2 shown]
	s_clause 0x7
	buffer_load_dword v8, v11, s[0:3], 0 offen
	buffer_load_dword v9, v11, s[0:3], 0 offen offset:4
	buffer_load_dword v10, v11, s[0:3], 0 offen offset:8
	;; [unrolled: 1-line block ×3, first 2 shown]
	buffer_load_dword v12, v15, s[0:3], 0 offen
	buffer_load_dword v13, v15, s[0:3], 0 offen offset:4
	buffer_load_dword v14, v15, s[0:3], 0 offen offset:8
	;; [unrolled: 1-line block ×3, first 2 shown]
	v_mov_b32_e32 v23, s39
	s_clause 0x7
	buffer_load_dword v16, v19, s[0:3], 0 offen
	buffer_load_dword v17, v19, s[0:3], 0 offen offset:4
	buffer_load_dword v18, v19, s[0:3], 0 offen offset:8
	;; [unrolled: 1-line block ×3, first 2 shown]
	buffer_load_dword v20, v23, s[0:3], 0 offen
	buffer_load_dword v21, v23, s[0:3], 0 offen offset:4
	buffer_load_dword v22, v23, s[0:3], 0 offen offset:8
	;; [unrolled: 1-line block ×3, first 2 shown]
	v_mov_b32_e32 v27, s38
	s_clause 0x3
	buffer_load_dword v24, v27, s[0:3], 0 offen
	buffer_load_dword v25, v27, s[0:3], 0 offen offset:4
	buffer_load_dword v26, v27, s[0:3], 0 offen offset:8
	;; [unrolled: 1-line block ×3, first 2 shown]
	v_mov_b32_e32 v28, s37
	v_mov_b32_e32 v107, s36
	s_clause 0x3
	buffer_load_dword v103, v28, s[0:3], 0 offen
	buffer_load_dword v104, v28, s[0:3], 0 offen offset:4
	buffer_load_dword v105, v28, s[0:3], 0 offen offset:8
	;; [unrolled: 1-line block ×3, first 2 shown]
	v_mov_b32_e32 v28, s35
	v_mov_b32_e32 v110, s31
	;; [unrolled: 1-line block ×5, first 2 shown]
	s_waitcnt vmcnt(28)
	global_store_dwordx4 v[39:40], v[0:3], off
	s_clause 0x3
	buffer_load_dword v0, v107, s[0:3], 0 offen
	buffer_load_dword v1, v107, s[0:3], 0 offen offset:4
	buffer_load_dword v2, v107, s[0:3], 0 offen offset:8
	;; [unrolled: 1-line block ×3, first 2 shown]
	v_mov_b32_e32 v40, s34
	s_waitcnt vmcnt(28)
	global_store_dwordx4 v[37:38], v[4:7], off
	s_clause 0x3
	buffer_load_dword v4, v28, s[0:3], 0 offen
	buffer_load_dword v5, v28, s[0:3], 0 offen offset:4
	buffer_load_dword v6, v28, s[0:3], 0 offen offset:8
	;; [unrolled: 1-line block ×3, first 2 shown]
	v_mov_b32_e32 v28, s33
	s_clause 0x3
	buffer_load_dword v37, v40, s[0:3], 0 offen
	buffer_load_dword v38, v40, s[0:3], 0 offen offset:4
	buffer_load_dword v39, v40, s[0:3], 0 offen offset:8
	;; [unrolled: 1-line block ×3, first 2 shown]
	s_waitcnt vmcnt(32)
	global_store_dwordx4 v[33:34], v[8:11], off
	s_clause 0x7
	buffer_load_dword v8, v28, s[0:3], 0 offen
	buffer_load_dword v9, v28, s[0:3], 0 offen offset:4
	buffer_load_dword v10, v28, s[0:3], 0 offen offset:8
	;; [unrolled: 1-line block ×3, first 2 shown]
	buffer_load_dword v107, v110, s[0:3], 0 offen
	buffer_load_dword v108, v110, s[0:3], 0 offen offset:4
	buffer_load_dword v109, v110, s[0:3], 0 offen offset:8
	;; [unrolled: 1-line block ×3, first 2 shown]
	s_waitcnt vmcnt(36)
	global_store_dwordx4 v[31:32], v[12:15], off
	v_mov_b32_e32 v15, s30
	v_mov_b32_e32 v28, s29
	s_clause 0x3
	buffer_load_dword v12, v15, s[0:3], 0 offen
	buffer_load_dword v13, v15, s[0:3], 0 offen offset:4
	buffer_load_dword v14, v15, s[0:3], 0 offen offset:8
	;; [unrolled: 1-line block ×3, first 2 shown]
	v_mov_b32_e32 v31, s28
	s_waitcnt vmcnt(36)
	global_store_dwordx4 v[29:30], v[16:19], off
	s_clause 0x7
	buffer_load_dword v16, v28, s[0:3], 0 offen
	buffer_load_dword v17, v28, s[0:3], 0 offen offset:4
	buffer_load_dword v18, v28, s[0:3], 0 offen offset:8
	;; [unrolled: 1-line block ×3, first 2 shown]
	buffer_load_dword v28, v31, s[0:3], 0 offen
	buffer_load_dword v29, v31, s[0:3], 0 offen offset:4
	buffer_load_dword v30, v31, s[0:3], 0 offen offset:8
	buffer_load_dword v31, v31, s[0:3], 0 offen offset:12
	s_waitcnt vmcnt(40)
	global_store_dwordx4 v[47:48], v[20:23], off
	v_mov_b32_e32 v23, s27
	v_mov_b32_e32 v32, s26
	s_clause 0x3
	buffer_load_dword v20, v23, s[0:3], 0 offen
	buffer_load_dword v21, v23, s[0:3], 0 offen offset:4
	buffer_load_dword v22, v23, s[0:3], 0 offen offset:8
	buffer_load_dword v23, v23, s[0:3], 0 offen offset:12
	s_waitcnt vmcnt(40)
	global_store_dwordx4 v[53:54], v[24:27], off
	s_clause 0x3
	buffer_load_dword v24, v32, s[0:3], 0 offen
	buffer_load_dword v25, v32, s[0:3], 0 offen offset:4
	buffer_load_dword v26, v32, s[0:3], 0 offen offset:8
	;; [unrolled: 1-line block ×3, first 2 shown]
	v_mov_b32_e32 v32, s25
	s_clause 0x3
	buffer_load_dword v111, v32, s[0:3], 0 offen
	buffer_load_dword v112, v32, s[0:3], 0 offen offset:4
	buffer_load_dword v113, v32, s[0:3], 0 offen offset:8
	;; [unrolled: 1-line block ×3, first 2 shown]
	v_mov_b32_e32 v32, s24
	v_mov_b32_e32 v33, s23
	;; [unrolled: 1-line block ×4, first 2 shown]
	s_waitcnt vmcnt(44)
	global_store_dwordx4 v[57:58], v[103:106], off
	v_mov_b32_e32 v34, s22
	v_mov_b32_e32 v57, s15
	;; [unrolled: 1-line block ×9, first 2 shown]
	s_waitcnt vmcnt(40)
	global_store_dwordx4 v[49:50], v[0:3], off
	v_mov_b32_e32 v50, s17
	v_mov_b32_e32 v49, s18
	s_waitcnt vmcnt(36)
	global_store_dwordx4 v[43:44], v[4:7], off
	s_waitcnt vmcnt(32)
	global_store_dwordx4 v[35:36], v[37:40], off
	s_clause 0x3
	buffer_load_dword v0, v32, s[0:3], 0 offen
	buffer_load_dword v1, v32, s[0:3], 0 offen offset:4
	buffer_load_dword v2, v32, s[0:3], 0 offen offset:8
	buffer_load_dword v3, v32, s[0:3], 0 offen offset:12
	s_waitcnt vmcnt(32)
	global_store_dwordx4 v[41:42], v[8:11], off
	s_clause 0x7
	buffer_load_dword v4, v33, s[0:3], 0 offen
	buffer_load_dword v5, v33, s[0:3], 0 offen offset:4
	buffer_load_dword v6, v33, s[0:3], 0 offen offset:8
	buffer_load_dword v7, v33, s[0:3], 0 offen offset:12
	buffer_load_dword v8, v34, s[0:3], 0 offen
	buffer_load_dword v9, v34, s[0:3], 0 offen offset:4
	buffer_load_dword v10, v34, s[0:3], 0 offen offset:8
	buffer_load_dword v11, v34, s[0:3], 0 offen offset:12
	s_waitcnt vmcnt(36)
	global_store_dwordx4 v[45:46], v[107:110], off
	s_clause 0x7
	buffer_load_dword v32, v47, s[0:3], 0 offen
	buffer_load_dword v33, v47, s[0:3], 0 offen offset:4
	buffer_load_dword v34, v47, s[0:3], 0 offen offset:8
	buffer_load_dword v35, v47, s[0:3], 0 offen offset:12
	;; [unrolled: 11-line block ×8, first 2 shown]
	buffer_load_dword v103, v116, s[0:3], 0 offen
	buffer_load_dword v104, v116, s[0:3], 0 offen offset:4
	buffer_load_dword v105, v116, s[0:3], 0 offen offset:8
	;; [unrolled: 1-line block ×3, first 2 shown]
	buffer_load_dword v107, v117, s[0:3], 0 offen
	buffer_load_dword v108, v117, s[0:3], 0 offen offset:4
	buffer_load_dword v109, v117, s[0:3], 0 offen offset:8
	;; [unrolled: 1-line block ×3, first 2 shown]
	s_waitcnt vmcnt(62)
	global_store_dwordx4 v[67:68], v[0:3], off
	global_store_dwordx4 v[69:70], v[4:7], off
	s_waitcnt vmcnt(60)
	global_store_dwordx4 v[71:72], v[8:11], off
	s_waitcnt vmcnt(56)
	;; [unrolled: 2-line block ×16, first 2 shown]
	global_store_dwordx4 v[99:100], v[107:110], off
.LBB36_579:
	s_endpgm
	.section	.rodata,"a",@progbits
	.p2align	6, 0x0
	.amdhsa_kernel _ZN9rocsolver6v33100L18trti2_kernel_smallILi37E19rocblas_complex_numIdEPS3_EEv13rocblas_fill_17rocblas_diagonal_T1_iil
		.amdhsa_group_segment_fixed_size 1184
		.amdhsa_private_segment_fixed_size 608
		.amdhsa_kernarg_size 32
		.amdhsa_user_sgpr_count 6
		.amdhsa_user_sgpr_private_segment_buffer 1
		.amdhsa_user_sgpr_dispatch_ptr 0
		.amdhsa_user_sgpr_queue_ptr 0
		.amdhsa_user_sgpr_kernarg_segment_ptr 1
		.amdhsa_user_sgpr_dispatch_id 0
		.amdhsa_user_sgpr_flat_scratch_init 0
		.amdhsa_user_sgpr_private_segment_size 0
		.amdhsa_wavefront_size32 1
		.amdhsa_uses_dynamic_stack 0
		.amdhsa_system_sgpr_private_segment_wavefront_offset 1
		.amdhsa_system_sgpr_workgroup_id_x 1
		.amdhsa_system_sgpr_workgroup_id_y 0
		.amdhsa_system_sgpr_workgroup_id_z 0
		.amdhsa_system_sgpr_workgroup_info 0
		.amdhsa_system_vgpr_workitem_id 0
		.amdhsa_next_free_vgpr 118
		.amdhsa_next_free_sgpr 60
		.amdhsa_reserve_vcc 1
		.amdhsa_reserve_flat_scratch 0
		.amdhsa_float_round_mode_32 0
		.amdhsa_float_round_mode_16_64 0
		.amdhsa_float_denorm_mode_32 3
		.amdhsa_float_denorm_mode_16_64 3
		.amdhsa_dx10_clamp 1
		.amdhsa_ieee_mode 1
		.amdhsa_fp16_overflow 0
		.amdhsa_workgroup_processor_mode 1
		.amdhsa_memory_ordered 1
		.amdhsa_forward_progress 1
		.amdhsa_shared_vgpr_count 0
		.amdhsa_exception_fp_ieee_invalid_op 0
		.amdhsa_exception_fp_denorm_src 0
		.amdhsa_exception_fp_ieee_div_zero 0
		.amdhsa_exception_fp_ieee_overflow 0
		.amdhsa_exception_fp_ieee_underflow 0
		.amdhsa_exception_fp_ieee_inexact 0
		.amdhsa_exception_int_div_zero 0
	.end_amdhsa_kernel
	.section	.text._ZN9rocsolver6v33100L18trti2_kernel_smallILi37E19rocblas_complex_numIdEPS3_EEv13rocblas_fill_17rocblas_diagonal_T1_iil,"axG",@progbits,_ZN9rocsolver6v33100L18trti2_kernel_smallILi37E19rocblas_complex_numIdEPS3_EEv13rocblas_fill_17rocblas_diagonal_T1_iil,comdat
.Lfunc_end36:
	.size	_ZN9rocsolver6v33100L18trti2_kernel_smallILi37E19rocblas_complex_numIdEPS3_EEv13rocblas_fill_17rocblas_diagonal_T1_iil, .Lfunc_end36-_ZN9rocsolver6v33100L18trti2_kernel_smallILi37E19rocblas_complex_numIdEPS3_EEv13rocblas_fill_17rocblas_diagonal_T1_iil
                                        ; -- End function
	.set _ZN9rocsolver6v33100L18trti2_kernel_smallILi37E19rocblas_complex_numIdEPS3_EEv13rocblas_fill_17rocblas_diagonal_T1_iil.num_vgpr, 118
	.set _ZN9rocsolver6v33100L18trti2_kernel_smallILi37E19rocblas_complex_numIdEPS3_EEv13rocblas_fill_17rocblas_diagonal_T1_iil.num_agpr, 0
	.set _ZN9rocsolver6v33100L18trti2_kernel_smallILi37E19rocblas_complex_numIdEPS3_EEv13rocblas_fill_17rocblas_diagonal_T1_iil.numbered_sgpr, 60
	.set _ZN9rocsolver6v33100L18trti2_kernel_smallILi37E19rocblas_complex_numIdEPS3_EEv13rocblas_fill_17rocblas_diagonal_T1_iil.num_named_barrier, 0
	.set _ZN9rocsolver6v33100L18trti2_kernel_smallILi37E19rocblas_complex_numIdEPS3_EEv13rocblas_fill_17rocblas_diagonal_T1_iil.private_seg_size, 608
	.set _ZN9rocsolver6v33100L18trti2_kernel_smallILi37E19rocblas_complex_numIdEPS3_EEv13rocblas_fill_17rocblas_diagonal_T1_iil.uses_vcc, 1
	.set _ZN9rocsolver6v33100L18trti2_kernel_smallILi37E19rocblas_complex_numIdEPS3_EEv13rocblas_fill_17rocblas_diagonal_T1_iil.uses_flat_scratch, 0
	.set _ZN9rocsolver6v33100L18trti2_kernel_smallILi37E19rocblas_complex_numIdEPS3_EEv13rocblas_fill_17rocblas_diagonal_T1_iil.has_dyn_sized_stack, 0
	.set _ZN9rocsolver6v33100L18trti2_kernel_smallILi37E19rocblas_complex_numIdEPS3_EEv13rocblas_fill_17rocblas_diagonal_T1_iil.has_recursion, 0
	.set _ZN9rocsolver6v33100L18trti2_kernel_smallILi37E19rocblas_complex_numIdEPS3_EEv13rocblas_fill_17rocblas_diagonal_T1_iil.has_indirect_call, 0
	.section	.AMDGPU.csdata,"",@progbits
; Kernel info:
; codeLenInByte = 37500
; TotalNumSgprs: 62
; NumVgprs: 118
; ScratchSize: 608
; MemoryBound: 0
; FloatMode: 240
; IeeeMode: 1
; LDSByteSize: 1184 bytes/workgroup (compile time only)
; SGPRBlocks: 0
; VGPRBlocks: 14
; NumSGPRsForWavesPerEU: 62
; NumVGPRsForWavesPerEU: 118
; Occupancy: 8
; WaveLimiterHint : 0
; COMPUTE_PGM_RSRC2:SCRATCH_EN: 1
; COMPUTE_PGM_RSRC2:USER_SGPR: 6
; COMPUTE_PGM_RSRC2:TRAP_HANDLER: 0
; COMPUTE_PGM_RSRC2:TGID_X_EN: 1
; COMPUTE_PGM_RSRC2:TGID_Y_EN: 0
; COMPUTE_PGM_RSRC2:TGID_Z_EN: 0
; COMPUTE_PGM_RSRC2:TIDIG_COMP_CNT: 0
	.section	.text._ZN9rocsolver6v33100L18trti2_kernel_smallILi38E19rocblas_complex_numIdEPS3_EEv13rocblas_fill_17rocblas_diagonal_T1_iil,"axG",@progbits,_ZN9rocsolver6v33100L18trti2_kernel_smallILi38E19rocblas_complex_numIdEPS3_EEv13rocblas_fill_17rocblas_diagonal_T1_iil,comdat
	.globl	_ZN9rocsolver6v33100L18trti2_kernel_smallILi38E19rocblas_complex_numIdEPS3_EEv13rocblas_fill_17rocblas_diagonal_T1_iil ; -- Begin function _ZN9rocsolver6v33100L18trti2_kernel_smallILi38E19rocblas_complex_numIdEPS3_EEv13rocblas_fill_17rocblas_diagonal_T1_iil
	.p2align	8
	.type	_ZN9rocsolver6v33100L18trti2_kernel_smallILi38E19rocblas_complex_numIdEPS3_EEv13rocblas_fill_17rocblas_diagonal_T1_iil,@function
_ZN9rocsolver6v33100L18trti2_kernel_smallILi38E19rocblas_complex_numIdEPS3_EEv13rocblas_fill_17rocblas_diagonal_T1_iil: ; @_ZN9rocsolver6v33100L18trti2_kernel_smallILi38E19rocblas_complex_numIdEPS3_EEv13rocblas_fill_17rocblas_diagonal_T1_iil
; %bb.0:
	s_add_u32 s0, s0, s7
	s_addc_u32 s1, s1, 0
	s_mov_b32 s7, exec_lo
	v_cmpx_gt_u32_e32 38, v0
	s_cbranch_execz .LBB37_595
; %bb.1:
	s_load_dwordx8 s[8:15], s[4:5], 0x0
	s_ashr_i32 s4, s6, 31
	v_lshlrev_b32_e32 v87, 4, v0
	s_movk_i32 s16, 0xf0
	s_movk_i32 s17, 0x100
	;; [unrolled: 1-line block ×17, first 2 shown]
	s_waitcnt lgkmcnt(0)
	s_mul_hi_u32 s5, s14, s6
	s_mul_i32 s4, s14, s4
	s_mul_i32 s7, s15, s6
	s_add_i32 s5, s5, s4
	s_mul_i32 s4, s14, s6
	s_add_i32 s5, s5, s7
	s_ashr_i32 s7, s12, 31
	s_lshl_b64 s[4:5], s[4:5], 4
	s_mov_b32 s6, s12
	s_add_u32 s10, s10, s4
	s_addc_u32 s11, s11, s5
	s_lshl_b64 s[4:5], s[6:7], 4
	v_add3_u32 v1, s13, s13, v0
	s_add_u32 s4, s10, s4
	s_addc_u32 s5, s11, s5
	v_add_co_u32 v61, s10, s4, v87
	global_load_dwordx4 v[7:10], v87, s[4:5]
	v_add_nc_u32_e32 v3, s13, v1
	v_ashrrev_i32_e32 v2, 31, v1
	s_mov_b32 s6, s13
	s_ashr_i32 s7, s13, 31
	v_add_co_ci_u32_e64 v62, null, s5, 0, s10
	v_add_nc_u32_e32 v5, s13, v3
	v_lshlrev_b64 v[1:2], 4, v[1:2]
	s_lshl_b64 s[6:7], s[6:7], 4
	v_ashrrev_i32_e32 v4, 31, v3
	v_add_co_u32 v53, vcc_lo, v61, s6
	v_add_nc_u32_e32 v19, s13, v5
	v_add_co_ci_u32_e64 v54, null, s7, v62, vcc_lo
	v_add_co_u32 v57, vcc_lo, s4, v1
	v_add_nc_u32_e32 v25, s13, v19
	v_ashrrev_i32_e32 v6, 31, v5
	v_add_co_ci_u32_e64 v58, null, s5, v2, vcc_lo
	v_lshlrev_b64 v[1:2], 4, v[3:4]
	v_add_nc_u32_e32 v33, s13, v25
	v_lshlrev_b64 v[3:4], 4, v[5:6]
	s_clause 0x1
	global_load_dwordx4 v[11:14], v[53:54], off
	global_load_dwordx4 v[15:18], v[57:58], off
	v_ashrrev_i32_e32 v20, 31, v19
	v_add_nc_u32_e32 v35, s13, v33
	v_add_co_u32 v55, vcc_lo, s4, v1
	v_add_co_ci_u32_e64 v56, null, s5, v2, vcc_lo
	v_add_nc_u32_e32 v37, s13, v35
	v_add_co_u32 v49, vcc_lo, s4, v3
	v_ashrrev_i32_e32 v26, 31, v25
	v_add_co_ci_u32_e64 v50, null, s5, v4, vcc_lo
	v_add_nc_u32_e32 v45, s13, v37
	global_load_dwordx4 v[21:24], v[55:56], off
	v_lshlrev_b64 v[3:4], 4, v[19:20]
	v_lshlrev_b64 v[19:20], 4, v[25:26]
	global_load_dwordx4 v[25:28], v[49:50], off
	v_add_nc_u32_e32 v51, s13, v45
	v_ashrrev_i32_e32 v34, 31, v33
	v_ashrrev_i32_e32 v36, 31, v35
	v_add_co_u32 v41, vcc_lo, s4, v3
	v_add_nc_u32_e32 v59, s13, v51
	v_add_co_ci_u32_e64 v42, null, s5, v4, vcc_lo
	v_ashrrev_i32_e32 v38, 31, v37
	v_ashrrev_i32_e32 v46, 31, v45
	v_add_nc_u32_e32 v75, s13, v59
	v_ashrrev_i32_e32 v52, 31, v51
	v_ashrrev_i32_e32 v60, 31, v59
	s_cmpk_lg_i32 s9, 0x84
	s_movk_i32 s6, 0x70
	v_add_nc_u32_e32 v77, s13, v75
	v_ashrrev_i32_e32 v76, 31, v75
	s_movk_i32 s7, 0x80
	s_movk_i32 s10, 0x90
	s_movk_i32 s11, 0xa0
	v_add_nc_u32_e32 v79, s13, v77
	v_ashrrev_i32_e32 v78, 31, v77
	s_movk_i32 s12, 0xb0
	s_movk_i32 s14, 0xd0
	;; [unrolled: 5-line block ×4, first 2 shown]
	s_movk_i32 s61, 0x250
	v_add_nc_u32_e32 v85, s13, v83
	v_ashrrev_i32_e32 v84, 31, v83
	s_cselect_b32 s46, -1, 0
	s_cmpk_eq_i32 s9, 0x84
	v_add_nc_u32_e32 v88, s13, v85
	v_ashrrev_i32_e32 v86, 31, v85
	v_add_nc_u32_e32 v90, s13, v88
	v_ashrrev_i32_e32 v89, 31, v88
	;; [unrolled: 2-line block ×19, first 2 shown]
	s_movk_i32 s13, 0xc0
	v_ashrrev_i32_e32 v2, 31, v1
	v_lshlrev_b64 v[1:2], 4, v[1:2]
	v_add_co_u32 v5, vcc_lo, s4, v1
	v_add_co_ci_u32_e64 v6, null, s5, v2, vcc_lo
	v_add_co_u32 v39, vcc_lo, s4, v19
	v_add_co_ci_u32_e64 v40, null, s5, v20, vcc_lo
	s_clause 0x1
	global_load_dwordx4 v[29:32], v[41:42], off
	global_load_dwordx4 v[1:4], v[5:6], off
	s_waitcnt vmcnt(6)
	buffer_store_dword v10, off, s[0:3], 0 offset:12
	buffer_store_dword v9, off, s[0:3], 0 offset:8
	;; [unrolled: 1-line block ×3, first 2 shown]
	buffer_store_dword v7, off, s[0:3], 0
	global_load_dwordx4 v[63:66], v[39:40], off
	v_lshlrev_b64 v[7:8], 4, v[33:34]
	v_lshlrev_b64 v[9:10], 4, v[35:36]
	s_waitcnt vmcnt(6)
	buffer_store_dword v14, off, s[0:3], 0 offset:28
	buffer_store_dword v13, off, s[0:3], 0 offset:24
	;; [unrolled: 1-line block ×4, first 2 shown]
	v_add_co_u32 v47, vcc_lo, s4, v7
	v_add_co_ci_u32_e64 v48, null, s5, v8, vcc_lo
	v_lshlrev_b64 v[7:8], 4, v[37:38]
	v_add_co_u32 v43, vcc_lo, s4, v9
	v_add_co_ci_u32_e64 v44, null, s5, v10, vcc_lo
	v_lshlrev_b64 v[9:10], 4, v[45:46]
	global_load_dwordx4 v[67:70], v[47:48], off
	v_add_co_u32 v35, vcc_lo, s4, v7
	v_add_co_ci_u32_e64 v36, null, s5, v8, vcc_lo
	s_waitcnt vmcnt(6)
	buffer_store_dword v18, off, s[0:3], 0 offset:44
	buffer_store_dword v17, off, s[0:3], 0 offset:40
	;; [unrolled: 1-line block ×4, first 2 shown]
	v_add_co_u32 v19, vcc_lo, s4, v9
	global_load_dwordx4 v[15:18], v[43:44], off
	v_add_co_ci_u32_e64 v20, null, s5, v10, vcc_lo
	s_waitcnt vmcnt(6)
	buffer_store_dword v24, off, s[0:3], 0 offset:60
	buffer_store_dword v23, off, s[0:3], 0 offset:56
	;; [unrolled: 1-line block ×4, first 2 shown]
	global_load_dwordx4 v[71:74], v[35:36], off
	v_lshlrev_b64 v[7:8], 4, v[51:52]
	s_waitcnt vmcnt(6)
	buffer_store_dword v28, off, s[0:3], 0 offset:76
	buffer_store_dword v27, off, s[0:3], 0 offset:72
	;; [unrolled: 1-line block ×4, first 2 shown]
	global_load_dwordx4 v[23:26], v[19:20], off
	v_lshlrev_b64 v[11:12], 4, v[59:60]
	v_lshlrev_b64 v[21:22], 4, v[77:78]
	;; [unrolled: 1-line block ×3, first 2 shown]
	v_add_co_u32 v9, vcc_lo, s4, v7
	v_add_co_ci_u32_e64 v10, null, s5, v8, vcc_lo
	v_add_co_u32 v7, vcc_lo, s4, v11
	v_add_co_ci_u32_e64 v8, null, s5, v12, vcc_lo
	v_lshlrev_b64 v[11:12], 4, v[75:76]
	v_lshlrev_b64 v[45:46], 4, v[81:82]
	;; [unrolled: 1-line block ×4, first 2 shown]
	s_waitcnt vmcnt(6)
	buffer_store_dword v32, off, s[0:3], 0 offset:92
	buffer_store_dword v31, off, s[0:3], 0 offset:88
	;; [unrolled: 1-line block ×4, first 2 shown]
	global_load_dwordx4 v[27:30], v[9:10], off
	v_add_co_u32 v13, vcc_lo, s4, v11
	v_add_co_ci_u32_e64 v14, null, s5, v12, vcc_lo
	v_add_co_u32 v11, vcc_lo, s4, v21
	v_add_co_ci_u32_e64 v12, null, s5, v22, vcc_lo
	;; [unrolled: 2-line block ×3, first 2 shown]
	v_lshlrev_b64 v[37:38], 4, v[96:97]
	s_waitcnt vmcnt(5)
	buffer_store_dword v66, off, s[0:3], 0 offset:108
	buffer_store_dword v65, off, s[0:3], 0 offset:104
	;; [unrolled: 1-line block ×4, first 2 shown]
	global_load_dwordx4 v[31:34], v[7:8], off
	s_waitcnt vmcnt(5)
	buffer_store_dword v70, off, s[0:3], 0 offset:124
	buffer_store_dword v69, off, s[0:3], 0 offset:120
	;; [unrolled: 1-line block ×4, first 2 shown]
	global_load_dwordx4 v[63:66], v[13:14], off
	s_waitcnt vmcnt(5)
	buffer_store_dword v18, off, s[0:3], 0 offset:140
	buffer_store_dword v17, off, s[0:3], 0 offset:136
	;; [unrolled: 1-line block ×4, first 2 shown]
	v_add_co_u32 v17, vcc_lo, s4, v45
	global_load_dwordx4 v[67:70], v[11:12], off
	v_add_co_ci_u32_e64 v18, null, s5, v46, vcc_lo
	s_waitcnt vmcnt(5)
	buffer_store_dword v71, off, s[0:3], 0 offset:144
	buffer_store_dword v72, off, s[0:3], 0 offset:148
	;; [unrolled: 1-line block ×4, first 2 shown]
	global_load_dwordx4 v[71:74], v[21:22], off
	v_lshlrev_b64 v[15:16], 4, v[83:84]
	s_waitcnt vmcnt(5)
	buffer_store_dword v23, off, s[0:3], 0 offset:160
	buffer_store_dword v24, off, s[0:3], 0 offset:164
	;; [unrolled: 1-line block ×4, first 2 shown]
	global_load_dwordx4 v[75:78], v[17:18], off
	v_lshlrev_b64 v[25:26], 4, v[85:86]
	v_lshlrev_b64 v[45:46], 4, v[98:99]
	s_waitcnt vmcnt(5)
	buffer_store_dword v27, off, s[0:3], 0 offset:176
	buffer_store_dword v28, off, s[0:3], 0 offset:180
	;; [unrolled: 1-line block ×4, first 2 shown]
	v_add_co_u32 v23, vcc_lo, s4, v15
	v_add_co_ci_u32_e64 v24, null, s5, v16, vcc_lo
	v_add_co_u32 v15, vcc_lo, s4, v25
	v_add_co_ci_u32_e64 v16, null, s5, v26, vcc_lo
	global_load_dwordx4 v[79:82], v[23:24], off
	v_lshlrev_b64 v[25:26], 4, v[88:89]
	v_lshlrev_b64 v[29:30], 4, v[90:91]
	s_waitcnt vmcnt(5)
	buffer_store_dword v34, off, s[0:3], 0 offset:204
	buffer_store_dword v33, off, s[0:3], 0 offset:200
	;; [unrolled: 1-line block ×4, first 2 shown]
	global_load_dwordx4 v[83:86], v[15:16], off
	v_add_co_u32 v27, vcc_lo, s4, v25
	v_add_co_ci_u32_e64 v28, null, s5, v26, vcc_lo
	v_lshlrev_b64 v[31:32], 4, v[92:93]
	v_add_co_u32 v25, vcc_lo, s4, v29
	s_waitcnt vmcnt(5)
	buffer_store_dword v66, off, s[0:3], 0 offset:220
	buffer_store_dword v65, off, s[0:3], 0 offset:216
	;; [unrolled: 1-line block ×4, first 2 shown]
	v_lshlrev_b64 v[33:34], 4, v[94:95]
	global_load_dwordx4 v[63:66], v[27:28], off
	v_add_co_ci_u32_e64 v26, null, s5, v30, vcc_lo
	v_add_co_u32 v29, vcc_lo, s4, v31
	v_add_co_ci_u32_e64 v30, null, s5, v32, vcc_lo
	v_add_co_u32 v31, vcc_lo, s4, v33
	s_waitcnt vmcnt(5)
	buffer_store_dword v70, off, s[0:3], 0 offset:236
	buffer_store_dword v69, off, s[0:3], 0 offset:232
	;; [unrolled: 1-line block ×4, first 2 shown]
	global_load_dwordx4 v[67:70], v[25:26], off
	v_add_co_ci_u32_e64 v32, null, s5, v34, vcc_lo
	s_waitcnt vmcnt(5)
	buffer_store_dword v74, off, s[0:3], 0 offset:252
	buffer_store_dword v73, off, s[0:3], 0 offset:248
	;; [unrolled: 1-line block ×4, first 2 shown]
	global_load_dwordx4 v[71:74], v[29:30], off
	s_waitcnt vmcnt(5)
	buffer_store_dword v78, off, s[0:3], 0 offset:268
	buffer_store_dword v77, off, s[0:3], 0 offset:264
	;; [unrolled: 1-line block ×4, first 2 shown]
	global_load_dwordx4 v[75:78], v[31:32], off
	v_add_co_u32 v33, vcc_lo, s4, v37
	v_add_co_ci_u32_e64 v34, null, s5, v38, vcc_lo
	v_add_co_u32 v37, vcc_lo, s4, v45
	v_add_co_ci_u32_e64 v38, null, s5, v46, vcc_lo
	v_lshlrev_b64 v[45:46], 4, v[100:101]
	s_waitcnt vmcnt(5)
	buffer_store_dword v82, off, s[0:3], 0 offset:284
	buffer_store_dword v81, off, s[0:3], 0 offset:280
	;; [unrolled: 1-line block ×4, first 2 shown]
	global_load_dwordx4 v[79:82], v[33:34], off
	v_add_co_u32 v45, vcc_lo, s4, v45
	v_add_co_ci_u32_e64 v46, null, s5, v46, vcc_lo
	v_add_co_u32 v51, vcc_lo, s4, v51
	v_add_co_ci_u32_e64 v52, null, s5, v52, vcc_lo
	;; [unrolled: 2-line block ×3, first 2 shown]
	s_waitcnt vmcnt(5)
	buffer_store_dword v86, off, s[0:3], 0 offset:300
	buffer_store_dword v85, off, s[0:3], 0 offset:296
	;; [unrolled: 1-line block ×4, first 2 shown]
	global_load_dwordx4 v[83:86], v[37:38], off
	s_waitcnt vmcnt(5)
	buffer_store_dword v66, off, s[0:3], 0 offset:316
	buffer_store_dword v65, off, s[0:3], 0 offset:312
	;; [unrolled: 1-line block ×4, first 2 shown]
	v_lshlrev_b64 v[63:64], 4, v[106:107]
	global_load_dwordx4 v[88:91], v[45:46], off
	s_waitcnt vmcnt(5)
	buffer_store_dword v70, off, s[0:3], 0 offset:332
	buffer_store_dword v69, off, s[0:3], 0 offset:328
	;; [unrolled: 1-line block ×4, first 2 shown]
	v_add_co_u32 v63, vcc_lo, s4, v63
	global_load_dwordx4 v[92:95], v[51:52], off
	v_add_co_ci_u32_e64 v64, null, s5, v64, vcc_lo
	s_waitcnt vmcnt(5)
	buffer_store_dword v74, off, s[0:3], 0 offset:348
	buffer_store_dword v73, off, s[0:3], 0 offset:344
	;; [unrolled: 1-line block ×4, first 2 shown]
	global_load_dwordx4 v[96:99], v[59:60], off
	v_lshlrev_b64 v[65:66], 4, v[108:109]
	s_waitcnt vmcnt(5)
	buffer_store_dword v78, off, s[0:3], 0 offset:364
	buffer_store_dword v77, off, s[0:3], 0 offset:360
	;; [unrolled: 1-line block ×4, first 2 shown]
	global_load_dwordx4 v[100:103], v[63:64], off
	v_lshlrev_b64 v[67:68], 4, v[110:111]
	v_lshlrev_b64 v[69:70], 4, v[112:113]
	;; [unrolled: 1-line block ×3, first 2 shown]
	v_add_co_u32 v65, vcc_lo, s4, v65
	v_add_co_ci_u32_e64 v66, null, s5, v66, vcc_lo
	v_add_co_u32 v67, vcc_lo, s4, v67
	v_add_co_ci_u32_e64 v68, null, s5, v68, vcc_lo
	v_lshlrev_b64 v[73:74], 4, v[116:117]
	v_add_co_u32 v69, vcc_lo, s4, v69
	v_lshlrev_b64 v[75:76], 4, v[118:119]
	v_add_co_ci_u32_e64 v70, null, s5, v70, vcc_lo
	v_add_co_u32 v71, vcc_lo, s4, v71
	v_add_co_ci_u32_e64 v72, null, s5, v72, vcc_lo
	v_add_co_u32 v73, vcc_lo, s4, v73
	;; [unrolled: 2-line block ×3, first 2 shown]
	v_add_co_ci_u32_e64 v76, null, s5, v76, vcc_lo
	v_lshlrev_b64 v[77:78], 4, v[120:121]
	s_waitcnt vmcnt(5)
	buffer_store_dword v82, off, s[0:3], 0 offset:380
	buffer_store_dword v81, off, s[0:3], 0 offset:376
	;; [unrolled: 1-line block ×4, first 2 shown]
	global_load_dwordx4 v[104:107], v[65:66], off
	v_lshlrev_b64 v[79:80], 4, v[122:123]
	v_add_co_u32 v77, vcc_lo, s4, v77
	v_add_co_ci_u32_e64 v78, null, s5, v78, vcc_lo
	s_waitcnt vmcnt(5)
	buffer_store_dword v86, off, s[0:3], 0 offset:396
	buffer_store_dword v85, off, s[0:3], 0 offset:392
	buffer_store_dword v84, off, s[0:3], 0 offset:388
	buffer_store_dword v83, off, s[0:3], 0 offset:384
	global_load_dwordx4 v[81:84], v[67:68], off
	v_add_co_u32 v79, vcc_lo, s4, v79
	v_add_co_ci_u32_e64 v80, null, s5, v80, vcc_lo
	s_movk_i32 s4, 0x50
	s_movk_i32 s5, 0x60
	s_waitcnt vmcnt(5)
	buffer_store_dword v91, off, s[0:3], 0 offset:412
	buffer_store_dword v90, off, s[0:3], 0 offset:408
	;; [unrolled: 1-line block ×4, first 2 shown]
	s_waitcnt vmcnt(4)
	buffer_store_dword v95, off, s[0:3], 0 offset:428
	buffer_store_dword v94, off, s[0:3], 0 offset:424
	;; [unrolled: 1-line block ×4, first 2 shown]
	s_clause 0x1
	global_load_dwordx4 v[88:91], v[69:70], off
	global_load_dwordx4 v[92:95], v[71:72], off
	s_waitcnt vmcnt(5)
	buffer_store_dword v99, off, s[0:3], 0 offset:444
	buffer_store_dword v98, off, s[0:3], 0 offset:440
	;; [unrolled: 1-line block ×4, first 2 shown]
	s_waitcnt vmcnt(4)
	buffer_store_dword v103, off, s[0:3], 0 offset:460
	buffer_store_dword v102, off, s[0:3], 0 offset:456
	;; [unrolled: 1-line block ×4, first 2 shown]
	s_clause 0x1
	global_load_dwordx4 v[96:99], v[73:74], off
	global_load_dwordx4 v[100:103], v[75:76], off
	s_waitcnt vmcnt(5)
	buffer_store_dword v107, off, s[0:3], 0 offset:476
	buffer_store_dword v106, off, s[0:3], 0 offset:472
	buffer_store_dword v105, off, s[0:3], 0 offset:468
	buffer_store_dword v104, off, s[0:3], 0 offset:464
	global_load_dwordx4 v[104:107], v[77:78], off
	s_waitcnt vmcnt(5)
	buffer_store_dword v84, off, s[0:3], 0 offset:492
	buffer_store_dword v83, off, s[0:3], 0 offset:488
	buffer_store_dword v82, off, s[0:3], 0 offset:484
	buffer_store_dword v81, off, s[0:3], 0 offset:480
	;; [unrolled: 6-line block ×3, first 2 shown]
	s_waitcnt vmcnt(4)
	buffer_store_dword v95, off, s[0:3], 0 offset:524
	buffer_store_dword v94, off, s[0:3], 0 offset:520
	buffer_store_dword v93, off, s[0:3], 0 offset:516
	buffer_store_dword v92, off, s[0:3], 0 offset:512
	s_waitcnt vmcnt(3)
	buffer_store_dword v99, off, s[0:3], 0 offset:540
	buffer_store_dword v98, off, s[0:3], 0 offset:536
	buffer_store_dword v97, off, s[0:3], 0 offset:532
	buffer_store_dword v96, off, s[0:3], 0 offset:528
	;; [unrolled: 5-line block ×5, first 2 shown]
	buffer_store_dword v4, off, s[0:3], 0 offset:604
	buffer_store_dword v3, off, s[0:3], 0 offset:600
	;; [unrolled: 1-line block ×4, first 2 shown]
	s_cbranch_scc1 .LBB37_7
; %bb.2:
	v_lshl_add_u32 v88, v0, 4, 0
                                        ; implicit-def: $vgpr83_vgpr84
                                        ; implicit-def: $vgpr3_vgpr4
	s_clause 0x3
	buffer_load_dword v81, v88, s[0:3], 0 offen
	buffer_load_dword v82, v88, s[0:3], 0 offen offset:4
	buffer_load_dword v85, v88, s[0:3], 0 offen offset:8
	;; [unrolled: 1-line block ×3, first 2 shown]
	s_waitcnt vmcnt(0)
	v_cmp_ngt_f64_e64 s9, |v[81:82]|, |v[85:86]|
	s_and_saveexec_b32 s24, s9
	s_xor_b32 s9, exec_lo, s24
	s_cbranch_execz .LBB37_4
; %bb.3:
	v_div_scale_f64 v[1:2], null, v[85:86], v[85:86], v[81:82]
	v_div_scale_f64 v[89:90], vcc_lo, v[81:82], v[85:86], v[81:82]
	v_rcp_f64_e32 v[3:4], v[1:2]
	v_fma_f64 v[83:84], -v[1:2], v[3:4], 1.0
	v_fma_f64 v[3:4], v[3:4], v[83:84], v[3:4]
	v_fma_f64 v[83:84], -v[1:2], v[3:4], 1.0
	v_fma_f64 v[3:4], v[3:4], v[83:84], v[3:4]
	v_mul_f64 v[83:84], v[89:90], v[3:4]
	v_fma_f64 v[1:2], -v[1:2], v[83:84], v[89:90]
	v_div_fmas_f64 v[1:2], v[1:2], v[3:4], v[83:84]
	v_div_fixup_f64 v[1:2], v[1:2], v[85:86], v[81:82]
	v_fma_f64 v[3:4], v[81:82], v[1:2], v[85:86]
	v_div_scale_f64 v[81:82], null, v[3:4], v[3:4], 1.0
	v_div_scale_f64 v[89:90], vcc_lo, 1.0, v[3:4], 1.0
	v_rcp_f64_e32 v[83:84], v[81:82]
	v_fma_f64 v[85:86], -v[81:82], v[83:84], 1.0
	v_fma_f64 v[83:84], v[83:84], v[85:86], v[83:84]
	v_fma_f64 v[85:86], -v[81:82], v[83:84], 1.0
	v_fma_f64 v[83:84], v[83:84], v[85:86], v[83:84]
	v_mul_f64 v[85:86], v[89:90], v[83:84]
	v_fma_f64 v[81:82], -v[81:82], v[85:86], v[89:90]
	v_div_fmas_f64 v[81:82], v[81:82], v[83:84], v[85:86]
                                        ; implicit-def: $vgpr85_vgpr86
	v_div_fixup_f64 v[3:4], v[81:82], v[3:4], 1.0
                                        ; implicit-def: $vgpr81_vgpr82
	v_mul_f64 v[83:84], v[1:2], v[3:4]
	v_xor_b32_e32 v4, 0x80000000, v4
	v_xor_b32_e32 v2, 0x80000000, v84
	v_mov_b32_e32 v1, v83
.LBB37_4:
	s_andn2_saveexec_b32 s9, s9
	s_cbranch_execz .LBB37_6
; %bb.5:
	v_div_scale_f64 v[1:2], null, v[81:82], v[81:82], v[85:86]
	v_div_scale_f64 v[89:90], vcc_lo, v[85:86], v[81:82], v[85:86]
	v_rcp_f64_e32 v[3:4], v[1:2]
	v_fma_f64 v[83:84], -v[1:2], v[3:4], 1.0
	v_fma_f64 v[3:4], v[3:4], v[83:84], v[3:4]
	v_fma_f64 v[83:84], -v[1:2], v[3:4], 1.0
	v_fma_f64 v[3:4], v[3:4], v[83:84], v[3:4]
	v_mul_f64 v[83:84], v[89:90], v[3:4]
	v_fma_f64 v[1:2], -v[1:2], v[83:84], v[89:90]
	v_div_fmas_f64 v[1:2], v[1:2], v[3:4], v[83:84]
	v_div_fixup_f64 v[1:2], v[1:2], v[81:82], v[85:86]
	v_fma_f64 v[3:4], v[85:86], v[1:2], v[81:82]
	v_div_scale_f64 v[81:82], null, v[3:4], v[3:4], 1.0
	v_rcp_f64_e32 v[83:84], v[81:82]
	v_fma_f64 v[85:86], -v[81:82], v[83:84], 1.0
	v_fma_f64 v[83:84], v[83:84], v[85:86], v[83:84]
	v_fma_f64 v[85:86], -v[81:82], v[83:84], 1.0
	v_fma_f64 v[83:84], v[83:84], v[85:86], v[83:84]
	v_div_scale_f64 v[85:86], vcc_lo, 1.0, v[3:4], 1.0
	v_mul_f64 v[89:90], v[85:86], v[83:84]
	v_fma_f64 v[81:82], -v[81:82], v[89:90], v[85:86]
	v_div_fmas_f64 v[81:82], v[81:82], v[83:84], v[89:90]
	v_div_fixup_f64 v[83:84], v[81:82], v[3:4], 1.0
	v_mul_f64 v[3:4], v[1:2], -v[83:84]
	v_xor_b32_e32 v2, 0x80000000, v84
	v_mov_b32_e32 v1, v83
.LBB37_6:
	s_or_b32 exec_lo, exec_lo, s9
	buffer_store_dword v4, v88, s[0:3], 0 offen offset:12
	v_xor_b32_e32 v4, 0x80000000, v4
	buffer_store_dword v84, v88, s[0:3], 0 offen offset:4
	buffer_store_dword v83, v88, s[0:3], 0 offen
	buffer_store_dword v3, v88, s[0:3], 0 offen offset:8
	s_branch .LBB37_8
.LBB37_7:
	v_mov_b32_e32 v1, 0
	v_mov_b32_e32 v3, 0
	v_mov_b32_e32 v2, 0xbff00000
	v_mov_b32_e32 v4, 0
.LBB37_8:
	v_add_nc_u32_e32 v82, 0x260, v87
	v_mov_b32_e32 v81, v87
	s_mov_b32 s44, 16
	s_mov_b32 s45, 32
	;; [unrolled: 1-line block ×36, first 2 shown]
	s_cmpk_eq_i32 s8, 0x79
	ds_write_b128 v87, v[1:4]
	s_cbranch_scc1 .LBB37_300
; %bb.9:
	v_mov_b32_e32 v4, s9
	v_cmp_eq_u32_e64 s4, 37, v0
	s_clause 0x3
	buffer_load_dword v1, v4, s[0:3], 0 offen
	buffer_load_dword v2, v4, s[0:3], 0 offen offset:4
	buffer_load_dword v3, v4, s[0:3], 0 offen offset:8
	;; [unrolled: 1-line block ×3, first 2 shown]
	s_waitcnt vmcnt(0)
	ds_write_b128 v82, v[1:4]
	s_waitcnt lgkmcnt(0)
	s_waitcnt_vscnt null, 0x0
	s_barrier
	buffer_gl0_inv
	s_and_saveexec_b32 s5, s4
	s_cbranch_execz .LBB37_13
; %bb.10:
	ds_read_b128 v[1:4], v82
	s_andn2_b32 vcc_lo, exec_lo, s46
	s_cbranch_vccnz .LBB37_12
; %bb.11:
	s_clause 0x3
	buffer_load_dword v83, v81, s[0:3], 0 offen offset:8
	buffer_load_dword v84, v81, s[0:3], 0 offen offset:12
	buffer_load_dword v85, v81, s[0:3], 0 offen
	buffer_load_dword v86, v81, s[0:3], 0 offen offset:4
	s_waitcnt vmcnt(2) lgkmcnt(0)
	v_mul_f64 v[88:89], v[3:4], v[83:84]
	v_mul_f64 v[83:84], v[1:2], v[83:84]
	s_waitcnt vmcnt(0)
	v_fma_f64 v[1:2], v[1:2], v[85:86], -v[88:89]
	v_fma_f64 v[3:4], v[3:4], v[85:86], v[83:84]
.LBB37_12:
	v_mov_b32_e32 v83, 0
	ds_read_b128 v[83:86], v83 offset:576
	s_waitcnt lgkmcnt(0)
	v_mul_f64 v[88:89], v[3:4], v[85:86]
	v_mul_f64 v[85:86], v[1:2], v[85:86]
	v_fma_f64 v[1:2], v[1:2], v[83:84], -v[88:89]
	v_fma_f64 v[3:4], v[3:4], v[83:84], v[85:86]
	buffer_store_dword v2, off, s[0:3], 0 offset:580
	buffer_store_dword v1, off, s[0:3], 0 offset:576
	;; [unrolled: 1-line block ×4, first 2 shown]
.LBB37_13:
	s_or_b32 exec_lo, exec_lo, s5
	v_mov_b32_e32 v4, s10
	v_cmp_lt_u32_e64 s5, 35, v0
	s_clause 0x3
	buffer_load_dword v1, v4, s[0:3], 0 offen
	buffer_load_dword v2, v4, s[0:3], 0 offen offset:4
	buffer_load_dword v3, v4, s[0:3], 0 offen offset:8
	;; [unrolled: 1-line block ×3, first 2 shown]
	s_waitcnt vmcnt(0)
	ds_write_b128 v82, v[1:4]
	s_waitcnt lgkmcnt(0)
	s_waitcnt_vscnt null, 0x0
	s_barrier
	buffer_gl0_inv
	s_and_saveexec_b32 s6, s5
	s_cbranch_execz .LBB37_19
; %bb.14:
	ds_read_b128 v[1:4], v82
	s_andn2_b32 vcc_lo, exec_lo, s46
	s_cbranch_vccnz .LBB37_16
; %bb.15:
	s_clause 0x3
	buffer_load_dword v83, v81, s[0:3], 0 offen offset:8
	buffer_load_dword v84, v81, s[0:3], 0 offen offset:12
	buffer_load_dword v85, v81, s[0:3], 0 offen
	buffer_load_dword v86, v81, s[0:3], 0 offen offset:4
	s_waitcnt vmcnt(2) lgkmcnt(0)
	v_mul_f64 v[88:89], v[3:4], v[83:84]
	v_mul_f64 v[83:84], v[1:2], v[83:84]
	s_waitcnt vmcnt(0)
	v_fma_f64 v[1:2], v[1:2], v[85:86], -v[88:89]
	v_fma_f64 v[3:4], v[3:4], v[85:86], v[83:84]
.LBB37_16:
	s_and_saveexec_b32 s8, s4
	s_cbranch_execz .LBB37_18
; %bb.17:
	s_clause 0x3
	buffer_load_dword v88, off, s[0:3], 0 offset:584
	buffer_load_dword v89, off, s[0:3], 0 offset:588
	;; [unrolled: 1-line block ×4, first 2 shown]
	v_mov_b32_e32 v83, 0
	ds_read_b128 v[83:86], v83 offset:1184
	s_waitcnt vmcnt(2) lgkmcnt(0)
	v_mul_f64 v[92:93], v[83:84], v[88:89]
	v_mul_f64 v[88:89], v[85:86], v[88:89]
	s_waitcnt vmcnt(0)
	v_fma_f64 v[85:86], v[85:86], v[90:91], v[92:93]
	v_fma_f64 v[83:84], v[83:84], v[90:91], -v[88:89]
	v_add_f64 v[3:4], v[3:4], v[85:86]
	v_add_f64 v[1:2], v[1:2], v[83:84]
.LBB37_18:
	s_or_b32 exec_lo, exec_lo, s8
	v_mov_b32_e32 v83, 0
	ds_read_b128 v[83:86], v83 offset:560
	s_waitcnt lgkmcnt(0)
	v_mul_f64 v[88:89], v[3:4], v[85:86]
	v_mul_f64 v[85:86], v[1:2], v[85:86]
	v_fma_f64 v[1:2], v[1:2], v[83:84], -v[88:89]
	v_fma_f64 v[3:4], v[3:4], v[83:84], v[85:86]
	buffer_store_dword v2, off, s[0:3], 0 offset:564
	buffer_store_dword v1, off, s[0:3], 0 offset:560
	;; [unrolled: 1-line block ×4, first 2 shown]
.LBB37_19:
	s_or_b32 exec_lo, exec_lo, s6
	v_mov_b32_e32 v4, s11
	v_cmp_lt_u32_e64 s4, 34, v0
	s_clause 0x3
	buffer_load_dword v1, v4, s[0:3], 0 offen
	buffer_load_dword v2, v4, s[0:3], 0 offen offset:4
	buffer_load_dword v3, v4, s[0:3], 0 offen offset:8
	;; [unrolled: 1-line block ×3, first 2 shown]
	s_waitcnt vmcnt(0)
	ds_write_b128 v82, v[1:4]
	s_waitcnt lgkmcnt(0)
	s_waitcnt_vscnt null, 0x0
	s_barrier
	buffer_gl0_inv
	s_and_saveexec_b32 s6, s4
	s_cbranch_execz .LBB37_27
; %bb.20:
	ds_read_b128 v[1:4], v82
	s_andn2_b32 vcc_lo, exec_lo, s46
	s_cbranch_vccnz .LBB37_22
; %bb.21:
	s_clause 0x3
	buffer_load_dword v83, v81, s[0:3], 0 offen offset:8
	buffer_load_dword v84, v81, s[0:3], 0 offen offset:12
	buffer_load_dword v85, v81, s[0:3], 0 offen
	buffer_load_dword v86, v81, s[0:3], 0 offen offset:4
	s_waitcnt vmcnt(2) lgkmcnt(0)
	v_mul_f64 v[88:89], v[3:4], v[83:84]
	v_mul_f64 v[83:84], v[1:2], v[83:84]
	s_waitcnt vmcnt(0)
	v_fma_f64 v[1:2], v[1:2], v[85:86], -v[88:89]
	v_fma_f64 v[3:4], v[3:4], v[85:86], v[83:84]
.LBB37_22:
	s_and_saveexec_b32 s8, s5
	s_cbranch_execz .LBB37_26
; %bb.23:
	v_subrev_nc_u32_e32 v83, 35, v0
	s_movk_i32 s47, 0x490
	s_mov_b32 s5, 0
	s_mov_b32 s48, s10
	.p2align	6
.LBB37_24:                              ; =>This Inner Loop Header: Depth=1
	v_mov_b32_e32 v86, s48
	v_add_nc_u32_e32 v83, -1, v83
	s_add_i32 s48, s48, 16
	s_clause 0x3
	buffer_load_dword v84, v86, s[0:3], 0 offen offset:8
	buffer_load_dword v85, v86, s[0:3], 0 offen offset:12
	buffer_load_dword v92, v86, s[0:3], 0 offen
	buffer_load_dword v93, v86, s[0:3], 0 offen offset:4
	v_mov_b32_e32 v86, s47
	v_cmp_eq_u32_e32 vcc_lo, 0, v83
	s_add_i32 s47, s47, 16
	ds_read_b128 v[88:91], v86
	s_or_b32 s5, vcc_lo, s5
	s_waitcnt vmcnt(2) lgkmcnt(0)
	v_mul_f64 v[94:95], v[90:91], v[84:85]
	v_mul_f64 v[84:85], v[88:89], v[84:85]
	s_waitcnt vmcnt(0)
	v_fma_f64 v[88:89], v[88:89], v[92:93], -v[94:95]
	v_fma_f64 v[84:85], v[90:91], v[92:93], v[84:85]
	v_add_f64 v[1:2], v[1:2], v[88:89]
	v_add_f64 v[3:4], v[3:4], v[84:85]
	s_andn2_b32 exec_lo, exec_lo, s5
	s_cbranch_execnz .LBB37_24
; %bb.25:
	s_or_b32 exec_lo, exec_lo, s5
.LBB37_26:
	s_or_b32 exec_lo, exec_lo, s8
	v_mov_b32_e32 v83, 0
	ds_read_b128 v[83:86], v83 offset:544
	s_waitcnt lgkmcnt(0)
	v_mul_f64 v[88:89], v[3:4], v[85:86]
	v_mul_f64 v[85:86], v[1:2], v[85:86]
	v_fma_f64 v[1:2], v[1:2], v[83:84], -v[88:89]
	v_fma_f64 v[3:4], v[3:4], v[83:84], v[85:86]
	buffer_store_dword v2, off, s[0:3], 0 offset:548
	buffer_store_dword v1, off, s[0:3], 0 offset:544
	;; [unrolled: 1-line block ×4, first 2 shown]
.LBB37_27:
	s_or_b32 exec_lo, exec_lo, s6
	v_mov_b32_e32 v4, s12
	v_cmp_lt_u32_e64 s5, 33, v0
	s_clause 0x3
	buffer_load_dword v1, v4, s[0:3], 0 offen
	buffer_load_dword v2, v4, s[0:3], 0 offen offset:4
	buffer_load_dword v3, v4, s[0:3], 0 offen offset:8
	;; [unrolled: 1-line block ×3, first 2 shown]
	s_waitcnt vmcnt(0)
	ds_write_b128 v82, v[1:4]
	s_waitcnt lgkmcnt(0)
	s_waitcnt_vscnt null, 0x0
	s_barrier
	buffer_gl0_inv
	s_and_saveexec_b32 s6, s5
	s_cbranch_execz .LBB37_35
; %bb.28:
	ds_read_b128 v[1:4], v82
	s_andn2_b32 vcc_lo, exec_lo, s46
	s_cbranch_vccnz .LBB37_30
; %bb.29:
	s_clause 0x3
	buffer_load_dword v83, v81, s[0:3], 0 offen offset:8
	buffer_load_dword v84, v81, s[0:3], 0 offen offset:12
	buffer_load_dword v85, v81, s[0:3], 0 offen
	buffer_load_dword v86, v81, s[0:3], 0 offen offset:4
	s_waitcnt vmcnt(2) lgkmcnt(0)
	v_mul_f64 v[88:89], v[3:4], v[83:84]
	v_mul_f64 v[83:84], v[1:2], v[83:84]
	s_waitcnt vmcnt(0)
	v_fma_f64 v[1:2], v[1:2], v[85:86], -v[88:89]
	v_fma_f64 v[3:4], v[3:4], v[85:86], v[83:84]
.LBB37_30:
	s_and_saveexec_b32 s8, s4
	s_cbranch_execz .LBB37_34
; %bb.31:
	v_subrev_nc_u32_e32 v83, 34, v0
	s_movk_i32 s47, 0x480
	s_mov_b32 s4, 0
	s_mov_b32 s48, s11
	.p2align	6
.LBB37_32:                              ; =>This Inner Loop Header: Depth=1
	v_mov_b32_e32 v86, s48
	v_add_nc_u32_e32 v83, -1, v83
	s_add_i32 s48, s48, 16
	s_clause 0x3
	buffer_load_dword v84, v86, s[0:3], 0 offen offset:8
	buffer_load_dword v85, v86, s[0:3], 0 offen offset:12
	buffer_load_dword v92, v86, s[0:3], 0 offen
	buffer_load_dword v93, v86, s[0:3], 0 offen offset:4
	v_mov_b32_e32 v86, s47
	v_cmp_eq_u32_e32 vcc_lo, 0, v83
	s_add_i32 s47, s47, 16
	ds_read_b128 v[88:91], v86
	s_or_b32 s4, vcc_lo, s4
	s_waitcnt vmcnt(2) lgkmcnt(0)
	v_mul_f64 v[94:95], v[90:91], v[84:85]
	v_mul_f64 v[84:85], v[88:89], v[84:85]
	s_waitcnt vmcnt(0)
	v_fma_f64 v[88:89], v[88:89], v[92:93], -v[94:95]
	v_fma_f64 v[84:85], v[90:91], v[92:93], v[84:85]
	v_add_f64 v[1:2], v[1:2], v[88:89]
	v_add_f64 v[3:4], v[3:4], v[84:85]
	s_andn2_b32 exec_lo, exec_lo, s4
	s_cbranch_execnz .LBB37_32
; %bb.33:
	s_or_b32 exec_lo, exec_lo, s4
.LBB37_34:
	s_or_b32 exec_lo, exec_lo, s8
	v_mov_b32_e32 v83, 0
	ds_read_b128 v[83:86], v83 offset:528
	s_waitcnt lgkmcnt(0)
	v_mul_f64 v[88:89], v[3:4], v[85:86]
	v_mul_f64 v[85:86], v[1:2], v[85:86]
	v_fma_f64 v[1:2], v[1:2], v[83:84], -v[88:89]
	v_fma_f64 v[3:4], v[3:4], v[83:84], v[85:86]
	buffer_store_dword v2, off, s[0:3], 0 offset:532
	buffer_store_dword v1, off, s[0:3], 0 offset:528
	;; [unrolled: 1-line block ×4, first 2 shown]
.LBB37_35:
	s_or_b32 exec_lo, exec_lo, s6
	v_mov_b32_e32 v4, s13
	v_cmp_lt_u32_e64 s4, 32, v0
	s_clause 0x3
	buffer_load_dword v1, v4, s[0:3], 0 offen
	buffer_load_dword v2, v4, s[0:3], 0 offen offset:4
	buffer_load_dword v3, v4, s[0:3], 0 offen offset:8
	;; [unrolled: 1-line block ×3, first 2 shown]
	s_waitcnt vmcnt(0)
	ds_write_b128 v82, v[1:4]
	s_waitcnt lgkmcnt(0)
	s_waitcnt_vscnt null, 0x0
	s_barrier
	buffer_gl0_inv
	s_and_saveexec_b32 s6, s4
	s_cbranch_execz .LBB37_43
; %bb.36:
	ds_read_b128 v[1:4], v82
	s_andn2_b32 vcc_lo, exec_lo, s46
	s_cbranch_vccnz .LBB37_38
; %bb.37:
	s_clause 0x3
	buffer_load_dword v83, v81, s[0:3], 0 offen offset:8
	buffer_load_dword v84, v81, s[0:3], 0 offen offset:12
	buffer_load_dword v85, v81, s[0:3], 0 offen
	buffer_load_dword v86, v81, s[0:3], 0 offen offset:4
	s_waitcnt vmcnt(2) lgkmcnt(0)
	v_mul_f64 v[88:89], v[3:4], v[83:84]
	v_mul_f64 v[83:84], v[1:2], v[83:84]
	s_waitcnt vmcnt(0)
	v_fma_f64 v[1:2], v[1:2], v[85:86], -v[88:89]
	v_fma_f64 v[3:4], v[3:4], v[85:86], v[83:84]
.LBB37_38:
	s_and_saveexec_b32 s8, s5
	s_cbranch_execz .LBB37_42
; %bb.39:
	v_subrev_nc_u32_e32 v83, 33, v0
	s_movk_i32 s47, 0x470
	s_mov_b32 s5, 0
	s_mov_b32 s48, s12
	.p2align	6
.LBB37_40:                              ; =>This Inner Loop Header: Depth=1
	v_mov_b32_e32 v86, s48
	v_add_nc_u32_e32 v83, -1, v83
	s_add_i32 s48, s48, 16
	s_clause 0x3
	buffer_load_dword v84, v86, s[0:3], 0 offen offset:8
	buffer_load_dword v85, v86, s[0:3], 0 offen offset:12
	buffer_load_dword v92, v86, s[0:3], 0 offen
	buffer_load_dword v93, v86, s[0:3], 0 offen offset:4
	v_mov_b32_e32 v86, s47
	v_cmp_eq_u32_e32 vcc_lo, 0, v83
	s_add_i32 s47, s47, 16
	ds_read_b128 v[88:91], v86
	s_or_b32 s5, vcc_lo, s5
	s_waitcnt vmcnt(2) lgkmcnt(0)
	v_mul_f64 v[94:95], v[90:91], v[84:85]
	v_mul_f64 v[84:85], v[88:89], v[84:85]
	s_waitcnt vmcnt(0)
	v_fma_f64 v[88:89], v[88:89], v[92:93], -v[94:95]
	v_fma_f64 v[84:85], v[90:91], v[92:93], v[84:85]
	v_add_f64 v[1:2], v[1:2], v[88:89]
	v_add_f64 v[3:4], v[3:4], v[84:85]
	s_andn2_b32 exec_lo, exec_lo, s5
	s_cbranch_execnz .LBB37_40
; %bb.41:
	s_or_b32 exec_lo, exec_lo, s5
.LBB37_42:
	s_or_b32 exec_lo, exec_lo, s8
	v_mov_b32_e32 v83, 0
	ds_read_b128 v[83:86], v83 offset:512
	s_waitcnt lgkmcnt(0)
	v_mul_f64 v[88:89], v[3:4], v[85:86]
	v_mul_f64 v[85:86], v[1:2], v[85:86]
	v_fma_f64 v[1:2], v[1:2], v[83:84], -v[88:89]
	v_fma_f64 v[3:4], v[3:4], v[83:84], v[85:86]
	buffer_store_dword v2, off, s[0:3], 0 offset:516
	buffer_store_dword v1, off, s[0:3], 0 offset:512
	;; [unrolled: 1-line block ×4, first 2 shown]
.LBB37_43:
	s_or_b32 exec_lo, exec_lo, s6
	v_mov_b32_e32 v4, s14
	v_cmp_lt_u32_e64 s5, 31, v0
	s_clause 0x3
	buffer_load_dword v1, v4, s[0:3], 0 offen
	buffer_load_dword v2, v4, s[0:3], 0 offen offset:4
	buffer_load_dword v3, v4, s[0:3], 0 offen offset:8
	;; [unrolled: 1-line block ×3, first 2 shown]
	s_waitcnt vmcnt(0)
	ds_write_b128 v82, v[1:4]
	s_waitcnt lgkmcnt(0)
	s_waitcnt_vscnt null, 0x0
	s_barrier
	buffer_gl0_inv
	s_and_saveexec_b32 s6, s5
	s_cbranch_execz .LBB37_51
; %bb.44:
	ds_read_b128 v[1:4], v82
	s_andn2_b32 vcc_lo, exec_lo, s46
	s_cbranch_vccnz .LBB37_46
; %bb.45:
	s_clause 0x3
	buffer_load_dword v83, v81, s[0:3], 0 offen offset:8
	buffer_load_dword v84, v81, s[0:3], 0 offen offset:12
	buffer_load_dword v85, v81, s[0:3], 0 offen
	buffer_load_dword v86, v81, s[0:3], 0 offen offset:4
	s_waitcnt vmcnt(2) lgkmcnt(0)
	v_mul_f64 v[88:89], v[3:4], v[83:84]
	v_mul_f64 v[83:84], v[1:2], v[83:84]
	s_waitcnt vmcnt(0)
	v_fma_f64 v[1:2], v[1:2], v[85:86], -v[88:89]
	v_fma_f64 v[3:4], v[3:4], v[85:86], v[83:84]
.LBB37_46:
	s_and_saveexec_b32 s8, s4
	s_cbranch_execz .LBB37_50
; %bb.47:
	v_subrev_nc_u32_e32 v83, 32, v0
	s_movk_i32 s47, 0x460
	s_mov_b32 s4, 0
	s_mov_b32 s48, s13
	.p2align	6
.LBB37_48:                              ; =>This Inner Loop Header: Depth=1
	v_mov_b32_e32 v86, s48
	v_add_nc_u32_e32 v83, -1, v83
	s_add_i32 s48, s48, 16
	s_clause 0x3
	buffer_load_dword v84, v86, s[0:3], 0 offen offset:8
	buffer_load_dword v85, v86, s[0:3], 0 offen offset:12
	buffer_load_dword v92, v86, s[0:3], 0 offen
	buffer_load_dword v93, v86, s[0:3], 0 offen offset:4
	v_mov_b32_e32 v86, s47
	v_cmp_eq_u32_e32 vcc_lo, 0, v83
	s_add_i32 s47, s47, 16
	ds_read_b128 v[88:91], v86
	s_or_b32 s4, vcc_lo, s4
	s_waitcnt vmcnt(2) lgkmcnt(0)
	v_mul_f64 v[94:95], v[90:91], v[84:85]
	v_mul_f64 v[84:85], v[88:89], v[84:85]
	s_waitcnt vmcnt(0)
	v_fma_f64 v[88:89], v[88:89], v[92:93], -v[94:95]
	v_fma_f64 v[84:85], v[90:91], v[92:93], v[84:85]
	v_add_f64 v[1:2], v[1:2], v[88:89]
	v_add_f64 v[3:4], v[3:4], v[84:85]
	s_andn2_b32 exec_lo, exec_lo, s4
	s_cbranch_execnz .LBB37_48
; %bb.49:
	s_or_b32 exec_lo, exec_lo, s4
.LBB37_50:
	s_or_b32 exec_lo, exec_lo, s8
	v_mov_b32_e32 v83, 0
	ds_read_b128 v[83:86], v83 offset:496
	s_waitcnt lgkmcnt(0)
	v_mul_f64 v[88:89], v[3:4], v[85:86]
	v_mul_f64 v[85:86], v[1:2], v[85:86]
	v_fma_f64 v[1:2], v[1:2], v[83:84], -v[88:89]
	v_fma_f64 v[3:4], v[3:4], v[83:84], v[85:86]
	buffer_store_dword v2, off, s[0:3], 0 offset:500
	buffer_store_dword v1, off, s[0:3], 0 offset:496
	;; [unrolled: 1-line block ×4, first 2 shown]
.LBB37_51:
	s_or_b32 exec_lo, exec_lo, s6
	v_mov_b32_e32 v4, s15
	v_cmp_lt_u32_e64 s4, 30, v0
	s_clause 0x3
	buffer_load_dword v1, v4, s[0:3], 0 offen
	buffer_load_dword v2, v4, s[0:3], 0 offen offset:4
	buffer_load_dword v3, v4, s[0:3], 0 offen offset:8
	;; [unrolled: 1-line block ×3, first 2 shown]
	s_waitcnt vmcnt(0)
	ds_write_b128 v82, v[1:4]
	s_waitcnt lgkmcnt(0)
	s_waitcnt_vscnt null, 0x0
	s_barrier
	buffer_gl0_inv
	s_and_saveexec_b32 s6, s4
	s_cbranch_execz .LBB37_59
; %bb.52:
	ds_read_b128 v[1:4], v82
	s_andn2_b32 vcc_lo, exec_lo, s46
	s_cbranch_vccnz .LBB37_54
; %bb.53:
	s_clause 0x3
	buffer_load_dword v83, v81, s[0:3], 0 offen offset:8
	buffer_load_dword v84, v81, s[0:3], 0 offen offset:12
	buffer_load_dword v85, v81, s[0:3], 0 offen
	buffer_load_dword v86, v81, s[0:3], 0 offen offset:4
	s_waitcnt vmcnt(2) lgkmcnt(0)
	v_mul_f64 v[88:89], v[3:4], v[83:84]
	v_mul_f64 v[83:84], v[1:2], v[83:84]
	s_waitcnt vmcnt(0)
	v_fma_f64 v[1:2], v[1:2], v[85:86], -v[88:89]
	v_fma_f64 v[3:4], v[3:4], v[85:86], v[83:84]
.LBB37_54:
	s_and_saveexec_b32 s8, s5
	s_cbranch_execz .LBB37_58
; %bb.55:
	v_subrev_nc_u32_e32 v83, 31, v0
	s_movk_i32 s47, 0x450
	s_mov_b32 s5, 0
	s_mov_b32 s48, s14
	.p2align	6
.LBB37_56:                              ; =>This Inner Loop Header: Depth=1
	v_mov_b32_e32 v86, s48
	v_add_nc_u32_e32 v83, -1, v83
	s_add_i32 s48, s48, 16
	s_clause 0x3
	buffer_load_dword v84, v86, s[0:3], 0 offen offset:8
	buffer_load_dword v85, v86, s[0:3], 0 offen offset:12
	buffer_load_dword v92, v86, s[0:3], 0 offen
	buffer_load_dword v93, v86, s[0:3], 0 offen offset:4
	v_mov_b32_e32 v86, s47
	v_cmp_eq_u32_e32 vcc_lo, 0, v83
	s_add_i32 s47, s47, 16
	ds_read_b128 v[88:91], v86
	s_or_b32 s5, vcc_lo, s5
	s_waitcnt vmcnt(2) lgkmcnt(0)
	v_mul_f64 v[94:95], v[90:91], v[84:85]
	v_mul_f64 v[84:85], v[88:89], v[84:85]
	s_waitcnt vmcnt(0)
	v_fma_f64 v[88:89], v[88:89], v[92:93], -v[94:95]
	v_fma_f64 v[84:85], v[90:91], v[92:93], v[84:85]
	v_add_f64 v[1:2], v[1:2], v[88:89]
	v_add_f64 v[3:4], v[3:4], v[84:85]
	s_andn2_b32 exec_lo, exec_lo, s5
	s_cbranch_execnz .LBB37_56
; %bb.57:
	s_or_b32 exec_lo, exec_lo, s5
.LBB37_58:
	s_or_b32 exec_lo, exec_lo, s8
	v_mov_b32_e32 v83, 0
	ds_read_b128 v[83:86], v83 offset:480
	s_waitcnt lgkmcnt(0)
	v_mul_f64 v[88:89], v[3:4], v[85:86]
	v_mul_f64 v[85:86], v[1:2], v[85:86]
	v_fma_f64 v[1:2], v[1:2], v[83:84], -v[88:89]
	v_fma_f64 v[3:4], v[3:4], v[83:84], v[85:86]
	buffer_store_dword v2, off, s[0:3], 0 offset:484
	buffer_store_dword v1, off, s[0:3], 0 offset:480
	;; [unrolled: 1-line block ×4, first 2 shown]
.LBB37_59:
	s_or_b32 exec_lo, exec_lo, s6
	v_mov_b32_e32 v4, s16
	v_cmp_lt_u32_e64 s5, 29, v0
	s_clause 0x3
	buffer_load_dword v1, v4, s[0:3], 0 offen
	buffer_load_dword v2, v4, s[0:3], 0 offen offset:4
	buffer_load_dword v3, v4, s[0:3], 0 offen offset:8
	;; [unrolled: 1-line block ×3, first 2 shown]
	s_waitcnt vmcnt(0)
	ds_write_b128 v82, v[1:4]
	s_waitcnt lgkmcnt(0)
	s_waitcnt_vscnt null, 0x0
	s_barrier
	buffer_gl0_inv
	s_and_saveexec_b32 s6, s5
	s_cbranch_execz .LBB37_67
; %bb.60:
	ds_read_b128 v[1:4], v82
	s_andn2_b32 vcc_lo, exec_lo, s46
	s_cbranch_vccnz .LBB37_62
; %bb.61:
	s_clause 0x3
	buffer_load_dword v83, v81, s[0:3], 0 offen offset:8
	buffer_load_dword v84, v81, s[0:3], 0 offen offset:12
	buffer_load_dword v85, v81, s[0:3], 0 offen
	buffer_load_dword v86, v81, s[0:3], 0 offen offset:4
	s_waitcnt vmcnt(2) lgkmcnt(0)
	v_mul_f64 v[88:89], v[3:4], v[83:84]
	v_mul_f64 v[83:84], v[1:2], v[83:84]
	s_waitcnt vmcnt(0)
	v_fma_f64 v[1:2], v[1:2], v[85:86], -v[88:89]
	v_fma_f64 v[3:4], v[3:4], v[85:86], v[83:84]
.LBB37_62:
	s_and_saveexec_b32 s8, s4
	s_cbranch_execz .LBB37_66
; %bb.63:
	v_subrev_nc_u32_e32 v83, 30, v0
	s_movk_i32 s47, 0x440
	s_mov_b32 s4, 0
	s_mov_b32 s48, s15
	.p2align	6
.LBB37_64:                              ; =>This Inner Loop Header: Depth=1
	v_mov_b32_e32 v86, s48
	v_add_nc_u32_e32 v83, -1, v83
	s_add_i32 s48, s48, 16
	s_clause 0x3
	buffer_load_dword v84, v86, s[0:3], 0 offen offset:8
	buffer_load_dword v85, v86, s[0:3], 0 offen offset:12
	buffer_load_dword v92, v86, s[0:3], 0 offen
	buffer_load_dword v93, v86, s[0:3], 0 offen offset:4
	v_mov_b32_e32 v86, s47
	v_cmp_eq_u32_e32 vcc_lo, 0, v83
	s_add_i32 s47, s47, 16
	ds_read_b128 v[88:91], v86
	s_or_b32 s4, vcc_lo, s4
	s_waitcnt vmcnt(2) lgkmcnt(0)
	v_mul_f64 v[94:95], v[90:91], v[84:85]
	v_mul_f64 v[84:85], v[88:89], v[84:85]
	s_waitcnt vmcnt(0)
	v_fma_f64 v[88:89], v[88:89], v[92:93], -v[94:95]
	v_fma_f64 v[84:85], v[90:91], v[92:93], v[84:85]
	v_add_f64 v[1:2], v[1:2], v[88:89]
	v_add_f64 v[3:4], v[3:4], v[84:85]
	s_andn2_b32 exec_lo, exec_lo, s4
	s_cbranch_execnz .LBB37_64
; %bb.65:
	s_or_b32 exec_lo, exec_lo, s4
.LBB37_66:
	s_or_b32 exec_lo, exec_lo, s8
	v_mov_b32_e32 v83, 0
	ds_read_b128 v[83:86], v83 offset:464
	s_waitcnt lgkmcnt(0)
	v_mul_f64 v[88:89], v[3:4], v[85:86]
	v_mul_f64 v[85:86], v[1:2], v[85:86]
	v_fma_f64 v[1:2], v[1:2], v[83:84], -v[88:89]
	v_fma_f64 v[3:4], v[3:4], v[83:84], v[85:86]
	buffer_store_dword v2, off, s[0:3], 0 offset:468
	buffer_store_dword v1, off, s[0:3], 0 offset:464
	buffer_store_dword v4, off, s[0:3], 0 offset:476
	buffer_store_dword v3, off, s[0:3], 0 offset:472
.LBB37_67:
	s_or_b32 exec_lo, exec_lo, s6
	v_mov_b32_e32 v4, s17
	v_cmp_lt_u32_e64 s4, 28, v0
	s_clause 0x3
	buffer_load_dword v1, v4, s[0:3], 0 offen
	buffer_load_dword v2, v4, s[0:3], 0 offen offset:4
	buffer_load_dword v3, v4, s[0:3], 0 offen offset:8
	buffer_load_dword v4, v4, s[0:3], 0 offen offset:12
	s_waitcnt vmcnt(0)
	ds_write_b128 v82, v[1:4]
	s_waitcnt lgkmcnt(0)
	s_waitcnt_vscnt null, 0x0
	s_barrier
	buffer_gl0_inv
	s_and_saveexec_b32 s6, s4
	s_cbranch_execz .LBB37_75
; %bb.68:
	ds_read_b128 v[1:4], v82
	s_andn2_b32 vcc_lo, exec_lo, s46
	s_cbranch_vccnz .LBB37_70
; %bb.69:
	s_clause 0x3
	buffer_load_dword v83, v81, s[0:3], 0 offen offset:8
	buffer_load_dword v84, v81, s[0:3], 0 offen offset:12
	buffer_load_dword v85, v81, s[0:3], 0 offen
	buffer_load_dword v86, v81, s[0:3], 0 offen offset:4
	s_waitcnt vmcnt(2) lgkmcnt(0)
	v_mul_f64 v[88:89], v[3:4], v[83:84]
	v_mul_f64 v[83:84], v[1:2], v[83:84]
	s_waitcnt vmcnt(0)
	v_fma_f64 v[1:2], v[1:2], v[85:86], -v[88:89]
	v_fma_f64 v[3:4], v[3:4], v[85:86], v[83:84]
.LBB37_70:
	s_and_saveexec_b32 s8, s5
	s_cbranch_execz .LBB37_74
; %bb.71:
	v_subrev_nc_u32_e32 v83, 29, v0
	s_movk_i32 s47, 0x430
	s_mov_b32 s5, 0
	s_mov_b32 s48, s16
	.p2align	6
.LBB37_72:                              ; =>This Inner Loop Header: Depth=1
	v_mov_b32_e32 v86, s48
	v_add_nc_u32_e32 v83, -1, v83
	s_add_i32 s48, s48, 16
	s_clause 0x3
	buffer_load_dword v84, v86, s[0:3], 0 offen offset:8
	buffer_load_dword v85, v86, s[0:3], 0 offen offset:12
	buffer_load_dword v92, v86, s[0:3], 0 offen
	buffer_load_dword v93, v86, s[0:3], 0 offen offset:4
	v_mov_b32_e32 v86, s47
	v_cmp_eq_u32_e32 vcc_lo, 0, v83
	s_add_i32 s47, s47, 16
	ds_read_b128 v[88:91], v86
	s_or_b32 s5, vcc_lo, s5
	s_waitcnt vmcnt(2) lgkmcnt(0)
	v_mul_f64 v[94:95], v[90:91], v[84:85]
	v_mul_f64 v[84:85], v[88:89], v[84:85]
	s_waitcnt vmcnt(0)
	v_fma_f64 v[88:89], v[88:89], v[92:93], -v[94:95]
	v_fma_f64 v[84:85], v[90:91], v[92:93], v[84:85]
	v_add_f64 v[1:2], v[1:2], v[88:89]
	v_add_f64 v[3:4], v[3:4], v[84:85]
	s_andn2_b32 exec_lo, exec_lo, s5
	s_cbranch_execnz .LBB37_72
; %bb.73:
	s_or_b32 exec_lo, exec_lo, s5
.LBB37_74:
	s_or_b32 exec_lo, exec_lo, s8
	v_mov_b32_e32 v83, 0
	ds_read_b128 v[83:86], v83 offset:448
	s_waitcnt lgkmcnt(0)
	v_mul_f64 v[88:89], v[3:4], v[85:86]
	v_mul_f64 v[85:86], v[1:2], v[85:86]
	v_fma_f64 v[1:2], v[1:2], v[83:84], -v[88:89]
	v_fma_f64 v[3:4], v[3:4], v[83:84], v[85:86]
	buffer_store_dword v2, off, s[0:3], 0 offset:452
	buffer_store_dword v1, off, s[0:3], 0 offset:448
	;; [unrolled: 1-line block ×4, first 2 shown]
.LBB37_75:
	s_or_b32 exec_lo, exec_lo, s6
	v_mov_b32_e32 v4, s18
	v_cmp_lt_u32_e64 s5, 27, v0
	s_clause 0x3
	buffer_load_dword v1, v4, s[0:3], 0 offen
	buffer_load_dword v2, v4, s[0:3], 0 offen offset:4
	buffer_load_dword v3, v4, s[0:3], 0 offen offset:8
	;; [unrolled: 1-line block ×3, first 2 shown]
	s_waitcnt vmcnt(0)
	ds_write_b128 v82, v[1:4]
	s_waitcnt lgkmcnt(0)
	s_waitcnt_vscnt null, 0x0
	s_barrier
	buffer_gl0_inv
	s_and_saveexec_b32 s6, s5
	s_cbranch_execz .LBB37_83
; %bb.76:
	ds_read_b128 v[1:4], v82
	s_andn2_b32 vcc_lo, exec_lo, s46
	s_cbranch_vccnz .LBB37_78
; %bb.77:
	s_clause 0x3
	buffer_load_dword v83, v81, s[0:3], 0 offen offset:8
	buffer_load_dword v84, v81, s[0:3], 0 offen offset:12
	buffer_load_dword v85, v81, s[0:3], 0 offen
	buffer_load_dword v86, v81, s[0:3], 0 offen offset:4
	s_waitcnt vmcnt(2) lgkmcnt(0)
	v_mul_f64 v[88:89], v[3:4], v[83:84]
	v_mul_f64 v[83:84], v[1:2], v[83:84]
	s_waitcnt vmcnt(0)
	v_fma_f64 v[1:2], v[1:2], v[85:86], -v[88:89]
	v_fma_f64 v[3:4], v[3:4], v[85:86], v[83:84]
.LBB37_78:
	s_and_saveexec_b32 s8, s4
	s_cbranch_execz .LBB37_82
; %bb.79:
	v_subrev_nc_u32_e32 v83, 28, v0
	s_movk_i32 s47, 0x420
	s_mov_b32 s4, 0
	s_mov_b32 s48, s17
	.p2align	6
.LBB37_80:                              ; =>This Inner Loop Header: Depth=1
	v_mov_b32_e32 v86, s48
	v_add_nc_u32_e32 v83, -1, v83
	s_add_i32 s48, s48, 16
	s_clause 0x3
	buffer_load_dword v84, v86, s[0:3], 0 offen offset:8
	buffer_load_dword v85, v86, s[0:3], 0 offen offset:12
	buffer_load_dword v92, v86, s[0:3], 0 offen
	buffer_load_dword v93, v86, s[0:3], 0 offen offset:4
	v_mov_b32_e32 v86, s47
	v_cmp_eq_u32_e32 vcc_lo, 0, v83
	s_add_i32 s47, s47, 16
	ds_read_b128 v[88:91], v86
	s_or_b32 s4, vcc_lo, s4
	s_waitcnt vmcnt(2) lgkmcnt(0)
	v_mul_f64 v[94:95], v[90:91], v[84:85]
	v_mul_f64 v[84:85], v[88:89], v[84:85]
	s_waitcnt vmcnt(0)
	v_fma_f64 v[88:89], v[88:89], v[92:93], -v[94:95]
	v_fma_f64 v[84:85], v[90:91], v[92:93], v[84:85]
	v_add_f64 v[1:2], v[1:2], v[88:89]
	v_add_f64 v[3:4], v[3:4], v[84:85]
	s_andn2_b32 exec_lo, exec_lo, s4
	s_cbranch_execnz .LBB37_80
; %bb.81:
	s_or_b32 exec_lo, exec_lo, s4
.LBB37_82:
	s_or_b32 exec_lo, exec_lo, s8
	v_mov_b32_e32 v83, 0
	ds_read_b128 v[83:86], v83 offset:432
	s_waitcnt lgkmcnt(0)
	v_mul_f64 v[88:89], v[3:4], v[85:86]
	v_mul_f64 v[85:86], v[1:2], v[85:86]
	v_fma_f64 v[1:2], v[1:2], v[83:84], -v[88:89]
	v_fma_f64 v[3:4], v[3:4], v[83:84], v[85:86]
	buffer_store_dword v2, off, s[0:3], 0 offset:436
	buffer_store_dword v1, off, s[0:3], 0 offset:432
	;; [unrolled: 1-line block ×4, first 2 shown]
.LBB37_83:
	s_or_b32 exec_lo, exec_lo, s6
	v_mov_b32_e32 v4, s19
	v_cmp_lt_u32_e64 s4, 26, v0
	s_clause 0x3
	buffer_load_dword v1, v4, s[0:3], 0 offen
	buffer_load_dword v2, v4, s[0:3], 0 offen offset:4
	buffer_load_dword v3, v4, s[0:3], 0 offen offset:8
	;; [unrolled: 1-line block ×3, first 2 shown]
	s_waitcnt vmcnt(0)
	ds_write_b128 v82, v[1:4]
	s_waitcnt lgkmcnt(0)
	s_waitcnt_vscnt null, 0x0
	s_barrier
	buffer_gl0_inv
	s_and_saveexec_b32 s6, s4
	s_cbranch_execz .LBB37_91
; %bb.84:
	ds_read_b128 v[1:4], v82
	s_andn2_b32 vcc_lo, exec_lo, s46
	s_cbranch_vccnz .LBB37_86
; %bb.85:
	s_clause 0x3
	buffer_load_dword v83, v81, s[0:3], 0 offen offset:8
	buffer_load_dword v84, v81, s[0:3], 0 offen offset:12
	buffer_load_dword v85, v81, s[0:3], 0 offen
	buffer_load_dword v86, v81, s[0:3], 0 offen offset:4
	s_waitcnt vmcnt(2) lgkmcnt(0)
	v_mul_f64 v[88:89], v[3:4], v[83:84]
	v_mul_f64 v[83:84], v[1:2], v[83:84]
	s_waitcnt vmcnt(0)
	v_fma_f64 v[1:2], v[1:2], v[85:86], -v[88:89]
	v_fma_f64 v[3:4], v[3:4], v[85:86], v[83:84]
.LBB37_86:
	s_and_saveexec_b32 s8, s5
	s_cbranch_execz .LBB37_90
; %bb.87:
	v_subrev_nc_u32_e32 v83, 27, v0
	s_movk_i32 s47, 0x410
	s_mov_b32 s5, 0
	s_mov_b32 s48, s18
	.p2align	6
.LBB37_88:                              ; =>This Inner Loop Header: Depth=1
	v_mov_b32_e32 v86, s48
	v_add_nc_u32_e32 v83, -1, v83
	s_add_i32 s48, s48, 16
	s_clause 0x3
	buffer_load_dword v84, v86, s[0:3], 0 offen offset:8
	buffer_load_dword v85, v86, s[0:3], 0 offen offset:12
	buffer_load_dword v92, v86, s[0:3], 0 offen
	buffer_load_dword v93, v86, s[0:3], 0 offen offset:4
	v_mov_b32_e32 v86, s47
	v_cmp_eq_u32_e32 vcc_lo, 0, v83
	s_add_i32 s47, s47, 16
	ds_read_b128 v[88:91], v86
	s_or_b32 s5, vcc_lo, s5
	s_waitcnt vmcnt(2) lgkmcnt(0)
	v_mul_f64 v[94:95], v[90:91], v[84:85]
	v_mul_f64 v[84:85], v[88:89], v[84:85]
	s_waitcnt vmcnt(0)
	v_fma_f64 v[88:89], v[88:89], v[92:93], -v[94:95]
	v_fma_f64 v[84:85], v[90:91], v[92:93], v[84:85]
	v_add_f64 v[1:2], v[1:2], v[88:89]
	v_add_f64 v[3:4], v[3:4], v[84:85]
	s_andn2_b32 exec_lo, exec_lo, s5
	s_cbranch_execnz .LBB37_88
; %bb.89:
	s_or_b32 exec_lo, exec_lo, s5
.LBB37_90:
	s_or_b32 exec_lo, exec_lo, s8
	v_mov_b32_e32 v83, 0
	ds_read_b128 v[83:86], v83 offset:416
	s_waitcnt lgkmcnt(0)
	v_mul_f64 v[88:89], v[3:4], v[85:86]
	v_mul_f64 v[85:86], v[1:2], v[85:86]
	v_fma_f64 v[1:2], v[1:2], v[83:84], -v[88:89]
	v_fma_f64 v[3:4], v[3:4], v[83:84], v[85:86]
	buffer_store_dword v2, off, s[0:3], 0 offset:420
	buffer_store_dword v1, off, s[0:3], 0 offset:416
	;; [unrolled: 1-line block ×4, first 2 shown]
.LBB37_91:
	s_or_b32 exec_lo, exec_lo, s6
	v_mov_b32_e32 v4, s20
	v_cmp_lt_u32_e64 s5, 25, v0
	s_clause 0x3
	buffer_load_dword v1, v4, s[0:3], 0 offen
	buffer_load_dword v2, v4, s[0:3], 0 offen offset:4
	buffer_load_dword v3, v4, s[0:3], 0 offen offset:8
	;; [unrolled: 1-line block ×3, first 2 shown]
	s_waitcnt vmcnt(0)
	ds_write_b128 v82, v[1:4]
	s_waitcnt lgkmcnt(0)
	s_waitcnt_vscnt null, 0x0
	s_barrier
	buffer_gl0_inv
	s_and_saveexec_b32 s6, s5
	s_cbranch_execz .LBB37_99
; %bb.92:
	ds_read_b128 v[1:4], v82
	s_andn2_b32 vcc_lo, exec_lo, s46
	s_cbranch_vccnz .LBB37_94
; %bb.93:
	s_clause 0x3
	buffer_load_dword v83, v81, s[0:3], 0 offen offset:8
	buffer_load_dword v84, v81, s[0:3], 0 offen offset:12
	buffer_load_dword v85, v81, s[0:3], 0 offen
	buffer_load_dword v86, v81, s[0:3], 0 offen offset:4
	s_waitcnt vmcnt(2) lgkmcnt(0)
	v_mul_f64 v[88:89], v[3:4], v[83:84]
	v_mul_f64 v[83:84], v[1:2], v[83:84]
	s_waitcnt vmcnt(0)
	v_fma_f64 v[1:2], v[1:2], v[85:86], -v[88:89]
	v_fma_f64 v[3:4], v[3:4], v[85:86], v[83:84]
.LBB37_94:
	s_and_saveexec_b32 s8, s4
	s_cbranch_execz .LBB37_98
; %bb.95:
	v_subrev_nc_u32_e32 v83, 26, v0
	s_movk_i32 s47, 0x400
	s_mov_b32 s4, 0
	s_mov_b32 s48, s19
	.p2align	6
.LBB37_96:                              ; =>This Inner Loop Header: Depth=1
	v_mov_b32_e32 v86, s48
	v_add_nc_u32_e32 v83, -1, v83
	s_add_i32 s48, s48, 16
	s_clause 0x3
	buffer_load_dword v84, v86, s[0:3], 0 offen offset:8
	buffer_load_dword v85, v86, s[0:3], 0 offen offset:12
	buffer_load_dword v92, v86, s[0:3], 0 offen
	buffer_load_dword v93, v86, s[0:3], 0 offen offset:4
	v_mov_b32_e32 v86, s47
	v_cmp_eq_u32_e32 vcc_lo, 0, v83
	s_add_i32 s47, s47, 16
	ds_read_b128 v[88:91], v86
	s_or_b32 s4, vcc_lo, s4
	s_waitcnt vmcnt(2) lgkmcnt(0)
	v_mul_f64 v[94:95], v[90:91], v[84:85]
	v_mul_f64 v[84:85], v[88:89], v[84:85]
	s_waitcnt vmcnt(0)
	v_fma_f64 v[88:89], v[88:89], v[92:93], -v[94:95]
	v_fma_f64 v[84:85], v[90:91], v[92:93], v[84:85]
	v_add_f64 v[1:2], v[1:2], v[88:89]
	v_add_f64 v[3:4], v[3:4], v[84:85]
	s_andn2_b32 exec_lo, exec_lo, s4
	s_cbranch_execnz .LBB37_96
; %bb.97:
	s_or_b32 exec_lo, exec_lo, s4
.LBB37_98:
	s_or_b32 exec_lo, exec_lo, s8
	v_mov_b32_e32 v83, 0
	ds_read_b128 v[83:86], v83 offset:400
	s_waitcnt lgkmcnt(0)
	v_mul_f64 v[88:89], v[3:4], v[85:86]
	v_mul_f64 v[85:86], v[1:2], v[85:86]
	v_fma_f64 v[1:2], v[1:2], v[83:84], -v[88:89]
	v_fma_f64 v[3:4], v[3:4], v[83:84], v[85:86]
	buffer_store_dword v2, off, s[0:3], 0 offset:404
	buffer_store_dword v1, off, s[0:3], 0 offset:400
	buffer_store_dword v4, off, s[0:3], 0 offset:412
	buffer_store_dword v3, off, s[0:3], 0 offset:408
.LBB37_99:
	s_or_b32 exec_lo, exec_lo, s6
	v_mov_b32_e32 v4, s21
	v_cmp_lt_u32_e64 s4, 24, v0
	s_clause 0x3
	buffer_load_dword v1, v4, s[0:3], 0 offen
	buffer_load_dword v2, v4, s[0:3], 0 offen offset:4
	buffer_load_dword v3, v4, s[0:3], 0 offen offset:8
	;; [unrolled: 1-line block ×3, first 2 shown]
	s_waitcnt vmcnt(0)
	ds_write_b128 v82, v[1:4]
	s_waitcnt lgkmcnt(0)
	s_waitcnt_vscnt null, 0x0
	s_barrier
	buffer_gl0_inv
	s_and_saveexec_b32 s6, s4
	s_cbranch_execz .LBB37_107
; %bb.100:
	ds_read_b128 v[1:4], v82
	s_andn2_b32 vcc_lo, exec_lo, s46
	s_cbranch_vccnz .LBB37_102
; %bb.101:
	s_clause 0x3
	buffer_load_dword v83, v81, s[0:3], 0 offen offset:8
	buffer_load_dword v84, v81, s[0:3], 0 offen offset:12
	buffer_load_dword v85, v81, s[0:3], 0 offen
	buffer_load_dword v86, v81, s[0:3], 0 offen offset:4
	s_waitcnt vmcnt(2) lgkmcnt(0)
	v_mul_f64 v[88:89], v[3:4], v[83:84]
	v_mul_f64 v[83:84], v[1:2], v[83:84]
	s_waitcnt vmcnt(0)
	v_fma_f64 v[1:2], v[1:2], v[85:86], -v[88:89]
	v_fma_f64 v[3:4], v[3:4], v[85:86], v[83:84]
.LBB37_102:
	s_and_saveexec_b32 s8, s5
	s_cbranch_execz .LBB37_106
; %bb.103:
	v_subrev_nc_u32_e32 v83, 25, v0
	s_movk_i32 s47, 0x3f0
	s_mov_b32 s5, 0
	s_mov_b32 s48, s20
	.p2align	6
.LBB37_104:                             ; =>This Inner Loop Header: Depth=1
	v_mov_b32_e32 v86, s48
	v_add_nc_u32_e32 v83, -1, v83
	s_add_i32 s48, s48, 16
	s_clause 0x3
	buffer_load_dword v84, v86, s[0:3], 0 offen offset:8
	buffer_load_dword v85, v86, s[0:3], 0 offen offset:12
	buffer_load_dword v92, v86, s[0:3], 0 offen
	buffer_load_dword v93, v86, s[0:3], 0 offen offset:4
	v_mov_b32_e32 v86, s47
	v_cmp_eq_u32_e32 vcc_lo, 0, v83
	s_add_i32 s47, s47, 16
	ds_read_b128 v[88:91], v86
	s_or_b32 s5, vcc_lo, s5
	s_waitcnt vmcnt(2) lgkmcnt(0)
	v_mul_f64 v[94:95], v[90:91], v[84:85]
	v_mul_f64 v[84:85], v[88:89], v[84:85]
	s_waitcnt vmcnt(0)
	v_fma_f64 v[88:89], v[88:89], v[92:93], -v[94:95]
	v_fma_f64 v[84:85], v[90:91], v[92:93], v[84:85]
	v_add_f64 v[1:2], v[1:2], v[88:89]
	v_add_f64 v[3:4], v[3:4], v[84:85]
	s_andn2_b32 exec_lo, exec_lo, s5
	s_cbranch_execnz .LBB37_104
; %bb.105:
	s_or_b32 exec_lo, exec_lo, s5
.LBB37_106:
	s_or_b32 exec_lo, exec_lo, s8
	v_mov_b32_e32 v83, 0
	ds_read_b128 v[83:86], v83 offset:384
	s_waitcnt lgkmcnt(0)
	v_mul_f64 v[88:89], v[3:4], v[85:86]
	v_mul_f64 v[85:86], v[1:2], v[85:86]
	v_fma_f64 v[1:2], v[1:2], v[83:84], -v[88:89]
	v_fma_f64 v[3:4], v[3:4], v[83:84], v[85:86]
	buffer_store_dword v2, off, s[0:3], 0 offset:388
	buffer_store_dword v1, off, s[0:3], 0 offset:384
	;; [unrolled: 1-line block ×4, first 2 shown]
.LBB37_107:
	s_or_b32 exec_lo, exec_lo, s6
	v_mov_b32_e32 v4, s22
	v_cmp_lt_u32_e64 s5, 23, v0
	s_clause 0x3
	buffer_load_dword v1, v4, s[0:3], 0 offen
	buffer_load_dword v2, v4, s[0:3], 0 offen offset:4
	buffer_load_dword v3, v4, s[0:3], 0 offen offset:8
	;; [unrolled: 1-line block ×3, first 2 shown]
	s_waitcnt vmcnt(0)
	ds_write_b128 v82, v[1:4]
	s_waitcnt lgkmcnt(0)
	s_waitcnt_vscnt null, 0x0
	s_barrier
	buffer_gl0_inv
	s_and_saveexec_b32 s6, s5
	s_cbranch_execz .LBB37_115
; %bb.108:
	ds_read_b128 v[1:4], v82
	s_andn2_b32 vcc_lo, exec_lo, s46
	s_cbranch_vccnz .LBB37_110
; %bb.109:
	s_clause 0x3
	buffer_load_dword v83, v81, s[0:3], 0 offen offset:8
	buffer_load_dword v84, v81, s[0:3], 0 offen offset:12
	buffer_load_dword v85, v81, s[0:3], 0 offen
	buffer_load_dword v86, v81, s[0:3], 0 offen offset:4
	s_waitcnt vmcnt(2) lgkmcnt(0)
	v_mul_f64 v[88:89], v[3:4], v[83:84]
	v_mul_f64 v[83:84], v[1:2], v[83:84]
	s_waitcnt vmcnt(0)
	v_fma_f64 v[1:2], v[1:2], v[85:86], -v[88:89]
	v_fma_f64 v[3:4], v[3:4], v[85:86], v[83:84]
.LBB37_110:
	s_and_saveexec_b32 s8, s4
	s_cbranch_execz .LBB37_114
; %bb.111:
	v_subrev_nc_u32_e32 v83, 24, v0
	s_movk_i32 s47, 0x3e0
	s_mov_b32 s4, 0
	s_mov_b32 s48, s21
	.p2align	6
.LBB37_112:                             ; =>This Inner Loop Header: Depth=1
	v_mov_b32_e32 v86, s48
	v_add_nc_u32_e32 v83, -1, v83
	s_add_i32 s48, s48, 16
	s_clause 0x3
	buffer_load_dword v84, v86, s[0:3], 0 offen offset:8
	buffer_load_dword v85, v86, s[0:3], 0 offen offset:12
	buffer_load_dword v92, v86, s[0:3], 0 offen
	buffer_load_dword v93, v86, s[0:3], 0 offen offset:4
	v_mov_b32_e32 v86, s47
	v_cmp_eq_u32_e32 vcc_lo, 0, v83
	s_add_i32 s47, s47, 16
	ds_read_b128 v[88:91], v86
	s_or_b32 s4, vcc_lo, s4
	s_waitcnt vmcnt(2) lgkmcnt(0)
	v_mul_f64 v[94:95], v[90:91], v[84:85]
	v_mul_f64 v[84:85], v[88:89], v[84:85]
	s_waitcnt vmcnt(0)
	v_fma_f64 v[88:89], v[88:89], v[92:93], -v[94:95]
	v_fma_f64 v[84:85], v[90:91], v[92:93], v[84:85]
	v_add_f64 v[1:2], v[1:2], v[88:89]
	v_add_f64 v[3:4], v[3:4], v[84:85]
	s_andn2_b32 exec_lo, exec_lo, s4
	s_cbranch_execnz .LBB37_112
; %bb.113:
	s_or_b32 exec_lo, exec_lo, s4
.LBB37_114:
	s_or_b32 exec_lo, exec_lo, s8
	v_mov_b32_e32 v83, 0
	ds_read_b128 v[83:86], v83 offset:368
	s_waitcnt lgkmcnt(0)
	v_mul_f64 v[88:89], v[3:4], v[85:86]
	v_mul_f64 v[85:86], v[1:2], v[85:86]
	v_fma_f64 v[1:2], v[1:2], v[83:84], -v[88:89]
	v_fma_f64 v[3:4], v[3:4], v[83:84], v[85:86]
	buffer_store_dword v2, off, s[0:3], 0 offset:372
	buffer_store_dword v1, off, s[0:3], 0 offset:368
	;; [unrolled: 1-line block ×4, first 2 shown]
.LBB37_115:
	s_or_b32 exec_lo, exec_lo, s6
	v_mov_b32_e32 v4, s23
	v_cmp_lt_u32_e64 s4, 22, v0
	s_clause 0x3
	buffer_load_dword v1, v4, s[0:3], 0 offen
	buffer_load_dword v2, v4, s[0:3], 0 offen offset:4
	buffer_load_dword v3, v4, s[0:3], 0 offen offset:8
	;; [unrolled: 1-line block ×3, first 2 shown]
	s_waitcnt vmcnt(0)
	ds_write_b128 v82, v[1:4]
	s_waitcnt lgkmcnt(0)
	s_waitcnt_vscnt null, 0x0
	s_barrier
	buffer_gl0_inv
	s_and_saveexec_b32 s6, s4
	s_cbranch_execz .LBB37_123
; %bb.116:
	ds_read_b128 v[1:4], v82
	s_andn2_b32 vcc_lo, exec_lo, s46
	s_cbranch_vccnz .LBB37_118
; %bb.117:
	s_clause 0x3
	buffer_load_dword v83, v81, s[0:3], 0 offen offset:8
	buffer_load_dword v84, v81, s[0:3], 0 offen offset:12
	buffer_load_dword v85, v81, s[0:3], 0 offen
	buffer_load_dword v86, v81, s[0:3], 0 offen offset:4
	s_waitcnt vmcnt(2) lgkmcnt(0)
	v_mul_f64 v[88:89], v[3:4], v[83:84]
	v_mul_f64 v[83:84], v[1:2], v[83:84]
	s_waitcnt vmcnt(0)
	v_fma_f64 v[1:2], v[1:2], v[85:86], -v[88:89]
	v_fma_f64 v[3:4], v[3:4], v[85:86], v[83:84]
.LBB37_118:
	s_and_saveexec_b32 s8, s5
	s_cbranch_execz .LBB37_122
; %bb.119:
	v_subrev_nc_u32_e32 v83, 23, v0
	s_movk_i32 s47, 0x3d0
	s_mov_b32 s5, 0
	s_mov_b32 s48, s22
	.p2align	6
.LBB37_120:                             ; =>This Inner Loop Header: Depth=1
	v_mov_b32_e32 v86, s48
	v_add_nc_u32_e32 v83, -1, v83
	s_add_i32 s48, s48, 16
	s_clause 0x3
	buffer_load_dword v84, v86, s[0:3], 0 offen offset:8
	buffer_load_dword v85, v86, s[0:3], 0 offen offset:12
	buffer_load_dword v92, v86, s[0:3], 0 offen
	buffer_load_dword v93, v86, s[0:3], 0 offen offset:4
	v_mov_b32_e32 v86, s47
	v_cmp_eq_u32_e32 vcc_lo, 0, v83
	s_add_i32 s47, s47, 16
	ds_read_b128 v[88:91], v86
	s_or_b32 s5, vcc_lo, s5
	s_waitcnt vmcnt(2) lgkmcnt(0)
	v_mul_f64 v[94:95], v[90:91], v[84:85]
	v_mul_f64 v[84:85], v[88:89], v[84:85]
	s_waitcnt vmcnt(0)
	v_fma_f64 v[88:89], v[88:89], v[92:93], -v[94:95]
	v_fma_f64 v[84:85], v[90:91], v[92:93], v[84:85]
	v_add_f64 v[1:2], v[1:2], v[88:89]
	v_add_f64 v[3:4], v[3:4], v[84:85]
	s_andn2_b32 exec_lo, exec_lo, s5
	s_cbranch_execnz .LBB37_120
; %bb.121:
	s_or_b32 exec_lo, exec_lo, s5
.LBB37_122:
	s_or_b32 exec_lo, exec_lo, s8
	v_mov_b32_e32 v83, 0
	ds_read_b128 v[83:86], v83 offset:352
	s_waitcnt lgkmcnt(0)
	v_mul_f64 v[88:89], v[3:4], v[85:86]
	v_mul_f64 v[85:86], v[1:2], v[85:86]
	v_fma_f64 v[1:2], v[1:2], v[83:84], -v[88:89]
	v_fma_f64 v[3:4], v[3:4], v[83:84], v[85:86]
	buffer_store_dword v2, off, s[0:3], 0 offset:356
	buffer_store_dword v1, off, s[0:3], 0 offset:352
	;; [unrolled: 1-line block ×4, first 2 shown]
.LBB37_123:
	s_or_b32 exec_lo, exec_lo, s6
	v_mov_b32_e32 v4, s24
	v_cmp_lt_u32_e64 s5, 21, v0
	s_clause 0x3
	buffer_load_dword v1, v4, s[0:3], 0 offen
	buffer_load_dword v2, v4, s[0:3], 0 offen offset:4
	buffer_load_dword v3, v4, s[0:3], 0 offen offset:8
	;; [unrolled: 1-line block ×3, first 2 shown]
	s_waitcnt vmcnt(0)
	ds_write_b128 v82, v[1:4]
	s_waitcnt lgkmcnt(0)
	s_waitcnt_vscnt null, 0x0
	s_barrier
	buffer_gl0_inv
	s_and_saveexec_b32 s6, s5
	s_cbranch_execz .LBB37_131
; %bb.124:
	ds_read_b128 v[1:4], v82
	s_andn2_b32 vcc_lo, exec_lo, s46
	s_cbranch_vccnz .LBB37_126
; %bb.125:
	s_clause 0x3
	buffer_load_dword v83, v81, s[0:3], 0 offen offset:8
	buffer_load_dword v84, v81, s[0:3], 0 offen offset:12
	buffer_load_dword v85, v81, s[0:3], 0 offen
	buffer_load_dword v86, v81, s[0:3], 0 offen offset:4
	s_waitcnt vmcnt(2) lgkmcnt(0)
	v_mul_f64 v[88:89], v[3:4], v[83:84]
	v_mul_f64 v[83:84], v[1:2], v[83:84]
	s_waitcnt vmcnt(0)
	v_fma_f64 v[1:2], v[1:2], v[85:86], -v[88:89]
	v_fma_f64 v[3:4], v[3:4], v[85:86], v[83:84]
.LBB37_126:
	s_and_saveexec_b32 s8, s4
	s_cbranch_execz .LBB37_130
; %bb.127:
	v_subrev_nc_u32_e32 v83, 22, v0
	s_movk_i32 s47, 0x3c0
	s_mov_b32 s4, 0
	s_mov_b32 s48, s23
	.p2align	6
.LBB37_128:                             ; =>This Inner Loop Header: Depth=1
	v_mov_b32_e32 v86, s48
	v_add_nc_u32_e32 v83, -1, v83
	s_add_i32 s48, s48, 16
	s_clause 0x3
	buffer_load_dword v84, v86, s[0:3], 0 offen offset:8
	buffer_load_dword v85, v86, s[0:3], 0 offen offset:12
	buffer_load_dword v92, v86, s[0:3], 0 offen
	buffer_load_dword v93, v86, s[0:3], 0 offen offset:4
	v_mov_b32_e32 v86, s47
	v_cmp_eq_u32_e32 vcc_lo, 0, v83
	s_add_i32 s47, s47, 16
	ds_read_b128 v[88:91], v86
	s_or_b32 s4, vcc_lo, s4
	s_waitcnt vmcnt(2) lgkmcnt(0)
	v_mul_f64 v[94:95], v[90:91], v[84:85]
	v_mul_f64 v[84:85], v[88:89], v[84:85]
	s_waitcnt vmcnt(0)
	v_fma_f64 v[88:89], v[88:89], v[92:93], -v[94:95]
	v_fma_f64 v[84:85], v[90:91], v[92:93], v[84:85]
	v_add_f64 v[1:2], v[1:2], v[88:89]
	v_add_f64 v[3:4], v[3:4], v[84:85]
	s_andn2_b32 exec_lo, exec_lo, s4
	s_cbranch_execnz .LBB37_128
; %bb.129:
	s_or_b32 exec_lo, exec_lo, s4
.LBB37_130:
	s_or_b32 exec_lo, exec_lo, s8
	v_mov_b32_e32 v83, 0
	ds_read_b128 v[83:86], v83 offset:336
	s_waitcnt lgkmcnt(0)
	v_mul_f64 v[88:89], v[3:4], v[85:86]
	v_mul_f64 v[85:86], v[1:2], v[85:86]
	v_fma_f64 v[1:2], v[1:2], v[83:84], -v[88:89]
	v_fma_f64 v[3:4], v[3:4], v[83:84], v[85:86]
	buffer_store_dword v2, off, s[0:3], 0 offset:340
	buffer_store_dword v1, off, s[0:3], 0 offset:336
	;; [unrolled: 1-line block ×4, first 2 shown]
.LBB37_131:
	s_or_b32 exec_lo, exec_lo, s6
	v_mov_b32_e32 v4, s25
	v_cmp_lt_u32_e64 s4, 20, v0
	s_clause 0x3
	buffer_load_dword v1, v4, s[0:3], 0 offen
	buffer_load_dword v2, v4, s[0:3], 0 offen offset:4
	buffer_load_dword v3, v4, s[0:3], 0 offen offset:8
	;; [unrolled: 1-line block ×3, first 2 shown]
	s_waitcnt vmcnt(0)
	ds_write_b128 v82, v[1:4]
	s_waitcnt lgkmcnt(0)
	s_waitcnt_vscnt null, 0x0
	s_barrier
	buffer_gl0_inv
	s_and_saveexec_b32 s6, s4
	s_cbranch_execz .LBB37_139
; %bb.132:
	ds_read_b128 v[1:4], v82
	s_andn2_b32 vcc_lo, exec_lo, s46
	s_cbranch_vccnz .LBB37_134
; %bb.133:
	s_clause 0x3
	buffer_load_dword v83, v81, s[0:3], 0 offen offset:8
	buffer_load_dword v84, v81, s[0:3], 0 offen offset:12
	buffer_load_dword v85, v81, s[0:3], 0 offen
	buffer_load_dword v86, v81, s[0:3], 0 offen offset:4
	s_waitcnt vmcnt(2) lgkmcnt(0)
	v_mul_f64 v[88:89], v[3:4], v[83:84]
	v_mul_f64 v[83:84], v[1:2], v[83:84]
	s_waitcnt vmcnt(0)
	v_fma_f64 v[1:2], v[1:2], v[85:86], -v[88:89]
	v_fma_f64 v[3:4], v[3:4], v[85:86], v[83:84]
.LBB37_134:
	s_and_saveexec_b32 s8, s5
	s_cbranch_execz .LBB37_138
; %bb.135:
	v_subrev_nc_u32_e32 v83, 21, v0
	s_movk_i32 s47, 0x3b0
	s_mov_b32 s5, 0
	s_mov_b32 s48, s24
	.p2align	6
.LBB37_136:                             ; =>This Inner Loop Header: Depth=1
	v_mov_b32_e32 v86, s48
	v_add_nc_u32_e32 v83, -1, v83
	s_add_i32 s48, s48, 16
	s_clause 0x3
	buffer_load_dword v84, v86, s[0:3], 0 offen offset:8
	buffer_load_dword v85, v86, s[0:3], 0 offen offset:12
	buffer_load_dword v92, v86, s[0:3], 0 offen
	buffer_load_dword v93, v86, s[0:3], 0 offen offset:4
	v_mov_b32_e32 v86, s47
	v_cmp_eq_u32_e32 vcc_lo, 0, v83
	s_add_i32 s47, s47, 16
	ds_read_b128 v[88:91], v86
	s_or_b32 s5, vcc_lo, s5
	s_waitcnt vmcnt(2) lgkmcnt(0)
	v_mul_f64 v[94:95], v[90:91], v[84:85]
	v_mul_f64 v[84:85], v[88:89], v[84:85]
	s_waitcnt vmcnt(0)
	v_fma_f64 v[88:89], v[88:89], v[92:93], -v[94:95]
	v_fma_f64 v[84:85], v[90:91], v[92:93], v[84:85]
	v_add_f64 v[1:2], v[1:2], v[88:89]
	v_add_f64 v[3:4], v[3:4], v[84:85]
	s_andn2_b32 exec_lo, exec_lo, s5
	s_cbranch_execnz .LBB37_136
; %bb.137:
	s_or_b32 exec_lo, exec_lo, s5
.LBB37_138:
	s_or_b32 exec_lo, exec_lo, s8
	v_mov_b32_e32 v83, 0
	ds_read_b128 v[83:86], v83 offset:320
	s_waitcnt lgkmcnt(0)
	v_mul_f64 v[88:89], v[3:4], v[85:86]
	v_mul_f64 v[85:86], v[1:2], v[85:86]
	v_fma_f64 v[1:2], v[1:2], v[83:84], -v[88:89]
	v_fma_f64 v[3:4], v[3:4], v[83:84], v[85:86]
	buffer_store_dword v2, off, s[0:3], 0 offset:324
	buffer_store_dword v1, off, s[0:3], 0 offset:320
	;; [unrolled: 1-line block ×4, first 2 shown]
.LBB37_139:
	s_or_b32 exec_lo, exec_lo, s6
	v_mov_b32_e32 v4, s26
	v_cmp_lt_u32_e64 s5, 19, v0
	s_clause 0x3
	buffer_load_dword v1, v4, s[0:3], 0 offen
	buffer_load_dword v2, v4, s[0:3], 0 offen offset:4
	buffer_load_dword v3, v4, s[0:3], 0 offen offset:8
	;; [unrolled: 1-line block ×3, first 2 shown]
	s_waitcnt vmcnt(0)
	ds_write_b128 v82, v[1:4]
	s_waitcnt lgkmcnt(0)
	s_waitcnt_vscnt null, 0x0
	s_barrier
	buffer_gl0_inv
	s_and_saveexec_b32 s6, s5
	s_cbranch_execz .LBB37_147
; %bb.140:
	ds_read_b128 v[1:4], v82
	s_andn2_b32 vcc_lo, exec_lo, s46
	s_cbranch_vccnz .LBB37_142
; %bb.141:
	s_clause 0x3
	buffer_load_dword v83, v81, s[0:3], 0 offen offset:8
	buffer_load_dword v84, v81, s[0:3], 0 offen offset:12
	buffer_load_dword v85, v81, s[0:3], 0 offen
	buffer_load_dword v86, v81, s[0:3], 0 offen offset:4
	s_waitcnt vmcnt(2) lgkmcnt(0)
	v_mul_f64 v[88:89], v[3:4], v[83:84]
	v_mul_f64 v[83:84], v[1:2], v[83:84]
	s_waitcnt vmcnt(0)
	v_fma_f64 v[1:2], v[1:2], v[85:86], -v[88:89]
	v_fma_f64 v[3:4], v[3:4], v[85:86], v[83:84]
.LBB37_142:
	s_and_saveexec_b32 s8, s4
	s_cbranch_execz .LBB37_146
; %bb.143:
	v_subrev_nc_u32_e32 v83, 20, v0
	s_movk_i32 s47, 0x3a0
	s_mov_b32 s4, 0
	s_mov_b32 s48, s25
	.p2align	6
.LBB37_144:                             ; =>This Inner Loop Header: Depth=1
	v_mov_b32_e32 v86, s48
	v_add_nc_u32_e32 v83, -1, v83
	s_add_i32 s48, s48, 16
	s_clause 0x3
	buffer_load_dword v84, v86, s[0:3], 0 offen offset:8
	buffer_load_dword v85, v86, s[0:3], 0 offen offset:12
	buffer_load_dword v92, v86, s[0:3], 0 offen
	buffer_load_dword v93, v86, s[0:3], 0 offen offset:4
	v_mov_b32_e32 v86, s47
	v_cmp_eq_u32_e32 vcc_lo, 0, v83
	s_add_i32 s47, s47, 16
	ds_read_b128 v[88:91], v86
	s_or_b32 s4, vcc_lo, s4
	s_waitcnt vmcnt(2) lgkmcnt(0)
	v_mul_f64 v[94:95], v[90:91], v[84:85]
	v_mul_f64 v[84:85], v[88:89], v[84:85]
	s_waitcnt vmcnt(0)
	v_fma_f64 v[88:89], v[88:89], v[92:93], -v[94:95]
	v_fma_f64 v[84:85], v[90:91], v[92:93], v[84:85]
	v_add_f64 v[1:2], v[1:2], v[88:89]
	v_add_f64 v[3:4], v[3:4], v[84:85]
	s_andn2_b32 exec_lo, exec_lo, s4
	s_cbranch_execnz .LBB37_144
; %bb.145:
	s_or_b32 exec_lo, exec_lo, s4
.LBB37_146:
	s_or_b32 exec_lo, exec_lo, s8
	v_mov_b32_e32 v83, 0
	ds_read_b128 v[83:86], v83 offset:304
	s_waitcnt lgkmcnt(0)
	v_mul_f64 v[88:89], v[3:4], v[85:86]
	v_mul_f64 v[85:86], v[1:2], v[85:86]
	v_fma_f64 v[1:2], v[1:2], v[83:84], -v[88:89]
	v_fma_f64 v[3:4], v[3:4], v[83:84], v[85:86]
	buffer_store_dword v2, off, s[0:3], 0 offset:308
	buffer_store_dword v1, off, s[0:3], 0 offset:304
	;; [unrolled: 1-line block ×4, first 2 shown]
.LBB37_147:
	s_or_b32 exec_lo, exec_lo, s6
	v_mov_b32_e32 v4, s27
	v_cmp_lt_u32_e64 s4, 18, v0
	s_clause 0x3
	buffer_load_dword v1, v4, s[0:3], 0 offen
	buffer_load_dword v2, v4, s[0:3], 0 offen offset:4
	buffer_load_dword v3, v4, s[0:3], 0 offen offset:8
	;; [unrolled: 1-line block ×3, first 2 shown]
	s_waitcnt vmcnt(0)
	ds_write_b128 v82, v[1:4]
	s_waitcnt lgkmcnt(0)
	s_waitcnt_vscnt null, 0x0
	s_barrier
	buffer_gl0_inv
	s_and_saveexec_b32 s6, s4
	s_cbranch_execz .LBB37_155
; %bb.148:
	ds_read_b128 v[1:4], v82
	s_andn2_b32 vcc_lo, exec_lo, s46
	s_cbranch_vccnz .LBB37_150
; %bb.149:
	s_clause 0x3
	buffer_load_dword v83, v81, s[0:3], 0 offen offset:8
	buffer_load_dword v84, v81, s[0:3], 0 offen offset:12
	buffer_load_dword v85, v81, s[0:3], 0 offen
	buffer_load_dword v86, v81, s[0:3], 0 offen offset:4
	s_waitcnt vmcnt(2) lgkmcnt(0)
	v_mul_f64 v[88:89], v[3:4], v[83:84]
	v_mul_f64 v[83:84], v[1:2], v[83:84]
	s_waitcnt vmcnt(0)
	v_fma_f64 v[1:2], v[1:2], v[85:86], -v[88:89]
	v_fma_f64 v[3:4], v[3:4], v[85:86], v[83:84]
.LBB37_150:
	s_and_saveexec_b32 s8, s5
	s_cbranch_execz .LBB37_154
; %bb.151:
	v_subrev_nc_u32_e32 v83, 19, v0
	s_movk_i32 s47, 0x390
	s_mov_b32 s5, 0
	s_mov_b32 s48, s26
	.p2align	6
.LBB37_152:                             ; =>This Inner Loop Header: Depth=1
	v_mov_b32_e32 v86, s48
	v_add_nc_u32_e32 v83, -1, v83
	s_add_i32 s48, s48, 16
	s_clause 0x3
	buffer_load_dword v84, v86, s[0:3], 0 offen offset:8
	buffer_load_dword v85, v86, s[0:3], 0 offen offset:12
	buffer_load_dword v92, v86, s[0:3], 0 offen
	buffer_load_dword v93, v86, s[0:3], 0 offen offset:4
	v_mov_b32_e32 v86, s47
	v_cmp_eq_u32_e32 vcc_lo, 0, v83
	s_add_i32 s47, s47, 16
	ds_read_b128 v[88:91], v86
	s_or_b32 s5, vcc_lo, s5
	s_waitcnt vmcnt(2) lgkmcnt(0)
	v_mul_f64 v[94:95], v[90:91], v[84:85]
	v_mul_f64 v[84:85], v[88:89], v[84:85]
	s_waitcnt vmcnt(0)
	v_fma_f64 v[88:89], v[88:89], v[92:93], -v[94:95]
	v_fma_f64 v[84:85], v[90:91], v[92:93], v[84:85]
	v_add_f64 v[1:2], v[1:2], v[88:89]
	v_add_f64 v[3:4], v[3:4], v[84:85]
	s_andn2_b32 exec_lo, exec_lo, s5
	s_cbranch_execnz .LBB37_152
; %bb.153:
	s_or_b32 exec_lo, exec_lo, s5
.LBB37_154:
	s_or_b32 exec_lo, exec_lo, s8
	v_mov_b32_e32 v83, 0
	ds_read_b128 v[83:86], v83 offset:288
	s_waitcnt lgkmcnt(0)
	v_mul_f64 v[88:89], v[3:4], v[85:86]
	v_mul_f64 v[85:86], v[1:2], v[85:86]
	v_fma_f64 v[1:2], v[1:2], v[83:84], -v[88:89]
	v_fma_f64 v[3:4], v[3:4], v[83:84], v[85:86]
	buffer_store_dword v2, off, s[0:3], 0 offset:292
	buffer_store_dword v1, off, s[0:3], 0 offset:288
	;; [unrolled: 1-line block ×4, first 2 shown]
.LBB37_155:
	s_or_b32 exec_lo, exec_lo, s6
	v_mov_b32_e32 v4, s28
	v_cmp_lt_u32_e64 s5, 17, v0
	s_clause 0x3
	buffer_load_dword v1, v4, s[0:3], 0 offen
	buffer_load_dword v2, v4, s[0:3], 0 offen offset:4
	buffer_load_dword v3, v4, s[0:3], 0 offen offset:8
	;; [unrolled: 1-line block ×3, first 2 shown]
	s_waitcnt vmcnt(0)
	ds_write_b128 v82, v[1:4]
	s_waitcnt lgkmcnt(0)
	s_waitcnt_vscnt null, 0x0
	s_barrier
	buffer_gl0_inv
	s_and_saveexec_b32 s6, s5
	s_cbranch_execz .LBB37_163
; %bb.156:
	ds_read_b128 v[1:4], v82
	s_andn2_b32 vcc_lo, exec_lo, s46
	s_cbranch_vccnz .LBB37_158
; %bb.157:
	s_clause 0x3
	buffer_load_dword v83, v81, s[0:3], 0 offen offset:8
	buffer_load_dword v84, v81, s[0:3], 0 offen offset:12
	buffer_load_dword v85, v81, s[0:3], 0 offen
	buffer_load_dword v86, v81, s[0:3], 0 offen offset:4
	s_waitcnt vmcnt(2) lgkmcnt(0)
	v_mul_f64 v[88:89], v[3:4], v[83:84]
	v_mul_f64 v[83:84], v[1:2], v[83:84]
	s_waitcnt vmcnt(0)
	v_fma_f64 v[1:2], v[1:2], v[85:86], -v[88:89]
	v_fma_f64 v[3:4], v[3:4], v[85:86], v[83:84]
.LBB37_158:
	s_and_saveexec_b32 s8, s4
	s_cbranch_execz .LBB37_162
; %bb.159:
	v_subrev_nc_u32_e32 v83, 18, v0
	s_movk_i32 s47, 0x380
	s_mov_b32 s4, 0
	s_mov_b32 s48, s27
	.p2align	6
.LBB37_160:                             ; =>This Inner Loop Header: Depth=1
	v_mov_b32_e32 v86, s48
	v_add_nc_u32_e32 v83, -1, v83
	s_add_i32 s48, s48, 16
	s_clause 0x3
	buffer_load_dword v84, v86, s[0:3], 0 offen offset:8
	buffer_load_dword v85, v86, s[0:3], 0 offen offset:12
	buffer_load_dword v92, v86, s[0:3], 0 offen
	buffer_load_dword v93, v86, s[0:3], 0 offen offset:4
	v_mov_b32_e32 v86, s47
	v_cmp_eq_u32_e32 vcc_lo, 0, v83
	s_add_i32 s47, s47, 16
	ds_read_b128 v[88:91], v86
	s_or_b32 s4, vcc_lo, s4
	s_waitcnt vmcnt(2) lgkmcnt(0)
	v_mul_f64 v[94:95], v[90:91], v[84:85]
	v_mul_f64 v[84:85], v[88:89], v[84:85]
	s_waitcnt vmcnt(0)
	v_fma_f64 v[88:89], v[88:89], v[92:93], -v[94:95]
	v_fma_f64 v[84:85], v[90:91], v[92:93], v[84:85]
	v_add_f64 v[1:2], v[1:2], v[88:89]
	v_add_f64 v[3:4], v[3:4], v[84:85]
	s_andn2_b32 exec_lo, exec_lo, s4
	s_cbranch_execnz .LBB37_160
; %bb.161:
	s_or_b32 exec_lo, exec_lo, s4
.LBB37_162:
	s_or_b32 exec_lo, exec_lo, s8
	v_mov_b32_e32 v83, 0
	ds_read_b128 v[83:86], v83 offset:272
	s_waitcnt lgkmcnt(0)
	v_mul_f64 v[88:89], v[3:4], v[85:86]
	v_mul_f64 v[85:86], v[1:2], v[85:86]
	v_fma_f64 v[1:2], v[1:2], v[83:84], -v[88:89]
	v_fma_f64 v[3:4], v[3:4], v[83:84], v[85:86]
	buffer_store_dword v2, off, s[0:3], 0 offset:276
	buffer_store_dword v1, off, s[0:3], 0 offset:272
	;; [unrolled: 1-line block ×4, first 2 shown]
.LBB37_163:
	s_or_b32 exec_lo, exec_lo, s6
	v_mov_b32_e32 v4, s29
	v_cmp_lt_u32_e64 s4, 16, v0
	s_clause 0x3
	buffer_load_dword v1, v4, s[0:3], 0 offen
	buffer_load_dword v2, v4, s[0:3], 0 offen offset:4
	buffer_load_dword v3, v4, s[0:3], 0 offen offset:8
	;; [unrolled: 1-line block ×3, first 2 shown]
	s_waitcnt vmcnt(0)
	ds_write_b128 v82, v[1:4]
	s_waitcnt lgkmcnt(0)
	s_waitcnt_vscnt null, 0x0
	s_barrier
	buffer_gl0_inv
	s_and_saveexec_b32 s6, s4
	s_cbranch_execz .LBB37_171
; %bb.164:
	ds_read_b128 v[1:4], v82
	s_andn2_b32 vcc_lo, exec_lo, s46
	s_cbranch_vccnz .LBB37_166
; %bb.165:
	s_clause 0x3
	buffer_load_dword v83, v81, s[0:3], 0 offen offset:8
	buffer_load_dword v84, v81, s[0:3], 0 offen offset:12
	buffer_load_dword v85, v81, s[0:3], 0 offen
	buffer_load_dword v86, v81, s[0:3], 0 offen offset:4
	s_waitcnt vmcnt(2) lgkmcnt(0)
	v_mul_f64 v[88:89], v[3:4], v[83:84]
	v_mul_f64 v[83:84], v[1:2], v[83:84]
	s_waitcnt vmcnt(0)
	v_fma_f64 v[1:2], v[1:2], v[85:86], -v[88:89]
	v_fma_f64 v[3:4], v[3:4], v[85:86], v[83:84]
.LBB37_166:
	s_and_saveexec_b32 s8, s5
	s_cbranch_execz .LBB37_170
; %bb.167:
	v_subrev_nc_u32_e32 v83, 17, v0
	s_movk_i32 s47, 0x370
	s_mov_b32 s5, 0
	s_mov_b32 s48, s28
	.p2align	6
.LBB37_168:                             ; =>This Inner Loop Header: Depth=1
	v_mov_b32_e32 v86, s48
	v_add_nc_u32_e32 v83, -1, v83
	s_add_i32 s48, s48, 16
	s_clause 0x3
	buffer_load_dword v84, v86, s[0:3], 0 offen offset:8
	buffer_load_dword v85, v86, s[0:3], 0 offen offset:12
	buffer_load_dword v92, v86, s[0:3], 0 offen
	buffer_load_dword v93, v86, s[0:3], 0 offen offset:4
	v_mov_b32_e32 v86, s47
	v_cmp_eq_u32_e32 vcc_lo, 0, v83
	s_add_i32 s47, s47, 16
	ds_read_b128 v[88:91], v86
	s_or_b32 s5, vcc_lo, s5
	s_waitcnt vmcnt(2) lgkmcnt(0)
	v_mul_f64 v[94:95], v[90:91], v[84:85]
	v_mul_f64 v[84:85], v[88:89], v[84:85]
	s_waitcnt vmcnt(0)
	v_fma_f64 v[88:89], v[88:89], v[92:93], -v[94:95]
	v_fma_f64 v[84:85], v[90:91], v[92:93], v[84:85]
	v_add_f64 v[1:2], v[1:2], v[88:89]
	v_add_f64 v[3:4], v[3:4], v[84:85]
	s_andn2_b32 exec_lo, exec_lo, s5
	s_cbranch_execnz .LBB37_168
; %bb.169:
	s_or_b32 exec_lo, exec_lo, s5
.LBB37_170:
	s_or_b32 exec_lo, exec_lo, s8
	v_mov_b32_e32 v83, 0
	ds_read_b128 v[83:86], v83 offset:256
	s_waitcnt lgkmcnt(0)
	v_mul_f64 v[88:89], v[3:4], v[85:86]
	v_mul_f64 v[85:86], v[1:2], v[85:86]
	v_fma_f64 v[1:2], v[1:2], v[83:84], -v[88:89]
	v_fma_f64 v[3:4], v[3:4], v[83:84], v[85:86]
	buffer_store_dword v2, off, s[0:3], 0 offset:260
	buffer_store_dword v1, off, s[0:3], 0 offset:256
	;; [unrolled: 1-line block ×4, first 2 shown]
.LBB37_171:
	s_or_b32 exec_lo, exec_lo, s6
	v_mov_b32_e32 v4, s30
	v_cmp_lt_u32_e64 s5, 15, v0
	s_clause 0x3
	buffer_load_dword v1, v4, s[0:3], 0 offen
	buffer_load_dword v2, v4, s[0:3], 0 offen offset:4
	buffer_load_dword v3, v4, s[0:3], 0 offen offset:8
	;; [unrolled: 1-line block ×3, first 2 shown]
	s_waitcnt vmcnt(0)
	ds_write_b128 v82, v[1:4]
	s_waitcnt lgkmcnt(0)
	s_waitcnt_vscnt null, 0x0
	s_barrier
	buffer_gl0_inv
	s_and_saveexec_b32 s6, s5
	s_cbranch_execz .LBB37_179
; %bb.172:
	ds_read_b128 v[1:4], v82
	s_andn2_b32 vcc_lo, exec_lo, s46
	s_cbranch_vccnz .LBB37_174
; %bb.173:
	s_clause 0x3
	buffer_load_dword v83, v81, s[0:3], 0 offen offset:8
	buffer_load_dword v84, v81, s[0:3], 0 offen offset:12
	buffer_load_dword v85, v81, s[0:3], 0 offen
	buffer_load_dword v86, v81, s[0:3], 0 offen offset:4
	s_waitcnt vmcnt(2) lgkmcnt(0)
	v_mul_f64 v[88:89], v[3:4], v[83:84]
	v_mul_f64 v[83:84], v[1:2], v[83:84]
	s_waitcnt vmcnt(0)
	v_fma_f64 v[1:2], v[1:2], v[85:86], -v[88:89]
	v_fma_f64 v[3:4], v[3:4], v[85:86], v[83:84]
.LBB37_174:
	s_and_saveexec_b32 s8, s4
	s_cbranch_execz .LBB37_178
; %bb.175:
	v_add_nc_u32_e32 v83, -16, v0
	s_movk_i32 s47, 0x360
	s_mov_b32 s4, 0
	s_mov_b32 s48, s29
	.p2align	6
.LBB37_176:                             ; =>This Inner Loop Header: Depth=1
	v_mov_b32_e32 v86, s48
	v_add_nc_u32_e32 v83, -1, v83
	s_add_i32 s48, s48, 16
	s_clause 0x3
	buffer_load_dword v84, v86, s[0:3], 0 offen offset:8
	buffer_load_dword v85, v86, s[0:3], 0 offen offset:12
	buffer_load_dword v92, v86, s[0:3], 0 offen
	buffer_load_dword v93, v86, s[0:3], 0 offen offset:4
	v_mov_b32_e32 v86, s47
	v_cmp_eq_u32_e32 vcc_lo, 0, v83
	s_add_i32 s47, s47, 16
	ds_read_b128 v[88:91], v86
	s_or_b32 s4, vcc_lo, s4
	s_waitcnt vmcnt(2) lgkmcnt(0)
	v_mul_f64 v[94:95], v[90:91], v[84:85]
	v_mul_f64 v[84:85], v[88:89], v[84:85]
	s_waitcnt vmcnt(0)
	v_fma_f64 v[88:89], v[88:89], v[92:93], -v[94:95]
	v_fma_f64 v[84:85], v[90:91], v[92:93], v[84:85]
	v_add_f64 v[1:2], v[1:2], v[88:89]
	v_add_f64 v[3:4], v[3:4], v[84:85]
	s_andn2_b32 exec_lo, exec_lo, s4
	s_cbranch_execnz .LBB37_176
; %bb.177:
	s_or_b32 exec_lo, exec_lo, s4
.LBB37_178:
	s_or_b32 exec_lo, exec_lo, s8
	v_mov_b32_e32 v83, 0
	ds_read_b128 v[83:86], v83 offset:240
	s_waitcnt lgkmcnt(0)
	v_mul_f64 v[88:89], v[3:4], v[85:86]
	v_mul_f64 v[85:86], v[1:2], v[85:86]
	v_fma_f64 v[1:2], v[1:2], v[83:84], -v[88:89]
	v_fma_f64 v[3:4], v[3:4], v[83:84], v[85:86]
	buffer_store_dword v2, off, s[0:3], 0 offset:244
	buffer_store_dword v1, off, s[0:3], 0 offset:240
	;; [unrolled: 1-line block ×4, first 2 shown]
.LBB37_179:
	s_or_b32 exec_lo, exec_lo, s6
	v_mov_b32_e32 v4, s31
	v_cmp_lt_u32_e64 s4, 14, v0
	s_clause 0x3
	buffer_load_dword v1, v4, s[0:3], 0 offen
	buffer_load_dword v2, v4, s[0:3], 0 offen offset:4
	buffer_load_dword v3, v4, s[0:3], 0 offen offset:8
	;; [unrolled: 1-line block ×3, first 2 shown]
	s_waitcnt vmcnt(0)
	ds_write_b128 v82, v[1:4]
	s_waitcnt lgkmcnt(0)
	s_waitcnt_vscnt null, 0x0
	s_barrier
	buffer_gl0_inv
	s_and_saveexec_b32 s6, s4
	s_cbranch_execz .LBB37_187
; %bb.180:
	ds_read_b128 v[1:4], v82
	s_andn2_b32 vcc_lo, exec_lo, s46
	s_cbranch_vccnz .LBB37_182
; %bb.181:
	s_clause 0x3
	buffer_load_dword v83, v81, s[0:3], 0 offen offset:8
	buffer_load_dword v84, v81, s[0:3], 0 offen offset:12
	buffer_load_dword v85, v81, s[0:3], 0 offen
	buffer_load_dword v86, v81, s[0:3], 0 offen offset:4
	s_waitcnt vmcnt(2) lgkmcnt(0)
	v_mul_f64 v[88:89], v[3:4], v[83:84]
	v_mul_f64 v[83:84], v[1:2], v[83:84]
	s_waitcnt vmcnt(0)
	v_fma_f64 v[1:2], v[1:2], v[85:86], -v[88:89]
	v_fma_f64 v[3:4], v[3:4], v[85:86], v[83:84]
.LBB37_182:
	s_and_saveexec_b32 s8, s5
	s_cbranch_execz .LBB37_186
; %bb.183:
	v_add_nc_u32_e32 v83, -15, v0
	s_movk_i32 s47, 0x350
	s_mov_b32 s5, 0
	s_mov_b32 s48, s30
	.p2align	6
.LBB37_184:                             ; =>This Inner Loop Header: Depth=1
	v_mov_b32_e32 v86, s48
	v_add_nc_u32_e32 v83, -1, v83
	s_add_i32 s48, s48, 16
	s_clause 0x3
	buffer_load_dword v84, v86, s[0:3], 0 offen offset:8
	buffer_load_dword v85, v86, s[0:3], 0 offen offset:12
	buffer_load_dword v92, v86, s[0:3], 0 offen
	buffer_load_dword v93, v86, s[0:3], 0 offen offset:4
	v_mov_b32_e32 v86, s47
	v_cmp_eq_u32_e32 vcc_lo, 0, v83
	s_add_i32 s47, s47, 16
	ds_read_b128 v[88:91], v86
	s_or_b32 s5, vcc_lo, s5
	s_waitcnt vmcnt(2) lgkmcnt(0)
	v_mul_f64 v[94:95], v[90:91], v[84:85]
	v_mul_f64 v[84:85], v[88:89], v[84:85]
	s_waitcnt vmcnt(0)
	v_fma_f64 v[88:89], v[88:89], v[92:93], -v[94:95]
	v_fma_f64 v[84:85], v[90:91], v[92:93], v[84:85]
	v_add_f64 v[1:2], v[1:2], v[88:89]
	v_add_f64 v[3:4], v[3:4], v[84:85]
	s_andn2_b32 exec_lo, exec_lo, s5
	s_cbranch_execnz .LBB37_184
; %bb.185:
	s_or_b32 exec_lo, exec_lo, s5
.LBB37_186:
	s_or_b32 exec_lo, exec_lo, s8
	v_mov_b32_e32 v83, 0
	ds_read_b128 v[83:86], v83 offset:224
	s_waitcnt lgkmcnt(0)
	v_mul_f64 v[88:89], v[3:4], v[85:86]
	v_mul_f64 v[85:86], v[1:2], v[85:86]
	v_fma_f64 v[1:2], v[1:2], v[83:84], -v[88:89]
	v_fma_f64 v[3:4], v[3:4], v[83:84], v[85:86]
	buffer_store_dword v2, off, s[0:3], 0 offset:228
	buffer_store_dword v1, off, s[0:3], 0 offset:224
	;; [unrolled: 1-line block ×4, first 2 shown]
.LBB37_187:
	s_or_b32 exec_lo, exec_lo, s6
	v_mov_b32_e32 v4, s33
	v_cmp_lt_u32_e64 s5, 13, v0
	s_clause 0x3
	buffer_load_dword v1, v4, s[0:3], 0 offen
	buffer_load_dword v2, v4, s[0:3], 0 offen offset:4
	buffer_load_dword v3, v4, s[0:3], 0 offen offset:8
	;; [unrolled: 1-line block ×3, first 2 shown]
	s_waitcnt vmcnt(0)
	ds_write_b128 v82, v[1:4]
	s_waitcnt lgkmcnt(0)
	s_waitcnt_vscnt null, 0x0
	s_barrier
	buffer_gl0_inv
	s_and_saveexec_b32 s6, s5
	s_cbranch_execz .LBB37_195
; %bb.188:
	ds_read_b128 v[1:4], v82
	s_andn2_b32 vcc_lo, exec_lo, s46
	s_cbranch_vccnz .LBB37_190
; %bb.189:
	s_clause 0x3
	buffer_load_dword v83, v81, s[0:3], 0 offen offset:8
	buffer_load_dword v84, v81, s[0:3], 0 offen offset:12
	buffer_load_dword v85, v81, s[0:3], 0 offen
	buffer_load_dword v86, v81, s[0:3], 0 offen offset:4
	s_waitcnt vmcnt(2) lgkmcnt(0)
	v_mul_f64 v[88:89], v[3:4], v[83:84]
	v_mul_f64 v[83:84], v[1:2], v[83:84]
	s_waitcnt vmcnt(0)
	v_fma_f64 v[1:2], v[1:2], v[85:86], -v[88:89]
	v_fma_f64 v[3:4], v[3:4], v[85:86], v[83:84]
.LBB37_190:
	s_and_saveexec_b32 s8, s4
	s_cbranch_execz .LBB37_194
; %bb.191:
	v_add_nc_u32_e32 v83, -14, v0
	s_movk_i32 s47, 0x340
	s_mov_b32 s4, 0
	s_mov_b32 s48, s31
	.p2align	6
.LBB37_192:                             ; =>This Inner Loop Header: Depth=1
	v_mov_b32_e32 v86, s48
	v_add_nc_u32_e32 v83, -1, v83
	s_add_i32 s48, s48, 16
	s_clause 0x3
	buffer_load_dword v84, v86, s[0:3], 0 offen offset:8
	buffer_load_dword v85, v86, s[0:3], 0 offen offset:12
	buffer_load_dword v92, v86, s[0:3], 0 offen
	buffer_load_dword v93, v86, s[0:3], 0 offen offset:4
	v_mov_b32_e32 v86, s47
	v_cmp_eq_u32_e32 vcc_lo, 0, v83
	s_add_i32 s47, s47, 16
	ds_read_b128 v[88:91], v86
	s_or_b32 s4, vcc_lo, s4
	s_waitcnt vmcnt(2) lgkmcnt(0)
	v_mul_f64 v[94:95], v[90:91], v[84:85]
	v_mul_f64 v[84:85], v[88:89], v[84:85]
	s_waitcnt vmcnt(0)
	v_fma_f64 v[88:89], v[88:89], v[92:93], -v[94:95]
	v_fma_f64 v[84:85], v[90:91], v[92:93], v[84:85]
	v_add_f64 v[1:2], v[1:2], v[88:89]
	v_add_f64 v[3:4], v[3:4], v[84:85]
	s_andn2_b32 exec_lo, exec_lo, s4
	s_cbranch_execnz .LBB37_192
; %bb.193:
	s_or_b32 exec_lo, exec_lo, s4
.LBB37_194:
	s_or_b32 exec_lo, exec_lo, s8
	v_mov_b32_e32 v83, 0
	ds_read_b128 v[83:86], v83 offset:208
	s_waitcnt lgkmcnt(0)
	v_mul_f64 v[88:89], v[3:4], v[85:86]
	v_mul_f64 v[85:86], v[1:2], v[85:86]
	v_fma_f64 v[1:2], v[1:2], v[83:84], -v[88:89]
	v_fma_f64 v[3:4], v[3:4], v[83:84], v[85:86]
	buffer_store_dword v2, off, s[0:3], 0 offset:212
	buffer_store_dword v1, off, s[0:3], 0 offset:208
	;; [unrolled: 1-line block ×4, first 2 shown]
.LBB37_195:
	s_or_b32 exec_lo, exec_lo, s6
	v_mov_b32_e32 v4, s34
	v_cmp_lt_u32_e64 s4, 12, v0
	s_clause 0x3
	buffer_load_dword v1, v4, s[0:3], 0 offen
	buffer_load_dword v2, v4, s[0:3], 0 offen offset:4
	buffer_load_dword v3, v4, s[0:3], 0 offen offset:8
	;; [unrolled: 1-line block ×3, first 2 shown]
	s_waitcnt vmcnt(0)
	ds_write_b128 v82, v[1:4]
	s_waitcnt lgkmcnt(0)
	s_waitcnt_vscnt null, 0x0
	s_barrier
	buffer_gl0_inv
	s_and_saveexec_b32 s6, s4
	s_cbranch_execz .LBB37_203
; %bb.196:
	ds_read_b128 v[1:4], v82
	s_andn2_b32 vcc_lo, exec_lo, s46
	s_cbranch_vccnz .LBB37_198
; %bb.197:
	s_clause 0x3
	buffer_load_dword v83, v81, s[0:3], 0 offen offset:8
	buffer_load_dword v84, v81, s[0:3], 0 offen offset:12
	buffer_load_dword v85, v81, s[0:3], 0 offen
	buffer_load_dword v86, v81, s[0:3], 0 offen offset:4
	s_waitcnt vmcnt(2) lgkmcnt(0)
	v_mul_f64 v[88:89], v[3:4], v[83:84]
	v_mul_f64 v[83:84], v[1:2], v[83:84]
	s_waitcnt vmcnt(0)
	v_fma_f64 v[1:2], v[1:2], v[85:86], -v[88:89]
	v_fma_f64 v[3:4], v[3:4], v[85:86], v[83:84]
.LBB37_198:
	s_and_saveexec_b32 s8, s5
	s_cbranch_execz .LBB37_202
; %bb.199:
	v_add_nc_u32_e32 v83, -13, v0
	s_movk_i32 s47, 0x330
	s_mov_b32 s5, 0
	s_mov_b32 s48, s33
	.p2align	6
.LBB37_200:                             ; =>This Inner Loop Header: Depth=1
	v_mov_b32_e32 v86, s48
	v_add_nc_u32_e32 v83, -1, v83
	s_add_i32 s48, s48, 16
	s_clause 0x3
	buffer_load_dword v84, v86, s[0:3], 0 offen offset:8
	buffer_load_dword v85, v86, s[0:3], 0 offen offset:12
	buffer_load_dword v92, v86, s[0:3], 0 offen
	buffer_load_dword v93, v86, s[0:3], 0 offen offset:4
	v_mov_b32_e32 v86, s47
	v_cmp_eq_u32_e32 vcc_lo, 0, v83
	s_add_i32 s47, s47, 16
	ds_read_b128 v[88:91], v86
	s_or_b32 s5, vcc_lo, s5
	s_waitcnt vmcnt(2) lgkmcnt(0)
	v_mul_f64 v[94:95], v[90:91], v[84:85]
	v_mul_f64 v[84:85], v[88:89], v[84:85]
	s_waitcnt vmcnt(0)
	v_fma_f64 v[88:89], v[88:89], v[92:93], -v[94:95]
	v_fma_f64 v[84:85], v[90:91], v[92:93], v[84:85]
	v_add_f64 v[1:2], v[1:2], v[88:89]
	v_add_f64 v[3:4], v[3:4], v[84:85]
	s_andn2_b32 exec_lo, exec_lo, s5
	s_cbranch_execnz .LBB37_200
; %bb.201:
	s_or_b32 exec_lo, exec_lo, s5
.LBB37_202:
	s_or_b32 exec_lo, exec_lo, s8
	v_mov_b32_e32 v83, 0
	ds_read_b128 v[83:86], v83 offset:192
	s_waitcnt lgkmcnt(0)
	v_mul_f64 v[88:89], v[3:4], v[85:86]
	v_mul_f64 v[85:86], v[1:2], v[85:86]
	v_fma_f64 v[1:2], v[1:2], v[83:84], -v[88:89]
	v_fma_f64 v[3:4], v[3:4], v[83:84], v[85:86]
	buffer_store_dword v2, off, s[0:3], 0 offset:196
	buffer_store_dword v1, off, s[0:3], 0 offset:192
	;; [unrolled: 1-line block ×4, first 2 shown]
.LBB37_203:
	s_or_b32 exec_lo, exec_lo, s6
	v_mov_b32_e32 v4, s35
	v_cmp_lt_u32_e64 s5, 11, v0
	s_clause 0x3
	buffer_load_dword v1, v4, s[0:3], 0 offen
	buffer_load_dword v2, v4, s[0:3], 0 offen offset:4
	buffer_load_dword v3, v4, s[0:3], 0 offen offset:8
	;; [unrolled: 1-line block ×3, first 2 shown]
	s_waitcnt vmcnt(0)
	ds_write_b128 v82, v[1:4]
	s_waitcnt lgkmcnt(0)
	s_waitcnt_vscnt null, 0x0
	s_barrier
	buffer_gl0_inv
	s_and_saveexec_b32 s6, s5
	s_cbranch_execz .LBB37_211
; %bb.204:
	ds_read_b128 v[1:4], v82
	s_andn2_b32 vcc_lo, exec_lo, s46
	s_cbranch_vccnz .LBB37_206
; %bb.205:
	s_clause 0x3
	buffer_load_dword v83, v81, s[0:3], 0 offen offset:8
	buffer_load_dword v84, v81, s[0:3], 0 offen offset:12
	buffer_load_dword v85, v81, s[0:3], 0 offen
	buffer_load_dword v86, v81, s[0:3], 0 offen offset:4
	s_waitcnt vmcnt(2) lgkmcnt(0)
	v_mul_f64 v[88:89], v[3:4], v[83:84]
	v_mul_f64 v[83:84], v[1:2], v[83:84]
	s_waitcnt vmcnt(0)
	v_fma_f64 v[1:2], v[1:2], v[85:86], -v[88:89]
	v_fma_f64 v[3:4], v[3:4], v[85:86], v[83:84]
.LBB37_206:
	s_and_saveexec_b32 s8, s4
	s_cbranch_execz .LBB37_210
; %bb.207:
	v_add_nc_u32_e32 v83, -12, v0
	s_movk_i32 s47, 0x320
	s_mov_b32 s4, 0
	s_mov_b32 s48, s34
	.p2align	6
.LBB37_208:                             ; =>This Inner Loop Header: Depth=1
	v_mov_b32_e32 v86, s48
	v_add_nc_u32_e32 v83, -1, v83
	s_add_i32 s48, s48, 16
	s_clause 0x3
	buffer_load_dword v84, v86, s[0:3], 0 offen offset:8
	buffer_load_dword v85, v86, s[0:3], 0 offen offset:12
	buffer_load_dword v92, v86, s[0:3], 0 offen
	buffer_load_dword v93, v86, s[0:3], 0 offen offset:4
	v_mov_b32_e32 v86, s47
	v_cmp_eq_u32_e32 vcc_lo, 0, v83
	s_add_i32 s47, s47, 16
	ds_read_b128 v[88:91], v86
	s_or_b32 s4, vcc_lo, s4
	s_waitcnt vmcnt(2) lgkmcnt(0)
	v_mul_f64 v[94:95], v[90:91], v[84:85]
	v_mul_f64 v[84:85], v[88:89], v[84:85]
	s_waitcnt vmcnt(0)
	v_fma_f64 v[88:89], v[88:89], v[92:93], -v[94:95]
	v_fma_f64 v[84:85], v[90:91], v[92:93], v[84:85]
	v_add_f64 v[1:2], v[1:2], v[88:89]
	v_add_f64 v[3:4], v[3:4], v[84:85]
	s_andn2_b32 exec_lo, exec_lo, s4
	s_cbranch_execnz .LBB37_208
; %bb.209:
	s_or_b32 exec_lo, exec_lo, s4
.LBB37_210:
	s_or_b32 exec_lo, exec_lo, s8
	v_mov_b32_e32 v83, 0
	ds_read_b128 v[83:86], v83 offset:176
	s_waitcnt lgkmcnt(0)
	v_mul_f64 v[88:89], v[3:4], v[85:86]
	v_mul_f64 v[85:86], v[1:2], v[85:86]
	v_fma_f64 v[1:2], v[1:2], v[83:84], -v[88:89]
	v_fma_f64 v[3:4], v[3:4], v[83:84], v[85:86]
	buffer_store_dword v2, off, s[0:3], 0 offset:180
	buffer_store_dword v1, off, s[0:3], 0 offset:176
	;; [unrolled: 1-line block ×4, first 2 shown]
.LBB37_211:
	s_or_b32 exec_lo, exec_lo, s6
	v_mov_b32_e32 v4, s36
	v_cmp_lt_u32_e64 s4, 10, v0
	s_clause 0x3
	buffer_load_dword v1, v4, s[0:3], 0 offen
	buffer_load_dword v2, v4, s[0:3], 0 offen offset:4
	buffer_load_dword v3, v4, s[0:3], 0 offen offset:8
	;; [unrolled: 1-line block ×3, first 2 shown]
	s_waitcnt vmcnt(0)
	ds_write_b128 v82, v[1:4]
	s_waitcnt lgkmcnt(0)
	s_waitcnt_vscnt null, 0x0
	s_barrier
	buffer_gl0_inv
	s_and_saveexec_b32 s6, s4
	s_cbranch_execz .LBB37_219
; %bb.212:
	ds_read_b128 v[1:4], v82
	s_andn2_b32 vcc_lo, exec_lo, s46
	s_cbranch_vccnz .LBB37_214
; %bb.213:
	s_clause 0x3
	buffer_load_dword v83, v81, s[0:3], 0 offen offset:8
	buffer_load_dword v84, v81, s[0:3], 0 offen offset:12
	buffer_load_dword v85, v81, s[0:3], 0 offen
	buffer_load_dword v86, v81, s[0:3], 0 offen offset:4
	s_waitcnt vmcnt(2) lgkmcnt(0)
	v_mul_f64 v[88:89], v[3:4], v[83:84]
	v_mul_f64 v[83:84], v[1:2], v[83:84]
	s_waitcnt vmcnt(0)
	v_fma_f64 v[1:2], v[1:2], v[85:86], -v[88:89]
	v_fma_f64 v[3:4], v[3:4], v[85:86], v[83:84]
.LBB37_214:
	s_and_saveexec_b32 s8, s5
	s_cbranch_execz .LBB37_218
; %bb.215:
	v_add_nc_u32_e32 v83, -11, v0
	s_movk_i32 s47, 0x310
	s_mov_b32 s5, 0
	s_mov_b32 s48, s35
	.p2align	6
.LBB37_216:                             ; =>This Inner Loop Header: Depth=1
	v_mov_b32_e32 v86, s48
	v_add_nc_u32_e32 v83, -1, v83
	s_add_i32 s48, s48, 16
	s_clause 0x3
	buffer_load_dword v84, v86, s[0:3], 0 offen offset:8
	buffer_load_dword v85, v86, s[0:3], 0 offen offset:12
	buffer_load_dword v92, v86, s[0:3], 0 offen
	buffer_load_dword v93, v86, s[0:3], 0 offen offset:4
	v_mov_b32_e32 v86, s47
	v_cmp_eq_u32_e32 vcc_lo, 0, v83
	s_add_i32 s47, s47, 16
	ds_read_b128 v[88:91], v86
	s_or_b32 s5, vcc_lo, s5
	s_waitcnt vmcnt(2) lgkmcnt(0)
	v_mul_f64 v[94:95], v[90:91], v[84:85]
	v_mul_f64 v[84:85], v[88:89], v[84:85]
	s_waitcnt vmcnt(0)
	v_fma_f64 v[88:89], v[88:89], v[92:93], -v[94:95]
	v_fma_f64 v[84:85], v[90:91], v[92:93], v[84:85]
	v_add_f64 v[1:2], v[1:2], v[88:89]
	v_add_f64 v[3:4], v[3:4], v[84:85]
	s_andn2_b32 exec_lo, exec_lo, s5
	s_cbranch_execnz .LBB37_216
; %bb.217:
	s_or_b32 exec_lo, exec_lo, s5
.LBB37_218:
	s_or_b32 exec_lo, exec_lo, s8
	v_mov_b32_e32 v83, 0
	ds_read_b128 v[83:86], v83 offset:160
	s_waitcnt lgkmcnt(0)
	v_mul_f64 v[88:89], v[3:4], v[85:86]
	v_mul_f64 v[85:86], v[1:2], v[85:86]
	v_fma_f64 v[1:2], v[1:2], v[83:84], -v[88:89]
	v_fma_f64 v[3:4], v[3:4], v[83:84], v[85:86]
	buffer_store_dword v2, off, s[0:3], 0 offset:164
	buffer_store_dword v1, off, s[0:3], 0 offset:160
	buffer_store_dword v4, off, s[0:3], 0 offset:172
	buffer_store_dword v3, off, s[0:3], 0 offset:168
.LBB37_219:
	s_or_b32 exec_lo, exec_lo, s6
	v_mov_b32_e32 v4, s37
	v_cmp_lt_u32_e64 s5, 9, v0
	s_clause 0x3
	buffer_load_dword v1, v4, s[0:3], 0 offen
	buffer_load_dword v2, v4, s[0:3], 0 offen offset:4
	buffer_load_dword v3, v4, s[0:3], 0 offen offset:8
	;; [unrolled: 1-line block ×3, first 2 shown]
	s_waitcnt vmcnt(0)
	ds_write_b128 v82, v[1:4]
	s_waitcnt lgkmcnt(0)
	s_waitcnt_vscnt null, 0x0
	s_barrier
	buffer_gl0_inv
	s_and_saveexec_b32 s6, s5
	s_cbranch_execz .LBB37_227
; %bb.220:
	ds_read_b128 v[1:4], v82
	s_andn2_b32 vcc_lo, exec_lo, s46
	s_cbranch_vccnz .LBB37_222
; %bb.221:
	s_clause 0x3
	buffer_load_dword v83, v81, s[0:3], 0 offen offset:8
	buffer_load_dword v84, v81, s[0:3], 0 offen offset:12
	buffer_load_dword v85, v81, s[0:3], 0 offen
	buffer_load_dword v86, v81, s[0:3], 0 offen offset:4
	s_waitcnt vmcnt(2) lgkmcnt(0)
	v_mul_f64 v[88:89], v[3:4], v[83:84]
	v_mul_f64 v[83:84], v[1:2], v[83:84]
	s_waitcnt vmcnt(0)
	v_fma_f64 v[1:2], v[1:2], v[85:86], -v[88:89]
	v_fma_f64 v[3:4], v[3:4], v[85:86], v[83:84]
.LBB37_222:
	s_and_saveexec_b32 s8, s4
	s_cbranch_execz .LBB37_226
; %bb.223:
	v_add_nc_u32_e32 v83, -10, v0
	s_movk_i32 s47, 0x300
	s_mov_b32 s4, 0
	s_mov_b32 s48, s36
	.p2align	6
.LBB37_224:                             ; =>This Inner Loop Header: Depth=1
	v_mov_b32_e32 v86, s48
	v_add_nc_u32_e32 v83, -1, v83
	s_add_i32 s48, s48, 16
	s_clause 0x3
	buffer_load_dword v84, v86, s[0:3], 0 offen offset:8
	buffer_load_dword v85, v86, s[0:3], 0 offen offset:12
	buffer_load_dword v92, v86, s[0:3], 0 offen
	buffer_load_dword v93, v86, s[0:3], 0 offen offset:4
	v_mov_b32_e32 v86, s47
	v_cmp_eq_u32_e32 vcc_lo, 0, v83
	s_add_i32 s47, s47, 16
	ds_read_b128 v[88:91], v86
	s_or_b32 s4, vcc_lo, s4
	s_waitcnt vmcnt(2) lgkmcnt(0)
	v_mul_f64 v[94:95], v[90:91], v[84:85]
	v_mul_f64 v[84:85], v[88:89], v[84:85]
	s_waitcnt vmcnt(0)
	v_fma_f64 v[88:89], v[88:89], v[92:93], -v[94:95]
	v_fma_f64 v[84:85], v[90:91], v[92:93], v[84:85]
	v_add_f64 v[1:2], v[1:2], v[88:89]
	v_add_f64 v[3:4], v[3:4], v[84:85]
	s_andn2_b32 exec_lo, exec_lo, s4
	s_cbranch_execnz .LBB37_224
; %bb.225:
	s_or_b32 exec_lo, exec_lo, s4
.LBB37_226:
	s_or_b32 exec_lo, exec_lo, s8
	v_mov_b32_e32 v83, 0
	ds_read_b128 v[83:86], v83 offset:144
	s_waitcnt lgkmcnt(0)
	v_mul_f64 v[88:89], v[3:4], v[85:86]
	v_mul_f64 v[85:86], v[1:2], v[85:86]
	v_fma_f64 v[1:2], v[1:2], v[83:84], -v[88:89]
	v_fma_f64 v[3:4], v[3:4], v[83:84], v[85:86]
	buffer_store_dword v2, off, s[0:3], 0 offset:148
	buffer_store_dword v1, off, s[0:3], 0 offset:144
	;; [unrolled: 1-line block ×4, first 2 shown]
.LBB37_227:
	s_or_b32 exec_lo, exec_lo, s6
	v_mov_b32_e32 v4, s38
	v_cmp_lt_u32_e64 s4, 8, v0
	s_clause 0x3
	buffer_load_dword v1, v4, s[0:3], 0 offen
	buffer_load_dword v2, v4, s[0:3], 0 offen offset:4
	buffer_load_dword v3, v4, s[0:3], 0 offen offset:8
	;; [unrolled: 1-line block ×3, first 2 shown]
	s_waitcnt vmcnt(0)
	ds_write_b128 v82, v[1:4]
	s_waitcnt lgkmcnt(0)
	s_waitcnt_vscnt null, 0x0
	s_barrier
	buffer_gl0_inv
	s_and_saveexec_b32 s6, s4
	s_cbranch_execz .LBB37_235
; %bb.228:
	ds_read_b128 v[1:4], v82
	s_andn2_b32 vcc_lo, exec_lo, s46
	s_cbranch_vccnz .LBB37_230
; %bb.229:
	s_clause 0x3
	buffer_load_dword v83, v81, s[0:3], 0 offen offset:8
	buffer_load_dword v84, v81, s[0:3], 0 offen offset:12
	buffer_load_dword v85, v81, s[0:3], 0 offen
	buffer_load_dword v86, v81, s[0:3], 0 offen offset:4
	s_waitcnt vmcnt(2) lgkmcnt(0)
	v_mul_f64 v[88:89], v[3:4], v[83:84]
	v_mul_f64 v[83:84], v[1:2], v[83:84]
	s_waitcnt vmcnt(0)
	v_fma_f64 v[1:2], v[1:2], v[85:86], -v[88:89]
	v_fma_f64 v[3:4], v[3:4], v[85:86], v[83:84]
.LBB37_230:
	s_and_saveexec_b32 s8, s5
	s_cbranch_execz .LBB37_234
; %bb.231:
	v_add_nc_u32_e32 v83, -9, v0
	s_movk_i32 s47, 0x2f0
	s_mov_b32 s5, 0
	s_mov_b32 s48, s37
	.p2align	6
.LBB37_232:                             ; =>This Inner Loop Header: Depth=1
	v_mov_b32_e32 v86, s48
	v_add_nc_u32_e32 v83, -1, v83
	s_add_i32 s48, s48, 16
	s_clause 0x3
	buffer_load_dword v84, v86, s[0:3], 0 offen offset:8
	buffer_load_dword v85, v86, s[0:3], 0 offen offset:12
	buffer_load_dword v92, v86, s[0:3], 0 offen
	buffer_load_dword v93, v86, s[0:3], 0 offen offset:4
	v_mov_b32_e32 v86, s47
	v_cmp_eq_u32_e32 vcc_lo, 0, v83
	s_add_i32 s47, s47, 16
	ds_read_b128 v[88:91], v86
	s_or_b32 s5, vcc_lo, s5
	s_waitcnt vmcnt(2) lgkmcnt(0)
	v_mul_f64 v[94:95], v[90:91], v[84:85]
	v_mul_f64 v[84:85], v[88:89], v[84:85]
	s_waitcnt vmcnt(0)
	v_fma_f64 v[88:89], v[88:89], v[92:93], -v[94:95]
	v_fma_f64 v[84:85], v[90:91], v[92:93], v[84:85]
	v_add_f64 v[1:2], v[1:2], v[88:89]
	v_add_f64 v[3:4], v[3:4], v[84:85]
	s_andn2_b32 exec_lo, exec_lo, s5
	s_cbranch_execnz .LBB37_232
; %bb.233:
	s_or_b32 exec_lo, exec_lo, s5
.LBB37_234:
	s_or_b32 exec_lo, exec_lo, s8
	v_mov_b32_e32 v83, 0
	ds_read_b128 v[83:86], v83 offset:128
	s_waitcnt lgkmcnt(0)
	v_mul_f64 v[88:89], v[3:4], v[85:86]
	v_mul_f64 v[85:86], v[1:2], v[85:86]
	v_fma_f64 v[1:2], v[1:2], v[83:84], -v[88:89]
	v_fma_f64 v[3:4], v[3:4], v[83:84], v[85:86]
	buffer_store_dword v2, off, s[0:3], 0 offset:132
	buffer_store_dword v1, off, s[0:3], 0 offset:128
	;; [unrolled: 1-line block ×4, first 2 shown]
.LBB37_235:
	s_or_b32 exec_lo, exec_lo, s6
	v_mov_b32_e32 v4, s39
	v_cmp_lt_u32_e64 s5, 7, v0
	s_clause 0x3
	buffer_load_dword v1, v4, s[0:3], 0 offen
	buffer_load_dword v2, v4, s[0:3], 0 offen offset:4
	buffer_load_dword v3, v4, s[0:3], 0 offen offset:8
	;; [unrolled: 1-line block ×3, first 2 shown]
	s_waitcnt vmcnt(0)
	ds_write_b128 v82, v[1:4]
	s_waitcnt lgkmcnt(0)
	s_waitcnt_vscnt null, 0x0
	s_barrier
	buffer_gl0_inv
	s_and_saveexec_b32 s6, s5
	s_cbranch_execz .LBB37_243
; %bb.236:
	ds_read_b128 v[1:4], v82
	s_andn2_b32 vcc_lo, exec_lo, s46
	s_cbranch_vccnz .LBB37_238
; %bb.237:
	s_clause 0x3
	buffer_load_dword v83, v81, s[0:3], 0 offen offset:8
	buffer_load_dword v84, v81, s[0:3], 0 offen offset:12
	buffer_load_dword v85, v81, s[0:3], 0 offen
	buffer_load_dword v86, v81, s[0:3], 0 offen offset:4
	s_waitcnt vmcnt(2) lgkmcnt(0)
	v_mul_f64 v[88:89], v[3:4], v[83:84]
	v_mul_f64 v[83:84], v[1:2], v[83:84]
	s_waitcnt vmcnt(0)
	v_fma_f64 v[1:2], v[1:2], v[85:86], -v[88:89]
	v_fma_f64 v[3:4], v[3:4], v[85:86], v[83:84]
.LBB37_238:
	s_and_saveexec_b32 s8, s4
	s_cbranch_execz .LBB37_242
; %bb.239:
	v_add_nc_u32_e32 v83, -8, v0
	s_movk_i32 s47, 0x2e0
	s_mov_b32 s4, 0
	s_mov_b32 s48, s38
	.p2align	6
.LBB37_240:                             ; =>This Inner Loop Header: Depth=1
	v_mov_b32_e32 v86, s48
	v_add_nc_u32_e32 v83, -1, v83
	s_add_i32 s48, s48, 16
	s_clause 0x3
	buffer_load_dword v84, v86, s[0:3], 0 offen offset:8
	buffer_load_dword v85, v86, s[0:3], 0 offen offset:12
	buffer_load_dword v92, v86, s[0:3], 0 offen
	buffer_load_dword v93, v86, s[0:3], 0 offen offset:4
	v_mov_b32_e32 v86, s47
	v_cmp_eq_u32_e32 vcc_lo, 0, v83
	s_add_i32 s47, s47, 16
	ds_read_b128 v[88:91], v86
	s_or_b32 s4, vcc_lo, s4
	s_waitcnt vmcnt(2) lgkmcnt(0)
	v_mul_f64 v[94:95], v[90:91], v[84:85]
	v_mul_f64 v[84:85], v[88:89], v[84:85]
	s_waitcnt vmcnt(0)
	v_fma_f64 v[88:89], v[88:89], v[92:93], -v[94:95]
	v_fma_f64 v[84:85], v[90:91], v[92:93], v[84:85]
	v_add_f64 v[1:2], v[1:2], v[88:89]
	v_add_f64 v[3:4], v[3:4], v[84:85]
	s_andn2_b32 exec_lo, exec_lo, s4
	s_cbranch_execnz .LBB37_240
; %bb.241:
	s_or_b32 exec_lo, exec_lo, s4
.LBB37_242:
	s_or_b32 exec_lo, exec_lo, s8
	v_mov_b32_e32 v83, 0
	ds_read_b128 v[83:86], v83 offset:112
	s_waitcnt lgkmcnt(0)
	v_mul_f64 v[88:89], v[3:4], v[85:86]
	v_mul_f64 v[85:86], v[1:2], v[85:86]
	v_fma_f64 v[1:2], v[1:2], v[83:84], -v[88:89]
	v_fma_f64 v[3:4], v[3:4], v[83:84], v[85:86]
	buffer_store_dword v2, off, s[0:3], 0 offset:116
	buffer_store_dword v1, off, s[0:3], 0 offset:112
	;; [unrolled: 1-line block ×4, first 2 shown]
.LBB37_243:
	s_or_b32 exec_lo, exec_lo, s6
	v_mov_b32_e32 v4, s40
	v_cmp_lt_u32_e64 s4, 6, v0
	s_clause 0x3
	buffer_load_dword v1, v4, s[0:3], 0 offen
	buffer_load_dword v2, v4, s[0:3], 0 offen offset:4
	buffer_load_dword v3, v4, s[0:3], 0 offen offset:8
	;; [unrolled: 1-line block ×3, first 2 shown]
	s_waitcnt vmcnt(0)
	ds_write_b128 v82, v[1:4]
	s_waitcnt lgkmcnt(0)
	s_waitcnt_vscnt null, 0x0
	s_barrier
	buffer_gl0_inv
	s_and_saveexec_b32 s6, s4
	s_cbranch_execz .LBB37_251
; %bb.244:
	ds_read_b128 v[1:4], v82
	s_andn2_b32 vcc_lo, exec_lo, s46
	s_cbranch_vccnz .LBB37_246
; %bb.245:
	s_clause 0x3
	buffer_load_dword v83, v81, s[0:3], 0 offen offset:8
	buffer_load_dword v84, v81, s[0:3], 0 offen offset:12
	buffer_load_dword v85, v81, s[0:3], 0 offen
	buffer_load_dword v86, v81, s[0:3], 0 offen offset:4
	s_waitcnt vmcnt(2) lgkmcnt(0)
	v_mul_f64 v[88:89], v[3:4], v[83:84]
	v_mul_f64 v[83:84], v[1:2], v[83:84]
	s_waitcnt vmcnt(0)
	v_fma_f64 v[1:2], v[1:2], v[85:86], -v[88:89]
	v_fma_f64 v[3:4], v[3:4], v[85:86], v[83:84]
.LBB37_246:
	s_and_saveexec_b32 s8, s5
	s_cbranch_execz .LBB37_250
; %bb.247:
	v_add_nc_u32_e32 v83, -7, v0
	s_movk_i32 s47, 0x2d0
	s_mov_b32 s5, 0
	s_mov_b32 s48, s39
	.p2align	6
.LBB37_248:                             ; =>This Inner Loop Header: Depth=1
	v_mov_b32_e32 v86, s48
	v_add_nc_u32_e32 v83, -1, v83
	s_add_i32 s48, s48, 16
	s_clause 0x3
	buffer_load_dword v84, v86, s[0:3], 0 offen offset:8
	buffer_load_dword v85, v86, s[0:3], 0 offen offset:12
	buffer_load_dword v92, v86, s[0:3], 0 offen
	buffer_load_dword v93, v86, s[0:3], 0 offen offset:4
	v_mov_b32_e32 v86, s47
	v_cmp_eq_u32_e32 vcc_lo, 0, v83
	s_add_i32 s47, s47, 16
	ds_read_b128 v[88:91], v86
	s_or_b32 s5, vcc_lo, s5
	s_waitcnt vmcnt(2) lgkmcnt(0)
	v_mul_f64 v[94:95], v[90:91], v[84:85]
	v_mul_f64 v[84:85], v[88:89], v[84:85]
	s_waitcnt vmcnt(0)
	v_fma_f64 v[88:89], v[88:89], v[92:93], -v[94:95]
	v_fma_f64 v[84:85], v[90:91], v[92:93], v[84:85]
	v_add_f64 v[1:2], v[1:2], v[88:89]
	v_add_f64 v[3:4], v[3:4], v[84:85]
	s_andn2_b32 exec_lo, exec_lo, s5
	s_cbranch_execnz .LBB37_248
; %bb.249:
	s_or_b32 exec_lo, exec_lo, s5
.LBB37_250:
	s_or_b32 exec_lo, exec_lo, s8
	v_mov_b32_e32 v83, 0
	ds_read_b128 v[83:86], v83 offset:96
	s_waitcnt lgkmcnt(0)
	v_mul_f64 v[88:89], v[3:4], v[85:86]
	v_mul_f64 v[85:86], v[1:2], v[85:86]
	v_fma_f64 v[1:2], v[1:2], v[83:84], -v[88:89]
	v_fma_f64 v[3:4], v[3:4], v[83:84], v[85:86]
	buffer_store_dword v2, off, s[0:3], 0 offset:100
	buffer_store_dword v1, off, s[0:3], 0 offset:96
	;; [unrolled: 1-line block ×4, first 2 shown]
.LBB37_251:
	s_or_b32 exec_lo, exec_lo, s6
	v_mov_b32_e32 v4, s41
	v_cmp_lt_u32_e64 s5, 5, v0
	s_clause 0x3
	buffer_load_dword v1, v4, s[0:3], 0 offen
	buffer_load_dword v2, v4, s[0:3], 0 offen offset:4
	buffer_load_dword v3, v4, s[0:3], 0 offen offset:8
	;; [unrolled: 1-line block ×3, first 2 shown]
	s_waitcnt vmcnt(0)
	ds_write_b128 v82, v[1:4]
	s_waitcnt lgkmcnt(0)
	s_waitcnt_vscnt null, 0x0
	s_barrier
	buffer_gl0_inv
	s_and_saveexec_b32 s6, s5
	s_cbranch_execz .LBB37_259
; %bb.252:
	ds_read_b128 v[1:4], v82
	s_andn2_b32 vcc_lo, exec_lo, s46
	s_cbranch_vccnz .LBB37_254
; %bb.253:
	s_clause 0x3
	buffer_load_dword v83, v81, s[0:3], 0 offen offset:8
	buffer_load_dword v84, v81, s[0:3], 0 offen offset:12
	buffer_load_dword v85, v81, s[0:3], 0 offen
	buffer_load_dword v86, v81, s[0:3], 0 offen offset:4
	s_waitcnt vmcnt(2) lgkmcnt(0)
	v_mul_f64 v[88:89], v[3:4], v[83:84]
	v_mul_f64 v[83:84], v[1:2], v[83:84]
	s_waitcnt vmcnt(0)
	v_fma_f64 v[1:2], v[1:2], v[85:86], -v[88:89]
	v_fma_f64 v[3:4], v[3:4], v[85:86], v[83:84]
.LBB37_254:
	s_and_saveexec_b32 s8, s4
	s_cbranch_execz .LBB37_258
; %bb.255:
	v_add_nc_u32_e32 v83, -6, v0
	s_movk_i32 s47, 0x2c0
	s_mov_b32 s4, 0
	s_mov_b32 s48, s40
	.p2align	6
.LBB37_256:                             ; =>This Inner Loop Header: Depth=1
	v_mov_b32_e32 v86, s48
	v_add_nc_u32_e32 v83, -1, v83
	s_add_i32 s48, s48, 16
	s_clause 0x3
	buffer_load_dword v84, v86, s[0:3], 0 offen offset:8
	buffer_load_dword v85, v86, s[0:3], 0 offen offset:12
	buffer_load_dword v92, v86, s[0:3], 0 offen
	buffer_load_dword v93, v86, s[0:3], 0 offen offset:4
	v_mov_b32_e32 v86, s47
	v_cmp_eq_u32_e32 vcc_lo, 0, v83
	s_add_i32 s47, s47, 16
	ds_read_b128 v[88:91], v86
	s_or_b32 s4, vcc_lo, s4
	s_waitcnt vmcnt(2) lgkmcnt(0)
	v_mul_f64 v[94:95], v[90:91], v[84:85]
	v_mul_f64 v[84:85], v[88:89], v[84:85]
	s_waitcnt vmcnt(0)
	v_fma_f64 v[88:89], v[88:89], v[92:93], -v[94:95]
	v_fma_f64 v[84:85], v[90:91], v[92:93], v[84:85]
	v_add_f64 v[1:2], v[1:2], v[88:89]
	v_add_f64 v[3:4], v[3:4], v[84:85]
	s_andn2_b32 exec_lo, exec_lo, s4
	s_cbranch_execnz .LBB37_256
; %bb.257:
	s_or_b32 exec_lo, exec_lo, s4
.LBB37_258:
	s_or_b32 exec_lo, exec_lo, s8
	v_mov_b32_e32 v83, 0
	ds_read_b128 v[83:86], v83 offset:80
	s_waitcnt lgkmcnt(0)
	v_mul_f64 v[88:89], v[3:4], v[85:86]
	v_mul_f64 v[85:86], v[1:2], v[85:86]
	v_fma_f64 v[1:2], v[1:2], v[83:84], -v[88:89]
	v_fma_f64 v[3:4], v[3:4], v[83:84], v[85:86]
	buffer_store_dword v2, off, s[0:3], 0 offset:84
	buffer_store_dword v1, off, s[0:3], 0 offset:80
	;; [unrolled: 1-line block ×4, first 2 shown]
.LBB37_259:
	s_or_b32 exec_lo, exec_lo, s6
	v_mov_b32_e32 v4, s42
	v_cmp_lt_u32_e64 s4, 4, v0
	s_clause 0x3
	buffer_load_dword v1, v4, s[0:3], 0 offen
	buffer_load_dword v2, v4, s[0:3], 0 offen offset:4
	buffer_load_dword v3, v4, s[0:3], 0 offen offset:8
	;; [unrolled: 1-line block ×3, first 2 shown]
	s_waitcnt vmcnt(0)
	ds_write_b128 v82, v[1:4]
	s_waitcnt lgkmcnt(0)
	s_waitcnt_vscnt null, 0x0
	s_barrier
	buffer_gl0_inv
	s_and_saveexec_b32 s6, s4
	s_cbranch_execz .LBB37_267
; %bb.260:
	ds_read_b128 v[1:4], v82
	s_andn2_b32 vcc_lo, exec_lo, s46
	s_cbranch_vccnz .LBB37_262
; %bb.261:
	s_clause 0x3
	buffer_load_dword v83, v81, s[0:3], 0 offen offset:8
	buffer_load_dword v84, v81, s[0:3], 0 offen offset:12
	buffer_load_dword v85, v81, s[0:3], 0 offen
	buffer_load_dword v86, v81, s[0:3], 0 offen offset:4
	s_waitcnt vmcnt(2) lgkmcnt(0)
	v_mul_f64 v[88:89], v[3:4], v[83:84]
	v_mul_f64 v[83:84], v[1:2], v[83:84]
	s_waitcnt vmcnt(0)
	v_fma_f64 v[1:2], v[1:2], v[85:86], -v[88:89]
	v_fma_f64 v[3:4], v[3:4], v[85:86], v[83:84]
.LBB37_262:
	s_and_saveexec_b32 s8, s5
	s_cbranch_execz .LBB37_266
; %bb.263:
	v_add_nc_u32_e32 v83, -5, v0
	s_movk_i32 s47, 0x2b0
	s_mov_b32 s5, 0
	s_mov_b32 s48, s41
	.p2align	6
.LBB37_264:                             ; =>This Inner Loop Header: Depth=1
	v_mov_b32_e32 v86, s48
	v_add_nc_u32_e32 v83, -1, v83
	s_add_i32 s48, s48, 16
	s_clause 0x3
	buffer_load_dword v84, v86, s[0:3], 0 offen offset:8
	buffer_load_dword v85, v86, s[0:3], 0 offen offset:12
	buffer_load_dword v92, v86, s[0:3], 0 offen
	buffer_load_dword v93, v86, s[0:3], 0 offen offset:4
	v_mov_b32_e32 v86, s47
	v_cmp_eq_u32_e32 vcc_lo, 0, v83
	s_add_i32 s47, s47, 16
	ds_read_b128 v[88:91], v86
	s_or_b32 s5, vcc_lo, s5
	s_waitcnt vmcnt(2) lgkmcnt(0)
	v_mul_f64 v[94:95], v[90:91], v[84:85]
	v_mul_f64 v[84:85], v[88:89], v[84:85]
	s_waitcnt vmcnt(0)
	v_fma_f64 v[88:89], v[88:89], v[92:93], -v[94:95]
	v_fma_f64 v[84:85], v[90:91], v[92:93], v[84:85]
	v_add_f64 v[1:2], v[1:2], v[88:89]
	v_add_f64 v[3:4], v[3:4], v[84:85]
	s_andn2_b32 exec_lo, exec_lo, s5
	s_cbranch_execnz .LBB37_264
; %bb.265:
	s_or_b32 exec_lo, exec_lo, s5
.LBB37_266:
	s_or_b32 exec_lo, exec_lo, s8
	v_mov_b32_e32 v83, 0
	ds_read_b128 v[83:86], v83 offset:64
	s_waitcnt lgkmcnt(0)
	v_mul_f64 v[88:89], v[3:4], v[85:86]
	v_mul_f64 v[85:86], v[1:2], v[85:86]
	v_fma_f64 v[1:2], v[1:2], v[83:84], -v[88:89]
	v_fma_f64 v[3:4], v[3:4], v[83:84], v[85:86]
	buffer_store_dword v2, off, s[0:3], 0 offset:68
	buffer_store_dword v1, off, s[0:3], 0 offset:64
	;; [unrolled: 1-line block ×4, first 2 shown]
.LBB37_267:
	s_or_b32 exec_lo, exec_lo, s6
	v_mov_b32_e32 v4, s43
	v_cmp_lt_u32_e64 s5, 3, v0
	s_clause 0x3
	buffer_load_dword v1, v4, s[0:3], 0 offen
	buffer_load_dword v2, v4, s[0:3], 0 offen offset:4
	buffer_load_dword v3, v4, s[0:3], 0 offen offset:8
	;; [unrolled: 1-line block ×3, first 2 shown]
	s_waitcnt vmcnt(0)
	ds_write_b128 v82, v[1:4]
	s_waitcnt lgkmcnt(0)
	s_waitcnt_vscnt null, 0x0
	s_barrier
	buffer_gl0_inv
	s_and_saveexec_b32 s6, s5
	s_cbranch_execz .LBB37_275
; %bb.268:
	ds_read_b128 v[1:4], v82
	s_andn2_b32 vcc_lo, exec_lo, s46
	s_cbranch_vccnz .LBB37_270
; %bb.269:
	s_clause 0x3
	buffer_load_dword v83, v81, s[0:3], 0 offen offset:8
	buffer_load_dword v84, v81, s[0:3], 0 offen offset:12
	buffer_load_dword v85, v81, s[0:3], 0 offen
	buffer_load_dword v86, v81, s[0:3], 0 offen offset:4
	s_waitcnt vmcnt(2) lgkmcnt(0)
	v_mul_f64 v[88:89], v[3:4], v[83:84]
	v_mul_f64 v[83:84], v[1:2], v[83:84]
	s_waitcnt vmcnt(0)
	v_fma_f64 v[1:2], v[1:2], v[85:86], -v[88:89]
	v_fma_f64 v[3:4], v[3:4], v[85:86], v[83:84]
.LBB37_270:
	s_and_saveexec_b32 s8, s4
	s_cbranch_execz .LBB37_274
; %bb.271:
	v_add_nc_u32_e32 v83, -4, v0
	s_movk_i32 s47, 0x2a0
	s_mov_b32 s4, 0
	s_mov_b32 s48, s42
	.p2align	6
.LBB37_272:                             ; =>This Inner Loop Header: Depth=1
	v_mov_b32_e32 v86, s48
	v_add_nc_u32_e32 v83, -1, v83
	s_add_i32 s48, s48, 16
	s_clause 0x3
	buffer_load_dword v84, v86, s[0:3], 0 offen offset:8
	buffer_load_dword v85, v86, s[0:3], 0 offen offset:12
	buffer_load_dword v92, v86, s[0:3], 0 offen
	buffer_load_dword v93, v86, s[0:3], 0 offen offset:4
	v_mov_b32_e32 v86, s47
	v_cmp_eq_u32_e32 vcc_lo, 0, v83
	s_add_i32 s47, s47, 16
	ds_read_b128 v[88:91], v86
	s_or_b32 s4, vcc_lo, s4
	s_waitcnt vmcnt(2) lgkmcnt(0)
	v_mul_f64 v[94:95], v[90:91], v[84:85]
	v_mul_f64 v[84:85], v[88:89], v[84:85]
	s_waitcnt vmcnt(0)
	v_fma_f64 v[88:89], v[88:89], v[92:93], -v[94:95]
	v_fma_f64 v[84:85], v[90:91], v[92:93], v[84:85]
	v_add_f64 v[1:2], v[1:2], v[88:89]
	v_add_f64 v[3:4], v[3:4], v[84:85]
	s_andn2_b32 exec_lo, exec_lo, s4
	s_cbranch_execnz .LBB37_272
; %bb.273:
	s_or_b32 exec_lo, exec_lo, s4
.LBB37_274:
	s_or_b32 exec_lo, exec_lo, s8
	v_mov_b32_e32 v83, 0
	ds_read_b128 v[83:86], v83 offset:48
	s_waitcnt lgkmcnt(0)
	v_mul_f64 v[88:89], v[3:4], v[85:86]
	v_mul_f64 v[85:86], v[1:2], v[85:86]
	v_fma_f64 v[1:2], v[1:2], v[83:84], -v[88:89]
	v_fma_f64 v[3:4], v[3:4], v[83:84], v[85:86]
	buffer_store_dword v2, off, s[0:3], 0 offset:52
	buffer_store_dword v1, off, s[0:3], 0 offset:48
	buffer_store_dword v4, off, s[0:3], 0 offset:60
	buffer_store_dword v3, off, s[0:3], 0 offset:56
.LBB37_275:
	s_or_b32 exec_lo, exec_lo, s6
	v_mov_b32_e32 v4, s45
	v_cmp_lt_u32_e64 s6, 2, v0
	s_clause 0x3
	buffer_load_dword v1, v4, s[0:3], 0 offen
	buffer_load_dword v2, v4, s[0:3], 0 offen offset:4
	buffer_load_dword v3, v4, s[0:3], 0 offen offset:8
	buffer_load_dword v4, v4, s[0:3], 0 offen offset:12
	s_waitcnt vmcnt(0)
	ds_write_b128 v82, v[1:4]
	s_waitcnt lgkmcnt(0)
	s_waitcnt_vscnt null, 0x0
	s_barrier
	buffer_gl0_inv
	s_and_saveexec_b32 s4, s6
	s_cbranch_execz .LBB37_283
; %bb.276:
	ds_read_b128 v[1:4], v82
	s_andn2_b32 vcc_lo, exec_lo, s46
	s_cbranch_vccnz .LBB37_278
; %bb.277:
	s_clause 0x3
	buffer_load_dword v83, v81, s[0:3], 0 offen offset:8
	buffer_load_dword v84, v81, s[0:3], 0 offen offset:12
	buffer_load_dword v85, v81, s[0:3], 0 offen
	buffer_load_dword v86, v81, s[0:3], 0 offen offset:4
	s_waitcnt vmcnt(2) lgkmcnt(0)
	v_mul_f64 v[88:89], v[3:4], v[83:84]
	v_mul_f64 v[83:84], v[1:2], v[83:84]
	s_waitcnt vmcnt(0)
	v_fma_f64 v[1:2], v[1:2], v[85:86], -v[88:89]
	v_fma_f64 v[3:4], v[3:4], v[85:86], v[83:84]
.LBB37_278:
	s_and_saveexec_b32 s8, s5
	s_cbranch_execz .LBB37_282
; %bb.279:
	v_add_nc_u32_e32 v83, -3, v0
	s_movk_i32 s47, 0x290
	s_mov_b32 s5, 0
	s_mov_b32 s48, s43
	.p2align	6
.LBB37_280:                             ; =>This Inner Loop Header: Depth=1
	v_mov_b32_e32 v86, s48
	v_add_nc_u32_e32 v83, -1, v83
	s_add_i32 s48, s48, 16
	s_clause 0x3
	buffer_load_dword v84, v86, s[0:3], 0 offen offset:8
	buffer_load_dword v85, v86, s[0:3], 0 offen offset:12
	buffer_load_dword v92, v86, s[0:3], 0 offen
	buffer_load_dword v93, v86, s[0:3], 0 offen offset:4
	v_mov_b32_e32 v86, s47
	v_cmp_eq_u32_e32 vcc_lo, 0, v83
	s_add_i32 s47, s47, 16
	ds_read_b128 v[88:91], v86
	s_or_b32 s5, vcc_lo, s5
	s_waitcnt vmcnt(2) lgkmcnt(0)
	v_mul_f64 v[94:95], v[90:91], v[84:85]
	v_mul_f64 v[84:85], v[88:89], v[84:85]
	s_waitcnt vmcnt(0)
	v_fma_f64 v[88:89], v[88:89], v[92:93], -v[94:95]
	v_fma_f64 v[84:85], v[90:91], v[92:93], v[84:85]
	v_add_f64 v[1:2], v[1:2], v[88:89]
	v_add_f64 v[3:4], v[3:4], v[84:85]
	s_andn2_b32 exec_lo, exec_lo, s5
	s_cbranch_execnz .LBB37_280
; %bb.281:
	s_or_b32 exec_lo, exec_lo, s5
.LBB37_282:
	s_or_b32 exec_lo, exec_lo, s8
	v_mov_b32_e32 v83, 0
	ds_read_b128 v[83:86], v83 offset:32
	s_waitcnt lgkmcnt(0)
	v_mul_f64 v[88:89], v[3:4], v[85:86]
	v_mul_f64 v[85:86], v[1:2], v[85:86]
	v_fma_f64 v[1:2], v[1:2], v[83:84], -v[88:89]
	v_fma_f64 v[3:4], v[3:4], v[83:84], v[85:86]
	buffer_store_dword v2, off, s[0:3], 0 offset:36
	buffer_store_dword v1, off, s[0:3], 0 offset:32
	;; [unrolled: 1-line block ×4, first 2 shown]
.LBB37_283:
	s_or_b32 exec_lo, exec_lo, s4
	v_mov_b32_e32 v4, s44
	v_cmp_lt_u32_e64 s4, 1, v0
	s_clause 0x3
	buffer_load_dword v1, v4, s[0:3], 0 offen
	buffer_load_dword v2, v4, s[0:3], 0 offen offset:4
	buffer_load_dword v3, v4, s[0:3], 0 offen offset:8
	;; [unrolled: 1-line block ×3, first 2 shown]
	s_waitcnt vmcnt(0)
	ds_write_b128 v82, v[1:4]
	s_waitcnt lgkmcnt(0)
	s_waitcnt_vscnt null, 0x0
	s_barrier
	buffer_gl0_inv
	s_and_saveexec_b32 s5, s4
	s_cbranch_execz .LBB37_291
; %bb.284:
	ds_read_b128 v[1:4], v82
	s_andn2_b32 vcc_lo, exec_lo, s46
	s_cbranch_vccnz .LBB37_286
; %bb.285:
	s_clause 0x3
	buffer_load_dword v83, v81, s[0:3], 0 offen offset:8
	buffer_load_dword v84, v81, s[0:3], 0 offen offset:12
	buffer_load_dword v85, v81, s[0:3], 0 offen
	buffer_load_dword v86, v81, s[0:3], 0 offen offset:4
	s_waitcnt vmcnt(2) lgkmcnt(0)
	v_mul_f64 v[88:89], v[3:4], v[83:84]
	v_mul_f64 v[83:84], v[1:2], v[83:84]
	s_waitcnt vmcnt(0)
	v_fma_f64 v[1:2], v[1:2], v[85:86], -v[88:89]
	v_fma_f64 v[3:4], v[3:4], v[85:86], v[83:84]
.LBB37_286:
	s_and_saveexec_b32 s8, s6
	s_cbranch_execz .LBB37_290
; %bb.287:
	v_add_nc_u32_e32 v83, -2, v0
	s_movk_i32 s47, 0x280
	s_mov_b32 s6, 0
	s_mov_b32 s48, s45
	.p2align	6
.LBB37_288:                             ; =>This Inner Loop Header: Depth=1
	v_mov_b32_e32 v86, s48
	v_add_nc_u32_e32 v83, -1, v83
	s_add_i32 s48, s48, 16
	s_clause 0x3
	buffer_load_dword v84, v86, s[0:3], 0 offen offset:8
	buffer_load_dword v85, v86, s[0:3], 0 offen offset:12
	buffer_load_dword v92, v86, s[0:3], 0 offen
	buffer_load_dword v93, v86, s[0:3], 0 offen offset:4
	v_mov_b32_e32 v86, s47
	v_cmp_eq_u32_e32 vcc_lo, 0, v83
	s_add_i32 s47, s47, 16
	ds_read_b128 v[88:91], v86
	s_or_b32 s6, vcc_lo, s6
	s_waitcnt vmcnt(2) lgkmcnt(0)
	v_mul_f64 v[94:95], v[90:91], v[84:85]
	v_mul_f64 v[84:85], v[88:89], v[84:85]
	s_waitcnt vmcnt(0)
	v_fma_f64 v[88:89], v[88:89], v[92:93], -v[94:95]
	v_fma_f64 v[84:85], v[90:91], v[92:93], v[84:85]
	v_add_f64 v[1:2], v[1:2], v[88:89]
	v_add_f64 v[3:4], v[3:4], v[84:85]
	s_andn2_b32 exec_lo, exec_lo, s6
	s_cbranch_execnz .LBB37_288
; %bb.289:
	s_or_b32 exec_lo, exec_lo, s6
.LBB37_290:
	s_or_b32 exec_lo, exec_lo, s8
	v_mov_b32_e32 v83, 0
	ds_read_b128 v[83:86], v83 offset:16
	s_waitcnt lgkmcnt(0)
	v_mul_f64 v[88:89], v[3:4], v[85:86]
	v_mul_f64 v[85:86], v[1:2], v[85:86]
	v_fma_f64 v[1:2], v[1:2], v[83:84], -v[88:89]
	v_fma_f64 v[3:4], v[3:4], v[83:84], v[85:86]
	buffer_store_dword v2, off, s[0:3], 0 offset:20
	buffer_store_dword v1, off, s[0:3], 0 offset:16
	;; [unrolled: 1-line block ×4, first 2 shown]
.LBB37_291:
	s_or_b32 exec_lo, exec_lo, s5
	s_clause 0x3
	buffer_load_dword v1, off, s[0:3], 0
	buffer_load_dword v2, off, s[0:3], 0 offset:4
	buffer_load_dword v3, off, s[0:3], 0 offset:8
	;; [unrolled: 1-line block ×3, first 2 shown]
	s_mov_b32 s6, 0
	s_mov_b32 s5, 0
	s_mov_b32 s8, exec_lo
                                        ; implicit-def: $sgpr47
	s_waitcnt vmcnt(0)
	ds_write_b128 v82, v[1:4]
	s_waitcnt lgkmcnt(0)
	s_waitcnt_vscnt null, 0x0
	s_barrier
	buffer_gl0_inv
                                        ; implicit-def: $vgpr1_vgpr2
	v_cmpx_ne_u32_e32 0, v0
	s_cbranch_execz .LBB37_299
; %bb.292:
	ds_read_b128 v[1:4], v82
	s_andn2_b32 vcc_lo, exec_lo, s46
	s_cbranch_vccnz .LBB37_294
; %bb.293:
	s_clause 0x3
	buffer_load_dword v83, v81, s[0:3], 0 offen offset:8
	buffer_load_dword v84, v81, s[0:3], 0 offen offset:12
	buffer_load_dword v85, v81, s[0:3], 0 offen
	buffer_load_dword v86, v81, s[0:3], 0 offen offset:4
	s_waitcnt vmcnt(2) lgkmcnt(0)
	v_mul_f64 v[88:89], v[3:4], v[83:84]
	v_mul_f64 v[83:84], v[1:2], v[83:84]
	s_waitcnt vmcnt(0)
	v_fma_f64 v[1:2], v[1:2], v[85:86], -v[88:89]
	v_fma_f64 v[3:4], v[3:4], v[85:86], v[83:84]
.LBB37_294:
	s_and_saveexec_b32 s5, s4
	s_cbranch_execz .LBB37_298
; %bb.295:
	v_add_nc_u32_e32 v83, -1, v0
	s_movk_i32 s47, 0x270
	s_mov_b32 s4, 0
	s_mov_b32 s48, s44
	.p2align	6
.LBB37_296:                             ; =>This Inner Loop Header: Depth=1
	v_mov_b32_e32 v86, s48
	v_add_nc_u32_e32 v83, -1, v83
	s_add_i32 s48, s48, 16
	s_clause 0x3
	buffer_load_dword v84, v86, s[0:3], 0 offen offset:8
	buffer_load_dword v85, v86, s[0:3], 0 offen offset:12
	buffer_load_dword v92, v86, s[0:3], 0 offen
	buffer_load_dword v93, v86, s[0:3], 0 offen offset:4
	v_mov_b32_e32 v86, s47
	v_cmp_eq_u32_e32 vcc_lo, 0, v83
	s_add_i32 s47, s47, 16
	ds_read_b128 v[88:91], v86
	s_or_b32 s4, vcc_lo, s4
	s_waitcnt vmcnt(2) lgkmcnt(0)
	v_mul_f64 v[94:95], v[90:91], v[84:85]
	v_mul_f64 v[84:85], v[88:89], v[84:85]
	s_waitcnt vmcnt(0)
	v_fma_f64 v[88:89], v[88:89], v[92:93], -v[94:95]
	v_fma_f64 v[84:85], v[90:91], v[92:93], v[84:85]
	v_add_f64 v[1:2], v[1:2], v[88:89]
	v_add_f64 v[3:4], v[3:4], v[84:85]
	s_andn2_b32 exec_lo, exec_lo, s4
	s_cbranch_execnz .LBB37_296
; %bb.297:
	s_or_b32 exec_lo, exec_lo, s4
.LBB37_298:
	s_or_b32 exec_lo, exec_lo, s5
	v_mov_b32_e32 v83, 0
	s_mov_b32 s5, exec_lo
	s_or_b32 s47, 0, 8
	ds_read_b128 v[83:86], v83
	s_waitcnt lgkmcnt(0)
	v_mul_f64 v[88:89], v[3:4], v[85:86]
	v_mul_f64 v[85:86], v[1:2], v[85:86]
	v_fma_f64 v[88:89], v[1:2], v[83:84], -v[88:89]
	v_fma_f64 v[1:2], v[3:4], v[83:84], v[85:86]
	buffer_store_dword v89, off, s[0:3], 0 offset:4
	buffer_store_dword v88, off, s[0:3], 0
.LBB37_299:
	s_or_b32 exec_lo, exec_lo, s8
	s_and_b32 vcc_lo, exec_lo, s6
	s_cbranch_vccnz .LBB37_301
	s_branch .LBB37_592
.LBB37_300:
	s_mov_b32 s5, 0
                                        ; implicit-def: $vgpr1_vgpr2
                                        ; implicit-def: $sgpr47
	s_cbranch_execz .LBB37_592
.LBB37_301:
	v_mov_b32_e32 v4, s44
	v_cmp_eq_u32_e64 s4, 0, v0
	v_cndmask_b32_e64 v83, 0, 1, s46
	s_clause 0x3
	buffer_load_dword v1, v4, s[0:3], 0 offen
	buffer_load_dword v2, v4, s[0:3], 0 offen offset:4
	buffer_load_dword v3, v4, s[0:3], 0 offen offset:8
	;; [unrolled: 1-line block ×3, first 2 shown]
	s_waitcnt vmcnt(0)
	ds_write_b128 v82, v[1:4]
	s_waitcnt lgkmcnt(0)
	s_waitcnt_vscnt null, 0x0
	s_barrier
	buffer_gl0_inv
	s_and_saveexec_b32 s6, s4
	s_cbranch_execz .LBB37_305
; %bb.302:
	ds_read_b128 v[1:4], v82
	s_andn2_b32 vcc_lo, exec_lo, s46
	s_cbranch_vccnz .LBB37_304
; %bb.303:
	s_clause 0x3
	buffer_load_dword v84, v81, s[0:3], 0 offen offset:8
	buffer_load_dword v85, v81, s[0:3], 0 offen offset:12
	buffer_load_dword v88, v81, s[0:3], 0 offen
	buffer_load_dword v89, v81, s[0:3], 0 offen offset:4
	s_waitcnt vmcnt(2) lgkmcnt(0)
	v_mul_f64 v[90:91], v[3:4], v[84:85]
	v_mul_f64 v[84:85], v[1:2], v[84:85]
	s_waitcnt vmcnt(0)
	v_fma_f64 v[1:2], v[1:2], v[88:89], -v[90:91]
	v_fma_f64 v[3:4], v[3:4], v[88:89], v[84:85]
.LBB37_304:
	v_mov_b32_e32 v84, 0
	ds_read_b128 v[88:91], v84 offset:16
	s_waitcnt lgkmcnt(0)
	v_mul_f64 v[84:85], v[3:4], v[90:91]
	v_mul_f64 v[90:91], v[1:2], v[90:91]
	v_fma_f64 v[1:2], v[1:2], v[88:89], -v[84:85]
	v_fma_f64 v[3:4], v[3:4], v[88:89], v[90:91]
	buffer_store_dword v2, off, s[0:3], 0 offset:20
	buffer_store_dword v1, off, s[0:3], 0 offset:16
	;; [unrolled: 1-line block ×4, first 2 shown]
.LBB37_305:
	s_or_b32 exec_lo, exec_lo, s6
	v_mov_b32_e32 v4, s45
	s_mov_b32 s6, exec_lo
	s_clause 0x3
	buffer_load_dword v1, v4, s[0:3], 0 offen
	buffer_load_dword v2, v4, s[0:3], 0 offen offset:4
	buffer_load_dword v3, v4, s[0:3], 0 offen offset:8
	;; [unrolled: 1-line block ×3, first 2 shown]
	s_waitcnt vmcnt(0)
	ds_write_b128 v82, v[1:4]
	s_waitcnt lgkmcnt(0)
	s_waitcnt_vscnt null, 0x0
	s_barrier
	buffer_gl0_inv
	v_cmpx_gt_u32_e32 2, v0
	s_cbranch_execz .LBB37_311
; %bb.306:
	ds_read_b128 v[1:4], v82
	v_cmp_ne_u32_e32 vcc_lo, 1, v83
	s_cbranch_vccnz .LBB37_308
; %bb.307:
	s_clause 0x3
	buffer_load_dword v84, v81, s[0:3], 0 offen offset:8
	buffer_load_dword v85, v81, s[0:3], 0 offen offset:12
	buffer_load_dword v88, v81, s[0:3], 0 offen
	buffer_load_dword v89, v81, s[0:3], 0 offen offset:4
	s_waitcnt vmcnt(2) lgkmcnt(0)
	v_mul_f64 v[90:91], v[3:4], v[84:85]
	v_mul_f64 v[84:85], v[1:2], v[84:85]
	s_waitcnt vmcnt(0)
	v_fma_f64 v[1:2], v[1:2], v[88:89], -v[90:91]
	v_fma_f64 v[3:4], v[3:4], v[88:89], v[84:85]
.LBB37_308:
	s_and_saveexec_b32 s8, s4
	s_cbranch_execz .LBB37_310
; %bb.309:
	s_clause 0x3
	buffer_load_dword v84, off, s[0:3], 0 offset:24
	buffer_load_dword v85, off, s[0:3], 0 offset:28
	;; [unrolled: 1-line block ×4, first 2 shown]
	v_mov_b32_e32 v86, 0
	ds_read_b128 v[88:91], v86 offset:624
	s_waitcnt vmcnt(2) lgkmcnt(0)
	v_mul_f64 v[94:95], v[90:91], v[84:85]
	v_mul_f64 v[84:85], v[88:89], v[84:85]
	s_waitcnt vmcnt(0)
	v_fma_f64 v[88:89], v[88:89], v[92:93], -v[94:95]
	v_fma_f64 v[84:85], v[90:91], v[92:93], v[84:85]
	v_add_f64 v[1:2], v[1:2], v[88:89]
	v_add_f64 v[3:4], v[3:4], v[84:85]
.LBB37_310:
	s_or_b32 exec_lo, exec_lo, s8
	v_mov_b32_e32 v84, 0
	ds_read_b128 v[88:91], v84 offset:32
	s_waitcnt lgkmcnt(0)
	v_mul_f64 v[84:85], v[3:4], v[90:91]
	v_mul_f64 v[90:91], v[1:2], v[90:91]
	v_fma_f64 v[1:2], v[1:2], v[88:89], -v[84:85]
	v_fma_f64 v[3:4], v[3:4], v[88:89], v[90:91]
	buffer_store_dword v2, off, s[0:3], 0 offset:36
	buffer_store_dword v1, off, s[0:3], 0 offset:32
	;; [unrolled: 1-line block ×4, first 2 shown]
.LBB37_311:
	s_or_b32 exec_lo, exec_lo, s6
	v_mov_b32_e32 v4, s43
	s_mov_b32 s6, exec_lo
	s_clause 0x3
	buffer_load_dword v1, v4, s[0:3], 0 offen
	buffer_load_dword v2, v4, s[0:3], 0 offen offset:4
	buffer_load_dword v3, v4, s[0:3], 0 offen offset:8
	buffer_load_dword v4, v4, s[0:3], 0 offen offset:12
	s_waitcnt vmcnt(0)
	ds_write_b128 v82, v[1:4]
	s_waitcnt lgkmcnt(0)
	s_waitcnt_vscnt null, 0x0
	s_barrier
	buffer_gl0_inv
	v_cmpx_gt_u32_e32 3, v0
	s_cbranch_execz .LBB37_319
; %bb.312:
	ds_read_b128 v[1:4], v82
	v_cmp_ne_u32_e32 vcc_lo, 1, v83
	s_cbranch_vccnz .LBB37_314
; %bb.313:
	s_clause 0x3
	buffer_load_dword v84, v81, s[0:3], 0 offen offset:8
	buffer_load_dword v85, v81, s[0:3], 0 offen offset:12
	buffer_load_dword v88, v81, s[0:3], 0 offen
	buffer_load_dword v89, v81, s[0:3], 0 offen offset:4
	s_waitcnt vmcnt(2) lgkmcnt(0)
	v_mul_f64 v[90:91], v[3:4], v[84:85]
	v_mul_f64 v[84:85], v[1:2], v[84:85]
	s_waitcnt vmcnt(0)
	v_fma_f64 v[1:2], v[1:2], v[88:89], -v[90:91]
	v_fma_f64 v[3:4], v[3:4], v[88:89], v[84:85]
.LBB37_314:
	s_mov_b32 s8, exec_lo
	v_cmpx_ne_u32_e32 2, v0
	s_cbranch_execz .LBB37_318
; %bb.315:
	s_clause 0x3
	buffer_load_dword v84, v81, s[0:3], 0 offen offset:24
	buffer_load_dword v85, v81, s[0:3], 0 offen offset:28
	buffer_load_dword v92, v81, s[0:3], 0 offen offset:16
	buffer_load_dword v93, v81, s[0:3], 0 offen offset:20
	ds_read_b128 v[88:91], v82 offset:16
	s_waitcnt vmcnt(2) lgkmcnt(0)
	v_mul_f64 v[94:95], v[90:91], v[84:85]
	v_mul_f64 v[84:85], v[88:89], v[84:85]
	s_waitcnt vmcnt(0)
	v_fma_f64 v[88:89], v[88:89], v[92:93], -v[94:95]
	v_fma_f64 v[84:85], v[90:91], v[92:93], v[84:85]
	v_add_f64 v[1:2], v[1:2], v[88:89]
	v_add_f64 v[3:4], v[3:4], v[84:85]
	s_and_saveexec_b32 s46, s4
	s_cbranch_execz .LBB37_317
; %bb.316:
	s_clause 0x3
	buffer_load_dword v84, off, s[0:3], 0 offset:40
	buffer_load_dword v85, off, s[0:3], 0 offset:44
	;; [unrolled: 1-line block ×4, first 2 shown]
	v_mov_b32_e32 v86, 0
	ds_read_b128 v[88:91], v86 offset:640
	s_waitcnt vmcnt(2) lgkmcnt(0)
	v_mul_f64 v[94:95], v[88:89], v[84:85]
	v_mul_f64 v[84:85], v[90:91], v[84:85]
	s_waitcnt vmcnt(0)
	v_fma_f64 v[90:91], v[90:91], v[92:93], v[94:95]
	v_fma_f64 v[84:85], v[88:89], v[92:93], -v[84:85]
	v_add_f64 v[3:4], v[3:4], v[90:91]
	v_add_f64 v[1:2], v[1:2], v[84:85]
.LBB37_317:
	s_or_b32 exec_lo, exec_lo, s46
.LBB37_318:
	s_or_b32 exec_lo, exec_lo, s8
	v_mov_b32_e32 v84, 0
	ds_read_b128 v[88:91], v84 offset:48
	s_waitcnt lgkmcnt(0)
	v_mul_f64 v[84:85], v[3:4], v[90:91]
	v_mul_f64 v[90:91], v[1:2], v[90:91]
	v_fma_f64 v[1:2], v[1:2], v[88:89], -v[84:85]
	v_fma_f64 v[3:4], v[3:4], v[88:89], v[90:91]
	buffer_store_dword v2, off, s[0:3], 0 offset:52
	buffer_store_dword v1, off, s[0:3], 0 offset:48
	;; [unrolled: 1-line block ×4, first 2 shown]
.LBB37_319:
	s_or_b32 exec_lo, exec_lo, s6
	v_mov_b32_e32 v4, s42
	s_mov_b32 s4, exec_lo
	s_clause 0x3
	buffer_load_dword v1, v4, s[0:3], 0 offen
	buffer_load_dword v2, v4, s[0:3], 0 offen offset:4
	buffer_load_dword v3, v4, s[0:3], 0 offen offset:8
	;; [unrolled: 1-line block ×3, first 2 shown]
	s_waitcnt vmcnt(0)
	ds_write_b128 v82, v[1:4]
	s_waitcnt lgkmcnt(0)
	s_waitcnt_vscnt null, 0x0
	s_barrier
	buffer_gl0_inv
	v_cmpx_gt_u32_e32 4, v0
	s_cbranch_execz .LBB37_327
; %bb.320:
	ds_read_b128 v[1:4], v82
	v_cmp_ne_u32_e32 vcc_lo, 1, v83
	s_cbranch_vccnz .LBB37_322
; %bb.321:
	s_clause 0x3
	buffer_load_dword v84, v81, s[0:3], 0 offen offset:8
	buffer_load_dword v85, v81, s[0:3], 0 offen offset:12
	buffer_load_dword v88, v81, s[0:3], 0 offen
	buffer_load_dword v89, v81, s[0:3], 0 offen offset:4
	s_waitcnt vmcnt(2) lgkmcnt(0)
	v_mul_f64 v[90:91], v[3:4], v[84:85]
	v_mul_f64 v[84:85], v[1:2], v[84:85]
	s_waitcnt vmcnt(0)
	v_fma_f64 v[1:2], v[1:2], v[88:89], -v[90:91]
	v_fma_f64 v[3:4], v[3:4], v[88:89], v[84:85]
.LBB37_322:
	s_mov_b32 s6, exec_lo
	v_cmpx_ne_u32_e32 3, v0
	s_cbranch_execz .LBB37_326
; %bb.323:
	v_add_nc_u32_e32 v84, 0x270, v87
	v_add3_u32 v85, 0, v87, 16
	v_mov_b32_e32 v86, v0
	s_mov_b32 s8, 0
	.p2align	6
.LBB37_324:                             ; =>This Inner Loop Header: Depth=1
	s_clause 0x3
	buffer_load_dword v92, v85, s[0:3], 0 offen offset:8
	buffer_load_dword v93, v85, s[0:3], 0 offen offset:12
	buffer_load_dword v94, v85, s[0:3], 0 offen
	buffer_load_dword v95, v85, s[0:3], 0 offen offset:4
	ds_read_b128 v[88:91], v84
	v_add_nc_u32_e32 v86, 1, v86
	v_add_nc_u32_e32 v84, 16, v84
	;; [unrolled: 1-line block ×3, first 2 shown]
	v_cmp_lt_u32_e32 vcc_lo, 2, v86
	s_or_b32 s8, vcc_lo, s8
	s_waitcnt vmcnt(2) lgkmcnt(0)
	v_mul_f64 v[96:97], v[90:91], v[92:93]
	v_mul_f64 v[92:93], v[88:89], v[92:93]
	s_waitcnt vmcnt(0)
	v_fma_f64 v[88:89], v[88:89], v[94:95], -v[96:97]
	v_fma_f64 v[90:91], v[90:91], v[94:95], v[92:93]
	v_add_f64 v[1:2], v[1:2], v[88:89]
	v_add_f64 v[3:4], v[3:4], v[90:91]
	s_andn2_b32 exec_lo, exec_lo, s8
	s_cbranch_execnz .LBB37_324
; %bb.325:
	s_or_b32 exec_lo, exec_lo, s8
.LBB37_326:
	s_or_b32 exec_lo, exec_lo, s6
	v_mov_b32_e32 v84, 0
	ds_read_b128 v[88:91], v84 offset:64
	s_waitcnt lgkmcnt(0)
	v_mul_f64 v[84:85], v[3:4], v[90:91]
	v_mul_f64 v[90:91], v[1:2], v[90:91]
	v_fma_f64 v[1:2], v[1:2], v[88:89], -v[84:85]
	v_fma_f64 v[3:4], v[3:4], v[88:89], v[90:91]
	buffer_store_dword v2, off, s[0:3], 0 offset:68
	buffer_store_dword v1, off, s[0:3], 0 offset:64
	buffer_store_dword v4, off, s[0:3], 0 offset:76
	buffer_store_dword v3, off, s[0:3], 0 offset:72
.LBB37_327:
	s_or_b32 exec_lo, exec_lo, s4
	v_mov_b32_e32 v4, s41
	s_mov_b32 s4, exec_lo
	s_clause 0x3
	buffer_load_dword v1, v4, s[0:3], 0 offen
	buffer_load_dword v2, v4, s[0:3], 0 offen offset:4
	buffer_load_dword v3, v4, s[0:3], 0 offen offset:8
	;; [unrolled: 1-line block ×3, first 2 shown]
	s_waitcnt vmcnt(0)
	ds_write_b128 v82, v[1:4]
	s_waitcnt lgkmcnt(0)
	s_waitcnt_vscnt null, 0x0
	s_barrier
	buffer_gl0_inv
	v_cmpx_gt_u32_e32 5, v0
	s_cbranch_execz .LBB37_335
; %bb.328:
	ds_read_b128 v[1:4], v82
	v_cmp_ne_u32_e32 vcc_lo, 1, v83
	s_cbranch_vccnz .LBB37_330
; %bb.329:
	s_clause 0x3
	buffer_load_dword v84, v81, s[0:3], 0 offen offset:8
	buffer_load_dword v85, v81, s[0:3], 0 offen offset:12
	buffer_load_dword v88, v81, s[0:3], 0 offen
	buffer_load_dword v89, v81, s[0:3], 0 offen offset:4
	s_waitcnt vmcnt(2) lgkmcnt(0)
	v_mul_f64 v[90:91], v[3:4], v[84:85]
	v_mul_f64 v[84:85], v[1:2], v[84:85]
	s_waitcnt vmcnt(0)
	v_fma_f64 v[1:2], v[1:2], v[88:89], -v[90:91]
	v_fma_f64 v[3:4], v[3:4], v[88:89], v[84:85]
.LBB37_330:
	s_mov_b32 s6, exec_lo
	v_cmpx_ne_u32_e32 4, v0
	s_cbranch_execz .LBB37_334
; %bb.331:
	v_add_nc_u32_e32 v84, 0x270, v87
	v_add3_u32 v85, 0, v87, 16
	v_mov_b32_e32 v86, v0
	s_mov_b32 s8, 0
	.p2align	6
.LBB37_332:                             ; =>This Inner Loop Header: Depth=1
	s_clause 0x3
	buffer_load_dword v92, v85, s[0:3], 0 offen offset:8
	buffer_load_dword v93, v85, s[0:3], 0 offen offset:12
	buffer_load_dword v94, v85, s[0:3], 0 offen
	buffer_load_dword v95, v85, s[0:3], 0 offen offset:4
	ds_read_b128 v[88:91], v84
	v_add_nc_u32_e32 v86, 1, v86
	v_add_nc_u32_e32 v84, 16, v84
	;; [unrolled: 1-line block ×3, first 2 shown]
	v_cmp_lt_u32_e32 vcc_lo, 3, v86
	s_or_b32 s8, vcc_lo, s8
	s_waitcnt vmcnt(2) lgkmcnt(0)
	v_mul_f64 v[96:97], v[90:91], v[92:93]
	v_mul_f64 v[92:93], v[88:89], v[92:93]
	s_waitcnt vmcnt(0)
	v_fma_f64 v[88:89], v[88:89], v[94:95], -v[96:97]
	v_fma_f64 v[90:91], v[90:91], v[94:95], v[92:93]
	v_add_f64 v[1:2], v[1:2], v[88:89]
	v_add_f64 v[3:4], v[3:4], v[90:91]
	s_andn2_b32 exec_lo, exec_lo, s8
	s_cbranch_execnz .LBB37_332
; %bb.333:
	s_or_b32 exec_lo, exec_lo, s8
.LBB37_334:
	s_or_b32 exec_lo, exec_lo, s6
	v_mov_b32_e32 v84, 0
	ds_read_b128 v[88:91], v84 offset:80
	s_waitcnt lgkmcnt(0)
	v_mul_f64 v[84:85], v[3:4], v[90:91]
	v_mul_f64 v[90:91], v[1:2], v[90:91]
	v_fma_f64 v[1:2], v[1:2], v[88:89], -v[84:85]
	v_fma_f64 v[3:4], v[3:4], v[88:89], v[90:91]
	buffer_store_dword v2, off, s[0:3], 0 offset:84
	buffer_store_dword v1, off, s[0:3], 0 offset:80
	;; [unrolled: 1-line block ×4, first 2 shown]
.LBB37_335:
	s_or_b32 exec_lo, exec_lo, s4
	v_mov_b32_e32 v4, s40
	s_mov_b32 s4, exec_lo
	s_clause 0x3
	buffer_load_dword v1, v4, s[0:3], 0 offen
	buffer_load_dword v2, v4, s[0:3], 0 offen offset:4
	buffer_load_dword v3, v4, s[0:3], 0 offen offset:8
	;; [unrolled: 1-line block ×3, first 2 shown]
	s_waitcnt vmcnt(0)
	ds_write_b128 v82, v[1:4]
	s_waitcnt lgkmcnt(0)
	s_waitcnt_vscnt null, 0x0
	s_barrier
	buffer_gl0_inv
	v_cmpx_gt_u32_e32 6, v0
	s_cbranch_execz .LBB37_343
; %bb.336:
	ds_read_b128 v[1:4], v82
	v_cmp_ne_u32_e32 vcc_lo, 1, v83
	s_cbranch_vccnz .LBB37_338
; %bb.337:
	s_clause 0x3
	buffer_load_dword v84, v81, s[0:3], 0 offen offset:8
	buffer_load_dword v85, v81, s[0:3], 0 offen offset:12
	buffer_load_dword v88, v81, s[0:3], 0 offen
	buffer_load_dword v89, v81, s[0:3], 0 offen offset:4
	s_waitcnt vmcnt(2) lgkmcnt(0)
	v_mul_f64 v[90:91], v[3:4], v[84:85]
	v_mul_f64 v[84:85], v[1:2], v[84:85]
	s_waitcnt vmcnt(0)
	v_fma_f64 v[1:2], v[1:2], v[88:89], -v[90:91]
	v_fma_f64 v[3:4], v[3:4], v[88:89], v[84:85]
.LBB37_338:
	s_mov_b32 s6, exec_lo
	v_cmpx_ne_u32_e32 5, v0
	s_cbranch_execz .LBB37_342
; %bb.339:
	v_add_nc_u32_e32 v84, 0x270, v87
	v_add3_u32 v85, 0, v87, 16
	v_mov_b32_e32 v86, v0
	s_mov_b32 s8, 0
	.p2align	6
.LBB37_340:                             ; =>This Inner Loop Header: Depth=1
	s_clause 0x3
	buffer_load_dword v92, v85, s[0:3], 0 offen offset:8
	buffer_load_dword v93, v85, s[0:3], 0 offen offset:12
	buffer_load_dword v94, v85, s[0:3], 0 offen
	buffer_load_dword v95, v85, s[0:3], 0 offen offset:4
	ds_read_b128 v[88:91], v84
	v_add_nc_u32_e32 v86, 1, v86
	v_add_nc_u32_e32 v84, 16, v84
	;; [unrolled: 1-line block ×3, first 2 shown]
	v_cmp_lt_u32_e32 vcc_lo, 4, v86
	s_or_b32 s8, vcc_lo, s8
	s_waitcnt vmcnt(2) lgkmcnt(0)
	v_mul_f64 v[96:97], v[90:91], v[92:93]
	v_mul_f64 v[92:93], v[88:89], v[92:93]
	s_waitcnt vmcnt(0)
	v_fma_f64 v[88:89], v[88:89], v[94:95], -v[96:97]
	v_fma_f64 v[90:91], v[90:91], v[94:95], v[92:93]
	v_add_f64 v[1:2], v[1:2], v[88:89]
	v_add_f64 v[3:4], v[3:4], v[90:91]
	s_andn2_b32 exec_lo, exec_lo, s8
	s_cbranch_execnz .LBB37_340
; %bb.341:
	s_or_b32 exec_lo, exec_lo, s8
.LBB37_342:
	s_or_b32 exec_lo, exec_lo, s6
	v_mov_b32_e32 v84, 0
	ds_read_b128 v[88:91], v84 offset:96
	s_waitcnt lgkmcnt(0)
	v_mul_f64 v[84:85], v[3:4], v[90:91]
	v_mul_f64 v[90:91], v[1:2], v[90:91]
	v_fma_f64 v[1:2], v[1:2], v[88:89], -v[84:85]
	v_fma_f64 v[3:4], v[3:4], v[88:89], v[90:91]
	buffer_store_dword v2, off, s[0:3], 0 offset:100
	buffer_store_dword v1, off, s[0:3], 0 offset:96
	;; [unrolled: 1-line block ×4, first 2 shown]
.LBB37_343:
	s_or_b32 exec_lo, exec_lo, s4
	v_mov_b32_e32 v4, s39
	s_mov_b32 s4, exec_lo
	s_clause 0x3
	buffer_load_dword v1, v4, s[0:3], 0 offen
	buffer_load_dword v2, v4, s[0:3], 0 offen offset:4
	buffer_load_dword v3, v4, s[0:3], 0 offen offset:8
	;; [unrolled: 1-line block ×3, first 2 shown]
	s_waitcnt vmcnt(0)
	ds_write_b128 v82, v[1:4]
	s_waitcnt lgkmcnt(0)
	s_waitcnt_vscnt null, 0x0
	s_barrier
	buffer_gl0_inv
	v_cmpx_gt_u32_e32 7, v0
	s_cbranch_execz .LBB37_351
; %bb.344:
	ds_read_b128 v[1:4], v82
	v_cmp_ne_u32_e32 vcc_lo, 1, v83
	s_cbranch_vccnz .LBB37_346
; %bb.345:
	s_clause 0x3
	buffer_load_dword v84, v81, s[0:3], 0 offen offset:8
	buffer_load_dword v85, v81, s[0:3], 0 offen offset:12
	buffer_load_dword v88, v81, s[0:3], 0 offen
	buffer_load_dword v89, v81, s[0:3], 0 offen offset:4
	s_waitcnt vmcnt(2) lgkmcnt(0)
	v_mul_f64 v[90:91], v[3:4], v[84:85]
	v_mul_f64 v[84:85], v[1:2], v[84:85]
	s_waitcnt vmcnt(0)
	v_fma_f64 v[1:2], v[1:2], v[88:89], -v[90:91]
	v_fma_f64 v[3:4], v[3:4], v[88:89], v[84:85]
.LBB37_346:
	s_mov_b32 s6, exec_lo
	v_cmpx_ne_u32_e32 6, v0
	s_cbranch_execz .LBB37_350
; %bb.347:
	v_add_nc_u32_e32 v84, 0x270, v87
	v_add3_u32 v85, 0, v87, 16
	v_mov_b32_e32 v86, v0
	s_mov_b32 s8, 0
	.p2align	6
.LBB37_348:                             ; =>This Inner Loop Header: Depth=1
	s_clause 0x3
	buffer_load_dword v92, v85, s[0:3], 0 offen offset:8
	buffer_load_dword v93, v85, s[0:3], 0 offen offset:12
	buffer_load_dword v94, v85, s[0:3], 0 offen
	buffer_load_dword v95, v85, s[0:3], 0 offen offset:4
	ds_read_b128 v[88:91], v84
	v_add_nc_u32_e32 v86, 1, v86
	v_add_nc_u32_e32 v84, 16, v84
	;; [unrolled: 1-line block ×3, first 2 shown]
	v_cmp_lt_u32_e32 vcc_lo, 5, v86
	s_or_b32 s8, vcc_lo, s8
	s_waitcnt vmcnt(2) lgkmcnt(0)
	v_mul_f64 v[96:97], v[90:91], v[92:93]
	v_mul_f64 v[92:93], v[88:89], v[92:93]
	s_waitcnt vmcnt(0)
	v_fma_f64 v[88:89], v[88:89], v[94:95], -v[96:97]
	v_fma_f64 v[90:91], v[90:91], v[94:95], v[92:93]
	v_add_f64 v[1:2], v[1:2], v[88:89]
	v_add_f64 v[3:4], v[3:4], v[90:91]
	s_andn2_b32 exec_lo, exec_lo, s8
	s_cbranch_execnz .LBB37_348
; %bb.349:
	s_or_b32 exec_lo, exec_lo, s8
.LBB37_350:
	s_or_b32 exec_lo, exec_lo, s6
	v_mov_b32_e32 v84, 0
	ds_read_b128 v[88:91], v84 offset:112
	s_waitcnt lgkmcnt(0)
	v_mul_f64 v[84:85], v[3:4], v[90:91]
	v_mul_f64 v[90:91], v[1:2], v[90:91]
	v_fma_f64 v[1:2], v[1:2], v[88:89], -v[84:85]
	v_fma_f64 v[3:4], v[3:4], v[88:89], v[90:91]
	buffer_store_dword v2, off, s[0:3], 0 offset:116
	buffer_store_dword v1, off, s[0:3], 0 offset:112
	;; [unrolled: 1-line block ×4, first 2 shown]
.LBB37_351:
	s_or_b32 exec_lo, exec_lo, s4
	v_mov_b32_e32 v4, s38
	s_mov_b32 s4, exec_lo
	s_clause 0x3
	buffer_load_dword v1, v4, s[0:3], 0 offen
	buffer_load_dword v2, v4, s[0:3], 0 offen offset:4
	buffer_load_dword v3, v4, s[0:3], 0 offen offset:8
	;; [unrolled: 1-line block ×3, first 2 shown]
	s_waitcnt vmcnt(0)
	ds_write_b128 v82, v[1:4]
	s_waitcnt lgkmcnt(0)
	s_waitcnt_vscnt null, 0x0
	s_barrier
	buffer_gl0_inv
	v_cmpx_gt_u32_e32 8, v0
	s_cbranch_execz .LBB37_359
; %bb.352:
	ds_read_b128 v[1:4], v82
	v_cmp_ne_u32_e32 vcc_lo, 1, v83
	s_cbranch_vccnz .LBB37_354
; %bb.353:
	s_clause 0x3
	buffer_load_dword v84, v81, s[0:3], 0 offen offset:8
	buffer_load_dword v85, v81, s[0:3], 0 offen offset:12
	buffer_load_dword v88, v81, s[0:3], 0 offen
	buffer_load_dword v89, v81, s[0:3], 0 offen offset:4
	s_waitcnt vmcnt(2) lgkmcnt(0)
	v_mul_f64 v[90:91], v[3:4], v[84:85]
	v_mul_f64 v[84:85], v[1:2], v[84:85]
	s_waitcnt vmcnt(0)
	v_fma_f64 v[1:2], v[1:2], v[88:89], -v[90:91]
	v_fma_f64 v[3:4], v[3:4], v[88:89], v[84:85]
.LBB37_354:
	s_mov_b32 s6, exec_lo
	v_cmpx_ne_u32_e32 7, v0
	s_cbranch_execz .LBB37_358
; %bb.355:
	v_add_nc_u32_e32 v84, 0x270, v87
	v_add3_u32 v85, 0, v87, 16
	v_mov_b32_e32 v86, v0
	s_mov_b32 s8, 0
	.p2align	6
.LBB37_356:                             ; =>This Inner Loop Header: Depth=1
	s_clause 0x3
	buffer_load_dword v92, v85, s[0:3], 0 offen offset:8
	buffer_load_dword v93, v85, s[0:3], 0 offen offset:12
	buffer_load_dword v94, v85, s[0:3], 0 offen
	buffer_load_dword v95, v85, s[0:3], 0 offen offset:4
	ds_read_b128 v[88:91], v84
	v_add_nc_u32_e32 v86, 1, v86
	v_add_nc_u32_e32 v84, 16, v84
	v_add_nc_u32_e32 v85, 16, v85
	v_cmp_lt_u32_e32 vcc_lo, 6, v86
	s_or_b32 s8, vcc_lo, s8
	s_waitcnt vmcnt(2) lgkmcnt(0)
	v_mul_f64 v[96:97], v[90:91], v[92:93]
	v_mul_f64 v[92:93], v[88:89], v[92:93]
	s_waitcnt vmcnt(0)
	v_fma_f64 v[88:89], v[88:89], v[94:95], -v[96:97]
	v_fma_f64 v[90:91], v[90:91], v[94:95], v[92:93]
	v_add_f64 v[1:2], v[1:2], v[88:89]
	v_add_f64 v[3:4], v[3:4], v[90:91]
	s_andn2_b32 exec_lo, exec_lo, s8
	s_cbranch_execnz .LBB37_356
; %bb.357:
	s_or_b32 exec_lo, exec_lo, s8
.LBB37_358:
	s_or_b32 exec_lo, exec_lo, s6
	v_mov_b32_e32 v84, 0
	ds_read_b128 v[88:91], v84 offset:128
	s_waitcnt lgkmcnt(0)
	v_mul_f64 v[84:85], v[3:4], v[90:91]
	v_mul_f64 v[90:91], v[1:2], v[90:91]
	v_fma_f64 v[1:2], v[1:2], v[88:89], -v[84:85]
	v_fma_f64 v[3:4], v[3:4], v[88:89], v[90:91]
	buffer_store_dword v2, off, s[0:3], 0 offset:132
	buffer_store_dword v1, off, s[0:3], 0 offset:128
	;; [unrolled: 1-line block ×4, first 2 shown]
.LBB37_359:
	s_or_b32 exec_lo, exec_lo, s4
	v_mov_b32_e32 v4, s37
	s_mov_b32 s4, exec_lo
	s_clause 0x3
	buffer_load_dword v1, v4, s[0:3], 0 offen
	buffer_load_dword v2, v4, s[0:3], 0 offen offset:4
	buffer_load_dword v3, v4, s[0:3], 0 offen offset:8
	;; [unrolled: 1-line block ×3, first 2 shown]
	s_waitcnt vmcnt(0)
	ds_write_b128 v82, v[1:4]
	s_waitcnt lgkmcnt(0)
	s_waitcnt_vscnt null, 0x0
	s_barrier
	buffer_gl0_inv
	v_cmpx_gt_u32_e32 9, v0
	s_cbranch_execz .LBB37_367
; %bb.360:
	ds_read_b128 v[1:4], v82
	v_cmp_ne_u32_e32 vcc_lo, 1, v83
	s_cbranch_vccnz .LBB37_362
; %bb.361:
	s_clause 0x3
	buffer_load_dword v84, v81, s[0:3], 0 offen offset:8
	buffer_load_dword v85, v81, s[0:3], 0 offen offset:12
	buffer_load_dword v88, v81, s[0:3], 0 offen
	buffer_load_dword v89, v81, s[0:3], 0 offen offset:4
	s_waitcnt vmcnt(2) lgkmcnt(0)
	v_mul_f64 v[90:91], v[3:4], v[84:85]
	v_mul_f64 v[84:85], v[1:2], v[84:85]
	s_waitcnt vmcnt(0)
	v_fma_f64 v[1:2], v[1:2], v[88:89], -v[90:91]
	v_fma_f64 v[3:4], v[3:4], v[88:89], v[84:85]
.LBB37_362:
	s_mov_b32 s6, exec_lo
	v_cmpx_ne_u32_e32 8, v0
	s_cbranch_execz .LBB37_366
; %bb.363:
	v_add_nc_u32_e32 v84, 0x270, v87
	v_add3_u32 v85, 0, v87, 16
	v_mov_b32_e32 v86, v0
	s_mov_b32 s8, 0
	.p2align	6
.LBB37_364:                             ; =>This Inner Loop Header: Depth=1
	s_clause 0x3
	buffer_load_dword v92, v85, s[0:3], 0 offen offset:8
	buffer_load_dword v93, v85, s[0:3], 0 offen offset:12
	buffer_load_dword v94, v85, s[0:3], 0 offen
	buffer_load_dword v95, v85, s[0:3], 0 offen offset:4
	ds_read_b128 v[88:91], v84
	v_add_nc_u32_e32 v86, 1, v86
	v_add_nc_u32_e32 v84, 16, v84
	;; [unrolled: 1-line block ×3, first 2 shown]
	v_cmp_lt_u32_e32 vcc_lo, 7, v86
	s_or_b32 s8, vcc_lo, s8
	s_waitcnt vmcnt(2) lgkmcnt(0)
	v_mul_f64 v[96:97], v[90:91], v[92:93]
	v_mul_f64 v[92:93], v[88:89], v[92:93]
	s_waitcnt vmcnt(0)
	v_fma_f64 v[88:89], v[88:89], v[94:95], -v[96:97]
	v_fma_f64 v[90:91], v[90:91], v[94:95], v[92:93]
	v_add_f64 v[1:2], v[1:2], v[88:89]
	v_add_f64 v[3:4], v[3:4], v[90:91]
	s_andn2_b32 exec_lo, exec_lo, s8
	s_cbranch_execnz .LBB37_364
; %bb.365:
	s_or_b32 exec_lo, exec_lo, s8
.LBB37_366:
	s_or_b32 exec_lo, exec_lo, s6
	v_mov_b32_e32 v84, 0
	ds_read_b128 v[88:91], v84 offset:144
	s_waitcnt lgkmcnt(0)
	v_mul_f64 v[84:85], v[3:4], v[90:91]
	v_mul_f64 v[90:91], v[1:2], v[90:91]
	v_fma_f64 v[1:2], v[1:2], v[88:89], -v[84:85]
	v_fma_f64 v[3:4], v[3:4], v[88:89], v[90:91]
	buffer_store_dword v2, off, s[0:3], 0 offset:148
	buffer_store_dword v1, off, s[0:3], 0 offset:144
	buffer_store_dword v4, off, s[0:3], 0 offset:156
	buffer_store_dword v3, off, s[0:3], 0 offset:152
.LBB37_367:
	s_or_b32 exec_lo, exec_lo, s4
	v_mov_b32_e32 v4, s36
	s_mov_b32 s4, exec_lo
	s_clause 0x3
	buffer_load_dword v1, v4, s[0:3], 0 offen
	buffer_load_dword v2, v4, s[0:3], 0 offen offset:4
	buffer_load_dword v3, v4, s[0:3], 0 offen offset:8
	;; [unrolled: 1-line block ×3, first 2 shown]
	s_waitcnt vmcnt(0)
	ds_write_b128 v82, v[1:4]
	s_waitcnt lgkmcnt(0)
	s_waitcnt_vscnt null, 0x0
	s_barrier
	buffer_gl0_inv
	v_cmpx_gt_u32_e32 10, v0
	s_cbranch_execz .LBB37_375
; %bb.368:
	ds_read_b128 v[1:4], v82
	v_cmp_ne_u32_e32 vcc_lo, 1, v83
	s_cbranch_vccnz .LBB37_370
; %bb.369:
	s_clause 0x3
	buffer_load_dword v84, v81, s[0:3], 0 offen offset:8
	buffer_load_dword v85, v81, s[0:3], 0 offen offset:12
	buffer_load_dword v88, v81, s[0:3], 0 offen
	buffer_load_dword v89, v81, s[0:3], 0 offen offset:4
	s_waitcnt vmcnt(2) lgkmcnt(0)
	v_mul_f64 v[90:91], v[3:4], v[84:85]
	v_mul_f64 v[84:85], v[1:2], v[84:85]
	s_waitcnt vmcnt(0)
	v_fma_f64 v[1:2], v[1:2], v[88:89], -v[90:91]
	v_fma_f64 v[3:4], v[3:4], v[88:89], v[84:85]
.LBB37_370:
	s_mov_b32 s6, exec_lo
	v_cmpx_ne_u32_e32 9, v0
	s_cbranch_execz .LBB37_374
; %bb.371:
	v_add_nc_u32_e32 v84, 0x270, v87
	v_add3_u32 v85, 0, v87, 16
	v_mov_b32_e32 v86, v0
	s_mov_b32 s8, 0
	.p2align	6
.LBB37_372:                             ; =>This Inner Loop Header: Depth=1
	s_clause 0x3
	buffer_load_dword v92, v85, s[0:3], 0 offen offset:8
	buffer_load_dword v93, v85, s[0:3], 0 offen offset:12
	buffer_load_dword v94, v85, s[0:3], 0 offen
	buffer_load_dword v95, v85, s[0:3], 0 offen offset:4
	ds_read_b128 v[88:91], v84
	v_add_nc_u32_e32 v86, 1, v86
	v_add_nc_u32_e32 v84, 16, v84
	;; [unrolled: 1-line block ×3, first 2 shown]
	v_cmp_lt_u32_e32 vcc_lo, 8, v86
	s_or_b32 s8, vcc_lo, s8
	s_waitcnt vmcnt(2) lgkmcnt(0)
	v_mul_f64 v[96:97], v[90:91], v[92:93]
	v_mul_f64 v[92:93], v[88:89], v[92:93]
	s_waitcnt vmcnt(0)
	v_fma_f64 v[88:89], v[88:89], v[94:95], -v[96:97]
	v_fma_f64 v[90:91], v[90:91], v[94:95], v[92:93]
	v_add_f64 v[1:2], v[1:2], v[88:89]
	v_add_f64 v[3:4], v[3:4], v[90:91]
	s_andn2_b32 exec_lo, exec_lo, s8
	s_cbranch_execnz .LBB37_372
; %bb.373:
	s_or_b32 exec_lo, exec_lo, s8
.LBB37_374:
	s_or_b32 exec_lo, exec_lo, s6
	v_mov_b32_e32 v84, 0
	ds_read_b128 v[88:91], v84 offset:160
	s_waitcnt lgkmcnt(0)
	v_mul_f64 v[84:85], v[3:4], v[90:91]
	v_mul_f64 v[90:91], v[1:2], v[90:91]
	v_fma_f64 v[1:2], v[1:2], v[88:89], -v[84:85]
	v_fma_f64 v[3:4], v[3:4], v[88:89], v[90:91]
	buffer_store_dword v2, off, s[0:3], 0 offset:164
	buffer_store_dword v1, off, s[0:3], 0 offset:160
	;; [unrolled: 1-line block ×4, first 2 shown]
.LBB37_375:
	s_or_b32 exec_lo, exec_lo, s4
	v_mov_b32_e32 v4, s35
	s_mov_b32 s4, exec_lo
	s_clause 0x3
	buffer_load_dword v1, v4, s[0:3], 0 offen
	buffer_load_dword v2, v4, s[0:3], 0 offen offset:4
	buffer_load_dword v3, v4, s[0:3], 0 offen offset:8
	;; [unrolled: 1-line block ×3, first 2 shown]
	s_waitcnt vmcnt(0)
	ds_write_b128 v82, v[1:4]
	s_waitcnt lgkmcnt(0)
	s_waitcnt_vscnt null, 0x0
	s_barrier
	buffer_gl0_inv
	v_cmpx_gt_u32_e32 11, v0
	s_cbranch_execz .LBB37_383
; %bb.376:
	ds_read_b128 v[1:4], v82
	v_cmp_ne_u32_e32 vcc_lo, 1, v83
	s_cbranch_vccnz .LBB37_378
; %bb.377:
	s_clause 0x3
	buffer_load_dword v84, v81, s[0:3], 0 offen offset:8
	buffer_load_dword v85, v81, s[0:3], 0 offen offset:12
	buffer_load_dword v88, v81, s[0:3], 0 offen
	buffer_load_dword v89, v81, s[0:3], 0 offen offset:4
	s_waitcnt vmcnt(2) lgkmcnt(0)
	v_mul_f64 v[90:91], v[3:4], v[84:85]
	v_mul_f64 v[84:85], v[1:2], v[84:85]
	s_waitcnt vmcnt(0)
	v_fma_f64 v[1:2], v[1:2], v[88:89], -v[90:91]
	v_fma_f64 v[3:4], v[3:4], v[88:89], v[84:85]
.LBB37_378:
	s_mov_b32 s6, exec_lo
	v_cmpx_ne_u32_e32 10, v0
	s_cbranch_execz .LBB37_382
; %bb.379:
	v_add_nc_u32_e32 v84, 0x270, v87
	v_add3_u32 v85, 0, v87, 16
	v_mov_b32_e32 v86, v0
	s_mov_b32 s8, 0
	.p2align	6
.LBB37_380:                             ; =>This Inner Loop Header: Depth=1
	s_clause 0x3
	buffer_load_dword v92, v85, s[0:3], 0 offen offset:8
	buffer_load_dword v93, v85, s[0:3], 0 offen offset:12
	buffer_load_dword v94, v85, s[0:3], 0 offen
	buffer_load_dword v95, v85, s[0:3], 0 offen offset:4
	ds_read_b128 v[88:91], v84
	v_add_nc_u32_e32 v86, 1, v86
	v_add_nc_u32_e32 v84, 16, v84
	;; [unrolled: 1-line block ×3, first 2 shown]
	v_cmp_lt_u32_e32 vcc_lo, 9, v86
	s_or_b32 s8, vcc_lo, s8
	s_waitcnt vmcnt(2) lgkmcnt(0)
	v_mul_f64 v[96:97], v[90:91], v[92:93]
	v_mul_f64 v[92:93], v[88:89], v[92:93]
	s_waitcnt vmcnt(0)
	v_fma_f64 v[88:89], v[88:89], v[94:95], -v[96:97]
	v_fma_f64 v[90:91], v[90:91], v[94:95], v[92:93]
	v_add_f64 v[1:2], v[1:2], v[88:89]
	v_add_f64 v[3:4], v[3:4], v[90:91]
	s_andn2_b32 exec_lo, exec_lo, s8
	s_cbranch_execnz .LBB37_380
; %bb.381:
	s_or_b32 exec_lo, exec_lo, s8
.LBB37_382:
	s_or_b32 exec_lo, exec_lo, s6
	v_mov_b32_e32 v84, 0
	ds_read_b128 v[88:91], v84 offset:176
	s_waitcnt lgkmcnt(0)
	v_mul_f64 v[84:85], v[3:4], v[90:91]
	v_mul_f64 v[90:91], v[1:2], v[90:91]
	v_fma_f64 v[1:2], v[1:2], v[88:89], -v[84:85]
	v_fma_f64 v[3:4], v[3:4], v[88:89], v[90:91]
	buffer_store_dword v2, off, s[0:3], 0 offset:180
	buffer_store_dword v1, off, s[0:3], 0 offset:176
	;; [unrolled: 1-line block ×4, first 2 shown]
.LBB37_383:
	s_or_b32 exec_lo, exec_lo, s4
	v_mov_b32_e32 v4, s34
	s_mov_b32 s4, exec_lo
	s_clause 0x3
	buffer_load_dword v1, v4, s[0:3], 0 offen
	buffer_load_dword v2, v4, s[0:3], 0 offen offset:4
	buffer_load_dword v3, v4, s[0:3], 0 offen offset:8
	;; [unrolled: 1-line block ×3, first 2 shown]
	s_waitcnt vmcnt(0)
	ds_write_b128 v82, v[1:4]
	s_waitcnt lgkmcnt(0)
	s_waitcnt_vscnt null, 0x0
	s_barrier
	buffer_gl0_inv
	v_cmpx_gt_u32_e32 12, v0
	s_cbranch_execz .LBB37_391
; %bb.384:
	ds_read_b128 v[1:4], v82
	v_cmp_ne_u32_e32 vcc_lo, 1, v83
	s_cbranch_vccnz .LBB37_386
; %bb.385:
	s_clause 0x3
	buffer_load_dword v84, v81, s[0:3], 0 offen offset:8
	buffer_load_dword v85, v81, s[0:3], 0 offen offset:12
	buffer_load_dword v88, v81, s[0:3], 0 offen
	buffer_load_dword v89, v81, s[0:3], 0 offen offset:4
	s_waitcnt vmcnt(2) lgkmcnt(0)
	v_mul_f64 v[90:91], v[3:4], v[84:85]
	v_mul_f64 v[84:85], v[1:2], v[84:85]
	s_waitcnt vmcnt(0)
	v_fma_f64 v[1:2], v[1:2], v[88:89], -v[90:91]
	v_fma_f64 v[3:4], v[3:4], v[88:89], v[84:85]
.LBB37_386:
	s_mov_b32 s6, exec_lo
	v_cmpx_ne_u32_e32 11, v0
	s_cbranch_execz .LBB37_390
; %bb.387:
	v_add_nc_u32_e32 v84, 0x270, v87
	v_add3_u32 v85, 0, v87, 16
	v_mov_b32_e32 v86, v0
	s_mov_b32 s8, 0
	.p2align	6
.LBB37_388:                             ; =>This Inner Loop Header: Depth=1
	s_clause 0x3
	buffer_load_dword v92, v85, s[0:3], 0 offen offset:8
	buffer_load_dword v93, v85, s[0:3], 0 offen offset:12
	buffer_load_dword v94, v85, s[0:3], 0 offen
	buffer_load_dword v95, v85, s[0:3], 0 offen offset:4
	ds_read_b128 v[88:91], v84
	v_add_nc_u32_e32 v86, 1, v86
	v_add_nc_u32_e32 v84, 16, v84
	;; [unrolled: 1-line block ×3, first 2 shown]
	v_cmp_lt_u32_e32 vcc_lo, 10, v86
	s_or_b32 s8, vcc_lo, s8
	s_waitcnt vmcnt(2) lgkmcnt(0)
	v_mul_f64 v[96:97], v[90:91], v[92:93]
	v_mul_f64 v[92:93], v[88:89], v[92:93]
	s_waitcnt vmcnt(0)
	v_fma_f64 v[88:89], v[88:89], v[94:95], -v[96:97]
	v_fma_f64 v[90:91], v[90:91], v[94:95], v[92:93]
	v_add_f64 v[1:2], v[1:2], v[88:89]
	v_add_f64 v[3:4], v[3:4], v[90:91]
	s_andn2_b32 exec_lo, exec_lo, s8
	s_cbranch_execnz .LBB37_388
; %bb.389:
	s_or_b32 exec_lo, exec_lo, s8
.LBB37_390:
	s_or_b32 exec_lo, exec_lo, s6
	v_mov_b32_e32 v84, 0
	ds_read_b128 v[88:91], v84 offset:192
	s_waitcnt lgkmcnt(0)
	v_mul_f64 v[84:85], v[3:4], v[90:91]
	v_mul_f64 v[90:91], v[1:2], v[90:91]
	v_fma_f64 v[1:2], v[1:2], v[88:89], -v[84:85]
	v_fma_f64 v[3:4], v[3:4], v[88:89], v[90:91]
	buffer_store_dword v2, off, s[0:3], 0 offset:196
	buffer_store_dword v1, off, s[0:3], 0 offset:192
	;; [unrolled: 1-line block ×4, first 2 shown]
.LBB37_391:
	s_or_b32 exec_lo, exec_lo, s4
	v_mov_b32_e32 v4, s33
	s_mov_b32 s4, exec_lo
	s_clause 0x3
	buffer_load_dword v1, v4, s[0:3], 0 offen
	buffer_load_dword v2, v4, s[0:3], 0 offen offset:4
	buffer_load_dword v3, v4, s[0:3], 0 offen offset:8
	;; [unrolled: 1-line block ×3, first 2 shown]
	s_waitcnt vmcnt(0)
	ds_write_b128 v82, v[1:4]
	s_waitcnt lgkmcnt(0)
	s_waitcnt_vscnt null, 0x0
	s_barrier
	buffer_gl0_inv
	v_cmpx_gt_u32_e32 13, v0
	s_cbranch_execz .LBB37_399
; %bb.392:
	ds_read_b128 v[1:4], v82
	v_cmp_ne_u32_e32 vcc_lo, 1, v83
	s_cbranch_vccnz .LBB37_394
; %bb.393:
	s_clause 0x3
	buffer_load_dword v84, v81, s[0:3], 0 offen offset:8
	buffer_load_dword v85, v81, s[0:3], 0 offen offset:12
	buffer_load_dword v88, v81, s[0:3], 0 offen
	buffer_load_dword v89, v81, s[0:3], 0 offen offset:4
	s_waitcnt vmcnt(2) lgkmcnt(0)
	v_mul_f64 v[90:91], v[3:4], v[84:85]
	v_mul_f64 v[84:85], v[1:2], v[84:85]
	s_waitcnt vmcnt(0)
	v_fma_f64 v[1:2], v[1:2], v[88:89], -v[90:91]
	v_fma_f64 v[3:4], v[3:4], v[88:89], v[84:85]
.LBB37_394:
	s_mov_b32 s6, exec_lo
	v_cmpx_ne_u32_e32 12, v0
	s_cbranch_execz .LBB37_398
; %bb.395:
	v_add_nc_u32_e32 v84, 0x270, v87
	v_add3_u32 v85, 0, v87, 16
	v_mov_b32_e32 v86, v0
	s_mov_b32 s8, 0
	.p2align	6
.LBB37_396:                             ; =>This Inner Loop Header: Depth=1
	s_clause 0x3
	buffer_load_dword v92, v85, s[0:3], 0 offen offset:8
	buffer_load_dword v93, v85, s[0:3], 0 offen offset:12
	buffer_load_dword v94, v85, s[0:3], 0 offen
	buffer_load_dword v95, v85, s[0:3], 0 offen offset:4
	ds_read_b128 v[88:91], v84
	v_add_nc_u32_e32 v86, 1, v86
	v_add_nc_u32_e32 v84, 16, v84
	;; [unrolled: 1-line block ×3, first 2 shown]
	v_cmp_lt_u32_e32 vcc_lo, 11, v86
	s_or_b32 s8, vcc_lo, s8
	s_waitcnt vmcnt(2) lgkmcnt(0)
	v_mul_f64 v[96:97], v[90:91], v[92:93]
	v_mul_f64 v[92:93], v[88:89], v[92:93]
	s_waitcnt vmcnt(0)
	v_fma_f64 v[88:89], v[88:89], v[94:95], -v[96:97]
	v_fma_f64 v[90:91], v[90:91], v[94:95], v[92:93]
	v_add_f64 v[1:2], v[1:2], v[88:89]
	v_add_f64 v[3:4], v[3:4], v[90:91]
	s_andn2_b32 exec_lo, exec_lo, s8
	s_cbranch_execnz .LBB37_396
; %bb.397:
	s_or_b32 exec_lo, exec_lo, s8
.LBB37_398:
	s_or_b32 exec_lo, exec_lo, s6
	v_mov_b32_e32 v84, 0
	ds_read_b128 v[88:91], v84 offset:208
	s_waitcnt lgkmcnt(0)
	v_mul_f64 v[84:85], v[3:4], v[90:91]
	v_mul_f64 v[90:91], v[1:2], v[90:91]
	v_fma_f64 v[1:2], v[1:2], v[88:89], -v[84:85]
	v_fma_f64 v[3:4], v[3:4], v[88:89], v[90:91]
	buffer_store_dword v2, off, s[0:3], 0 offset:212
	buffer_store_dword v1, off, s[0:3], 0 offset:208
	;; [unrolled: 1-line block ×4, first 2 shown]
.LBB37_399:
	s_or_b32 exec_lo, exec_lo, s4
	v_mov_b32_e32 v4, s31
	s_mov_b32 s4, exec_lo
	s_clause 0x3
	buffer_load_dword v1, v4, s[0:3], 0 offen
	buffer_load_dword v2, v4, s[0:3], 0 offen offset:4
	buffer_load_dword v3, v4, s[0:3], 0 offen offset:8
	;; [unrolled: 1-line block ×3, first 2 shown]
	s_waitcnt vmcnt(0)
	ds_write_b128 v82, v[1:4]
	s_waitcnt lgkmcnt(0)
	s_waitcnt_vscnt null, 0x0
	s_barrier
	buffer_gl0_inv
	v_cmpx_gt_u32_e32 14, v0
	s_cbranch_execz .LBB37_407
; %bb.400:
	ds_read_b128 v[1:4], v82
	v_cmp_ne_u32_e32 vcc_lo, 1, v83
	s_cbranch_vccnz .LBB37_402
; %bb.401:
	s_clause 0x3
	buffer_load_dword v84, v81, s[0:3], 0 offen offset:8
	buffer_load_dword v85, v81, s[0:3], 0 offen offset:12
	buffer_load_dword v88, v81, s[0:3], 0 offen
	buffer_load_dword v89, v81, s[0:3], 0 offen offset:4
	s_waitcnt vmcnt(2) lgkmcnt(0)
	v_mul_f64 v[90:91], v[3:4], v[84:85]
	v_mul_f64 v[84:85], v[1:2], v[84:85]
	s_waitcnt vmcnt(0)
	v_fma_f64 v[1:2], v[1:2], v[88:89], -v[90:91]
	v_fma_f64 v[3:4], v[3:4], v[88:89], v[84:85]
.LBB37_402:
	s_mov_b32 s6, exec_lo
	v_cmpx_ne_u32_e32 13, v0
	s_cbranch_execz .LBB37_406
; %bb.403:
	v_add_nc_u32_e32 v84, 0x270, v87
	v_add3_u32 v85, 0, v87, 16
	v_mov_b32_e32 v86, v0
	s_mov_b32 s8, 0
	.p2align	6
.LBB37_404:                             ; =>This Inner Loop Header: Depth=1
	s_clause 0x3
	buffer_load_dword v92, v85, s[0:3], 0 offen offset:8
	buffer_load_dword v93, v85, s[0:3], 0 offen offset:12
	buffer_load_dword v94, v85, s[0:3], 0 offen
	buffer_load_dword v95, v85, s[0:3], 0 offen offset:4
	ds_read_b128 v[88:91], v84
	v_add_nc_u32_e32 v86, 1, v86
	v_add_nc_u32_e32 v84, 16, v84
	;; [unrolled: 1-line block ×3, first 2 shown]
	v_cmp_lt_u32_e32 vcc_lo, 12, v86
	s_or_b32 s8, vcc_lo, s8
	s_waitcnt vmcnt(2) lgkmcnt(0)
	v_mul_f64 v[96:97], v[90:91], v[92:93]
	v_mul_f64 v[92:93], v[88:89], v[92:93]
	s_waitcnt vmcnt(0)
	v_fma_f64 v[88:89], v[88:89], v[94:95], -v[96:97]
	v_fma_f64 v[90:91], v[90:91], v[94:95], v[92:93]
	v_add_f64 v[1:2], v[1:2], v[88:89]
	v_add_f64 v[3:4], v[3:4], v[90:91]
	s_andn2_b32 exec_lo, exec_lo, s8
	s_cbranch_execnz .LBB37_404
; %bb.405:
	s_or_b32 exec_lo, exec_lo, s8
.LBB37_406:
	s_or_b32 exec_lo, exec_lo, s6
	v_mov_b32_e32 v84, 0
	ds_read_b128 v[88:91], v84 offset:224
	s_waitcnt lgkmcnt(0)
	v_mul_f64 v[84:85], v[3:4], v[90:91]
	v_mul_f64 v[90:91], v[1:2], v[90:91]
	v_fma_f64 v[1:2], v[1:2], v[88:89], -v[84:85]
	v_fma_f64 v[3:4], v[3:4], v[88:89], v[90:91]
	buffer_store_dword v2, off, s[0:3], 0 offset:228
	buffer_store_dword v1, off, s[0:3], 0 offset:224
	;; [unrolled: 1-line block ×4, first 2 shown]
.LBB37_407:
	s_or_b32 exec_lo, exec_lo, s4
	v_mov_b32_e32 v4, s30
	s_mov_b32 s4, exec_lo
	s_clause 0x3
	buffer_load_dword v1, v4, s[0:3], 0 offen
	buffer_load_dword v2, v4, s[0:3], 0 offen offset:4
	buffer_load_dword v3, v4, s[0:3], 0 offen offset:8
	;; [unrolled: 1-line block ×3, first 2 shown]
	s_waitcnt vmcnt(0)
	ds_write_b128 v82, v[1:4]
	s_waitcnt lgkmcnt(0)
	s_waitcnt_vscnt null, 0x0
	s_barrier
	buffer_gl0_inv
	v_cmpx_gt_u32_e32 15, v0
	s_cbranch_execz .LBB37_415
; %bb.408:
	ds_read_b128 v[1:4], v82
	v_cmp_ne_u32_e32 vcc_lo, 1, v83
	s_cbranch_vccnz .LBB37_410
; %bb.409:
	s_clause 0x3
	buffer_load_dword v84, v81, s[0:3], 0 offen offset:8
	buffer_load_dword v85, v81, s[0:3], 0 offen offset:12
	buffer_load_dword v88, v81, s[0:3], 0 offen
	buffer_load_dword v89, v81, s[0:3], 0 offen offset:4
	s_waitcnt vmcnt(2) lgkmcnt(0)
	v_mul_f64 v[90:91], v[3:4], v[84:85]
	v_mul_f64 v[84:85], v[1:2], v[84:85]
	s_waitcnt vmcnt(0)
	v_fma_f64 v[1:2], v[1:2], v[88:89], -v[90:91]
	v_fma_f64 v[3:4], v[3:4], v[88:89], v[84:85]
.LBB37_410:
	s_mov_b32 s6, exec_lo
	v_cmpx_ne_u32_e32 14, v0
	s_cbranch_execz .LBB37_414
; %bb.411:
	v_add_nc_u32_e32 v84, 0x270, v87
	v_add3_u32 v85, 0, v87, 16
	v_mov_b32_e32 v86, v0
	s_mov_b32 s8, 0
	.p2align	6
.LBB37_412:                             ; =>This Inner Loop Header: Depth=1
	s_clause 0x3
	buffer_load_dword v92, v85, s[0:3], 0 offen offset:8
	buffer_load_dword v93, v85, s[0:3], 0 offen offset:12
	buffer_load_dword v94, v85, s[0:3], 0 offen
	buffer_load_dword v95, v85, s[0:3], 0 offen offset:4
	ds_read_b128 v[88:91], v84
	v_add_nc_u32_e32 v86, 1, v86
	v_add_nc_u32_e32 v84, 16, v84
	;; [unrolled: 1-line block ×3, first 2 shown]
	v_cmp_lt_u32_e32 vcc_lo, 13, v86
	s_or_b32 s8, vcc_lo, s8
	s_waitcnt vmcnt(2) lgkmcnt(0)
	v_mul_f64 v[96:97], v[90:91], v[92:93]
	v_mul_f64 v[92:93], v[88:89], v[92:93]
	s_waitcnt vmcnt(0)
	v_fma_f64 v[88:89], v[88:89], v[94:95], -v[96:97]
	v_fma_f64 v[90:91], v[90:91], v[94:95], v[92:93]
	v_add_f64 v[1:2], v[1:2], v[88:89]
	v_add_f64 v[3:4], v[3:4], v[90:91]
	s_andn2_b32 exec_lo, exec_lo, s8
	s_cbranch_execnz .LBB37_412
; %bb.413:
	s_or_b32 exec_lo, exec_lo, s8
.LBB37_414:
	s_or_b32 exec_lo, exec_lo, s6
	v_mov_b32_e32 v84, 0
	ds_read_b128 v[88:91], v84 offset:240
	s_waitcnt lgkmcnt(0)
	v_mul_f64 v[84:85], v[3:4], v[90:91]
	v_mul_f64 v[90:91], v[1:2], v[90:91]
	v_fma_f64 v[1:2], v[1:2], v[88:89], -v[84:85]
	v_fma_f64 v[3:4], v[3:4], v[88:89], v[90:91]
	buffer_store_dword v2, off, s[0:3], 0 offset:244
	buffer_store_dword v1, off, s[0:3], 0 offset:240
	;; [unrolled: 1-line block ×4, first 2 shown]
.LBB37_415:
	s_or_b32 exec_lo, exec_lo, s4
	v_mov_b32_e32 v4, s29
	s_mov_b32 s4, exec_lo
	s_clause 0x3
	buffer_load_dword v1, v4, s[0:3], 0 offen
	buffer_load_dword v2, v4, s[0:3], 0 offen offset:4
	buffer_load_dword v3, v4, s[0:3], 0 offen offset:8
	;; [unrolled: 1-line block ×3, first 2 shown]
	s_waitcnt vmcnt(0)
	ds_write_b128 v82, v[1:4]
	s_waitcnt lgkmcnt(0)
	s_waitcnt_vscnt null, 0x0
	s_barrier
	buffer_gl0_inv
	v_cmpx_gt_u32_e32 16, v0
	s_cbranch_execz .LBB37_423
; %bb.416:
	ds_read_b128 v[1:4], v82
	v_cmp_ne_u32_e32 vcc_lo, 1, v83
	s_cbranch_vccnz .LBB37_418
; %bb.417:
	s_clause 0x3
	buffer_load_dword v84, v81, s[0:3], 0 offen offset:8
	buffer_load_dword v85, v81, s[0:3], 0 offen offset:12
	buffer_load_dword v88, v81, s[0:3], 0 offen
	buffer_load_dword v89, v81, s[0:3], 0 offen offset:4
	s_waitcnt vmcnt(2) lgkmcnt(0)
	v_mul_f64 v[90:91], v[3:4], v[84:85]
	v_mul_f64 v[84:85], v[1:2], v[84:85]
	s_waitcnt vmcnt(0)
	v_fma_f64 v[1:2], v[1:2], v[88:89], -v[90:91]
	v_fma_f64 v[3:4], v[3:4], v[88:89], v[84:85]
.LBB37_418:
	s_mov_b32 s6, exec_lo
	v_cmpx_ne_u32_e32 15, v0
	s_cbranch_execz .LBB37_422
; %bb.419:
	v_add_nc_u32_e32 v84, 0x270, v87
	v_add3_u32 v85, 0, v87, 16
	v_mov_b32_e32 v86, v0
	s_mov_b32 s8, 0
	.p2align	6
.LBB37_420:                             ; =>This Inner Loop Header: Depth=1
	s_clause 0x3
	buffer_load_dword v92, v85, s[0:3], 0 offen offset:8
	buffer_load_dword v93, v85, s[0:3], 0 offen offset:12
	buffer_load_dword v94, v85, s[0:3], 0 offen
	buffer_load_dword v95, v85, s[0:3], 0 offen offset:4
	ds_read_b128 v[88:91], v84
	v_add_nc_u32_e32 v86, 1, v86
	v_add_nc_u32_e32 v84, 16, v84
	;; [unrolled: 1-line block ×3, first 2 shown]
	v_cmp_lt_u32_e32 vcc_lo, 14, v86
	s_or_b32 s8, vcc_lo, s8
	s_waitcnt vmcnt(2) lgkmcnt(0)
	v_mul_f64 v[96:97], v[90:91], v[92:93]
	v_mul_f64 v[92:93], v[88:89], v[92:93]
	s_waitcnt vmcnt(0)
	v_fma_f64 v[88:89], v[88:89], v[94:95], -v[96:97]
	v_fma_f64 v[90:91], v[90:91], v[94:95], v[92:93]
	v_add_f64 v[1:2], v[1:2], v[88:89]
	v_add_f64 v[3:4], v[3:4], v[90:91]
	s_andn2_b32 exec_lo, exec_lo, s8
	s_cbranch_execnz .LBB37_420
; %bb.421:
	s_or_b32 exec_lo, exec_lo, s8
.LBB37_422:
	s_or_b32 exec_lo, exec_lo, s6
	v_mov_b32_e32 v84, 0
	ds_read_b128 v[88:91], v84 offset:256
	s_waitcnt lgkmcnt(0)
	v_mul_f64 v[84:85], v[3:4], v[90:91]
	v_mul_f64 v[90:91], v[1:2], v[90:91]
	v_fma_f64 v[1:2], v[1:2], v[88:89], -v[84:85]
	v_fma_f64 v[3:4], v[3:4], v[88:89], v[90:91]
	buffer_store_dword v2, off, s[0:3], 0 offset:260
	buffer_store_dword v1, off, s[0:3], 0 offset:256
	;; [unrolled: 1-line block ×4, first 2 shown]
.LBB37_423:
	s_or_b32 exec_lo, exec_lo, s4
	v_mov_b32_e32 v4, s28
	s_mov_b32 s4, exec_lo
	s_clause 0x3
	buffer_load_dword v1, v4, s[0:3], 0 offen
	buffer_load_dword v2, v4, s[0:3], 0 offen offset:4
	buffer_load_dword v3, v4, s[0:3], 0 offen offset:8
	;; [unrolled: 1-line block ×3, first 2 shown]
	s_waitcnt vmcnt(0)
	ds_write_b128 v82, v[1:4]
	s_waitcnt lgkmcnt(0)
	s_waitcnt_vscnt null, 0x0
	s_barrier
	buffer_gl0_inv
	v_cmpx_gt_u32_e32 17, v0
	s_cbranch_execz .LBB37_431
; %bb.424:
	ds_read_b128 v[1:4], v82
	v_cmp_ne_u32_e32 vcc_lo, 1, v83
	s_cbranch_vccnz .LBB37_426
; %bb.425:
	s_clause 0x3
	buffer_load_dword v84, v81, s[0:3], 0 offen offset:8
	buffer_load_dword v85, v81, s[0:3], 0 offen offset:12
	buffer_load_dword v88, v81, s[0:3], 0 offen
	buffer_load_dword v89, v81, s[0:3], 0 offen offset:4
	s_waitcnt vmcnt(2) lgkmcnt(0)
	v_mul_f64 v[90:91], v[3:4], v[84:85]
	v_mul_f64 v[84:85], v[1:2], v[84:85]
	s_waitcnt vmcnt(0)
	v_fma_f64 v[1:2], v[1:2], v[88:89], -v[90:91]
	v_fma_f64 v[3:4], v[3:4], v[88:89], v[84:85]
.LBB37_426:
	s_mov_b32 s6, exec_lo
	v_cmpx_ne_u32_e32 16, v0
	s_cbranch_execz .LBB37_430
; %bb.427:
	v_add_nc_u32_e32 v84, 0x270, v87
	v_add3_u32 v85, 0, v87, 16
	v_mov_b32_e32 v86, v0
	s_mov_b32 s8, 0
	.p2align	6
.LBB37_428:                             ; =>This Inner Loop Header: Depth=1
	s_clause 0x3
	buffer_load_dword v92, v85, s[0:3], 0 offen offset:8
	buffer_load_dword v93, v85, s[0:3], 0 offen offset:12
	buffer_load_dword v94, v85, s[0:3], 0 offen
	buffer_load_dword v95, v85, s[0:3], 0 offen offset:4
	ds_read_b128 v[88:91], v84
	v_add_nc_u32_e32 v86, 1, v86
	v_add_nc_u32_e32 v84, 16, v84
	;; [unrolled: 1-line block ×3, first 2 shown]
	v_cmp_lt_u32_e32 vcc_lo, 15, v86
	s_or_b32 s8, vcc_lo, s8
	s_waitcnt vmcnt(2) lgkmcnt(0)
	v_mul_f64 v[96:97], v[90:91], v[92:93]
	v_mul_f64 v[92:93], v[88:89], v[92:93]
	s_waitcnt vmcnt(0)
	v_fma_f64 v[88:89], v[88:89], v[94:95], -v[96:97]
	v_fma_f64 v[90:91], v[90:91], v[94:95], v[92:93]
	v_add_f64 v[1:2], v[1:2], v[88:89]
	v_add_f64 v[3:4], v[3:4], v[90:91]
	s_andn2_b32 exec_lo, exec_lo, s8
	s_cbranch_execnz .LBB37_428
; %bb.429:
	s_or_b32 exec_lo, exec_lo, s8
.LBB37_430:
	s_or_b32 exec_lo, exec_lo, s6
	v_mov_b32_e32 v84, 0
	ds_read_b128 v[88:91], v84 offset:272
	s_waitcnt lgkmcnt(0)
	v_mul_f64 v[84:85], v[3:4], v[90:91]
	v_mul_f64 v[90:91], v[1:2], v[90:91]
	v_fma_f64 v[1:2], v[1:2], v[88:89], -v[84:85]
	v_fma_f64 v[3:4], v[3:4], v[88:89], v[90:91]
	buffer_store_dword v2, off, s[0:3], 0 offset:276
	buffer_store_dword v1, off, s[0:3], 0 offset:272
	;; [unrolled: 1-line block ×4, first 2 shown]
.LBB37_431:
	s_or_b32 exec_lo, exec_lo, s4
	v_mov_b32_e32 v4, s27
	s_mov_b32 s4, exec_lo
	s_clause 0x3
	buffer_load_dword v1, v4, s[0:3], 0 offen
	buffer_load_dword v2, v4, s[0:3], 0 offen offset:4
	buffer_load_dword v3, v4, s[0:3], 0 offen offset:8
	buffer_load_dword v4, v4, s[0:3], 0 offen offset:12
	s_waitcnt vmcnt(0)
	ds_write_b128 v82, v[1:4]
	s_waitcnt lgkmcnt(0)
	s_waitcnt_vscnt null, 0x0
	s_barrier
	buffer_gl0_inv
	v_cmpx_gt_u32_e32 18, v0
	s_cbranch_execz .LBB37_439
; %bb.432:
	ds_read_b128 v[1:4], v82
	v_cmp_ne_u32_e32 vcc_lo, 1, v83
	s_cbranch_vccnz .LBB37_434
; %bb.433:
	s_clause 0x3
	buffer_load_dword v84, v81, s[0:3], 0 offen offset:8
	buffer_load_dword v85, v81, s[0:3], 0 offen offset:12
	buffer_load_dword v88, v81, s[0:3], 0 offen
	buffer_load_dword v89, v81, s[0:3], 0 offen offset:4
	s_waitcnt vmcnt(2) lgkmcnt(0)
	v_mul_f64 v[90:91], v[3:4], v[84:85]
	v_mul_f64 v[84:85], v[1:2], v[84:85]
	s_waitcnt vmcnt(0)
	v_fma_f64 v[1:2], v[1:2], v[88:89], -v[90:91]
	v_fma_f64 v[3:4], v[3:4], v[88:89], v[84:85]
.LBB37_434:
	s_mov_b32 s6, exec_lo
	v_cmpx_ne_u32_e32 17, v0
	s_cbranch_execz .LBB37_438
; %bb.435:
	v_add_nc_u32_e32 v84, 0x270, v87
	v_add3_u32 v85, 0, v87, 16
	v_mov_b32_e32 v86, v0
	s_mov_b32 s8, 0
	.p2align	6
.LBB37_436:                             ; =>This Inner Loop Header: Depth=1
	s_clause 0x3
	buffer_load_dword v92, v85, s[0:3], 0 offen offset:8
	buffer_load_dword v93, v85, s[0:3], 0 offen offset:12
	buffer_load_dword v94, v85, s[0:3], 0 offen
	buffer_load_dword v95, v85, s[0:3], 0 offen offset:4
	ds_read_b128 v[88:91], v84
	v_add_nc_u32_e32 v86, 1, v86
	v_add_nc_u32_e32 v84, 16, v84
	;; [unrolled: 1-line block ×3, first 2 shown]
	v_cmp_lt_u32_e32 vcc_lo, 16, v86
	s_or_b32 s8, vcc_lo, s8
	s_waitcnt vmcnt(2) lgkmcnt(0)
	v_mul_f64 v[96:97], v[90:91], v[92:93]
	v_mul_f64 v[92:93], v[88:89], v[92:93]
	s_waitcnt vmcnt(0)
	v_fma_f64 v[88:89], v[88:89], v[94:95], -v[96:97]
	v_fma_f64 v[90:91], v[90:91], v[94:95], v[92:93]
	v_add_f64 v[1:2], v[1:2], v[88:89]
	v_add_f64 v[3:4], v[3:4], v[90:91]
	s_andn2_b32 exec_lo, exec_lo, s8
	s_cbranch_execnz .LBB37_436
; %bb.437:
	s_or_b32 exec_lo, exec_lo, s8
.LBB37_438:
	s_or_b32 exec_lo, exec_lo, s6
	v_mov_b32_e32 v84, 0
	ds_read_b128 v[88:91], v84 offset:288
	s_waitcnt lgkmcnt(0)
	v_mul_f64 v[84:85], v[3:4], v[90:91]
	v_mul_f64 v[90:91], v[1:2], v[90:91]
	v_fma_f64 v[1:2], v[1:2], v[88:89], -v[84:85]
	v_fma_f64 v[3:4], v[3:4], v[88:89], v[90:91]
	buffer_store_dword v2, off, s[0:3], 0 offset:292
	buffer_store_dword v1, off, s[0:3], 0 offset:288
	;; [unrolled: 1-line block ×4, first 2 shown]
.LBB37_439:
	s_or_b32 exec_lo, exec_lo, s4
	v_mov_b32_e32 v4, s26
	s_mov_b32 s4, exec_lo
	s_clause 0x3
	buffer_load_dword v1, v4, s[0:3], 0 offen
	buffer_load_dword v2, v4, s[0:3], 0 offen offset:4
	buffer_load_dword v3, v4, s[0:3], 0 offen offset:8
	;; [unrolled: 1-line block ×3, first 2 shown]
	s_waitcnt vmcnt(0)
	ds_write_b128 v82, v[1:4]
	s_waitcnt lgkmcnt(0)
	s_waitcnt_vscnt null, 0x0
	s_barrier
	buffer_gl0_inv
	v_cmpx_gt_u32_e32 19, v0
	s_cbranch_execz .LBB37_447
; %bb.440:
	ds_read_b128 v[1:4], v82
	v_cmp_ne_u32_e32 vcc_lo, 1, v83
	s_cbranch_vccnz .LBB37_442
; %bb.441:
	s_clause 0x3
	buffer_load_dword v84, v81, s[0:3], 0 offen offset:8
	buffer_load_dword v85, v81, s[0:3], 0 offen offset:12
	buffer_load_dword v88, v81, s[0:3], 0 offen
	buffer_load_dword v89, v81, s[0:3], 0 offen offset:4
	s_waitcnt vmcnt(2) lgkmcnt(0)
	v_mul_f64 v[90:91], v[3:4], v[84:85]
	v_mul_f64 v[84:85], v[1:2], v[84:85]
	s_waitcnt vmcnt(0)
	v_fma_f64 v[1:2], v[1:2], v[88:89], -v[90:91]
	v_fma_f64 v[3:4], v[3:4], v[88:89], v[84:85]
.LBB37_442:
	s_mov_b32 s6, exec_lo
	v_cmpx_ne_u32_e32 18, v0
	s_cbranch_execz .LBB37_446
; %bb.443:
	v_add_nc_u32_e32 v84, 0x270, v87
	v_add3_u32 v85, 0, v87, 16
	v_mov_b32_e32 v86, v0
	s_mov_b32 s8, 0
	.p2align	6
.LBB37_444:                             ; =>This Inner Loop Header: Depth=1
	s_clause 0x3
	buffer_load_dword v92, v85, s[0:3], 0 offen offset:8
	buffer_load_dword v93, v85, s[0:3], 0 offen offset:12
	buffer_load_dword v94, v85, s[0:3], 0 offen
	buffer_load_dword v95, v85, s[0:3], 0 offen offset:4
	ds_read_b128 v[88:91], v84
	v_add_nc_u32_e32 v86, 1, v86
	v_add_nc_u32_e32 v84, 16, v84
	;; [unrolled: 1-line block ×3, first 2 shown]
	v_cmp_lt_u32_e32 vcc_lo, 17, v86
	s_or_b32 s8, vcc_lo, s8
	s_waitcnt vmcnt(2) lgkmcnt(0)
	v_mul_f64 v[96:97], v[90:91], v[92:93]
	v_mul_f64 v[92:93], v[88:89], v[92:93]
	s_waitcnt vmcnt(0)
	v_fma_f64 v[88:89], v[88:89], v[94:95], -v[96:97]
	v_fma_f64 v[90:91], v[90:91], v[94:95], v[92:93]
	v_add_f64 v[1:2], v[1:2], v[88:89]
	v_add_f64 v[3:4], v[3:4], v[90:91]
	s_andn2_b32 exec_lo, exec_lo, s8
	s_cbranch_execnz .LBB37_444
; %bb.445:
	s_or_b32 exec_lo, exec_lo, s8
.LBB37_446:
	s_or_b32 exec_lo, exec_lo, s6
	v_mov_b32_e32 v84, 0
	ds_read_b128 v[88:91], v84 offset:304
	s_waitcnt lgkmcnt(0)
	v_mul_f64 v[84:85], v[3:4], v[90:91]
	v_mul_f64 v[90:91], v[1:2], v[90:91]
	v_fma_f64 v[1:2], v[1:2], v[88:89], -v[84:85]
	v_fma_f64 v[3:4], v[3:4], v[88:89], v[90:91]
	buffer_store_dword v2, off, s[0:3], 0 offset:308
	buffer_store_dword v1, off, s[0:3], 0 offset:304
	;; [unrolled: 1-line block ×4, first 2 shown]
.LBB37_447:
	s_or_b32 exec_lo, exec_lo, s4
	v_mov_b32_e32 v4, s25
	s_mov_b32 s4, exec_lo
	s_clause 0x3
	buffer_load_dword v1, v4, s[0:3], 0 offen
	buffer_load_dword v2, v4, s[0:3], 0 offen offset:4
	buffer_load_dword v3, v4, s[0:3], 0 offen offset:8
	;; [unrolled: 1-line block ×3, first 2 shown]
	s_waitcnt vmcnt(0)
	ds_write_b128 v82, v[1:4]
	s_waitcnt lgkmcnt(0)
	s_waitcnt_vscnt null, 0x0
	s_barrier
	buffer_gl0_inv
	v_cmpx_gt_u32_e32 20, v0
	s_cbranch_execz .LBB37_455
; %bb.448:
	ds_read_b128 v[1:4], v82
	v_cmp_ne_u32_e32 vcc_lo, 1, v83
	s_cbranch_vccnz .LBB37_450
; %bb.449:
	s_clause 0x3
	buffer_load_dword v84, v81, s[0:3], 0 offen offset:8
	buffer_load_dword v85, v81, s[0:3], 0 offen offset:12
	buffer_load_dword v88, v81, s[0:3], 0 offen
	buffer_load_dword v89, v81, s[0:3], 0 offen offset:4
	s_waitcnt vmcnt(2) lgkmcnt(0)
	v_mul_f64 v[90:91], v[3:4], v[84:85]
	v_mul_f64 v[84:85], v[1:2], v[84:85]
	s_waitcnt vmcnt(0)
	v_fma_f64 v[1:2], v[1:2], v[88:89], -v[90:91]
	v_fma_f64 v[3:4], v[3:4], v[88:89], v[84:85]
.LBB37_450:
	s_mov_b32 s6, exec_lo
	v_cmpx_ne_u32_e32 19, v0
	s_cbranch_execz .LBB37_454
; %bb.451:
	v_add_nc_u32_e32 v84, 0x270, v87
	v_add3_u32 v85, 0, v87, 16
	v_mov_b32_e32 v86, v0
	s_mov_b32 s8, 0
	.p2align	6
.LBB37_452:                             ; =>This Inner Loop Header: Depth=1
	s_clause 0x3
	buffer_load_dword v92, v85, s[0:3], 0 offen offset:8
	buffer_load_dword v93, v85, s[0:3], 0 offen offset:12
	buffer_load_dword v94, v85, s[0:3], 0 offen
	buffer_load_dword v95, v85, s[0:3], 0 offen offset:4
	ds_read_b128 v[88:91], v84
	v_add_nc_u32_e32 v86, 1, v86
	v_add_nc_u32_e32 v84, 16, v84
	;; [unrolled: 1-line block ×3, first 2 shown]
	v_cmp_lt_u32_e32 vcc_lo, 18, v86
	s_or_b32 s8, vcc_lo, s8
	s_waitcnt vmcnt(2) lgkmcnt(0)
	v_mul_f64 v[96:97], v[90:91], v[92:93]
	v_mul_f64 v[92:93], v[88:89], v[92:93]
	s_waitcnt vmcnt(0)
	v_fma_f64 v[88:89], v[88:89], v[94:95], -v[96:97]
	v_fma_f64 v[90:91], v[90:91], v[94:95], v[92:93]
	v_add_f64 v[1:2], v[1:2], v[88:89]
	v_add_f64 v[3:4], v[3:4], v[90:91]
	s_andn2_b32 exec_lo, exec_lo, s8
	s_cbranch_execnz .LBB37_452
; %bb.453:
	s_or_b32 exec_lo, exec_lo, s8
.LBB37_454:
	s_or_b32 exec_lo, exec_lo, s6
	v_mov_b32_e32 v84, 0
	ds_read_b128 v[88:91], v84 offset:320
	s_waitcnt lgkmcnt(0)
	v_mul_f64 v[84:85], v[3:4], v[90:91]
	v_mul_f64 v[90:91], v[1:2], v[90:91]
	v_fma_f64 v[1:2], v[1:2], v[88:89], -v[84:85]
	v_fma_f64 v[3:4], v[3:4], v[88:89], v[90:91]
	buffer_store_dword v2, off, s[0:3], 0 offset:324
	buffer_store_dword v1, off, s[0:3], 0 offset:320
	;; [unrolled: 1-line block ×4, first 2 shown]
.LBB37_455:
	s_or_b32 exec_lo, exec_lo, s4
	v_mov_b32_e32 v4, s24
	s_mov_b32 s4, exec_lo
	s_clause 0x3
	buffer_load_dword v1, v4, s[0:3], 0 offen
	buffer_load_dword v2, v4, s[0:3], 0 offen offset:4
	buffer_load_dword v3, v4, s[0:3], 0 offen offset:8
	;; [unrolled: 1-line block ×3, first 2 shown]
	s_waitcnt vmcnt(0)
	ds_write_b128 v82, v[1:4]
	s_waitcnt lgkmcnt(0)
	s_waitcnt_vscnt null, 0x0
	s_barrier
	buffer_gl0_inv
	v_cmpx_gt_u32_e32 21, v0
	s_cbranch_execz .LBB37_463
; %bb.456:
	ds_read_b128 v[1:4], v82
	v_cmp_ne_u32_e32 vcc_lo, 1, v83
	s_cbranch_vccnz .LBB37_458
; %bb.457:
	s_clause 0x3
	buffer_load_dword v84, v81, s[0:3], 0 offen offset:8
	buffer_load_dword v85, v81, s[0:3], 0 offen offset:12
	buffer_load_dword v88, v81, s[0:3], 0 offen
	buffer_load_dword v89, v81, s[0:3], 0 offen offset:4
	s_waitcnt vmcnt(2) lgkmcnt(0)
	v_mul_f64 v[90:91], v[3:4], v[84:85]
	v_mul_f64 v[84:85], v[1:2], v[84:85]
	s_waitcnt vmcnt(0)
	v_fma_f64 v[1:2], v[1:2], v[88:89], -v[90:91]
	v_fma_f64 v[3:4], v[3:4], v[88:89], v[84:85]
.LBB37_458:
	s_mov_b32 s6, exec_lo
	v_cmpx_ne_u32_e32 20, v0
	s_cbranch_execz .LBB37_462
; %bb.459:
	v_add_nc_u32_e32 v84, 0x270, v87
	v_add3_u32 v85, 0, v87, 16
	v_mov_b32_e32 v86, v0
	s_mov_b32 s8, 0
	.p2align	6
.LBB37_460:                             ; =>This Inner Loop Header: Depth=1
	s_clause 0x3
	buffer_load_dword v92, v85, s[0:3], 0 offen offset:8
	buffer_load_dword v93, v85, s[0:3], 0 offen offset:12
	buffer_load_dword v94, v85, s[0:3], 0 offen
	buffer_load_dword v95, v85, s[0:3], 0 offen offset:4
	ds_read_b128 v[88:91], v84
	v_add_nc_u32_e32 v86, 1, v86
	v_add_nc_u32_e32 v84, 16, v84
	;; [unrolled: 1-line block ×3, first 2 shown]
	v_cmp_lt_u32_e32 vcc_lo, 19, v86
	s_or_b32 s8, vcc_lo, s8
	s_waitcnt vmcnt(2) lgkmcnt(0)
	v_mul_f64 v[96:97], v[90:91], v[92:93]
	v_mul_f64 v[92:93], v[88:89], v[92:93]
	s_waitcnt vmcnt(0)
	v_fma_f64 v[88:89], v[88:89], v[94:95], -v[96:97]
	v_fma_f64 v[90:91], v[90:91], v[94:95], v[92:93]
	v_add_f64 v[1:2], v[1:2], v[88:89]
	v_add_f64 v[3:4], v[3:4], v[90:91]
	s_andn2_b32 exec_lo, exec_lo, s8
	s_cbranch_execnz .LBB37_460
; %bb.461:
	s_or_b32 exec_lo, exec_lo, s8
.LBB37_462:
	s_or_b32 exec_lo, exec_lo, s6
	v_mov_b32_e32 v84, 0
	ds_read_b128 v[88:91], v84 offset:336
	s_waitcnt lgkmcnt(0)
	v_mul_f64 v[84:85], v[3:4], v[90:91]
	v_mul_f64 v[90:91], v[1:2], v[90:91]
	v_fma_f64 v[1:2], v[1:2], v[88:89], -v[84:85]
	v_fma_f64 v[3:4], v[3:4], v[88:89], v[90:91]
	buffer_store_dword v2, off, s[0:3], 0 offset:340
	buffer_store_dword v1, off, s[0:3], 0 offset:336
	;; [unrolled: 1-line block ×4, first 2 shown]
.LBB37_463:
	s_or_b32 exec_lo, exec_lo, s4
	v_mov_b32_e32 v4, s23
	s_mov_b32 s4, exec_lo
	s_clause 0x3
	buffer_load_dword v1, v4, s[0:3], 0 offen
	buffer_load_dword v2, v4, s[0:3], 0 offen offset:4
	buffer_load_dword v3, v4, s[0:3], 0 offen offset:8
	;; [unrolled: 1-line block ×3, first 2 shown]
	s_waitcnt vmcnt(0)
	ds_write_b128 v82, v[1:4]
	s_waitcnt lgkmcnt(0)
	s_waitcnt_vscnt null, 0x0
	s_barrier
	buffer_gl0_inv
	v_cmpx_gt_u32_e32 22, v0
	s_cbranch_execz .LBB37_471
; %bb.464:
	ds_read_b128 v[1:4], v82
	v_cmp_ne_u32_e32 vcc_lo, 1, v83
	s_cbranch_vccnz .LBB37_466
; %bb.465:
	s_clause 0x3
	buffer_load_dword v84, v81, s[0:3], 0 offen offset:8
	buffer_load_dword v85, v81, s[0:3], 0 offen offset:12
	buffer_load_dword v88, v81, s[0:3], 0 offen
	buffer_load_dword v89, v81, s[0:3], 0 offen offset:4
	s_waitcnt vmcnt(2) lgkmcnt(0)
	v_mul_f64 v[90:91], v[3:4], v[84:85]
	v_mul_f64 v[84:85], v[1:2], v[84:85]
	s_waitcnt vmcnt(0)
	v_fma_f64 v[1:2], v[1:2], v[88:89], -v[90:91]
	v_fma_f64 v[3:4], v[3:4], v[88:89], v[84:85]
.LBB37_466:
	s_mov_b32 s6, exec_lo
	v_cmpx_ne_u32_e32 21, v0
	s_cbranch_execz .LBB37_470
; %bb.467:
	v_add_nc_u32_e32 v84, 0x270, v87
	v_add3_u32 v85, 0, v87, 16
	v_mov_b32_e32 v86, v0
	s_mov_b32 s8, 0
	.p2align	6
.LBB37_468:                             ; =>This Inner Loop Header: Depth=1
	s_clause 0x3
	buffer_load_dword v92, v85, s[0:3], 0 offen offset:8
	buffer_load_dword v93, v85, s[0:3], 0 offen offset:12
	buffer_load_dword v94, v85, s[0:3], 0 offen
	buffer_load_dword v95, v85, s[0:3], 0 offen offset:4
	ds_read_b128 v[88:91], v84
	v_add_nc_u32_e32 v86, 1, v86
	v_add_nc_u32_e32 v84, 16, v84
	;; [unrolled: 1-line block ×3, first 2 shown]
	v_cmp_lt_u32_e32 vcc_lo, 20, v86
	s_or_b32 s8, vcc_lo, s8
	s_waitcnt vmcnt(2) lgkmcnt(0)
	v_mul_f64 v[96:97], v[90:91], v[92:93]
	v_mul_f64 v[92:93], v[88:89], v[92:93]
	s_waitcnt vmcnt(0)
	v_fma_f64 v[88:89], v[88:89], v[94:95], -v[96:97]
	v_fma_f64 v[90:91], v[90:91], v[94:95], v[92:93]
	v_add_f64 v[1:2], v[1:2], v[88:89]
	v_add_f64 v[3:4], v[3:4], v[90:91]
	s_andn2_b32 exec_lo, exec_lo, s8
	s_cbranch_execnz .LBB37_468
; %bb.469:
	s_or_b32 exec_lo, exec_lo, s8
.LBB37_470:
	s_or_b32 exec_lo, exec_lo, s6
	v_mov_b32_e32 v84, 0
	ds_read_b128 v[88:91], v84 offset:352
	s_waitcnt lgkmcnt(0)
	v_mul_f64 v[84:85], v[3:4], v[90:91]
	v_mul_f64 v[90:91], v[1:2], v[90:91]
	v_fma_f64 v[1:2], v[1:2], v[88:89], -v[84:85]
	v_fma_f64 v[3:4], v[3:4], v[88:89], v[90:91]
	buffer_store_dword v2, off, s[0:3], 0 offset:356
	buffer_store_dword v1, off, s[0:3], 0 offset:352
	;; [unrolled: 1-line block ×4, first 2 shown]
.LBB37_471:
	s_or_b32 exec_lo, exec_lo, s4
	v_mov_b32_e32 v4, s22
	s_mov_b32 s4, exec_lo
	s_clause 0x3
	buffer_load_dword v1, v4, s[0:3], 0 offen
	buffer_load_dword v2, v4, s[0:3], 0 offen offset:4
	buffer_load_dword v3, v4, s[0:3], 0 offen offset:8
	;; [unrolled: 1-line block ×3, first 2 shown]
	s_waitcnt vmcnt(0)
	ds_write_b128 v82, v[1:4]
	s_waitcnt lgkmcnt(0)
	s_waitcnt_vscnt null, 0x0
	s_barrier
	buffer_gl0_inv
	v_cmpx_gt_u32_e32 23, v0
	s_cbranch_execz .LBB37_479
; %bb.472:
	ds_read_b128 v[1:4], v82
	v_cmp_ne_u32_e32 vcc_lo, 1, v83
	s_cbranch_vccnz .LBB37_474
; %bb.473:
	s_clause 0x3
	buffer_load_dword v84, v81, s[0:3], 0 offen offset:8
	buffer_load_dword v85, v81, s[0:3], 0 offen offset:12
	buffer_load_dword v88, v81, s[0:3], 0 offen
	buffer_load_dword v89, v81, s[0:3], 0 offen offset:4
	s_waitcnt vmcnt(2) lgkmcnt(0)
	v_mul_f64 v[90:91], v[3:4], v[84:85]
	v_mul_f64 v[84:85], v[1:2], v[84:85]
	s_waitcnt vmcnt(0)
	v_fma_f64 v[1:2], v[1:2], v[88:89], -v[90:91]
	v_fma_f64 v[3:4], v[3:4], v[88:89], v[84:85]
.LBB37_474:
	s_mov_b32 s6, exec_lo
	v_cmpx_ne_u32_e32 22, v0
	s_cbranch_execz .LBB37_478
; %bb.475:
	v_add_nc_u32_e32 v84, 0x270, v87
	v_add3_u32 v85, 0, v87, 16
	v_mov_b32_e32 v86, v0
	s_mov_b32 s8, 0
	.p2align	6
.LBB37_476:                             ; =>This Inner Loop Header: Depth=1
	s_clause 0x3
	buffer_load_dword v92, v85, s[0:3], 0 offen offset:8
	buffer_load_dword v93, v85, s[0:3], 0 offen offset:12
	buffer_load_dword v94, v85, s[0:3], 0 offen
	buffer_load_dword v95, v85, s[0:3], 0 offen offset:4
	ds_read_b128 v[88:91], v84
	v_add_nc_u32_e32 v86, 1, v86
	v_add_nc_u32_e32 v84, 16, v84
	;; [unrolled: 1-line block ×3, first 2 shown]
	v_cmp_lt_u32_e32 vcc_lo, 21, v86
	s_or_b32 s8, vcc_lo, s8
	s_waitcnt vmcnt(2) lgkmcnt(0)
	v_mul_f64 v[96:97], v[90:91], v[92:93]
	v_mul_f64 v[92:93], v[88:89], v[92:93]
	s_waitcnt vmcnt(0)
	v_fma_f64 v[88:89], v[88:89], v[94:95], -v[96:97]
	v_fma_f64 v[90:91], v[90:91], v[94:95], v[92:93]
	v_add_f64 v[1:2], v[1:2], v[88:89]
	v_add_f64 v[3:4], v[3:4], v[90:91]
	s_andn2_b32 exec_lo, exec_lo, s8
	s_cbranch_execnz .LBB37_476
; %bb.477:
	s_or_b32 exec_lo, exec_lo, s8
.LBB37_478:
	s_or_b32 exec_lo, exec_lo, s6
	v_mov_b32_e32 v84, 0
	ds_read_b128 v[88:91], v84 offset:368
	s_waitcnt lgkmcnt(0)
	v_mul_f64 v[84:85], v[3:4], v[90:91]
	v_mul_f64 v[90:91], v[1:2], v[90:91]
	v_fma_f64 v[1:2], v[1:2], v[88:89], -v[84:85]
	v_fma_f64 v[3:4], v[3:4], v[88:89], v[90:91]
	buffer_store_dword v2, off, s[0:3], 0 offset:372
	buffer_store_dword v1, off, s[0:3], 0 offset:368
	;; [unrolled: 1-line block ×4, first 2 shown]
.LBB37_479:
	s_or_b32 exec_lo, exec_lo, s4
	v_mov_b32_e32 v4, s21
	s_mov_b32 s4, exec_lo
	s_clause 0x3
	buffer_load_dword v1, v4, s[0:3], 0 offen
	buffer_load_dword v2, v4, s[0:3], 0 offen offset:4
	buffer_load_dword v3, v4, s[0:3], 0 offen offset:8
	;; [unrolled: 1-line block ×3, first 2 shown]
	s_waitcnt vmcnt(0)
	ds_write_b128 v82, v[1:4]
	s_waitcnt lgkmcnt(0)
	s_waitcnt_vscnt null, 0x0
	s_barrier
	buffer_gl0_inv
	v_cmpx_gt_u32_e32 24, v0
	s_cbranch_execz .LBB37_487
; %bb.480:
	ds_read_b128 v[1:4], v82
	v_cmp_ne_u32_e32 vcc_lo, 1, v83
	s_cbranch_vccnz .LBB37_482
; %bb.481:
	s_clause 0x3
	buffer_load_dword v84, v81, s[0:3], 0 offen offset:8
	buffer_load_dword v85, v81, s[0:3], 0 offen offset:12
	buffer_load_dword v88, v81, s[0:3], 0 offen
	buffer_load_dword v89, v81, s[0:3], 0 offen offset:4
	s_waitcnt vmcnt(2) lgkmcnt(0)
	v_mul_f64 v[90:91], v[3:4], v[84:85]
	v_mul_f64 v[84:85], v[1:2], v[84:85]
	s_waitcnt vmcnt(0)
	v_fma_f64 v[1:2], v[1:2], v[88:89], -v[90:91]
	v_fma_f64 v[3:4], v[3:4], v[88:89], v[84:85]
.LBB37_482:
	s_mov_b32 s6, exec_lo
	v_cmpx_ne_u32_e32 23, v0
	s_cbranch_execz .LBB37_486
; %bb.483:
	v_add_nc_u32_e32 v84, 0x270, v87
	v_add3_u32 v85, 0, v87, 16
	v_mov_b32_e32 v86, v0
	s_mov_b32 s8, 0
	.p2align	6
.LBB37_484:                             ; =>This Inner Loop Header: Depth=1
	s_clause 0x3
	buffer_load_dword v92, v85, s[0:3], 0 offen offset:8
	buffer_load_dword v93, v85, s[0:3], 0 offen offset:12
	buffer_load_dword v94, v85, s[0:3], 0 offen
	buffer_load_dword v95, v85, s[0:3], 0 offen offset:4
	ds_read_b128 v[88:91], v84
	v_add_nc_u32_e32 v86, 1, v86
	v_add_nc_u32_e32 v84, 16, v84
	v_add_nc_u32_e32 v85, 16, v85
	v_cmp_lt_u32_e32 vcc_lo, 22, v86
	s_or_b32 s8, vcc_lo, s8
	s_waitcnt vmcnt(2) lgkmcnt(0)
	v_mul_f64 v[96:97], v[90:91], v[92:93]
	v_mul_f64 v[92:93], v[88:89], v[92:93]
	s_waitcnt vmcnt(0)
	v_fma_f64 v[88:89], v[88:89], v[94:95], -v[96:97]
	v_fma_f64 v[90:91], v[90:91], v[94:95], v[92:93]
	v_add_f64 v[1:2], v[1:2], v[88:89]
	v_add_f64 v[3:4], v[3:4], v[90:91]
	s_andn2_b32 exec_lo, exec_lo, s8
	s_cbranch_execnz .LBB37_484
; %bb.485:
	s_or_b32 exec_lo, exec_lo, s8
.LBB37_486:
	s_or_b32 exec_lo, exec_lo, s6
	v_mov_b32_e32 v84, 0
	ds_read_b128 v[88:91], v84 offset:384
	s_waitcnt lgkmcnt(0)
	v_mul_f64 v[84:85], v[3:4], v[90:91]
	v_mul_f64 v[90:91], v[1:2], v[90:91]
	v_fma_f64 v[1:2], v[1:2], v[88:89], -v[84:85]
	v_fma_f64 v[3:4], v[3:4], v[88:89], v[90:91]
	buffer_store_dword v2, off, s[0:3], 0 offset:388
	buffer_store_dword v1, off, s[0:3], 0 offset:384
	buffer_store_dword v4, off, s[0:3], 0 offset:396
	buffer_store_dword v3, off, s[0:3], 0 offset:392
.LBB37_487:
	s_or_b32 exec_lo, exec_lo, s4
	v_mov_b32_e32 v4, s20
	s_mov_b32 s4, exec_lo
	s_clause 0x3
	buffer_load_dword v1, v4, s[0:3], 0 offen
	buffer_load_dword v2, v4, s[0:3], 0 offen offset:4
	buffer_load_dword v3, v4, s[0:3], 0 offen offset:8
	;; [unrolled: 1-line block ×3, first 2 shown]
	s_waitcnt vmcnt(0)
	ds_write_b128 v82, v[1:4]
	s_waitcnt lgkmcnt(0)
	s_waitcnt_vscnt null, 0x0
	s_barrier
	buffer_gl0_inv
	v_cmpx_gt_u32_e32 25, v0
	s_cbranch_execz .LBB37_495
; %bb.488:
	ds_read_b128 v[1:4], v82
	v_cmp_ne_u32_e32 vcc_lo, 1, v83
	s_cbranch_vccnz .LBB37_490
; %bb.489:
	s_clause 0x3
	buffer_load_dword v84, v81, s[0:3], 0 offen offset:8
	buffer_load_dword v85, v81, s[0:3], 0 offen offset:12
	buffer_load_dword v88, v81, s[0:3], 0 offen
	buffer_load_dword v89, v81, s[0:3], 0 offen offset:4
	s_waitcnt vmcnt(2) lgkmcnt(0)
	v_mul_f64 v[90:91], v[3:4], v[84:85]
	v_mul_f64 v[84:85], v[1:2], v[84:85]
	s_waitcnt vmcnt(0)
	v_fma_f64 v[1:2], v[1:2], v[88:89], -v[90:91]
	v_fma_f64 v[3:4], v[3:4], v[88:89], v[84:85]
.LBB37_490:
	s_mov_b32 s6, exec_lo
	v_cmpx_ne_u32_e32 24, v0
	s_cbranch_execz .LBB37_494
; %bb.491:
	v_add_nc_u32_e32 v84, 0x270, v87
	v_add3_u32 v85, 0, v87, 16
	v_mov_b32_e32 v86, v0
	s_mov_b32 s8, 0
	.p2align	6
.LBB37_492:                             ; =>This Inner Loop Header: Depth=1
	s_clause 0x3
	buffer_load_dword v92, v85, s[0:3], 0 offen offset:8
	buffer_load_dword v93, v85, s[0:3], 0 offen offset:12
	buffer_load_dword v94, v85, s[0:3], 0 offen
	buffer_load_dword v95, v85, s[0:3], 0 offen offset:4
	ds_read_b128 v[88:91], v84
	v_add_nc_u32_e32 v86, 1, v86
	v_add_nc_u32_e32 v84, 16, v84
	;; [unrolled: 1-line block ×3, first 2 shown]
	v_cmp_lt_u32_e32 vcc_lo, 23, v86
	s_or_b32 s8, vcc_lo, s8
	s_waitcnt vmcnt(2) lgkmcnt(0)
	v_mul_f64 v[96:97], v[90:91], v[92:93]
	v_mul_f64 v[92:93], v[88:89], v[92:93]
	s_waitcnt vmcnt(0)
	v_fma_f64 v[88:89], v[88:89], v[94:95], -v[96:97]
	v_fma_f64 v[90:91], v[90:91], v[94:95], v[92:93]
	v_add_f64 v[1:2], v[1:2], v[88:89]
	v_add_f64 v[3:4], v[3:4], v[90:91]
	s_andn2_b32 exec_lo, exec_lo, s8
	s_cbranch_execnz .LBB37_492
; %bb.493:
	s_or_b32 exec_lo, exec_lo, s8
.LBB37_494:
	s_or_b32 exec_lo, exec_lo, s6
	v_mov_b32_e32 v84, 0
	ds_read_b128 v[88:91], v84 offset:400
	s_waitcnt lgkmcnt(0)
	v_mul_f64 v[84:85], v[3:4], v[90:91]
	v_mul_f64 v[90:91], v[1:2], v[90:91]
	v_fma_f64 v[1:2], v[1:2], v[88:89], -v[84:85]
	v_fma_f64 v[3:4], v[3:4], v[88:89], v[90:91]
	buffer_store_dword v2, off, s[0:3], 0 offset:404
	buffer_store_dword v1, off, s[0:3], 0 offset:400
	;; [unrolled: 1-line block ×4, first 2 shown]
.LBB37_495:
	s_or_b32 exec_lo, exec_lo, s4
	v_mov_b32_e32 v4, s19
	s_mov_b32 s4, exec_lo
	s_clause 0x3
	buffer_load_dword v1, v4, s[0:3], 0 offen
	buffer_load_dword v2, v4, s[0:3], 0 offen offset:4
	buffer_load_dword v3, v4, s[0:3], 0 offen offset:8
	;; [unrolled: 1-line block ×3, first 2 shown]
	s_waitcnt vmcnt(0)
	ds_write_b128 v82, v[1:4]
	s_waitcnt lgkmcnt(0)
	s_waitcnt_vscnt null, 0x0
	s_barrier
	buffer_gl0_inv
	v_cmpx_gt_u32_e32 26, v0
	s_cbranch_execz .LBB37_503
; %bb.496:
	ds_read_b128 v[1:4], v82
	v_cmp_ne_u32_e32 vcc_lo, 1, v83
	s_cbranch_vccnz .LBB37_498
; %bb.497:
	s_clause 0x3
	buffer_load_dword v84, v81, s[0:3], 0 offen offset:8
	buffer_load_dword v85, v81, s[0:3], 0 offen offset:12
	buffer_load_dword v88, v81, s[0:3], 0 offen
	buffer_load_dword v89, v81, s[0:3], 0 offen offset:4
	s_waitcnt vmcnt(2) lgkmcnt(0)
	v_mul_f64 v[90:91], v[3:4], v[84:85]
	v_mul_f64 v[84:85], v[1:2], v[84:85]
	s_waitcnt vmcnt(0)
	v_fma_f64 v[1:2], v[1:2], v[88:89], -v[90:91]
	v_fma_f64 v[3:4], v[3:4], v[88:89], v[84:85]
.LBB37_498:
	s_mov_b32 s6, exec_lo
	v_cmpx_ne_u32_e32 25, v0
	s_cbranch_execz .LBB37_502
; %bb.499:
	v_add_nc_u32_e32 v84, 0x270, v87
	v_add3_u32 v85, 0, v87, 16
	v_mov_b32_e32 v86, v0
	s_mov_b32 s8, 0
	.p2align	6
.LBB37_500:                             ; =>This Inner Loop Header: Depth=1
	s_clause 0x3
	buffer_load_dword v92, v85, s[0:3], 0 offen offset:8
	buffer_load_dword v93, v85, s[0:3], 0 offen offset:12
	buffer_load_dword v94, v85, s[0:3], 0 offen
	buffer_load_dword v95, v85, s[0:3], 0 offen offset:4
	ds_read_b128 v[88:91], v84
	v_add_nc_u32_e32 v86, 1, v86
	v_add_nc_u32_e32 v84, 16, v84
	;; [unrolled: 1-line block ×3, first 2 shown]
	v_cmp_lt_u32_e32 vcc_lo, 24, v86
	s_or_b32 s8, vcc_lo, s8
	s_waitcnt vmcnt(2) lgkmcnt(0)
	v_mul_f64 v[96:97], v[90:91], v[92:93]
	v_mul_f64 v[92:93], v[88:89], v[92:93]
	s_waitcnt vmcnt(0)
	v_fma_f64 v[88:89], v[88:89], v[94:95], -v[96:97]
	v_fma_f64 v[90:91], v[90:91], v[94:95], v[92:93]
	v_add_f64 v[1:2], v[1:2], v[88:89]
	v_add_f64 v[3:4], v[3:4], v[90:91]
	s_andn2_b32 exec_lo, exec_lo, s8
	s_cbranch_execnz .LBB37_500
; %bb.501:
	s_or_b32 exec_lo, exec_lo, s8
.LBB37_502:
	s_or_b32 exec_lo, exec_lo, s6
	v_mov_b32_e32 v84, 0
	ds_read_b128 v[88:91], v84 offset:416
	s_waitcnt lgkmcnt(0)
	v_mul_f64 v[84:85], v[3:4], v[90:91]
	v_mul_f64 v[90:91], v[1:2], v[90:91]
	v_fma_f64 v[1:2], v[1:2], v[88:89], -v[84:85]
	v_fma_f64 v[3:4], v[3:4], v[88:89], v[90:91]
	buffer_store_dword v2, off, s[0:3], 0 offset:420
	buffer_store_dword v1, off, s[0:3], 0 offset:416
	;; [unrolled: 1-line block ×4, first 2 shown]
.LBB37_503:
	s_or_b32 exec_lo, exec_lo, s4
	v_mov_b32_e32 v4, s18
	s_mov_b32 s4, exec_lo
	s_clause 0x3
	buffer_load_dword v1, v4, s[0:3], 0 offen
	buffer_load_dword v2, v4, s[0:3], 0 offen offset:4
	buffer_load_dword v3, v4, s[0:3], 0 offen offset:8
	;; [unrolled: 1-line block ×3, first 2 shown]
	s_waitcnt vmcnt(0)
	ds_write_b128 v82, v[1:4]
	s_waitcnt lgkmcnt(0)
	s_waitcnt_vscnt null, 0x0
	s_barrier
	buffer_gl0_inv
	v_cmpx_gt_u32_e32 27, v0
	s_cbranch_execz .LBB37_511
; %bb.504:
	ds_read_b128 v[1:4], v82
	v_cmp_ne_u32_e32 vcc_lo, 1, v83
	s_cbranch_vccnz .LBB37_506
; %bb.505:
	s_clause 0x3
	buffer_load_dword v84, v81, s[0:3], 0 offen offset:8
	buffer_load_dword v85, v81, s[0:3], 0 offen offset:12
	buffer_load_dword v88, v81, s[0:3], 0 offen
	buffer_load_dword v89, v81, s[0:3], 0 offen offset:4
	s_waitcnt vmcnt(2) lgkmcnt(0)
	v_mul_f64 v[90:91], v[3:4], v[84:85]
	v_mul_f64 v[84:85], v[1:2], v[84:85]
	s_waitcnt vmcnt(0)
	v_fma_f64 v[1:2], v[1:2], v[88:89], -v[90:91]
	v_fma_f64 v[3:4], v[3:4], v[88:89], v[84:85]
.LBB37_506:
	s_mov_b32 s6, exec_lo
	v_cmpx_ne_u32_e32 26, v0
	s_cbranch_execz .LBB37_510
; %bb.507:
	v_add_nc_u32_e32 v84, 0x270, v87
	v_add3_u32 v85, 0, v87, 16
	v_mov_b32_e32 v86, v0
	s_mov_b32 s8, 0
	.p2align	6
.LBB37_508:                             ; =>This Inner Loop Header: Depth=1
	s_clause 0x3
	buffer_load_dword v92, v85, s[0:3], 0 offen offset:8
	buffer_load_dword v93, v85, s[0:3], 0 offen offset:12
	buffer_load_dword v94, v85, s[0:3], 0 offen
	buffer_load_dword v95, v85, s[0:3], 0 offen offset:4
	ds_read_b128 v[88:91], v84
	v_add_nc_u32_e32 v86, 1, v86
	v_add_nc_u32_e32 v84, 16, v84
	;; [unrolled: 1-line block ×3, first 2 shown]
	v_cmp_lt_u32_e32 vcc_lo, 25, v86
	s_or_b32 s8, vcc_lo, s8
	s_waitcnt vmcnt(2) lgkmcnt(0)
	v_mul_f64 v[96:97], v[90:91], v[92:93]
	v_mul_f64 v[92:93], v[88:89], v[92:93]
	s_waitcnt vmcnt(0)
	v_fma_f64 v[88:89], v[88:89], v[94:95], -v[96:97]
	v_fma_f64 v[90:91], v[90:91], v[94:95], v[92:93]
	v_add_f64 v[1:2], v[1:2], v[88:89]
	v_add_f64 v[3:4], v[3:4], v[90:91]
	s_andn2_b32 exec_lo, exec_lo, s8
	s_cbranch_execnz .LBB37_508
; %bb.509:
	s_or_b32 exec_lo, exec_lo, s8
.LBB37_510:
	s_or_b32 exec_lo, exec_lo, s6
	v_mov_b32_e32 v84, 0
	ds_read_b128 v[88:91], v84 offset:432
	s_waitcnt lgkmcnt(0)
	v_mul_f64 v[84:85], v[3:4], v[90:91]
	v_mul_f64 v[90:91], v[1:2], v[90:91]
	v_fma_f64 v[1:2], v[1:2], v[88:89], -v[84:85]
	v_fma_f64 v[3:4], v[3:4], v[88:89], v[90:91]
	buffer_store_dword v2, off, s[0:3], 0 offset:436
	buffer_store_dword v1, off, s[0:3], 0 offset:432
	;; [unrolled: 1-line block ×4, first 2 shown]
.LBB37_511:
	s_or_b32 exec_lo, exec_lo, s4
	v_mov_b32_e32 v4, s17
	s_mov_b32 s4, exec_lo
	s_clause 0x3
	buffer_load_dword v1, v4, s[0:3], 0 offen
	buffer_load_dword v2, v4, s[0:3], 0 offen offset:4
	buffer_load_dword v3, v4, s[0:3], 0 offen offset:8
	;; [unrolled: 1-line block ×3, first 2 shown]
	s_waitcnt vmcnt(0)
	ds_write_b128 v82, v[1:4]
	s_waitcnt lgkmcnt(0)
	s_waitcnt_vscnt null, 0x0
	s_barrier
	buffer_gl0_inv
	v_cmpx_gt_u32_e32 28, v0
	s_cbranch_execz .LBB37_519
; %bb.512:
	ds_read_b128 v[1:4], v82
	v_cmp_ne_u32_e32 vcc_lo, 1, v83
	s_cbranch_vccnz .LBB37_514
; %bb.513:
	s_clause 0x3
	buffer_load_dword v84, v81, s[0:3], 0 offen offset:8
	buffer_load_dword v85, v81, s[0:3], 0 offen offset:12
	buffer_load_dword v88, v81, s[0:3], 0 offen
	buffer_load_dword v89, v81, s[0:3], 0 offen offset:4
	s_waitcnt vmcnt(2) lgkmcnt(0)
	v_mul_f64 v[90:91], v[3:4], v[84:85]
	v_mul_f64 v[84:85], v[1:2], v[84:85]
	s_waitcnt vmcnt(0)
	v_fma_f64 v[1:2], v[1:2], v[88:89], -v[90:91]
	v_fma_f64 v[3:4], v[3:4], v[88:89], v[84:85]
.LBB37_514:
	s_mov_b32 s6, exec_lo
	v_cmpx_ne_u32_e32 27, v0
	s_cbranch_execz .LBB37_518
; %bb.515:
	v_add_nc_u32_e32 v84, 0x270, v87
	v_add3_u32 v85, 0, v87, 16
	v_mov_b32_e32 v86, v0
	s_mov_b32 s8, 0
	.p2align	6
.LBB37_516:                             ; =>This Inner Loop Header: Depth=1
	s_clause 0x3
	buffer_load_dword v92, v85, s[0:3], 0 offen offset:8
	buffer_load_dword v93, v85, s[0:3], 0 offen offset:12
	buffer_load_dword v94, v85, s[0:3], 0 offen
	buffer_load_dword v95, v85, s[0:3], 0 offen offset:4
	ds_read_b128 v[88:91], v84
	v_add_nc_u32_e32 v86, 1, v86
	v_add_nc_u32_e32 v84, 16, v84
	;; [unrolled: 1-line block ×3, first 2 shown]
	v_cmp_lt_u32_e32 vcc_lo, 26, v86
	s_or_b32 s8, vcc_lo, s8
	s_waitcnt vmcnt(2) lgkmcnt(0)
	v_mul_f64 v[96:97], v[90:91], v[92:93]
	v_mul_f64 v[92:93], v[88:89], v[92:93]
	s_waitcnt vmcnt(0)
	v_fma_f64 v[88:89], v[88:89], v[94:95], -v[96:97]
	v_fma_f64 v[90:91], v[90:91], v[94:95], v[92:93]
	v_add_f64 v[1:2], v[1:2], v[88:89]
	v_add_f64 v[3:4], v[3:4], v[90:91]
	s_andn2_b32 exec_lo, exec_lo, s8
	s_cbranch_execnz .LBB37_516
; %bb.517:
	s_or_b32 exec_lo, exec_lo, s8
.LBB37_518:
	s_or_b32 exec_lo, exec_lo, s6
	v_mov_b32_e32 v84, 0
	ds_read_b128 v[88:91], v84 offset:448
	s_waitcnt lgkmcnt(0)
	v_mul_f64 v[84:85], v[3:4], v[90:91]
	v_mul_f64 v[90:91], v[1:2], v[90:91]
	v_fma_f64 v[1:2], v[1:2], v[88:89], -v[84:85]
	v_fma_f64 v[3:4], v[3:4], v[88:89], v[90:91]
	buffer_store_dword v2, off, s[0:3], 0 offset:452
	buffer_store_dword v1, off, s[0:3], 0 offset:448
	;; [unrolled: 1-line block ×4, first 2 shown]
.LBB37_519:
	s_or_b32 exec_lo, exec_lo, s4
	v_mov_b32_e32 v4, s16
	s_mov_b32 s4, exec_lo
	s_clause 0x3
	buffer_load_dword v1, v4, s[0:3], 0 offen
	buffer_load_dword v2, v4, s[0:3], 0 offen offset:4
	buffer_load_dword v3, v4, s[0:3], 0 offen offset:8
	;; [unrolled: 1-line block ×3, first 2 shown]
	s_waitcnt vmcnt(0)
	ds_write_b128 v82, v[1:4]
	s_waitcnt lgkmcnt(0)
	s_waitcnt_vscnt null, 0x0
	s_barrier
	buffer_gl0_inv
	v_cmpx_gt_u32_e32 29, v0
	s_cbranch_execz .LBB37_527
; %bb.520:
	ds_read_b128 v[1:4], v82
	v_cmp_ne_u32_e32 vcc_lo, 1, v83
	s_cbranch_vccnz .LBB37_522
; %bb.521:
	s_clause 0x3
	buffer_load_dword v84, v81, s[0:3], 0 offen offset:8
	buffer_load_dword v85, v81, s[0:3], 0 offen offset:12
	buffer_load_dword v88, v81, s[0:3], 0 offen
	buffer_load_dword v89, v81, s[0:3], 0 offen offset:4
	s_waitcnt vmcnt(2) lgkmcnt(0)
	v_mul_f64 v[90:91], v[3:4], v[84:85]
	v_mul_f64 v[84:85], v[1:2], v[84:85]
	s_waitcnt vmcnt(0)
	v_fma_f64 v[1:2], v[1:2], v[88:89], -v[90:91]
	v_fma_f64 v[3:4], v[3:4], v[88:89], v[84:85]
.LBB37_522:
	s_mov_b32 s6, exec_lo
	v_cmpx_ne_u32_e32 28, v0
	s_cbranch_execz .LBB37_526
; %bb.523:
	v_add_nc_u32_e32 v84, 0x270, v87
	v_add3_u32 v85, 0, v87, 16
	v_mov_b32_e32 v86, v0
	s_mov_b32 s8, 0
	.p2align	6
.LBB37_524:                             ; =>This Inner Loop Header: Depth=1
	s_clause 0x3
	buffer_load_dword v92, v85, s[0:3], 0 offen offset:8
	buffer_load_dword v93, v85, s[0:3], 0 offen offset:12
	buffer_load_dword v94, v85, s[0:3], 0 offen
	buffer_load_dword v95, v85, s[0:3], 0 offen offset:4
	ds_read_b128 v[88:91], v84
	v_add_nc_u32_e32 v86, 1, v86
	v_add_nc_u32_e32 v84, 16, v84
	v_add_nc_u32_e32 v85, 16, v85
	v_cmp_lt_u32_e32 vcc_lo, 27, v86
	s_or_b32 s8, vcc_lo, s8
	s_waitcnt vmcnt(2) lgkmcnt(0)
	v_mul_f64 v[96:97], v[90:91], v[92:93]
	v_mul_f64 v[92:93], v[88:89], v[92:93]
	s_waitcnt vmcnt(0)
	v_fma_f64 v[88:89], v[88:89], v[94:95], -v[96:97]
	v_fma_f64 v[90:91], v[90:91], v[94:95], v[92:93]
	v_add_f64 v[1:2], v[1:2], v[88:89]
	v_add_f64 v[3:4], v[3:4], v[90:91]
	s_andn2_b32 exec_lo, exec_lo, s8
	s_cbranch_execnz .LBB37_524
; %bb.525:
	s_or_b32 exec_lo, exec_lo, s8
.LBB37_526:
	s_or_b32 exec_lo, exec_lo, s6
	v_mov_b32_e32 v84, 0
	ds_read_b128 v[88:91], v84 offset:464
	s_waitcnt lgkmcnt(0)
	v_mul_f64 v[84:85], v[3:4], v[90:91]
	v_mul_f64 v[90:91], v[1:2], v[90:91]
	v_fma_f64 v[1:2], v[1:2], v[88:89], -v[84:85]
	v_fma_f64 v[3:4], v[3:4], v[88:89], v[90:91]
	buffer_store_dword v2, off, s[0:3], 0 offset:468
	buffer_store_dword v1, off, s[0:3], 0 offset:464
	;; [unrolled: 1-line block ×4, first 2 shown]
.LBB37_527:
	s_or_b32 exec_lo, exec_lo, s4
	v_mov_b32_e32 v4, s15
	s_mov_b32 s4, exec_lo
	s_clause 0x3
	buffer_load_dword v1, v4, s[0:3], 0 offen
	buffer_load_dword v2, v4, s[0:3], 0 offen offset:4
	buffer_load_dword v3, v4, s[0:3], 0 offen offset:8
	;; [unrolled: 1-line block ×3, first 2 shown]
	s_waitcnt vmcnt(0)
	ds_write_b128 v82, v[1:4]
	s_waitcnt lgkmcnt(0)
	s_waitcnt_vscnt null, 0x0
	s_barrier
	buffer_gl0_inv
	v_cmpx_gt_u32_e32 30, v0
	s_cbranch_execz .LBB37_535
; %bb.528:
	ds_read_b128 v[1:4], v82
	v_cmp_ne_u32_e32 vcc_lo, 1, v83
	s_cbranch_vccnz .LBB37_530
; %bb.529:
	s_clause 0x3
	buffer_load_dword v84, v81, s[0:3], 0 offen offset:8
	buffer_load_dword v85, v81, s[0:3], 0 offen offset:12
	buffer_load_dword v88, v81, s[0:3], 0 offen
	buffer_load_dword v89, v81, s[0:3], 0 offen offset:4
	s_waitcnt vmcnt(2) lgkmcnt(0)
	v_mul_f64 v[90:91], v[3:4], v[84:85]
	v_mul_f64 v[84:85], v[1:2], v[84:85]
	s_waitcnt vmcnt(0)
	v_fma_f64 v[1:2], v[1:2], v[88:89], -v[90:91]
	v_fma_f64 v[3:4], v[3:4], v[88:89], v[84:85]
.LBB37_530:
	s_mov_b32 s6, exec_lo
	v_cmpx_ne_u32_e32 29, v0
	s_cbranch_execz .LBB37_534
; %bb.531:
	v_add_nc_u32_e32 v84, 0x270, v87
	v_add3_u32 v85, 0, v87, 16
	v_mov_b32_e32 v86, v0
	s_mov_b32 s8, 0
	.p2align	6
.LBB37_532:                             ; =>This Inner Loop Header: Depth=1
	s_clause 0x3
	buffer_load_dword v92, v85, s[0:3], 0 offen offset:8
	buffer_load_dword v93, v85, s[0:3], 0 offen offset:12
	buffer_load_dword v94, v85, s[0:3], 0 offen
	buffer_load_dword v95, v85, s[0:3], 0 offen offset:4
	ds_read_b128 v[88:91], v84
	v_add_nc_u32_e32 v86, 1, v86
	v_add_nc_u32_e32 v84, 16, v84
	;; [unrolled: 1-line block ×3, first 2 shown]
	v_cmp_lt_u32_e32 vcc_lo, 28, v86
	s_or_b32 s8, vcc_lo, s8
	s_waitcnt vmcnt(2) lgkmcnt(0)
	v_mul_f64 v[96:97], v[90:91], v[92:93]
	v_mul_f64 v[92:93], v[88:89], v[92:93]
	s_waitcnt vmcnt(0)
	v_fma_f64 v[88:89], v[88:89], v[94:95], -v[96:97]
	v_fma_f64 v[90:91], v[90:91], v[94:95], v[92:93]
	v_add_f64 v[1:2], v[1:2], v[88:89]
	v_add_f64 v[3:4], v[3:4], v[90:91]
	s_andn2_b32 exec_lo, exec_lo, s8
	s_cbranch_execnz .LBB37_532
; %bb.533:
	s_or_b32 exec_lo, exec_lo, s8
.LBB37_534:
	s_or_b32 exec_lo, exec_lo, s6
	v_mov_b32_e32 v84, 0
	ds_read_b128 v[88:91], v84 offset:480
	s_waitcnt lgkmcnt(0)
	v_mul_f64 v[84:85], v[3:4], v[90:91]
	v_mul_f64 v[90:91], v[1:2], v[90:91]
	v_fma_f64 v[1:2], v[1:2], v[88:89], -v[84:85]
	v_fma_f64 v[3:4], v[3:4], v[88:89], v[90:91]
	buffer_store_dword v2, off, s[0:3], 0 offset:484
	buffer_store_dword v1, off, s[0:3], 0 offset:480
	;; [unrolled: 1-line block ×4, first 2 shown]
.LBB37_535:
	s_or_b32 exec_lo, exec_lo, s4
	v_mov_b32_e32 v4, s14
	s_mov_b32 s4, exec_lo
	s_clause 0x3
	buffer_load_dword v1, v4, s[0:3], 0 offen
	buffer_load_dword v2, v4, s[0:3], 0 offen offset:4
	buffer_load_dword v3, v4, s[0:3], 0 offen offset:8
	;; [unrolled: 1-line block ×3, first 2 shown]
	s_waitcnt vmcnt(0)
	ds_write_b128 v82, v[1:4]
	s_waitcnt lgkmcnt(0)
	s_waitcnt_vscnt null, 0x0
	s_barrier
	buffer_gl0_inv
	v_cmpx_gt_u32_e32 31, v0
	s_cbranch_execz .LBB37_543
; %bb.536:
	ds_read_b128 v[1:4], v82
	v_cmp_ne_u32_e32 vcc_lo, 1, v83
	s_cbranch_vccnz .LBB37_538
; %bb.537:
	s_clause 0x3
	buffer_load_dword v84, v81, s[0:3], 0 offen offset:8
	buffer_load_dword v85, v81, s[0:3], 0 offen offset:12
	buffer_load_dword v88, v81, s[0:3], 0 offen
	buffer_load_dword v89, v81, s[0:3], 0 offen offset:4
	s_waitcnt vmcnt(2) lgkmcnt(0)
	v_mul_f64 v[90:91], v[3:4], v[84:85]
	v_mul_f64 v[84:85], v[1:2], v[84:85]
	s_waitcnt vmcnt(0)
	v_fma_f64 v[1:2], v[1:2], v[88:89], -v[90:91]
	v_fma_f64 v[3:4], v[3:4], v[88:89], v[84:85]
.LBB37_538:
	s_mov_b32 s6, exec_lo
	v_cmpx_ne_u32_e32 30, v0
	s_cbranch_execz .LBB37_542
; %bb.539:
	v_add_nc_u32_e32 v84, 0x270, v87
	v_add3_u32 v85, 0, v87, 16
	v_mov_b32_e32 v86, v0
	s_mov_b32 s8, 0
	.p2align	6
.LBB37_540:                             ; =>This Inner Loop Header: Depth=1
	s_clause 0x3
	buffer_load_dword v92, v85, s[0:3], 0 offen offset:8
	buffer_load_dword v93, v85, s[0:3], 0 offen offset:12
	buffer_load_dword v94, v85, s[0:3], 0 offen
	buffer_load_dword v95, v85, s[0:3], 0 offen offset:4
	ds_read_b128 v[88:91], v84
	v_add_nc_u32_e32 v86, 1, v86
	v_add_nc_u32_e32 v84, 16, v84
	;; [unrolled: 1-line block ×3, first 2 shown]
	v_cmp_lt_u32_e32 vcc_lo, 29, v86
	s_or_b32 s8, vcc_lo, s8
	s_waitcnt vmcnt(2) lgkmcnt(0)
	v_mul_f64 v[96:97], v[90:91], v[92:93]
	v_mul_f64 v[92:93], v[88:89], v[92:93]
	s_waitcnt vmcnt(0)
	v_fma_f64 v[88:89], v[88:89], v[94:95], -v[96:97]
	v_fma_f64 v[90:91], v[90:91], v[94:95], v[92:93]
	v_add_f64 v[1:2], v[1:2], v[88:89]
	v_add_f64 v[3:4], v[3:4], v[90:91]
	s_andn2_b32 exec_lo, exec_lo, s8
	s_cbranch_execnz .LBB37_540
; %bb.541:
	s_or_b32 exec_lo, exec_lo, s8
.LBB37_542:
	s_or_b32 exec_lo, exec_lo, s6
	v_mov_b32_e32 v84, 0
	ds_read_b128 v[88:91], v84 offset:496
	s_waitcnt lgkmcnt(0)
	v_mul_f64 v[84:85], v[3:4], v[90:91]
	v_mul_f64 v[90:91], v[1:2], v[90:91]
	v_fma_f64 v[1:2], v[1:2], v[88:89], -v[84:85]
	v_fma_f64 v[3:4], v[3:4], v[88:89], v[90:91]
	buffer_store_dword v2, off, s[0:3], 0 offset:500
	buffer_store_dword v1, off, s[0:3], 0 offset:496
	buffer_store_dword v4, off, s[0:3], 0 offset:508
	buffer_store_dword v3, off, s[0:3], 0 offset:504
.LBB37_543:
	s_or_b32 exec_lo, exec_lo, s4
	v_mov_b32_e32 v4, s13
	s_mov_b32 s4, exec_lo
	s_clause 0x3
	buffer_load_dword v1, v4, s[0:3], 0 offen
	buffer_load_dword v2, v4, s[0:3], 0 offen offset:4
	buffer_load_dword v3, v4, s[0:3], 0 offen offset:8
	;; [unrolled: 1-line block ×3, first 2 shown]
	s_waitcnt vmcnt(0)
	ds_write_b128 v82, v[1:4]
	s_waitcnt lgkmcnt(0)
	s_waitcnt_vscnt null, 0x0
	s_barrier
	buffer_gl0_inv
	v_cmpx_gt_u32_e32 32, v0
	s_cbranch_execz .LBB37_551
; %bb.544:
	ds_read_b128 v[1:4], v82
	v_cmp_ne_u32_e32 vcc_lo, 1, v83
	s_cbranch_vccnz .LBB37_546
; %bb.545:
	s_clause 0x3
	buffer_load_dword v84, v81, s[0:3], 0 offen offset:8
	buffer_load_dword v85, v81, s[0:3], 0 offen offset:12
	buffer_load_dword v88, v81, s[0:3], 0 offen
	buffer_load_dword v89, v81, s[0:3], 0 offen offset:4
	s_waitcnt vmcnt(2) lgkmcnt(0)
	v_mul_f64 v[90:91], v[3:4], v[84:85]
	v_mul_f64 v[84:85], v[1:2], v[84:85]
	s_waitcnt vmcnt(0)
	v_fma_f64 v[1:2], v[1:2], v[88:89], -v[90:91]
	v_fma_f64 v[3:4], v[3:4], v[88:89], v[84:85]
.LBB37_546:
	s_mov_b32 s6, exec_lo
	v_cmpx_ne_u32_e32 31, v0
	s_cbranch_execz .LBB37_550
; %bb.547:
	v_add_nc_u32_e32 v84, 0x270, v87
	v_add3_u32 v85, 0, v87, 16
	v_mov_b32_e32 v86, v0
	s_mov_b32 s8, 0
	.p2align	6
.LBB37_548:                             ; =>This Inner Loop Header: Depth=1
	s_clause 0x3
	buffer_load_dword v92, v85, s[0:3], 0 offen offset:8
	buffer_load_dword v93, v85, s[0:3], 0 offen offset:12
	buffer_load_dword v94, v85, s[0:3], 0 offen
	buffer_load_dword v95, v85, s[0:3], 0 offen offset:4
	ds_read_b128 v[88:91], v84
	v_add_nc_u32_e32 v86, 1, v86
	v_add_nc_u32_e32 v84, 16, v84
	;; [unrolled: 1-line block ×3, first 2 shown]
	v_cmp_lt_u32_e32 vcc_lo, 30, v86
	s_or_b32 s8, vcc_lo, s8
	s_waitcnt vmcnt(2) lgkmcnt(0)
	v_mul_f64 v[96:97], v[90:91], v[92:93]
	v_mul_f64 v[92:93], v[88:89], v[92:93]
	s_waitcnt vmcnt(0)
	v_fma_f64 v[88:89], v[88:89], v[94:95], -v[96:97]
	v_fma_f64 v[90:91], v[90:91], v[94:95], v[92:93]
	v_add_f64 v[1:2], v[1:2], v[88:89]
	v_add_f64 v[3:4], v[3:4], v[90:91]
	s_andn2_b32 exec_lo, exec_lo, s8
	s_cbranch_execnz .LBB37_548
; %bb.549:
	s_or_b32 exec_lo, exec_lo, s8
.LBB37_550:
	s_or_b32 exec_lo, exec_lo, s6
	v_mov_b32_e32 v84, 0
	ds_read_b128 v[88:91], v84 offset:512
	s_waitcnt lgkmcnt(0)
	v_mul_f64 v[84:85], v[3:4], v[90:91]
	v_mul_f64 v[90:91], v[1:2], v[90:91]
	v_fma_f64 v[1:2], v[1:2], v[88:89], -v[84:85]
	v_fma_f64 v[3:4], v[3:4], v[88:89], v[90:91]
	buffer_store_dword v2, off, s[0:3], 0 offset:516
	buffer_store_dword v1, off, s[0:3], 0 offset:512
	buffer_store_dword v4, off, s[0:3], 0 offset:524
	buffer_store_dword v3, off, s[0:3], 0 offset:520
.LBB37_551:
	s_or_b32 exec_lo, exec_lo, s4
	v_mov_b32_e32 v4, s12
	s_mov_b32 s4, exec_lo
	s_clause 0x3
	buffer_load_dword v1, v4, s[0:3], 0 offen
	buffer_load_dword v2, v4, s[0:3], 0 offen offset:4
	buffer_load_dword v3, v4, s[0:3], 0 offen offset:8
	;; [unrolled: 1-line block ×3, first 2 shown]
	s_waitcnt vmcnt(0)
	ds_write_b128 v82, v[1:4]
	s_waitcnt lgkmcnt(0)
	s_waitcnt_vscnt null, 0x0
	s_barrier
	buffer_gl0_inv
	v_cmpx_gt_u32_e32 33, v0
	s_cbranch_execz .LBB37_559
; %bb.552:
	ds_read_b128 v[1:4], v82
	v_cmp_ne_u32_e32 vcc_lo, 1, v83
	s_cbranch_vccnz .LBB37_554
; %bb.553:
	s_clause 0x3
	buffer_load_dword v84, v81, s[0:3], 0 offen offset:8
	buffer_load_dword v85, v81, s[0:3], 0 offen offset:12
	buffer_load_dword v88, v81, s[0:3], 0 offen
	buffer_load_dword v89, v81, s[0:3], 0 offen offset:4
	s_waitcnt vmcnt(2) lgkmcnt(0)
	v_mul_f64 v[90:91], v[3:4], v[84:85]
	v_mul_f64 v[84:85], v[1:2], v[84:85]
	s_waitcnt vmcnt(0)
	v_fma_f64 v[1:2], v[1:2], v[88:89], -v[90:91]
	v_fma_f64 v[3:4], v[3:4], v[88:89], v[84:85]
.LBB37_554:
	s_mov_b32 s6, exec_lo
	v_cmpx_ne_u32_e32 32, v0
	s_cbranch_execz .LBB37_558
; %bb.555:
	v_add_nc_u32_e32 v84, 0x270, v87
	v_add3_u32 v85, 0, v87, 16
	v_mov_b32_e32 v86, v0
	s_mov_b32 s8, 0
	.p2align	6
.LBB37_556:                             ; =>This Inner Loop Header: Depth=1
	s_clause 0x3
	buffer_load_dword v92, v85, s[0:3], 0 offen offset:8
	buffer_load_dword v93, v85, s[0:3], 0 offen offset:12
	buffer_load_dword v94, v85, s[0:3], 0 offen
	buffer_load_dword v95, v85, s[0:3], 0 offen offset:4
	ds_read_b128 v[88:91], v84
	v_add_nc_u32_e32 v86, 1, v86
	v_add_nc_u32_e32 v84, 16, v84
	;; [unrolled: 1-line block ×3, first 2 shown]
	v_cmp_lt_u32_e32 vcc_lo, 31, v86
	s_or_b32 s8, vcc_lo, s8
	s_waitcnt vmcnt(2) lgkmcnt(0)
	v_mul_f64 v[96:97], v[90:91], v[92:93]
	v_mul_f64 v[92:93], v[88:89], v[92:93]
	s_waitcnt vmcnt(0)
	v_fma_f64 v[88:89], v[88:89], v[94:95], -v[96:97]
	v_fma_f64 v[90:91], v[90:91], v[94:95], v[92:93]
	v_add_f64 v[1:2], v[1:2], v[88:89]
	v_add_f64 v[3:4], v[3:4], v[90:91]
	s_andn2_b32 exec_lo, exec_lo, s8
	s_cbranch_execnz .LBB37_556
; %bb.557:
	s_or_b32 exec_lo, exec_lo, s8
.LBB37_558:
	s_or_b32 exec_lo, exec_lo, s6
	v_mov_b32_e32 v84, 0
	ds_read_b128 v[88:91], v84 offset:528
	s_waitcnt lgkmcnt(0)
	v_mul_f64 v[84:85], v[3:4], v[90:91]
	v_mul_f64 v[90:91], v[1:2], v[90:91]
	v_fma_f64 v[1:2], v[1:2], v[88:89], -v[84:85]
	v_fma_f64 v[3:4], v[3:4], v[88:89], v[90:91]
	buffer_store_dword v2, off, s[0:3], 0 offset:532
	buffer_store_dword v1, off, s[0:3], 0 offset:528
	;; [unrolled: 1-line block ×4, first 2 shown]
.LBB37_559:
	s_or_b32 exec_lo, exec_lo, s4
	v_mov_b32_e32 v4, s11
	s_mov_b32 s4, exec_lo
	s_clause 0x3
	buffer_load_dword v1, v4, s[0:3], 0 offen
	buffer_load_dword v2, v4, s[0:3], 0 offen offset:4
	buffer_load_dword v3, v4, s[0:3], 0 offen offset:8
	;; [unrolled: 1-line block ×3, first 2 shown]
	s_waitcnt vmcnt(0)
	ds_write_b128 v82, v[1:4]
	s_waitcnt lgkmcnt(0)
	s_waitcnt_vscnt null, 0x0
	s_barrier
	buffer_gl0_inv
	v_cmpx_gt_u32_e32 34, v0
	s_cbranch_execz .LBB37_567
; %bb.560:
	ds_read_b128 v[1:4], v82
	v_cmp_ne_u32_e32 vcc_lo, 1, v83
	s_cbranch_vccnz .LBB37_562
; %bb.561:
	s_clause 0x3
	buffer_load_dword v84, v81, s[0:3], 0 offen offset:8
	buffer_load_dword v85, v81, s[0:3], 0 offen offset:12
	buffer_load_dword v88, v81, s[0:3], 0 offen
	buffer_load_dword v89, v81, s[0:3], 0 offen offset:4
	s_waitcnt vmcnt(2) lgkmcnt(0)
	v_mul_f64 v[90:91], v[3:4], v[84:85]
	v_mul_f64 v[84:85], v[1:2], v[84:85]
	s_waitcnt vmcnt(0)
	v_fma_f64 v[1:2], v[1:2], v[88:89], -v[90:91]
	v_fma_f64 v[3:4], v[3:4], v[88:89], v[84:85]
.LBB37_562:
	s_mov_b32 s6, exec_lo
	v_cmpx_ne_u32_e32 33, v0
	s_cbranch_execz .LBB37_566
; %bb.563:
	v_add_nc_u32_e32 v84, 0x270, v87
	v_add3_u32 v85, 0, v87, 16
	v_mov_b32_e32 v86, v0
	s_mov_b32 s8, 0
	.p2align	6
.LBB37_564:                             ; =>This Inner Loop Header: Depth=1
	s_clause 0x3
	buffer_load_dword v92, v85, s[0:3], 0 offen offset:8
	buffer_load_dword v93, v85, s[0:3], 0 offen offset:12
	buffer_load_dword v94, v85, s[0:3], 0 offen
	buffer_load_dword v95, v85, s[0:3], 0 offen offset:4
	ds_read_b128 v[88:91], v84
	v_add_nc_u32_e32 v86, 1, v86
	v_add_nc_u32_e32 v84, 16, v84
	;; [unrolled: 1-line block ×3, first 2 shown]
	v_cmp_lt_u32_e32 vcc_lo, 32, v86
	s_or_b32 s8, vcc_lo, s8
	s_waitcnt vmcnt(2) lgkmcnt(0)
	v_mul_f64 v[96:97], v[90:91], v[92:93]
	v_mul_f64 v[92:93], v[88:89], v[92:93]
	s_waitcnt vmcnt(0)
	v_fma_f64 v[88:89], v[88:89], v[94:95], -v[96:97]
	v_fma_f64 v[90:91], v[90:91], v[94:95], v[92:93]
	v_add_f64 v[1:2], v[1:2], v[88:89]
	v_add_f64 v[3:4], v[3:4], v[90:91]
	s_andn2_b32 exec_lo, exec_lo, s8
	s_cbranch_execnz .LBB37_564
; %bb.565:
	s_or_b32 exec_lo, exec_lo, s8
.LBB37_566:
	s_or_b32 exec_lo, exec_lo, s6
	v_mov_b32_e32 v84, 0
	ds_read_b128 v[88:91], v84 offset:544
	s_waitcnt lgkmcnt(0)
	v_mul_f64 v[84:85], v[3:4], v[90:91]
	v_mul_f64 v[90:91], v[1:2], v[90:91]
	v_fma_f64 v[1:2], v[1:2], v[88:89], -v[84:85]
	v_fma_f64 v[3:4], v[3:4], v[88:89], v[90:91]
	buffer_store_dword v2, off, s[0:3], 0 offset:548
	buffer_store_dword v1, off, s[0:3], 0 offset:544
	buffer_store_dword v4, off, s[0:3], 0 offset:556
	buffer_store_dword v3, off, s[0:3], 0 offset:552
.LBB37_567:
	s_or_b32 exec_lo, exec_lo, s4
	v_mov_b32_e32 v4, s10
	s_mov_b32 s4, exec_lo
	s_clause 0x3
	buffer_load_dword v1, v4, s[0:3], 0 offen
	buffer_load_dword v2, v4, s[0:3], 0 offen offset:4
	buffer_load_dword v3, v4, s[0:3], 0 offen offset:8
	;; [unrolled: 1-line block ×3, first 2 shown]
	s_waitcnt vmcnt(0)
	ds_write_b128 v82, v[1:4]
	s_waitcnt lgkmcnt(0)
	s_waitcnt_vscnt null, 0x0
	s_barrier
	buffer_gl0_inv
	v_cmpx_gt_u32_e32 35, v0
	s_cbranch_execz .LBB37_575
; %bb.568:
	ds_read_b128 v[1:4], v82
	v_cmp_ne_u32_e32 vcc_lo, 1, v83
	s_cbranch_vccnz .LBB37_570
; %bb.569:
	s_clause 0x3
	buffer_load_dword v84, v81, s[0:3], 0 offen offset:8
	buffer_load_dword v85, v81, s[0:3], 0 offen offset:12
	buffer_load_dword v88, v81, s[0:3], 0 offen
	buffer_load_dword v89, v81, s[0:3], 0 offen offset:4
	s_waitcnt vmcnt(2) lgkmcnt(0)
	v_mul_f64 v[90:91], v[3:4], v[84:85]
	v_mul_f64 v[84:85], v[1:2], v[84:85]
	s_waitcnt vmcnt(0)
	v_fma_f64 v[1:2], v[1:2], v[88:89], -v[90:91]
	v_fma_f64 v[3:4], v[3:4], v[88:89], v[84:85]
.LBB37_570:
	s_mov_b32 s6, exec_lo
	v_cmpx_ne_u32_e32 34, v0
	s_cbranch_execz .LBB37_574
; %bb.571:
	v_add_nc_u32_e32 v84, 0x270, v87
	v_add3_u32 v85, 0, v87, 16
	v_mov_b32_e32 v86, v0
	s_mov_b32 s8, 0
	.p2align	6
.LBB37_572:                             ; =>This Inner Loop Header: Depth=1
	s_clause 0x3
	buffer_load_dword v92, v85, s[0:3], 0 offen offset:8
	buffer_load_dword v93, v85, s[0:3], 0 offen offset:12
	buffer_load_dword v94, v85, s[0:3], 0 offen
	buffer_load_dword v95, v85, s[0:3], 0 offen offset:4
	ds_read_b128 v[88:91], v84
	v_add_nc_u32_e32 v86, 1, v86
	v_add_nc_u32_e32 v84, 16, v84
	;; [unrolled: 1-line block ×3, first 2 shown]
	v_cmp_lt_u32_e32 vcc_lo, 33, v86
	s_or_b32 s8, vcc_lo, s8
	s_waitcnt vmcnt(2) lgkmcnt(0)
	v_mul_f64 v[96:97], v[90:91], v[92:93]
	v_mul_f64 v[92:93], v[88:89], v[92:93]
	s_waitcnt vmcnt(0)
	v_fma_f64 v[88:89], v[88:89], v[94:95], -v[96:97]
	v_fma_f64 v[90:91], v[90:91], v[94:95], v[92:93]
	v_add_f64 v[1:2], v[1:2], v[88:89]
	v_add_f64 v[3:4], v[3:4], v[90:91]
	s_andn2_b32 exec_lo, exec_lo, s8
	s_cbranch_execnz .LBB37_572
; %bb.573:
	s_or_b32 exec_lo, exec_lo, s8
.LBB37_574:
	s_or_b32 exec_lo, exec_lo, s6
	v_mov_b32_e32 v84, 0
	ds_read_b128 v[88:91], v84 offset:560
	s_waitcnt lgkmcnt(0)
	v_mul_f64 v[84:85], v[3:4], v[90:91]
	v_mul_f64 v[90:91], v[1:2], v[90:91]
	v_fma_f64 v[1:2], v[1:2], v[88:89], -v[84:85]
	v_fma_f64 v[3:4], v[3:4], v[88:89], v[90:91]
	buffer_store_dword v2, off, s[0:3], 0 offset:564
	buffer_store_dword v1, off, s[0:3], 0 offset:560
	;; [unrolled: 1-line block ×4, first 2 shown]
.LBB37_575:
	s_or_b32 exec_lo, exec_lo, s4
	v_mov_b32_e32 v4, s9
	v_cmp_gt_u32_e64 s4, 36, v0
	s_clause 0x3
	buffer_load_dword v1, v4, s[0:3], 0 offen
	buffer_load_dword v2, v4, s[0:3], 0 offen offset:4
	buffer_load_dword v3, v4, s[0:3], 0 offen offset:8
	;; [unrolled: 1-line block ×3, first 2 shown]
	s_waitcnt vmcnt(0)
	ds_write_b128 v82, v[1:4]
	s_waitcnt lgkmcnt(0)
	s_waitcnt_vscnt null, 0x0
	s_barrier
	buffer_gl0_inv
	s_and_saveexec_b32 s6, s4
	s_cbranch_execz .LBB37_583
; %bb.576:
	ds_read_b128 v[1:4], v82
	v_cmp_ne_u32_e32 vcc_lo, 1, v83
	s_cbranch_vccnz .LBB37_578
; %bb.577:
	s_clause 0x3
	buffer_load_dword v84, v81, s[0:3], 0 offen offset:8
	buffer_load_dword v85, v81, s[0:3], 0 offen offset:12
	buffer_load_dword v88, v81, s[0:3], 0 offen
	buffer_load_dword v89, v81, s[0:3], 0 offen offset:4
	s_waitcnt vmcnt(2) lgkmcnt(0)
	v_mul_f64 v[90:91], v[3:4], v[84:85]
	v_mul_f64 v[84:85], v[1:2], v[84:85]
	s_waitcnt vmcnt(0)
	v_fma_f64 v[1:2], v[1:2], v[88:89], -v[90:91]
	v_fma_f64 v[3:4], v[3:4], v[88:89], v[84:85]
.LBB37_578:
	s_mov_b32 s8, exec_lo
	v_cmpx_ne_u32_e32 35, v0
	s_cbranch_execz .LBB37_582
; %bb.579:
	v_add_nc_u32_e32 v84, 0x270, v87
	v_add3_u32 v85, 0, v87, 16
	v_mov_b32_e32 v86, v0
	s_mov_b32 s46, 0
	.p2align	6
.LBB37_580:                             ; =>This Inner Loop Header: Depth=1
	s_clause 0x3
	buffer_load_dword v92, v85, s[0:3], 0 offen offset:8
	buffer_load_dword v93, v85, s[0:3], 0 offen offset:12
	buffer_load_dword v94, v85, s[0:3], 0 offen
	buffer_load_dword v95, v85, s[0:3], 0 offen offset:4
	ds_read_b128 v[88:91], v84
	v_add_nc_u32_e32 v86, 1, v86
	v_add_nc_u32_e32 v84, 16, v84
	;; [unrolled: 1-line block ×3, first 2 shown]
	v_cmp_lt_u32_e32 vcc_lo, 34, v86
	s_or_b32 s46, vcc_lo, s46
	s_waitcnt vmcnt(2) lgkmcnt(0)
	v_mul_f64 v[96:97], v[90:91], v[92:93]
	v_mul_f64 v[92:93], v[88:89], v[92:93]
	s_waitcnt vmcnt(0)
	v_fma_f64 v[88:89], v[88:89], v[94:95], -v[96:97]
	v_fma_f64 v[90:91], v[90:91], v[94:95], v[92:93]
	v_add_f64 v[1:2], v[1:2], v[88:89]
	v_add_f64 v[3:4], v[3:4], v[90:91]
	s_andn2_b32 exec_lo, exec_lo, s46
	s_cbranch_execnz .LBB37_580
; %bb.581:
	s_or_b32 exec_lo, exec_lo, s46
.LBB37_582:
	s_or_b32 exec_lo, exec_lo, s8
	v_mov_b32_e32 v84, 0
	ds_read_b128 v[88:91], v84 offset:576
	s_waitcnt lgkmcnt(0)
	v_mul_f64 v[84:85], v[3:4], v[90:91]
	v_mul_f64 v[90:91], v[1:2], v[90:91]
	v_fma_f64 v[1:2], v[1:2], v[88:89], -v[84:85]
	v_fma_f64 v[3:4], v[3:4], v[88:89], v[90:91]
	buffer_store_dword v2, off, s[0:3], 0 offset:580
	buffer_store_dword v1, off, s[0:3], 0 offset:576
	;; [unrolled: 1-line block ×4, first 2 shown]
.LBB37_583:
	s_or_b32 exec_lo, exec_lo, s6
	v_mov_b32_e32 v4, s7
	s_mov_b32 s6, exec_lo
                                        ; implicit-def: $sgpr47
	s_clause 0x3
	buffer_load_dword v1, v4, s[0:3], 0 offen
	buffer_load_dword v2, v4, s[0:3], 0 offen offset:4
	buffer_load_dword v3, v4, s[0:3], 0 offen offset:8
	;; [unrolled: 1-line block ×3, first 2 shown]
	s_waitcnt vmcnt(0)
	ds_write_b128 v82, v[1:4]
	s_waitcnt lgkmcnt(0)
	s_waitcnt_vscnt null, 0x0
	s_barrier
	buffer_gl0_inv
                                        ; implicit-def: $vgpr1_vgpr2
	v_cmpx_ne_u32_e32 37, v0
	s_cbranch_execz .LBB37_591
; %bb.584:
	ds_read_b128 v[1:4], v82
	v_cmp_ne_u32_e32 vcc_lo, 1, v83
	s_cbranch_vccnz .LBB37_586
; %bb.585:
	s_clause 0x3
	buffer_load_dword v82, v81, s[0:3], 0 offen offset:8
	buffer_load_dword v83, v81, s[0:3], 0 offen offset:12
	buffer_load_dword v84, v81, s[0:3], 0 offen
	buffer_load_dword v85, v81, s[0:3], 0 offen offset:4
	s_waitcnt vmcnt(2) lgkmcnt(0)
	v_mul_f64 v[88:89], v[3:4], v[82:83]
	v_mul_f64 v[81:82], v[1:2], v[82:83]
	s_waitcnt vmcnt(0)
	v_fma_f64 v[1:2], v[1:2], v[84:85], -v[88:89]
	v_fma_f64 v[3:4], v[3:4], v[84:85], v[81:82]
.LBB37_586:
	s_and_saveexec_b32 s8, s4
	s_cbranch_execz .LBB37_590
; %bb.587:
	v_add_nc_u32_e32 v81, 0x270, v87
	v_add3_u32 v82, 0, v87, 16
	s_mov_b32 s4, 0
	.p2align	6
.LBB37_588:                             ; =>This Inner Loop Header: Depth=1
	s_clause 0x3
	buffer_load_dword v87, v82, s[0:3], 0 offen offset:8
	buffer_load_dword v88, v82, s[0:3], 0 offen offset:12
	buffer_load_dword v89, v82, s[0:3], 0 offen
	buffer_load_dword v90, v82, s[0:3], 0 offen offset:4
	ds_read_b128 v[83:86], v81
	v_add_nc_u32_e32 v0, 1, v0
	v_add_nc_u32_e32 v81, 16, v81
	;; [unrolled: 1-line block ×3, first 2 shown]
	v_cmp_lt_u32_e32 vcc_lo, 35, v0
	s_or_b32 s4, vcc_lo, s4
	s_waitcnt vmcnt(2) lgkmcnt(0)
	v_mul_f64 v[91:92], v[85:86], v[87:88]
	v_mul_f64 v[87:88], v[83:84], v[87:88]
	s_waitcnt vmcnt(0)
	v_fma_f64 v[83:84], v[83:84], v[89:90], -v[91:92]
	v_fma_f64 v[85:86], v[85:86], v[89:90], v[87:88]
	v_add_f64 v[1:2], v[1:2], v[83:84]
	v_add_f64 v[3:4], v[3:4], v[85:86]
	s_andn2_b32 exec_lo, exec_lo, s4
	s_cbranch_execnz .LBB37_588
; %bb.589:
	s_or_b32 exec_lo, exec_lo, s4
.LBB37_590:
	s_or_b32 exec_lo, exec_lo, s8
	v_mov_b32_e32 v0, 0
	s_movk_i32 s47, 0x258
	s_or_b32 s5, s5, exec_lo
	ds_read_b128 v[81:84], v0 offset:592
	s_waitcnt lgkmcnt(0)
	v_mul_f64 v[85:86], v[3:4], v[83:84]
	v_mul_f64 v[83:84], v[1:2], v[83:84]
	v_fma_f64 v[85:86], v[1:2], v[81:82], -v[85:86]
	v_fma_f64 v[1:2], v[3:4], v[81:82], v[83:84]
	buffer_store_dword v86, off, s[0:3], 0 offset:596
	buffer_store_dword v85, off, s[0:3], 0 offset:592
.LBB37_591:
	s_or_b32 exec_lo, exec_lo, s6
.LBB37_592:
	s_and_saveexec_b32 s4, s5
	s_cbranch_execz .LBB37_594
; %bb.593:
	v_mov_b32_e32 v0, s47
	buffer_store_dword v2, v0, s[0:3], 0 offen offset:4
	buffer_store_dword v1, v0, s[0:3], 0 offen
.LBB37_594:
	s_or_b32 exec_lo, exec_lo, s4
	v_mov_b32_e32 v3, s45
	v_mov_b32_e32 v88, s42
	;; [unrolled: 1-line block ×7, first 2 shown]
	s_clause 0x1f
	buffer_load_dword v0, v3, s[0:3], 0 offen
	buffer_load_dword v1, v3, s[0:3], 0 offen offset:4
	buffer_load_dword v2, v3, s[0:3], 0 offen offset:8
	buffer_load_dword v3, v3, s[0:3], 0 offen offset:12
	buffer_load_dword v81, v84, s[0:3], 0 offen
	buffer_load_dword v82, v84, s[0:3], 0 offen offset:4
	buffer_load_dword v83, v84, s[0:3], 0 offen offset:8
	buffer_load_dword v84, v84, s[0:3], 0 offen offset:12
	;; [unrolled: 4-line block ×7, first 2 shown]
	buffer_load_dword v105, off, s[0:3], 0
	buffer_load_dword v106, off, s[0:3], 0 offset:4
	buffer_load_dword v107, off, s[0:3], 0 offset:8
	;; [unrolled: 1-line block ×3, first 2 shown]
	v_mov_b32_e32 v4, s38
	v_mov_b32_e32 v118, s13
	;; [unrolled: 1-line block ×7, first 2 shown]
	s_waitcnt vmcnt(0)
	global_store_dwordx4 v[61:62], v[105:108], off
	v_mov_b32_e32 v61, s37
	s_clause 0x3
	buffer_load_dword v105, v4, s[0:3], 0 offen
	buffer_load_dword v106, v4, s[0:3], 0 offen offset:4
	buffer_load_dword v107, v4, s[0:3], 0 offen offset:8
	buffer_load_dword v108, v4, s[0:3], 0 offen offset:12
	v_mov_b32_e32 v4, s36
	global_store_dwordx4 v[53:54], v[101:104], off
	s_clause 0x3
	buffer_load_dword v101, v61, s[0:3], 0 offen
	buffer_load_dword v102, v61, s[0:3], 0 offen offset:4
	buffer_load_dword v103, v61, s[0:3], 0 offen offset:8
	;; [unrolled: 1-line block ×3, first 2 shown]
	v_mov_b32_e32 v53, s35
	global_store_dwordx4 v[57:58], v[0:3], off
	s_clause 0x7
	buffer_load_dword v0, v4, s[0:3], 0 offen
	buffer_load_dword v1, v4, s[0:3], 0 offen offset:4
	buffer_load_dword v2, v4, s[0:3], 0 offen offset:8
	;; [unrolled: 1-line block ×3, first 2 shown]
	buffer_load_dword v109, v53, s[0:3], 0 offen
	buffer_load_dword v110, v53, s[0:3], 0 offen offset:4
	buffer_load_dword v111, v53, s[0:3], 0 offen offset:8
	;; [unrolled: 1-line block ×3, first 2 shown]
	v_mov_b32_e32 v4, s34
	v_mov_b32_e32 v57, s33
	global_store_dwordx4 v[55:56], v[81:84], off
	s_clause 0x7
	buffer_load_dword v53, v4, s[0:3], 0 offen
	buffer_load_dword v54, v4, s[0:3], 0 offen offset:4
	buffer_load_dword v55, v4, s[0:3], 0 offen offset:8
	;; [unrolled: 1-line block ×3, first 2 shown]
	buffer_load_dword v81, v57, s[0:3], 0 offen
	buffer_load_dword v82, v57, s[0:3], 0 offen offset:4
	buffer_load_dword v83, v57, s[0:3], 0 offen offset:8
	;; [unrolled: 1-line block ×3, first 2 shown]
	v_mov_b32_e32 v4, s31
	global_store_dwordx4 v[49:50], v[85:88], off
	s_clause 0x3
	buffer_load_dword v85, v4, s[0:3], 0 offen
	buffer_load_dword v86, v4, s[0:3], 0 offen offset:4
	buffer_load_dword v87, v4, s[0:3], 0 offen offset:8
	;; [unrolled: 1-line block ×3, first 2 shown]
	v_mov_b32_e32 v4, s30
	v_mov_b32_e32 v49, s29
	global_store_dwordx4 v[41:42], v[89:92], off
	s_clause 0x7
	buffer_load_dword v89, v4, s[0:3], 0 offen
	buffer_load_dword v90, v4, s[0:3], 0 offen offset:4
	buffer_load_dword v91, v4, s[0:3], 0 offen offset:8
	;; [unrolled: 1-line block ×3, first 2 shown]
	buffer_load_dword v113, v49, s[0:3], 0 offen
	buffer_load_dword v114, v49, s[0:3], 0 offen offset:4
	buffer_load_dword v115, v49, s[0:3], 0 offen offset:8
	;; [unrolled: 1-line block ×3, first 2 shown]
	v_mov_b32_e32 v4, s28
	global_store_dwordx4 v[39:40], v[93:96], off
	s_clause 0x3
	buffer_load_dword v39, v4, s[0:3], 0 offen
	buffer_load_dword v40, v4, s[0:3], 0 offen offset:4
	buffer_load_dword v41, v4, s[0:3], 0 offen offset:8
	;; [unrolled: 1-line block ×3, first 2 shown]
	v_mov_b32_e32 v4, s27
	global_store_dwordx4 v[47:48], v[97:100], off
	s_clause 0x3
	buffer_load_dword v47, v4, s[0:3], 0 offen
	buffer_load_dword v48, v4, s[0:3], 0 offen offset:4
	buffer_load_dword v49, v4, s[0:3], 0 offen offset:8
	;; [unrolled: 1-line block ×3, first 2 shown]
	v_mov_b32_e32 v4, s26
	s_clause 0x3
	buffer_load_dword v93, v4, s[0:3], 0 offen
	buffer_load_dword v94, v4, s[0:3], 0 offen offset:4
	buffer_load_dword v95, v4, s[0:3], 0 offen offset:8
	;; [unrolled: 1-line block ×3, first 2 shown]
	v_mov_b32_e32 v4, s25
	v_mov_b32_e32 v58, s21
	;; [unrolled: 1-line block ×5, first 2 shown]
	s_waitcnt vmcnt(44)
	global_store_dwordx4 v[43:44], v[105:108], off
	v_mov_b32_e32 v44, s23
	v_mov_b32_e32 v43, s24
	;; [unrolled: 1-line block ×3, first 2 shown]
	s_waitcnt vmcnt(40)
	global_store_dwordx4 v[35:36], v[101:104], off
	v_mov_b32_e32 v35, s19
	s_waitcnt vmcnt(36)
	global_store_dwordx4 v[19:20], v[0:3], off
	s_waitcnt vmcnt(32)
	global_store_dwordx4 v[9:10], v[109:112], off
	s_clause 0x7
	buffer_load_dword v0, v4, s[0:3], 0 offen
	buffer_load_dword v1, v4, s[0:3], 0 offen offset:4
	buffer_load_dword v2, v4, s[0:3], 0 offen offset:8
	;; [unrolled: 1-line block ×3, first 2 shown]
	buffer_load_dword v97, v43, s[0:3], 0 offen
	buffer_load_dword v98, v43, s[0:3], 0 offen offset:4
	buffer_load_dword v99, v43, s[0:3], 0 offen offset:8
	;; [unrolled: 1-line block ×3, first 2 shown]
	s_waitcnt vmcnt(36)
	global_store_dwordx4 v[7:8], v[53:56], off
	s_clause 0x7
	buffer_load_dword v7, v44, s[0:3], 0 offen
	buffer_load_dword v8, v44, s[0:3], 0 offen offset:4
	buffer_load_dword v9, v44, s[0:3], 0 offen offset:8
	buffer_load_dword v10, v44, s[0:3], 0 offen offset:12
	buffer_load_dword v53, v57, s[0:3], 0 offen
	buffer_load_dword v54, v57, s[0:3], 0 offen offset:4
	buffer_load_dword v55, v57, s[0:3], 0 offen offset:8
	;; [unrolled: 1-line block ×3, first 2 shown]
	v_mov_b32_e32 v36, s18
	v_mov_b32_e32 v105, s16
	s_waitcnt vmcnt(40)
	global_store_dwordx4 v[13:14], v[81:84], off
	s_clause 0x7
	buffer_load_dword v81, v58, s[0:3], 0 offen
	buffer_load_dword v82, v58, s[0:3], 0 offen offset:4
	buffer_load_dword v83, v58, s[0:3], 0 offen offset:8
	;; [unrolled: 1-line block ×3, first 2 shown]
	buffer_load_dword v101, v61, s[0:3], 0 offen
	buffer_load_dword v102, v61, s[0:3], 0 offen offset:4
	buffer_load_dword v103, v61, s[0:3], 0 offen offset:8
	buffer_load_dword v104, v61, s[0:3], 0 offen offset:12
	v_mov_b32_e32 v4, s7
	s_waitcnt vmcnt(44)
	global_store_dwordx4 v[11:12], v[85:88], off
	s_clause 0x7
	buffer_load_dword v11, v35, s[0:3], 0 offen
	buffer_load_dword v12, v35, s[0:3], 0 offen offset:4
	buffer_load_dword v13, v35, s[0:3], 0 offen offset:8
	buffer_load_dword v14, v35, s[0:3], 0 offen offset:12
	buffer_load_dword v85, v36, s[0:3], 0 offen
	buffer_load_dword v86, v36, s[0:3], 0 offen offset:4
	buffer_load_dword v87, v36, s[0:3], 0 offen offset:8
	buffer_load_dword v88, v36, s[0:3], 0 offen offset:12
	s_waitcnt vmcnt(48)
	global_store_dwordx4 v[21:22], v[89:92], off
	s_clause 0x7
	buffer_load_dword v19, v62, s[0:3], 0 offen
	buffer_load_dword v20, v62, s[0:3], 0 offen offset:4
	buffer_load_dword v21, v62, s[0:3], 0 offen offset:8
	buffer_load_dword v22, v62, s[0:3], 0 offen offset:12
	buffer_load_dword v89, v105, s[0:3], 0 offen
	buffer_load_dword v90, v105, s[0:3], 0 offen offset:4
	buffer_load_dword v91, v105, s[0:3], 0 offen offset:8
	buffer_load_dword v92, v105, s[0:3], 0 offen offset:12
	;; [unrolled: 11-line block ×6, first 2 shown]
	s_waitcnt vmcnt(62)
	global_store_dwordx4 v[25:26], v[0:3], off
	global_store_dwordx4 v[29:30], v[97:100], off
	s_waitcnt vmcnt(60)
	global_store_dwordx4 v[31:32], v[7:10], off
	s_waitcnt vmcnt(56)
	;; [unrolled: 2-line block ×16, first 2 shown]
	global_store_dwordx4 v[5:6], v[117:120], off
.LBB37_595:
	s_endpgm
	.section	.rodata,"a",@progbits
	.p2align	6, 0x0
	.amdhsa_kernel _ZN9rocsolver6v33100L18trti2_kernel_smallILi38E19rocblas_complex_numIdEPS3_EEv13rocblas_fill_17rocblas_diagonal_T1_iil
		.amdhsa_group_segment_fixed_size 1216
		.amdhsa_private_segment_fixed_size 624
		.amdhsa_kernarg_size 32
		.amdhsa_user_sgpr_count 6
		.amdhsa_user_sgpr_private_segment_buffer 1
		.amdhsa_user_sgpr_dispatch_ptr 0
		.amdhsa_user_sgpr_queue_ptr 0
		.amdhsa_user_sgpr_kernarg_segment_ptr 1
		.amdhsa_user_sgpr_dispatch_id 0
		.amdhsa_user_sgpr_flat_scratch_init 0
		.amdhsa_user_sgpr_private_segment_size 0
		.amdhsa_wavefront_size32 1
		.amdhsa_uses_dynamic_stack 0
		.amdhsa_system_sgpr_private_segment_wavefront_offset 1
		.amdhsa_system_sgpr_workgroup_id_x 1
		.amdhsa_system_sgpr_workgroup_id_y 0
		.amdhsa_system_sgpr_workgroup_id_z 0
		.amdhsa_system_sgpr_workgroup_info 0
		.amdhsa_system_vgpr_workitem_id 0
		.amdhsa_next_free_vgpr 124
		.amdhsa_next_free_sgpr 62
		.amdhsa_reserve_vcc 1
		.amdhsa_reserve_flat_scratch 0
		.amdhsa_float_round_mode_32 0
		.amdhsa_float_round_mode_16_64 0
		.amdhsa_float_denorm_mode_32 3
		.amdhsa_float_denorm_mode_16_64 3
		.amdhsa_dx10_clamp 1
		.amdhsa_ieee_mode 1
		.amdhsa_fp16_overflow 0
		.amdhsa_workgroup_processor_mode 1
		.amdhsa_memory_ordered 1
		.amdhsa_forward_progress 1
		.amdhsa_shared_vgpr_count 0
		.amdhsa_exception_fp_ieee_invalid_op 0
		.amdhsa_exception_fp_denorm_src 0
		.amdhsa_exception_fp_ieee_div_zero 0
		.amdhsa_exception_fp_ieee_overflow 0
		.amdhsa_exception_fp_ieee_underflow 0
		.amdhsa_exception_fp_ieee_inexact 0
		.amdhsa_exception_int_div_zero 0
	.end_amdhsa_kernel
	.section	.text._ZN9rocsolver6v33100L18trti2_kernel_smallILi38E19rocblas_complex_numIdEPS3_EEv13rocblas_fill_17rocblas_diagonal_T1_iil,"axG",@progbits,_ZN9rocsolver6v33100L18trti2_kernel_smallILi38E19rocblas_complex_numIdEPS3_EEv13rocblas_fill_17rocblas_diagonal_T1_iil,comdat
.Lfunc_end37:
	.size	_ZN9rocsolver6v33100L18trti2_kernel_smallILi38E19rocblas_complex_numIdEPS3_EEv13rocblas_fill_17rocblas_diagonal_T1_iil, .Lfunc_end37-_ZN9rocsolver6v33100L18trti2_kernel_smallILi38E19rocblas_complex_numIdEPS3_EEv13rocblas_fill_17rocblas_diagonal_T1_iil
                                        ; -- End function
	.set _ZN9rocsolver6v33100L18trti2_kernel_smallILi38E19rocblas_complex_numIdEPS3_EEv13rocblas_fill_17rocblas_diagonal_T1_iil.num_vgpr, 124
	.set _ZN9rocsolver6v33100L18trti2_kernel_smallILi38E19rocblas_complex_numIdEPS3_EEv13rocblas_fill_17rocblas_diagonal_T1_iil.num_agpr, 0
	.set _ZN9rocsolver6v33100L18trti2_kernel_smallILi38E19rocblas_complex_numIdEPS3_EEv13rocblas_fill_17rocblas_diagonal_T1_iil.numbered_sgpr, 62
	.set _ZN9rocsolver6v33100L18trti2_kernel_smallILi38E19rocblas_complex_numIdEPS3_EEv13rocblas_fill_17rocblas_diagonal_T1_iil.num_named_barrier, 0
	.set _ZN9rocsolver6v33100L18trti2_kernel_smallILi38E19rocblas_complex_numIdEPS3_EEv13rocblas_fill_17rocblas_diagonal_T1_iil.private_seg_size, 624
	.set _ZN9rocsolver6v33100L18trti2_kernel_smallILi38E19rocblas_complex_numIdEPS3_EEv13rocblas_fill_17rocblas_diagonal_T1_iil.uses_vcc, 1
	.set _ZN9rocsolver6v33100L18trti2_kernel_smallILi38E19rocblas_complex_numIdEPS3_EEv13rocblas_fill_17rocblas_diagonal_T1_iil.uses_flat_scratch, 0
	.set _ZN9rocsolver6v33100L18trti2_kernel_smallILi38E19rocblas_complex_numIdEPS3_EEv13rocblas_fill_17rocblas_diagonal_T1_iil.has_dyn_sized_stack, 0
	.set _ZN9rocsolver6v33100L18trti2_kernel_smallILi38E19rocblas_complex_numIdEPS3_EEv13rocblas_fill_17rocblas_diagonal_T1_iil.has_recursion, 0
	.set _ZN9rocsolver6v33100L18trti2_kernel_smallILi38E19rocblas_complex_numIdEPS3_EEv13rocblas_fill_17rocblas_diagonal_T1_iil.has_indirect_call, 0
	.section	.AMDGPU.csdata,"",@progbits
; Kernel info:
; codeLenInByte = 38464
; TotalNumSgprs: 64
; NumVgprs: 124
; ScratchSize: 624
; MemoryBound: 0
; FloatMode: 240
; IeeeMode: 1
; LDSByteSize: 1216 bytes/workgroup (compile time only)
; SGPRBlocks: 0
; VGPRBlocks: 15
; NumSGPRsForWavesPerEU: 64
; NumVGPRsForWavesPerEU: 124
; Occupancy: 8
; WaveLimiterHint : 0
; COMPUTE_PGM_RSRC2:SCRATCH_EN: 1
; COMPUTE_PGM_RSRC2:USER_SGPR: 6
; COMPUTE_PGM_RSRC2:TRAP_HANDLER: 0
; COMPUTE_PGM_RSRC2:TGID_X_EN: 1
; COMPUTE_PGM_RSRC2:TGID_Y_EN: 0
; COMPUTE_PGM_RSRC2:TGID_Z_EN: 0
; COMPUTE_PGM_RSRC2:TIDIG_COMP_CNT: 0
	.section	.text._ZN9rocsolver6v33100L18trti2_kernel_smallILi39E19rocblas_complex_numIdEPS3_EEv13rocblas_fill_17rocblas_diagonal_T1_iil,"axG",@progbits,_ZN9rocsolver6v33100L18trti2_kernel_smallILi39E19rocblas_complex_numIdEPS3_EEv13rocblas_fill_17rocblas_diagonal_T1_iil,comdat
	.globl	_ZN9rocsolver6v33100L18trti2_kernel_smallILi39E19rocblas_complex_numIdEPS3_EEv13rocblas_fill_17rocblas_diagonal_T1_iil ; -- Begin function _ZN9rocsolver6v33100L18trti2_kernel_smallILi39E19rocblas_complex_numIdEPS3_EEv13rocblas_fill_17rocblas_diagonal_T1_iil
	.p2align	8
	.type	_ZN9rocsolver6v33100L18trti2_kernel_smallILi39E19rocblas_complex_numIdEPS3_EEv13rocblas_fill_17rocblas_diagonal_T1_iil,@function
_ZN9rocsolver6v33100L18trti2_kernel_smallILi39E19rocblas_complex_numIdEPS3_EEv13rocblas_fill_17rocblas_diagonal_T1_iil: ; @_ZN9rocsolver6v33100L18trti2_kernel_smallILi39E19rocblas_complex_numIdEPS3_EEv13rocblas_fill_17rocblas_diagonal_T1_iil
; %bb.0:
	s_add_u32 s0, s0, s7
	s_addc_u32 s1, s1, 0
	s_mov_b32 s7, exec_lo
	v_cmpx_gt_u32_e32 39, v0
	s_cbranch_execz .LBB38_611
; %bb.1:
	s_load_dwordx8 s[8:15], s[4:5], 0x0
	s_ashr_i32 s4, s6, 31
	v_lshlrev_b32_e32 v103, 4, v0
	s_movk_i32 s17, 0x100
	s_movk_i32 s18, 0x110
	;; [unrolled: 1-line block ×17, first 2 shown]
	s_waitcnt lgkmcnt(0)
	s_mul_hi_u32 s5, s14, s6
	s_mul_i32 s16, s14, s4
	s_mul_i32 s15, s15, s6
	s_add_i32 s5, s5, s16
	v_add3_u32 v1, s13, s13, v0
	s_mul_i32 s4, s14, s6
	s_add_i32 s5, s5, s15
	s_ashr_i32 s7, s12, 31
	s_lshl_b64 s[4:5], s[4:5], 4
	s_mov_b32 s6, s12
	v_add_nc_u32_e32 v17, s13, v1
	s_add_u32 s10, s10, s4
	s_addc_u32 s11, s11, s5
	s_lshl_b64 s[4:5], s[6:7], 4
	v_ashrrev_i32_e32 v2, 31, v1
	s_add_u32 s4, s10, s4
	v_ashrrev_i32_e32 v18, 31, v17
	s_addc_u32 s5, s11, s5
	v_add_co_u32 v27, s6, s4, v103
	s_mov_b32 s14, s13
	s_ashr_i32 s15, s13, 31
	v_add_co_ci_u32_e64 v28, null, s5, 0, s6
	v_lshlrev_b64 v[5:6], 4, v[1:2]
	s_lshl_b64 s[6:7], s[14:15], 4
	v_lshlrev_b64 v[9:10], 4, v[17:18]
	v_add_co_u32 v29, vcc_lo, v27, s6
	v_add_co_ci_u32_e64 v30, null, s7, v28, vcc_lo
	global_load_dwordx4 v[1:4], v103, s[4:5]
	v_add_co_u32 v25, vcc_lo, s4, v5
	v_add_co_ci_u32_e64 v26, null, s5, v6, vcc_lo
	v_add_co_u32 v81, vcc_lo, s4, v9
	global_load_dwordx4 v[5:8], v[29:30], off
	v_add_co_ci_u32_e64 v82, null, s5, v10, vcc_lo
	s_clause 0x1
	global_load_dwordx4 v[9:12], v[25:26], off
	global_load_dwordx4 v[13:16], v[81:82], off
	v_add_nc_u32_e32 v17, s13, v17
	s_cmpk_lg_i32 s9, 0x84
	s_movk_i32 s6, 0x70
	s_movk_i32 s7, 0x80
	;; [unrolled: 1-line block ×3, first 2 shown]
	v_add_nc_u32_e32 v19, s13, v17
	v_ashrrev_i32_e32 v18, 31, v17
	s_movk_i32 s11, 0xa0
	s_movk_i32 s12, 0xb0
	;; [unrolled: 1-line block ×3, first 2 shown]
	v_add_nc_u32_e32 v21, s13, v19
	v_ashrrev_i32_e32 v20, 31, v19
	v_lshlrev_b64 v[17:18], 4, v[17:18]
	s_movk_i32 s15, 0xe0
	s_movk_i32 s16, 0xf0
	v_ashrrev_i32_e32 v22, 31, v21
	v_add_nc_u32_e32 v23, s13, v21
	v_lshlrev_b64 v[19:20], 4, v[19:20]
	v_add_co_u32 v77, vcc_lo, s4, v17
	v_lshlrev_b64 v[21:22], 4, v[21:22]
	v_add_nc_u32_e32 v31, s13, v23
	v_add_co_ci_u32_e64 v78, null, s5, v18, vcc_lo
	v_add_co_u32 v75, vcc_lo, s4, v19
	v_ashrrev_i32_e32 v24, 31, v23
	v_add_co_ci_u32_e64 v76, null, s5, v20, vcc_lo
	v_add_nc_u32_e32 v35, s13, v31
	v_add_co_u32 v69, vcc_lo, s4, v21
	v_ashrrev_i32_e32 v32, 31, v31
	global_load_dwordx4 v[17:20], v[77:78], off
	v_lshlrev_b64 v[33:34], 4, v[23:24]
	v_add_co_ci_u32_e64 v70, null, s5, v22, vcc_lo
	global_load_dwordx4 v[21:24], v[75:76], off
	v_add_nc_u32_e32 v37, s13, v35
	v_ashrrev_i32_e32 v36, 31, v35
	v_lshlrev_b64 v[31:32], 4, v[31:32]
	global_load_dwordx4 v[104:107], v[69:70], off
	v_add_co_u32 v71, vcc_lo, s4, v33
	v_ashrrev_i32_e32 v38, 31, v37
	v_add_co_ci_u32_e64 v72, null, s5, v34, vcc_lo
	v_lshlrev_b64 v[33:34], 4, v[35:36]
	v_add_co_u32 v67, vcc_lo, s4, v31
	v_add_co_ci_u32_e64 v68, null, s5, v32, vcc_lo
	v_lshlrev_b64 v[31:32], 4, v[37:38]
	v_add_co_u32 v63, vcc_lo, s4, v33
	v_add_co_ci_u32_e64 v64, null, s5, v34, vcc_lo
	v_add_nc_u32_e32 v35, s13, v37
	v_add_co_u32 v57, vcc_lo, s4, v31
	v_add_co_ci_u32_e64 v58, null, s5, v32, vcc_lo
	v_ashrrev_i32_e32 v36, 31, v35
	v_add_nc_u32_e32 v37, s13, v35
	s_movk_i32 s57, 0x210
	s_movk_i32 s58, 0x220
	;; [unrolled: 1-line block ×3, first 2 shown]
	v_lshlrev_b64 v[33:34], 4, v[35:36]
	v_ashrrev_i32_e32 v38, 31, v37
	v_add_nc_u32_e32 v35, s13, v37
	s_movk_i32 s60, 0x240
	s_movk_i32 s61, 0x250
	;; [unrolled: 1-line block ×3, first 2 shown]
	v_lshlrev_b64 v[31:32], 4, v[37:38]
	v_ashrrev_i32_e32 v36, 31, v35
	v_add_nc_u32_e32 v37, s13, v35
	v_add_co_u32 v49, vcc_lo, s4, v33
	v_add_co_ci_u32_e64 v50, null, s5, v34, vcc_lo
	v_lshlrev_b64 v[33:34], 4, v[35:36]
	v_ashrrev_i32_e32 v38, 31, v37
	v_add_nc_u32_e32 v35, s13, v37
	v_add_co_u32 v45, vcc_lo, s4, v31
	v_add_co_ci_u32_e64 v46, null, s5, v32, vcc_lo
	;; [unrolled: 5-line block ×3, first 2 shown]
	v_lshlrev_b64 v[33:34], 4, v[35:36]
	v_add_nc_u32_e32 v35, s13, v37
	v_ashrrev_i32_e32 v38, 31, v37
	v_add_co_u32 v43, vcc_lo, s4, v31
	v_add_co_ci_u32_e64 v44, null, s5, v32, vcc_lo
	v_ashrrev_i32_e32 v36, 31, v35
	v_lshlrev_b64 v[31:32], 4, v[37:38]
	v_add_nc_u32_e32 v37, s13, v35
	v_add_co_u32 v41, vcc_lo, s4, v33
	v_add_co_ci_u32_e64 v42, null, s5, v34, vcc_lo
	v_lshlrev_b64 v[33:34], 4, v[35:36]
	v_ashrrev_i32_e32 v38, 31, v37
	v_add_co_u32 v39, vcc_lo, s4, v31
	v_add_co_ci_u32_e64 v40, null, s5, v32, vcc_lo
	v_add_nc_u32_e32 v35, s13, v37
	v_lshlrev_b64 v[31:32], 4, v[37:38]
	v_add_co_u32 v37, vcc_lo, s4, v33
	v_add_co_ci_u32_e64 v38, null, s5, v34, vcc_lo
	v_add_nc_u32_e32 v51, s13, v35
	v_ashrrev_i32_e32 v36, 31, v35
	s_cselect_b32 s46, -1, 0
	s_cmpk_eq_i32 s9, 0x84
	s_waitcnt vmcnt(6)
	buffer_store_dword v4, off, s[0:3], 0 offset:12
	buffer_store_dword v3, off, s[0:3], 0 offset:8
	;; [unrolled: 1-line block ×3, first 2 shown]
	buffer_store_dword v1, off, s[0:3], 0
	global_load_dwordx4 v[1:4], v[71:72], off
	s_waitcnt vmcnt(6)
	buffer_store_dword v8, off, s[0:3], 0 offset:28
	buffer_store_dword v7, off, s[0:3], 0 offset:24
	buffer_store_dword v6, off, s[0:3], 0 offset:20
	buffer_store_dword v5, off, s[0:3], 0 offset:16
	global_load_dwordx4 v[5:8], v[67:68], off
	s_waitcnt vmcnt(6)
	buffer_store_dword v12, off, s[0:3], 0 offset:44
	buffer_store_dword v11, off, s[0:3], 0 offset:40
	buffer_store_dword v10, off, s[0:3], 0 offset:36
	buffer_store_dword v9, off, s[0:3], 0 offset:32
	;; [unrolled: 6-line block ×6, first 2 shown]
	global_load_dwordx4 v[104:107], v[47:48], off
	v_ashrrev_i32_e32 v52, 31, v51
	v_add_nc_u32_e32 v53, s13, v51
	v_lshlrev_b64 v[33:34], 4, v[35:36]
	v_add_co_u32 v35, vcc_lo, s4, v31
	v_add_co_ci_u32_e64 v36, null, s5, v32, vcc_lo
	v_lshlrev_b64 v[31:32], 4, v[51:52]
	v_add_nc_u32_e32 v51, s13, v53
	v_add_co_u32 v33, vcc_lo, s4, v33
	v_ashrrev_i32_e32 v54, 31, v53
	v_add_co_ci_u32_e64 v34, null, s5, v34, vcc_lo
	v_add_nc_u32_e32 v55, s13, v51
	v_add_co_u32 v31, vcc_lo, s4, v31
	v_ashrrev_i32_e32 v52, 31, v51
	v_lshlrev_b64 v[53:54], 4, v[53:54]
	v_add_co_ci_u32_e64 v32, null, s5, v32, vcc_lo
	v_add_nc_u32_e32 v61, s13, v55
	v_ashrrev_i32_e32 v56, 31, v55
	v_lshlrev_b64 v[59:60], 4, v[51:52]
	v_add_co_u32 v51, vcc_lo, s4, v53
	v_ashrrev_i32_e32 v62, 31, v61
	v_add_co_ci_u32_e64 v52, null, s5, v54, vcc_lo
	v_lshlrev_b64 v[55:56], 4, v[55:56]
	v_add_co_u32 v53, vcc_lo, s4, v59
	v_add_co_ci_u32_e64 v54, null, s5, v60, vcc_lo
	v_lshlrev_b64 v[59:60], 4, v[61:62]
	v_add_co_u32 v55, vcc_lo, s4, v55
	v_add_co_ci_u32_e64 v56, null, s5, v56, vcc_lo
	v_add_nc_u32_e32 v65, s13, v61
	v_add_co_u32 v59, vcc_lo, s4, v59
	v_add_co_ci_u32_e64 v60, null, s5, v60, vcc_lo
	v_add_nc_u32_e32 v61, s13, v65
	v_ashrrev_i32_e32 v66, 31, v65
	s_waitcnt vmcnt(6)
	buffer_store_dword v4, off, s[0:3], 0 offset:124
	buffer_store_dword v3, off, s[0:3], 0 offset:120
	buffer_store_dword v2, off, s[0:3], 0 offset:116
	buffer_store_dword v1, off, s[0:3], 0 offset:112
	global_load_dwordx4 v[1:4], v[43:44], off
	s_waitcnt vmcnt(6)
	buffer_store_dword v8, off, s[0:3], 0 offset:140
	buffer_store_dword v7, off, s[0:3], 0 offset:136
	buffer_store_dword v6, off, s[0:3], 0 offset:132
	buffer_store_dword v5, off, s[0:3], 0 offset:128
	global_load_dwordx4 v[5:8], v[41:42], off
	;; [unrolled: 6-line block ×7, first 2 shown]
	v_add_nc_u32_e32 v73, s13, v61
	v_ashrrev_i32_e32 v62, 31, v61
	v_lshlrev_b64 v[65:66], 4, v[65:66]
	s_waitcnt vmcnt(6)
	buffer_store_dword v4, off, s[0:3], 0 offset:236
	buffer_store_dword v3, off, s[0:3], 0 offset:232
	buffer_store_dword v2, off, s[0:3], 0 offset:228
	buffer_store_dword v1, off, s[0:3], 0 offset:224
	global_load_dwordx4 v[1:4], v[51:52], off
	s_waitcnt vmcnt(6)
	buffer_store_dword v8, off, s[0:3], 0 offset:252
	buffer_store_dword v7, off, s[0:3], 0 offset:248
	buffer_store_dword v6, off, s[0:3], 0 offset:244
	buffer_store_dword v5, off, s[0:3], 0 offset:240
	global_load_dwordx4 v[5:8], v[53:54], off
	;; [unrolled: 6-line block ×4, first 2 shown]
	v_ashrrev_i32_e32 v74, 31, v73
	v_add_nc_u32_e32 v83, s13, v73
	v_lshlrev_b64 v[79:80], 4, v[61:62]
	v_add_co_u32 v61, vcc_lo, s4, v65
	v_lshlrev_b64 v[73:74], 4, v[73:74]
	v_ashrrev_i32_e32 v84, 31, v83
	v_add_nc_u32_e32 v85, s13, v83
	v_add_co_ci_u32_e64 v62, null, s5, v66, vcc_lo
	v_add_co_u32 v65, vcc_lo, s4, v79
	v_add_co_ci_u32_e64 v66, null, s5, v80, vcc_lo
	v_lshlrev_b64 v[79:80], 4, v[83:84]
	v_add_nc_u32_e32 v83, s13, v85
	v_add_co_u32 v73, vcc_lo, s4, v73
	v_ashrrev_i32_e32 v86, 31, v85
	s_waitcnt vmcnt(6)
	buffer_store_dword v20, off, s[0:3], 0 offset:300
	buffer_store_dword v19, off, s[0:3], 0 offset:296
	;; [unrolled: 1-line block ×4, first 2 shown]
	v_add_co_ci_u32_e64 v74, null, s5, v74, vcc_lo
	global_load_dwordx4 v[17:20], v[61:62], off
	s_waitcnt vmcnt(6)
	buffer_store_dword v24, off, s[0:3], 0 offset:316
	buffer_store_dword v23, off, s[0:3], 0 offset:312
	;; [unrolled: 1-line block ×4, first 2 shown]
	global_load_dwordx4 v[21:24], v[65:66], off
	v_add_nc_u32_e32 v87, s13, v83
	v_ashrrev_i32_e32 v84, 31, v83
	v_lshlrev_b64 v[85:86], 4, v[85:86]
	s_waitcnt vmcnt(6)
	buffer_store_dword v107, off, s[0:3], 0 offset:332
	buffer_store_dword v106, off, s[0:3], 0 offset:328
	;; [unrolled: 1-line block ×4, first 2 shown]
	global_load_dwordx4 v[104:107], v[73:74], off
	v_add_co_u32 v79, vcc_lo, s4, v79
	v_ashrrev_i32_e32 v88, 31, v87
	v_add_co_ci_u32_e64 v80, null, s5, v80, vcc_lo
	v_lshlrev_b64 v[89:90], 4, v[83:84]
	v_add_co_u32 v83, vcc_lo, s4, v85
	v_add_nc_u32_e32 v91, s13, v87
	v_add_co_ci_u32_e64 v84, null, s5, v86, vcc_lo
	v_lshlrev_b64 v[87:88], 4, v[87:88]
	v_add_co_u32 v85, vcc_lo, s4, v89
	v_add_co_ci_u32_e64 v86, null, s5, v90, vcc_lo
	v_ashrrev_i32_e32 v92, 31, v91
	v_add_co_u32 v87, vcc_lo, s4, v87
	v_add_co_ci_u32_e64 v88, null, s5, v88, vcc_lo
	v_add_nc_u32_e32 v93, s13, v91
	v_lshlrev_b64 v[89:90], 4, v[91:92]
	s_waitcnt vmcnt(6)
	buffer_store_dword v4, off, s[0:3], 0 offset:348
	buffer_store_dword v3, off, s[0:3], 0 offset:344
	buffer_store_dword v2, off, s[0:3], 0 offset:340
	buffer_store_dword v1, off, s[0:3], 0 offset:336
	global_load_dwordx4 v[1:4], v[79:80], off
	s_waitcnt vmcnt(6)
	buffer_store_dword v8, off, s[0:3], 0 offset:364
	buffer_store_dword v7, off, s[0:3], 0 offset:360
	buffer_store_dword v6, off, s[0:3], 0 offset:356
	buffer_store_dword v5, off, s[0:3], 0 offset:352
	global_load_dwordx4 v[5:8], v[83:84], off
	;; [unrolled: 6-line block ×4, first 2 shown]
	v_add_nc_u32_e32 v91, s13, v93
	v_ashrrev_i32_e32 v94, 31, v93
	v_add_co_u32 v89, vcc_lo, s4, v89
	v_add_co_ci_u32_e64 v90, null, s5, v90, vcc_lo
	v_ashrrev_i32_e32 v92, 31, v91
	v_lshlrev_b64 v[93:94], 4, v[93:94]
	v_add_nc_u32_e32 v95, s13, v91
	s_waitcnt vmcnt(6)
	buffer_store_dword v20, off, s[0:3], 0 offset:412
	buffer_store_dword v19, off, s[0:3], 0 offset:408
	;; [unrolled: 1-line block ×4, first 2 shown]
	v_lshlrev_b64 v[97:98], 4, v[91:92]
	v_add_nc_u32_e32 v99, s13, v95
	v_add_co_u32 v91, vcc_lo, s4, v93
	v_ashrrev_i32_e32 v96, 31, v95
	v_add_co_ci_u32_e64 v92, null, s5, v94, vcc_lo
	v_add_co_u32 v93, vcc_lo, s4, v97
	v_ashrrev_i32_e32 v100, 31, v99
	v_add_nc_u32_e32 v101, s13, v99
	v_add_co_ci_u32_e64 v94, null, s5, v98, vcc_lo
	v_lshlrev_b64 v[95:96], 4, v[95:96]
	global_load_dwordx4 v[17:20], v[89:90], off
	s_waitcnt vmcnt(6)
	buffer_store_dword v24, off, s[0:3], 0 offset:428
	buffer_store_dword v23, off, s[0:3], 0 offset:424
	;; [unrolled: 1-line block ×4, first 2 shown]
	s_waitcnt vmcnt(5)
	buffer_store_dword v107, off, s[0:3], 0 offset:444
	buffer_store_dword v106, off, s[0:3], 0 offset:440
	;; [unrolled: 1-line block ×4, first 2 shown]
	s_clause 0x1
	global_load_dwordx4 v[21:24], v[91:92], off
	global_load_dwordx4 v[104:107], v[93:94], off
	v_lshlrev_b64 v[97:98], 4, v[99:100]
	v_add_nc_u32_e32 v99, s13, v101
	v_ashrrev_i32_e32 v102, 31, v101
	v_add_co_u32 v95, vcc_lo, s4, v95
	v_add_co_ci_u32_e64 v96, null, s5, v96, vcc_lo
	v_ashrrev_i32_e32 v100, 31, v99
	v_lshlrev_b64 v[101:102], 4, v[101:102]
	v_add_co_u32 v97, vcc_lo, s4, v97
	v_add_co_ci_u32_e64 v98, null, s5, v98, vcc_lo
	v_lshlrev_b64 v[99:100], 4, v[99:100]
	v_add_co_u32 v101, vcc_lo, s4, v101
	v_add_co_ci_u32_e64 v102, null, s5, v102, vcc_lo
	s_movk_i32 s13, 0xc0
	v_add_co_u32 v99, vcc_lo, s4, v99
	v_add_co_ci_u32_e64 v100, null, s5, v100, vcc_lo
	s_movk_i32 s4, 0x50
	s_movk_i32 s5, 0x60
	s_waitcnt vmcnt(6)
	buffer_store_dword v4, off, s[0:3], 0 offset:460
	buffer_store_dword v3, off, s[0:3], 0 offset:456
	buffer_store_dword v2, off, s[0:3], 0 offset:452
	buffer_store_dword v1, off, s[0:3], 0 offset:448
	global_load_dwordx4 v[1:4], v[95:96], off
	s_waitcnt vmcnt(6)
	buffer_store_dword v8, off, s[0:3], 0 offset:476
	buffer_store_dword v7, off, s[0:3], 0 offset:472
	buffer_store_dword v6, off, s[0:3], 0 offset:468
	buffer_store_dword v5, off, s[0:3], 0 offset:464
	global_load_dwordx4 v[5:8], v[97:98], off
	;; [unrolled: 6-line block ×4, first 2 shown]
	s_waitcnt vmcnt(6)
	buffer_store_dword v20, off, s[0:3], 0 offset:524
	buffer_store_dword v19, off, s[0:3], 0 offset:520
	buffer_store_dword v18, off, s[0:3], 0 offset:516
	buffer_store_dword v17, off, s[0:3], 0 offset:512
	s_waitcnt vmcnt(5)
	buffer_store_dword v24, off, s[0:3], 0 offset:540
	buffer_store_dword v23, off, s[0:3], 0 offset:536
	buffer_store_dword v22, off, s[0:3], 0 offset:532
	buffer_store_dword v21, off, s[0:3], 0 offset:528
	;; [unrolled: 5-line block ×7, first 2 shown]
	s_cbranch_scc1 .LBB38_7
; %bb.2:
	v_lshl_add_u32 v11, v0, 4, 0
                                        ; implicit-def: $vgpr7_vgpr8
                                        ; implicit-def: $vgpr3_vgpr4
	s_clause 0x3
	buffer_load_dword v5, v11, s[0:3], 0 offen
	buffer_load_dword v6, v11, s[0:3], 0 offen offset:4
	buffer_load_dword v9, v11, s[0:3], 0 offen offset:8
	;; [unrolled: 1-line block ×3, first 2 shown]
	s_waitcnt vmcnt(0)
	v_cmp_ngt_f64_e64 s9, |v[5:6]|, |v[9:10]|
	s_and_saveexec_b32 s24, s9
	s_xor_b32 s9, exec_lo, s24
	s_cbranch_execz .LBB38_4
; %bb.3:
	v_div_scale_f64 v[1:2], null, v[9:10], v[9:10], v[5:6]
	v_div_scale_f64 v[12:13], vcc_lo, v[5:6], v[9:10], v[5:6]
	v_rcp_f64_e32 v[3:4], v[1:2]
	v_fma_f64 v[7:8], -v[1:2], v[3:4], 1.0
	v_fma_f64 v[3:4], v[3:4], v[7:8], v[3:4]
	v_fma_f64 v[7:8], -v[1:2], v[3:4], 1.0
	v_fma_f64 v[3:4], v[3:4], v[7:8], v[3:4]
	v_mul_f64 v[7:8], v[12:13], v[3:4]
	v_fma_f64 v[1:2], -v[1:2], v[7:8], v[12:13]
	v_div_fmas_f64 v[1:2], v[1:2], v[3:4], v[7:8]
	v_div_fixup_f64 v[1:2], v[1:2], v[9:10], v[5:6]
	v_fma_f64 v[3:4], v[5:6], v[1:2], v[9:10]
	v_div_scale_f64 v[5:6], null, v[3:4], v[3:4], 1.0
	v_div_scale_f64 v[12:13], vcc_lo, 1.0, v[3:4], 1.0
	v_rcp_f64_e32 v[7:8], v[5:6]
	v_fma_f64 v[9:10], -v[5:6], v[7:8], 1.0
	v_fma_f64 v[7:8], v[7:8], v[9:10], v[7:8]
	v_fma_f64 v[9:10], -v[5:6], v[7:8], 1.0
	v_fma_f64 v[7:8], v[7:8], v[9:10], v[7:8]
	v_mul_f64 v[9:10], v[12:13], v[7:8]
	v_fma_f64 v[5:6], -v[5:6], v[9:10], v[12:13]
	v_div_fmas_f64 v[5:6], v[5:6], v[7:8], v[9:10]
                                        ; implicit-def: $vgpr9_vgpr10
	v_div_fixup_f64 v[3:4], v[5:6], v[3:4], 1.0
                                        ; implicit-def: $vgpr5_vgpr6
	v_mul_f64 v[7:8], v[1:2], v[3:4]
	v_xor_b32_e32 v4, 0x80000000, v4
	v_xor_b32_e32 v2, 0x80000000, v8
	v_mov_b32_e32 v1, v7
.LBB38_4:
	s_andn2_saveexec_b32 s9, s9
	s_cbranch_execz .LBB38_6
; %bb.5:
	v_div_scale_f64 v[1:2], null, v[5:6], v[5:6], v[9:10]
	v_div_scale_f64 v[12:13], vcc_lo, v[9:10], v[5:6], v[9:10]
	v_rcp_f64_e32 v[3:4], v[1:2]
	v_fma_f64 v[7:8], -v[1:2], v[3:4], 1.0
	v_fma_f64 v[3:4], v[3:4], v[7:8], v[3:4]
	v_fma_f64 v[7:8], -v[1:2], v[3:4], 1.0
	v_fma_f64 v[3:4], v[3:4], v[7:8], v[3:4]
	v_mul_f64 v[7:8], v[12:13], v[3:4]
	v_fma_f64 v[1:2], -v[1:2], v[7:8], v[12:13]
	v_div_fmas_f64 v[1:2], v[1:2], v[3:4], v[7:8]
	v_div_fixup_f64 v[1:2], v[1:2], v[5:6], v[9:10]
	v_fma_f64 v[3:4], v[9:10], v[1:2], v[5:6]
	v_div_scale_f64 v[5:6], null, v[3:4], v[3:4], 1.0
	v_rcp_f64_e32 v[7:8], v[5:6]
	v_fma_f64 v[9:10], -v[5:6], v[7:8], 1.0
	v_fma_f64 v[7:8], v[7:8], v[9:10], v[7:8]
	v_fma_f64 v[9:10], -v[5:6], v[7:8], 1.0
	v_fma_f64 v[7:8], v[7:8], v[9:10], v[7:8]
	v_div_scale_f64 v[9:10], vcc_lo, 1.0, v[3:4], 1.0
	v_mul_f64 v[12:13], v[9:10], v[7:8]
	v_fma_f64 v[5:6], -v[5:6], v[12:13], v[9:10]
	v_div_fmas_f64 v[5:6], v[5:6], v[7:8], v[12:13]
	v_div_fixup_f64 v[7:8], v[5:6], v[3:4], 1.0
	v_mul_f64 v[3:4], v[1:2], -v[7:8]
	v_xor_b32_e32 v2, 0x80000000, v8
	v_mov_b32_e32 v1, v7
.LBB38_6:
	s_or_b32 exec_lo, exec_lo, s9
	buffer_store_dword v4, v11, s[0:3], 0 offen offset:12
	v_xor_b32_e32 v4, 0x80000000, v4
	buffer_store_dword v8, v11, s[0:3], 0 offen offset:4
	buffer_store_dword v7, v11, s[0:3], 0 offen
	buffer_store_dword v3, v11, s[0:3], 0 offen offset:8
	s_branch .LBB38_8
.LBB38_7:
	v_mov_b32_e32 v1, 0
	v_mov_b32_e32 v3, 0
	;; [unrolled: 1-line block ×4, first 2 shown]
.LBB38_8:
	v_add_nc_u32_e32 v6, 0x270, v103
	v_mov_b32_e32 v5, v103
	s_mov_b32 s45, 16
	s_mov_b32 s44, 32
	;; [unrolled: 1-line block ×37, first 2 shown]
	s_cmpk_eq_i32 s8, 0x79
	ds_write_b128 v103, v[1:4]
	s_cbranch_scc1 .LBB38_308
; %bb.9:
	v_mov_b32_e32 v4, s7
	v_cmp_eq_u32_e64 s4, 38, v0
	s_clause 0x3
	buffer_load_dword v1, v4, s[0:3], 0 offen
	buffer_load_dword v2, v4, s[0:3], 0 offen offset:4
	buffer_load_dword v3, v4, s[0:3], 0 offen offset:8
	;; [unrolled: 1-line block ×3, first 2 shown]
	s_waitcnt vmcnt(0)
	ds_write_b128 v6, v[1:4]
	s_waitcnt lgkmcnt(0)
	s_waitcnt_vscnt null, 0x0
	s_barrier
	buffer_gl0_inv
	s_and_saveexec_b32 s5, s4
	s_cbranch_execz .LBB38_13
; %bb.10:
	ds_read_b128 v[1:4], v6
	s_andn2_b32 vcc_lo, exec_lo, s46
	s_cbranch_vccnz .LBB38_12
; %bb.11:
	s_clause 0x3
	buffer_load_dword v7, v5, s[0:3], 0 offen offset:8
	buffer_load_dword v8, v5, s[0:3], 0 offen offset:12
	buffer_load_dword v9, v5, s[0:3], 0 offen
	buffer_load_dword v10, v5, s[0:3], 0 offen offset:4
	s_waitcnt vmcnt(2) lgkmcnt(0)
	v_mul_f64 v[11:12], v[3:4], v[7:8]
	v_mul_f64 v[7:8], v[1:2], v[7:8]
	s_waitcnt vmcnt(0)
	v_fma_f64 v[1:2], v[1:2], v[9:10], -v[11:12]
	v_fma_f64 v[3:4], v[3:4], v[9:10], v[7:8]
.LBB38_12:
	v_mov_b32_e32 v7, 0
	ds_read_b128 v[7:10], v7 offset:592
	s_waitcnt lgkmcnt(0)
	v_mul_f64 v[11:12], v[3:4], v[9:10]
	v_mul_f64 v[9:10], v[1:2], v[9:10]
	v_fma_f64 v[1:2], v[1:2], v[7:8], -v[11:12]
	v_fma_f64 v[3:4], v[3:4], v[7:8], v[9:10]
	buffer_store_dword v2, off, s[0:3], 0 offset:596
	buffer_store_dword v1, off, s[0:3], 0 offset:592
	;; [unrolled: 1-line block ×4, first 2 shown]
.LBB38_13:
	s_or_b32 exec_lo, exec_lo, s5
	v_mov_b32_e32 v4, s9
	v_cmp_lt_u32_e64 s5, 36, v0
	s_clause 0x3
	buffer_load_dword v1, v4, s[0:3], 0 offen
	buffer_load_dword v2, v4, s[0:3], 0 offen offset:4
	buffer_load_dword v3, v4, s[0:3], 0 offen offset:8
	buffer_load_dword v4, v4, s[0:3], 0 offen offset:12
	s_waitcnt vmcnt(0)
	ds_write_b128 v6, v[1:4]
	s_waitcnt lgkmcnt(0)
	s_waitcnt_vscnt null, 0x0
	s_barrier
	buffer_gl0_inv
	s_and_saveexec_b32 s8, s5
	s_cbranch_execz .LBB38_19
; %bb.14:
	ds_read_b128 v[1:4], v6
	s_andn2_b32 vcc_lo, exec_lo, s46
	s_cbranch_vccnz .LBB38_16
; %bb.15:
	s_clause 0x3
	buffer_load_dword v7, v5, s[0:3], 0 offen offset:8
	buffer_load_dword v8, v5, s[0:3], 0 offen offset:12
	buffer_load_dword v9, v5, s[0:3], 0 offen
	buffer_load_dword v10, v5, s[0:3], 0 offen offset:4
	s_waitcnt vmcnt(2) lgkmcnt(0)
	v_mul_f64 v[11:12], v[3:4], v[7:8]
	v_mul_f64 v[7:8], v[1:2], v[7:8]
	s_waitcnt vmcnt(0)
	v_fma_f64 v[1:2], v[1:2], v[9:10], -v[11:12]
	v_fma_f64 v[3:4], v[3:4], v[9:10], v[7:8]
.LBB38_16:
	s_and_saveexec_b32 s47, s4
	s_cbranch_execz .LBB38_18
; %bb.17:
	s_clause 0x3
	buffer_load_dword v11, off, s[0:3], 0 offset:600
	buffer_load_dword v12, off, s[0:3], 0 offset:604
	;; [unrolled: 1-line block ×4, first 2 shown]
	v_mov_b32_e32 v7, 0
	ds_read_b128 v[7:10], v7 offset:1216
	s_waitcnt vmcnt(2) lgkmcnt(0)
	v_mul_f64 v[15:16], v[7:8], v[11:12]
	v_mul_f64 v[11:12], v[9:10], v[11:12]
	s_waitcnt vmcnt(0)
	v_fma_f64 v[9:10], v[9:10], v[13:14], v[15:16]
	v_fma_f64 v[7:8], v[7:8], v[13:14], -v[11:12]
	v_add_f64 v[3:4], v[3:4], v[9:10]
	v_add_f64 v[1:2], v[1:2], v[7:8]
.LBB38_18:
	s_or_b32 exec_lo, exec_lo, s47
	v_mov_b32_e32 v7, 0
	ds_read_b128 v[7:10], v7 offset:576
	s_waitcnt lgkmcnt(0)
	v_mul_f64 v[11:12], v[3:4], v[9:10]
	v_mul_f64 v[9:10], v[1:2], v[9:10]
	v_fma_f64 v[1:2], v[1:2], v[7:8], -v[11:12]
	v_fma_f64 v[3:4], v[3:4], v[7:8], v[9:10]
	buffer_store_dword v2, off, s[0:3], 0 offset:580
	buffer_store_dword v1, off, s[0:3], 0 offset:576
	;; [unrolled: 1-line block ×4, first 2 shown]
.LBB38_19:
	s_or_b32 exec_lo, exec_lo, s8
	v_mov_b32_e32 v4, s10
	v_cmp_lt_u32_e64 s4, 35, v0
	s_clause 0x3
	buffer_load_dword v1, v4, s[0:3], 0 offen
	buffer_load_dword v2, v4, s[0:3], 0 offen offset:4
	buffer_load_dword v3, v4, s[0:3], 0 offen offset:8
	;; [unrolled: 1-line block ×3, first 2 shown]
	s_waitcnt vmcnt(0)
	ds_write_b128 v6, v[1:4]
	s_waitcnt lgkmcnt(0)
	s_waitcnt_vscnt null, 0x0
	s_barrier
	buffer_gl0_inv
	s_and_saveexec_b32 s8, s4
	s_cbranch_execz .LBB38_27
; %bb.20:
	ds_read_b128 v[1:4], v6
	s_andn2_b32 vcc_lo, exec_lo, s46
	s_cbranch_vccnz .LBB38_22
; %bb.21:
	s_clause 0x3
	buffer_load_dword v7, v5, s[0:3], 0 offen offset:8
	buffer_load_dword v8, v5, s[0:3], 0 offen offset:12
	buffer_load_dword v9, v5, s[0:3], 0 offen
	buffer_load_dword v10, v5, s[0:3], 0 offen offset:4
	s_waitcnt vmcnt(2) lgkmcnt(0)
	v_mul_f64 v[11:12], v[3:4], v[7:8]
	v_mul_f64 v[7:8], v[1:2], v[7:8]
	s_waitcnt vmcnt(0)
	v_fma_f64 v[1:2], v[1:2], v[9:10], -v[11:12]
	v_fma_f64 v[3:4], v[3:4], v[9:10], v[7:8]
.LBB38_22:
	s_and_saveexec_b32 s47, s5
	s_cbranch_execz .LBB38_26
; %bb.23:
	v_subrev_nc_u32_e32 v7, 36, v0
	s_movk_i32 s48, 0x4b0
	s_mov_b32 s5, 0
	s_mov_b32 s49, s9
	.p2align	6
.LBB38_24:                              ; =>This Inner Loop Header: Depth=1
	v_mov_b32_e32 v8, s49
	v_add_nc_u32_e32 v7, -1, v7
	s_add_i32 s49, s49, 16
	s_clause 0x3
	buffer_load_dword v12, v8, s[0:3], 0 offen offset:8
	buffer_load_dword v13, v8, s[0:3], 0 offen offset:12
	buffer_load_dword v14, v8, s[0:3], 0 offen
	buffer_load_dword v15, v8, s[0:3], 0 offen offset:4
	v_mov_b32_e32 v8, s48
	v_cmp_eq_u32_e32 vcc_lo, 0, v7
	s_add_i32 s48, s48, 16
	ds_read_b128 v[8:11], v8
	s_or_b32 s5, vcc_lo, s5
	s_waitcnt vmcnt(2) lgkmcnt(0)
	v_mul_f64 v[16:17], v[10:11], v[12:13]
	v_mul_f64 v[12:13], v[8:9], v[12:13]
	s_waitcnt vmcnt(0)
	v_fma_f64 v[8:9], v[8:9], v[14:15], -v[16:17]
	v_fma_f64 v[10:11], v[10:11], v[14:15], v[12:13]
	v_add_f64 v[1:2], v[1:2], v[8:9]
	v_add_f64 v[3:4], v[3:4], v[10:11]
	s_andn2_b32 exec_lo, exec_lo, s5
	s_cbranch_execnz .LBB38_24
; %bb.25:
	s_or_b32 exec_lo, exec_lo, s5
.LBB38_26:
	s_or_b32 exec_lo, exec_lo, s47
	v_mov_b32_e32 v7, 0
	ds_read_b128 v[7:10], v7 offset:560
	s_waitcnt lgkmcnt(0)
	v_mul_f64 v[11:12], v[3:4], v[9:10]
	v_mul_f64 v[9:10], v[1:2], v[9:10]
	v_fma_f64 v[1:2], v[1:2], v[7:8], -v[11:12]
	v_fma_f64 v[3:4], v[3:4], v[7:8], v[9:10]
	buffer_store_dword v2, off, s[0:3], 0 offset:564
	buffer_store_dword v1, off, s[0:3], 0 offset:560
	;; [unrolled: 1-line block ×4, first 2 shown]
.LBB38_27:
	s_or_b32 exec_lo, exec_lo, s8
	v_mov_b32_e32 v4, s11
	v_cmp_lt_u32_e64 s5, 34, v0
	s_clause 0x3
	buffer_load_dword v1, v4, s[0:3], 0 offen
	buffer_load_dword v2, v4, s[0:3], 0 offen offset:4
	buffer_load_dword v3, v4, s[0:3], 0 offen offset:8
	;; [unrolled: 1-line block ×3, first 2 shown]
	s_waitcnt vmcnt(0)
	ds_write_b128 v6, v[1:4]
	s_waitcnt lgkmcnt(0)
	s_waitcnt_vscnt null, 0x0
	s_barrier
	buffer_gl0_inv
	s_and_saveexec_b32 s8, s5
	s_cbranch_execz .LBB38_35
; %bb.28:
	ds_read_b128 v[1:4], v6
	s_andn2_b32 vcc_lo, exec_lo, s46
	s_cbranch_vccnz .LBB38_30
; %bb.29:
	s_clause 0x3
	buffer_load_dword v7, v5, s[0:3], 0 offen offset:8
	buffer_load_dword v8, v5, s[0:3], 0 offen offset:12
	buffer_load_dword v9, v5, s[0:3], 0 offen
	buffer_load_dword v10, v5, s[0:3], 0 offen offset:4
	s_waitcnt vmcnt(2) lgkmcnt(0)
	v_mul_f64 v[11:12], v[3:4], v[7:8]
	v_mul_f64 v[7:8], v[1:2], v[7:8]
	s_waitcnt vmcnt(0)
	v_fma_f64 v[1:2], v[1:2], v[9:10], -v[11:12]
	v_fma_f64 v[3:4], v[3:4], v[9:10], v[7:8]
.LBB38_30:
	s_and_saveexec_b32 s47, s4
	s_cbranch_execz .LBB38_34
; %bb.31:
	v_subrev_nc_u32_e32 v7, 35, v0
	s_movk_i32 s48, 0x4a0
	s_mov_b32 s4, 0
	s_mov_b32 s49, s10
	.p2align	6
.LBB38_32:                              ; =>This Inner Loop Header: Depth=1
	v_mov_b32_e32 v8, s49
	v_add_nc_u32_e32 v7, -1, v7
	s_add_i32 s49, s49, 16
	s_clause 0x3
	buffer_load_dword v12, v8, s[0:3], 0 offen offset:8
	buffer_load_dword v13, v8, s[0:3], 0 offen offset:12
	buffer_load_dword v14, v8, s[0:3], 0 offen
	buffer_load_dword v15, v8, s[0:3], 0 offen offset:4
	v_mov_b32_e32 v8, s48
	v_cmp_eq_u32_e32 vcc_lo, 0, v7
	s_add_i32 s48, s48, 16
	ds_read_b128 v[8:11], v8
	s_or_b32 s4, vcc_lo, s4
	s_waitcnt vmcnt(2) lgkmcnt(0)
	v_mul_f64 v[16:17], v[10:11], v[12:13]
	v_mul_f64 v[12:13], v[8:9], v[12:13]
	s_waitcnt vmcnt(0)
	v_fma_f64 v[8:9], v[8:9], v[14:15], -v[16:17]
	v_fma_f64 v[10:11], v[10:11], v[14:15], v[12:13]
	v_add_f64 v[1:2], v[1:2], v[8:9]
	v_add_f64 v[3:4], v[3:4], v[10:11]
	s_andn2_b32 exec_lo, exec_lo, s4
	s_cbranch_execnz .LBB38_32
; %bb.33:
	s_or_b32 exec_lo, exec_lo, s4
.LBB38_34:
	s_or_b32 exec_lo, exec_lo, s47
	v_mov_b32_e32 v7, 0
	ds_read_b128 v[7:10], v7 offset:544
	s_waitcnt lgkmcnt(0)
	v_mul_f64 v[11:12], v[3:4], v[9:10]
	v_mul_f64 v[9:10], v[1:2], v[9:10]
	v_fma_f64 v[1:2], v[1:2], v[7:8], -v[11:12]
	v_fma_f64 v[3:4], v[3:4], v[7:8], v[9:10]
	buffer_store_dword v2, off, s[0:3], 0 offset:548
	buffer_store_dword v1, off, s[0:3], 0 offset:544
	;; [unrolled: 1-line block ×4, first 2 shown]
.LBB38_35:
	s_or_b32 exec_lo, exec_lo, s8
	v_mov_b32_e32 v4, s12
	v_cmp_lt_u32_e64 s4, 33, v0
	s_clause 0x3
	buffer_load_dword v1, v4, s[0:3], 0 offen
	buffer_load_dword v2, v4, s[0:3], 0 offen offset:4
	buffer_load_dword v3, v4, s[0:3], 0 offen offset:8
	;; [unrolled: 1-line block ×3, first 2 shown]
	s_waitcnt vmcnt(0)
	ds_write_b128 v6, v[1:4]
	s_waitcnt lgkmcnt(0)
	s_waitcnt_vscnt null, 0x0
	s_barrier
	buffer_gl0_inv
	s_and_saveexec_b32 s8, s4
	s_cbranch_execz .LBB38_43
; %bb.36:
	ds_read_b128 v[1:4], v6
	s_andn2_b32 vcc_lo, exec_lo, s46
	s_cbranch_vccnz .LBB38_38
; %bb.37:
	s_clause 0x3
	buffer_load_dword v7, v5, s[0:3], 0 offen offset:8
	buffer_load_dword v8, v5, s[0:3], 0 offen offset:12
	buffer_load_dword v9, v5, s[0:3], 0 offen
	buffer_load_dword v10, v5, s[0:3], 0 offen offset:4
	s_waitcnt vmcnt(2) lgkmcnt(0)
	v_mul_f64 v[11:12], v[3:4], v[7:8]
	v_mul_f64 v[7:8], v[1:2], v[7:8]
	s_waitcnt vmcnt(0)
	v_fma_f64 v[1:2], v[1:2], v[9:10], -v[11:12]
	v_fma_f64 v[3:4], v[3:4], v[9:10], v[7:8]
.LBB38_38:
	s_and_saveexec_b32 s47, s5
	s_cbranch_execz .LBB38_42
; %bb.39:
	v_subrev_nc_u32_e32 v7, 34, v0
	s_movk_i32 s48, 0x490
	s_mov_b32 s5, 0
	s_mov_b32 s49, s11
	.p2align	6
.LBB38_40:                              ; =>This Inner Loop Header: Depth=1
	v_mov_b32_e32 v8, s49
	v_add_nc_u32_e32 v7, -1, v7
	s_add_i32 s49, s49, 16
	s_clause 0x3
	buffer_load_dword v12, v8, s[0:3], 0 offen offset:8
	buffer_load_dword v13, v8, s[0:3], 0 offen offset:12
	buffer_load_dword v14, v8, s[0:3], 0 offen
	buffer_load_dword v15, v8, s[0:3], 0 offen offset:4
	v_mov_b32_e32 v8, s48
	v_cmp_eq_u32_e32 vcc_lo, 0, v7
	s_add_i32 s48, s48, 16
	ds_read_b128 v[8:11], v8
	s_or_b32 s5, vcc_lo, s5
	s_waitcnt vmcnt(2) lgkmcnt(0)
	v_mul_f64 v[16:17], v[10:11], v[12:13]
	v_mul_f64 v[12:13], v[8:9], v[12:13]
	s_waitcnt vmcnt(0)
	v_fma_f64 v[8:9], v[8:9], v[14:15], -v[16:17]
	v_fma_f64 v[10:11], v[10:11], v[14:15], v[12:13]
	v_add_f64 v[1:2], v[1:2], v[8:9]
	v_add_f64 v[3:4], v[3:4], v[10:11]
	s_andn2_b32 exec_lo, exec_lo, s5
	s_cbranch_execnz .LBB38_40
; %bb.41:
	s_or_b32 exec_lo, exec_lo, s5
.LBB38_42:
	s_or_b32 exec_lo, exec_lo, s47
	v_mov_b32_e32 v7, 0
	ds_read_b128 v[7:10], v7 offset:528
	s_waitcnt lgkmcnt(0)
	v_mul_f64 v[11:12], v[3:4], v[9:10]
	v_mul_f64 v[9:10], v[1:2], v[9:10]
	v_fma_f64 v[1:2], v[1:2], v[7:8], -v[11:12]
	v_fma_f64 v[3:4], v[3:4], v[7:8], v[9:10]
	buffer_store_dword v2, off, s[0:3], 0 offset:532
	buffer_store_dword v1, off, s[0:3], 0 offset:528
	;; [unrolled: 1-line block ×4, first 2 shown]
.LBB38_43:
	s_or_b32 exec_lo, exec_lo, s8
	v_mov_b32_e32 v4, s13
	v_cmp_lt_u32_e64 s5, 32, v0
	s_clause 0x3
	buffer_load_dword v1, v4, s[0:3], 0 offen
	buffer_load_dword v2, v4, s[0:3], 0 offen offset:4
	buffer_load_dword v3, v4, s[0:3], 0 offen offset:8
	;; [unrolled: 1-line block ×3, first 2 shown]
	s_waitcnt vmcnt(0)
	ds_write_b128 v6, v[1:4]
	s_waitcnt lgkmcnt(0)
	s_waitcnt_vscnt null, 0x0
	s_barrier
	buffer_gl0_inv
	s_and_saveexec_b32 s8, s5
	s_cbranch_execz .LBB38_51
; %bb.44:
	ds_read_b128 v[1:4], v6
	s_andn2_b32 vcc_lo, exec_lo, s46
	s_cbranch_vccnz .LBB38_46
; %bb.45:
	s_clause 0x3
	buffer_load_dword v7, v5, s[0:3], 0 offen offset:8
	buffer_load_dword v8, v5, s[0:3], 0 offen offset:12
	buffer_load_dword v9, v5, s[0:3], 0 offen
	buffer_load_dword v10, v5, s[0:3], 0 offen offset:4
	s_waitcnt vmcnt(2) lgkmcnt(0)
	v_mul_f64 v[11:12], v[3:4], v[7:8]
	v_mul_f64 v[7:8], v[1:2], v[7:8]
	s_waitcnt vmcnt(0)
	v_fma_f64 v[1:2], v[1:2], v[9:10], -v[11:12]
	v_fma_f64 v[3:4], v[3:4], v[9:10], v[7:8]
.LBB38_46:
	s_and_saveexec_b32 s47, s4
	s_cbranch_execz .LBB38_50
; %bb.47:
	v_subrev_nc_u32_e32 v7, 33, v0
	s_movk_i32 s48, 0x480
	s_mov_b32 s4, 0
	s_mov_b32 s49, s12
	.p2align	6
.LBB38_48:                              ; =>This Inner Loop Header: Depth=1
	v_mov_b32_e32 v8, s49
	v_add_nc_u32_e32 v7, -1, v7
	s_add_i32 s49, s49, 16
	s_clause 0x3
	buffer_load_dword v12, v8, s[0:3], 0 offen offset:8
	buffer_load_dword v13, v8, s[0:3], 0 offen offset:12
	buffer_load_dword v14, v8, s[0:3], 0 offen
	buffer_load_dword v15, v8, s[0:3], 0 offen offset:4
	v_mov_b32_e32 v8, s48
	v_cmp_eq_u32_e32 vcc_lo, 0, v7
	s_add_i32 s48, s48, 16
	ds_read_b128 v[8:11], v8
	s_or_b32 s4, vcc_lo, s4
	s_waitcnt vmcnt(2) lgkmcnt(0)
	v_mul_f64 v[16:17], v[10:11], v[12:13]
	v_mul_f64 v[12:13], v[8:9], v[12:13]
	s_waitcnt vmcnt(0)
	v_fma_f64 v[8:9], v[8:9], v[14:15], -v[16:17]
	v_fma_f64 v[10:11], v[10:11], v[14:15], v[12:13]
	v_add_f64 v[1:2], v[1:2], v[8:9]
	v_add_f64 v[3:4], v[3:4], v[10:11]
	s_andn2_b32 exec_lo, exec_lo, s4
	s_cbranch_execnz .LBB38_48
; %bb.49:
	s_or_b32 exec_lo, exec_lo, s4
.LBB38_50:
	s_or_b32 exec_lo, exec_lo, s47
	v_mov_b32_e32 v7, 0
	ds_read_b128 v[7:10], v7 offset:512
	s_waitcnt lgkmcnt(0)
	v_mul_f64 v[11:12], v[3:4], v[9:10]
	v_mul_f64 v[9:10], v[1:2], v[9:10]
	v_fma_f64 v[1:2], v[1:2], v[7:8], -v[11:12]
	v_fma_f64 v[3:4], v[3:4], v[7:8], v[9:10]
	buffer_store_dword v2, off, s[0:3], 0 offset:516
	buffer_store_dword v1, off, s[0:3], 0 offset:512
	;; [unrolled: 1-line block ×4, first 2 shown]
.LBB38_51:
	s_or_b32 exec_lo, exec_lo, s8
	v_mov_b32_e32 v4, s14
	v_cmp_lt_u32_e64 s4, 31, v0
	s_clause 0x3
	buffer_load_dword v1, v4, s[0:3], 0 offen
	buffer_load_dword v2, v4, s[0:3], 0 offen offset:4
	buffer_load_dword v3, v4, s[0:3], 0 offen offset:8
	;; [unrolled: 1-line block ×3, first 2 shown]
	s_waitcnt vmcnt(0)
	ds_write_b128 v6, v[1:4]
	s_waitcnt lgkmcnt(0)
	s_waitcnt_vscnt null, 0x0
	s_barrier
	buffer_gl0_inv
	s_and_saveexec_b32 s8, s4
	s_cbranch_execz .LBB38_59
; %bb.52:
	ds_read_b128 v[1:4], v6
	s_andn2_b32 vcc_lo, exec_lo, s46
	s_cbranch_vccnz .LBB38_54
; %bb.53:
	s_clause 0x3
	buffer_load_dword v7, v5, s[0:3], 0 offen offset:8
	buffer_load_dword v8, v5, s[0:3], 0 offen offset:12
	buffer_load_dword v9, v5, s[0:3], 0 offen
	buffer_load_dword v10, v5, s[0:3], 0 offen offset:4
	s_waitcnt vmcnt(2) lgkmcnt(0)
	v_mul_f64 v[11:12], v[3:4], v[7:8]
	v_mul_f64 v[7:8], v[1:2], v[7:8]
	s_waitcnt vmcnt(0)
	v_fma_f64 v[1:2], v[1:2], v[9:10], -v[11:12]
	v_fma_f64 v[3:4], v[3:4], v[9:10], v[7:8]
.LBB38_54:
	s_and_saveexec_b32 s47, s5
	s_cbranch_execz .LBB38_58
; %bb.55:
	v_subrev_nc_u32_e32 v7, 32, v0
	s_movk_i32 s48, 0x470
	s_mov_b32 s5, 0
	s_mov_b32 s49, s13
	.p2align	6
.LBB38_56:                              ; =>This Inner Loop Header: Depth=1
	v_mov_b32_e32 v8, s49
	v_add_nc_u32_e32 v7, -1, v7
	s_add_i32 s49, s49, 16
	s_clause 0x3
	buffer_load_dword v12, v8, s[0:3], 0 offen offset:8
	buffer_load_dword v13, v8, s[0:3], 0 offen offset:12
	buffer_load_dword v14, v8, s[0:3], 0 offen
	buffer_load_dword v15, v8, s[0:3], 0 offen offset:4
	v_mov_b32_e32 v8, s48
	v_cmp_eq_u32_e32 vcc_lo, 0, v7
	s_add_i32 s48, s48, 16
	ds_read_b128 v[8:11], v8
	s_or_b32 s5, vcc_lo, s5
	s_waitcnt vmcnt(2) lgkmcnt(0)
	v_mul_f64 v[16:17], v[10:11], v[12:13]
	v_mul_f64 v[12:13], v[8:9], v[12:13]
	s_waitcnt vmcnt(0)
	v_fma_f64 v[8:9], v[8:9], v[14:15], -v[16:17]
	v_fma_f64 v[10:11], v[10:11], v[14:15], v[12:13]
	v_add_f64 v[1:2], v[1:2], v[8:9]
	v_add_f64 v[3:4], v[3:4], v[10:11]
	s_andn2_b32 exec_lo, exec_lo, s5
	s_cbranch_execnz .LBB38_56
; %bb.57:
	s_or_b32 exec_lo, exec_lo, s5
.LBB38_58:
	s_or_b32 exec_lo, exec_lo, s47
	v_mov_b32_e32 v7, 0
	ds_read_b128 v[7:10], v7 offset:496
	s_waitcnt lgkmcnt(0)
	v_mul_f64 v[11:12], v[3:4], v[9:10]
	v_mul_f64 v[9:10], v[1:2], v[9:10]
	v_fma_f64 v[1:2], v[1:2], v[7:8], -v[11:12]
	v_fma_f64 v[3:4], v[3:4], v[7:8], v[9:10]
	buffer_store_dword v2, off, s[0:3], 0 offset:500
	buffer_store_dword v1, off, s[0:3], 0 offset:496
	;; [unrolled: 1-line block ×4, first 2 shown]
.LBB38_59:
	s_or_b32 exec_lo, exec_lo, s8
	v_mov_b32_e32 v4, s15
	v_cmp_lt_u32_e64 s5, 30, v0
	s_clause 0x3
	buffer_load_dword v1, v4, s[0:3], 0 offen
	buffer_load_dword v2, v4, s[0:3], 0 offen offset:4
	buffer_load_dword v3, v4, s[0:3], 0 offen offset:8
	;; [unrolled: 1-line block ×3, first 2 shown]
	s_waitcnt vmcnt(0)
	ds_write_b128 v6, v[1:4]
	s_waitcnt lgkmcnt(0)
	s_waitcnt_vscnt null, 0x0
	s_barrier
	buffer_gl0_inv
	s_and_saveexec_b32 s8, s5
	s_cbranch_execz .LBB38_67
; %bb.60:
	ds_read_b128 v[1:4], v6
	s_andn2_b32 vcc_lo, exec_lo, s46
	s_cbranch_vccnz .LBB38_62
; %bb.61:
	s_clause 0x3
	buffer_load_dword v7, v5, s[0:3], 0 offen offset:8
	buffer_load_dword v8, v5, s[0:3], 0 offen offset:12
	buffer_load_dword v9, v5, s[0:3], 0 offen
	buffer_load_dword v10, v5, s[0:3], 0 offen offset:4
	s_waitcnt vmcnt(2) lgkmcnt(0)
	v_mul_f64 v[11:12], v[3:4], v[7:8]
	v_mul_f64 v[7:8], v[1:2], v[7:8]
	s_waitcnt vmcnt(0)
	v_fma_f64 v[1:2], v[1:2], v[9:10], -v[11:12]
	v_fma_f64 v[3:4], v[3:4], v[9:10], v[7:8]
.LBB38_62:
	s_and_saveexec_b32 s47, s4
	s_cbranch_execz .LBB38_66
; %bb.63:
	v_subrev_nc_u32_e32 v7, 31, v0
	s_movk_i32 s48, 0x460
	s_mov_b32 s4, 0
	s_mov_b32 s49, s14
	.p2align	6
.LBB38_64:                              ; =>This Inner Loop Header: Depth=1
	v_mov_b32_e32 v8, s49
	v_add_nc_u32_e32 v7, -1, v7
	s_add_i32 s49, s49, 16
	s_clause 0x3
	buffer_load_dword v12, v8, s[0:3], 0 offen offset:8
	buffer_load_dword v13, v8, s[0:3], 0 offen offset:12
	buffer_load_dword v14, v8, s[0:3], 0 offen
	buffer_load_dword v15, v8, s[0:3], 0 offen offset:4
	v_mov_b32_e32 v8, s48
	v_cmp_eq_u32_e32 vcc_lo, 0, v7
	s_add_i32 s48, s48, 16
	ds_read_b128 v[8:11], v8
	s_or_b32 s4, vcc_lo, s4
	s_waitcnt vmcnt(2) lgkmcnt(0)
	v_mul_f64 v[16:17], v[10:11], v[12:13]
	v_mul_f64 v[12:13], v[8:9], v[12:13]
	s_waitcnt vmcnt(0)
	v_fma_f64 v[8:9], v[8:9], v[14:15], -v[16:17]
	v_fma_f64 v[10:11], v[10:11], v[14:15], v[12:13]
	v_add_f64 v[1:2], v[1:2], v[8:9]
	v_add_f64 v[3:4], v[3:4], v[10:11]
	s_andn2_b32 exec_lo, exec_lo, s4
	s_cbranch_execnz .LBB38_64
; %bb.65:
	s_or_b32 exec_lo, exec_lo, s4
.LBB38_66:
	s_or_b32 exec_lo, exec_lo, s47
	v_mov_b32_e32 v7, 0
	ds_read_b128 v[7:10], v7 offset:480
	s_waitcnt lgkmcnt(0)
	v_mul_f64 v[11:12], v[3:4], v[9:10]
	v_mul_f64 v[9:10], v[1:2], v[9:10]
	v_fma_f64 v[1:2], v[1:2], v[7:8], -v[11:12]
	v_fma_f64 v[3:4], v[3:4], v[7:8], v[9:10]
	buffer_store_dword v2, off, s[0:3], 0 offset:484
	buffer_store_dword v1, off, s[0:3], 0 offset:480
	;; [unrolled: 1-line block ×4, first 2 shown]
.LBB38_67:
	s_or_b32 exec_lo, exec_lo, s8
	v_mov_b32_e32 v4, s16
	v_cmp_lt_u32_e64 s4, 29, v0
	s_clause 0x3
	buffer_load_dword v1, v4, s[0:3], 0 offen
	buffer_load_dword v2, v4, s[0:3], 0 offen offset:4
	buffer_load_dword v3, v4, s[0:3], 0 offen offset:8
	;; [unrolled: 1-line block ×3, first 2 shown]
	s_waitcnt vmcnt(0)
	ds_write_b128 v6, v[1:4]
	s_waitcnt lgkmcnt(0)
	s_waitcnt_vscnt null, 0x0
	s_barrier
	buffer_gl0_inv
	s_and_saveexec_b32 s8, s4
	s_cbranch_execz .LBB38_75
; %bb.68:
	ds_read_b128 v[1:4], v6
	s_andn2_b32 vcc_lo, exec_lo, s46
	s_cbranch_vccnz .LBB38_70
; %bb.69:
	s_clause 0x3
	buffer_load_dword v7, v5, s[0:3], 0 offen offset:8
	buffer_load_dword v8, v5, s[0:3], 0 offen offset:12
	buffer_load_dword v9, v5, s[0:3], 0 offen
	buffer_load_dword v10, v5, s[0:3], 0 offen offset:4
	s_waitcnt vmcnt(2) lgkmcnt(0)
	v_mul_f64 v[11:12], v[3:4], v[7:8]
	v_mul_f64 v[7:8], v[1:2], v[7:8]
	s_waitcnt vmcnt(0)
	v_fma_f64 v[1:2], v[1:2], v[9:10], -v[11:12]
	v_fma_f64 v[3:4], v[3:4], v[9:10], v[7:8]
.LBB38_70:
	s_and_saveexec_b32 s47, s5
	s_cbranch_execz .LBB38_74
; %bb.71:
	v_subrev_nc_u32_e32 v7, 30, v0
	s_movk_i32 s48, 0x450
	s_mov_b32 s5, 0
	s_mov_b32 s49, s15
	.p2align	6
.LBB38_72:                              ; =>This Inner Loop Header: Depth=1
	v_mov_b32_e32 v8, s49
	v_add_nc_u32_e32 v7, -1, v7
	s_add_i32 s49, s49, 16
	s_clause 0x3
	buffer_load_dword v12, v8, s[0:3], 0 offen offset:8
	buffer_load_dword v13, v8, s[0:3], 0 offen offset:12
	buffer_load_dword v14, v8, s[0:3], 0 offen
	buffer_load_dword v15, v8, s[0:3], 0 offen offset:4
	v_mov_b32_e32 v8, s48
	v_cmp_eq_u32_e32 vcc_lo, 0, v7
	s_add_i32 s48, s48, 16
	ds_read_b128 v[8:11], v8
	s_or_b32 s5, vcc_lo, s5
	s_waitcnt vmcnt(2) lgkmcnt(0)
	v_mul_f64 v[16:17], v[10:11], v[12:13]
	v_mul_f64 v[12:13], v[8:9], v[12:13]
	s_waitcnt vmcnt(0)
	v_fma_f64 v[8:9], v[8:9], v[14:15], -v[16:17]
	v_fma_f64 v[10:11], v[10:11], v[14:15], v[12:13]
	v_add_f64 v[1:2], v[1:2], v[8:9]
	v_add_f64 v[3:4], v[3:4], v[10:11]
	s_andn2_b32 exec_lo, exec_lo, s5
	s_cbranch_execnz .LBB38_72
; %bb.73:
	s_or_b32 exec_lo, exec_lo, s5
.LBB38_74:
	s_or_b32 exec_lo, exec_lo, s47
	v_mov_b32_e32 v7, 0
	ds_read_b128 v[7:10], v7 offset:464
	s_waitcnt lgkmcnt(0)
	v_mul_f64 v[11:12], v[3:4], v[9:10]
	v_mul_f64 v[9:10], v[1:2], v[9:10]
	v_fma_f64 v[1:2], v[1:2], v[7:8], -v[11:12]
	v_fma_f64 v[3:4], v[3:4], v[7:8], v[9:10]
	buffer_store_dword v2, off, s[0:3], 0 offset:468
	buffer_store_dword v1, off, s[0:3], 0 offset:464
	;; [unrolled: 1-line block ×4, first 2 shown]
.LBB38_75:
	s_or_b32 exec_lo, exec_lo, s8
	v_mov_b32_e32 v4, s17
	v_cmp_lt_u32_e64 s5, 28, v0
	s_clause 0x3
	buffer_load_dword v1, v4, s[0:3], 0 offen
	buffer_load_dword v2, v4, s[0:3], 0 offen offset:4
	buffer_load_dword v3, v4, s[0:3], 0 offen offset:8
	;; [unrolled: 1-line block ×3, first 2 shown]
	s_waitcnt vmcnt(0)
	ds_write_b128 v6, v[1:4]
	s_waitcnt lgkmcnt(0)
	s_waitcnt_vscnt null, 0x0
	s_barrier
	buffer_gl0_inv
	s_and_saveexec_b32 s8, s5
	s_cbranch_execz .LBB38_83
; %bb.76:
	ds_read_b128 v[1:4], v6
	s_andn2_b32 vcc_lo, exec_lo, s46
	s_cbranch_vccnz .LBB38_78
; %bb.77:
	s_clause 0x3
	buffer_load_dword v7, v5, s[0:3], 0 offen offset:8
	buffer_load_dword v8, v5, s[0:3], 0 offen offset:12
	buffer_load_dword v9, v5, s[0:3], 0 offen
	buffer_load_dword v10, v5, s[0:3], 0 offen offset:4
	s_waitcnt vmcnt(2) lgkmcnt(0)
	v_mul_f64 v[11:12], v[3:4], v[7:8]
	v_mul_f64 v[7:8], v[1:2], v[7:8]
	s_waitcnt vmcnt(0)
	v_fma_f64 v[1:2], v[1:2], v[9:10], -v[11:12]
	v_fma_f64 v[3:4], v[3:4], v[9:10], v[7:8]
.LBB38_78:
	s_and_saveexec_b32 s47, s4
	s_cbranch_execz .LBB38_82
; %bb.79:
	v_subrev_nc_u32_e32 v7, 29, v0
	s_movk_i32 s48, 0x440
	s_mov_b32 s4, 0
	s_mov_b32 s49, s16
	.p2align	6
.LBB38_80:                              ; =>This Inner Loop Header: Depth=1
	v_mov_b32_e32 v8, s49
	v_add_nc_u32_e32 v7, -1, v7
	s_add_i32 s49, s49, 16
	s_clause 0x3
	buffer_load_dword v12, v8, s[0:3], 0 offen offset:8
	buffer_load_dword v13, v8, s[0:3], 0 offen offset:12
	buffer_load_dword v14, v8, s[0:3], 0 offen
	buffer_load_dword v15, v8, s[0:3], 0 offen offset:4
	v_mov_b32_e32 v8, s48
	v_cmp_eq_u32_e32 vcc_lo, 0, v7
	s_add_i32 s48, s48, 16
	ds_read_b128 v[8:11], v8
	s_or_b32 s4, vcc_lo, s4
	s_waitcnt vmcnt(2) lgkmcnt(0)
	v_mul_f64 v[16:17], v[10:11], v[12:13]
	v_mul_f64 v[12:13], v[8:9], v[12:13]
	s_waitcnt vmcnt(0)
	v_fma_f64 v[8:9], v[8:9], v[14:15], -v[16:17]
	v_fma_f64 v[10:11], v[10:11], v[14:15], v[12:13]
	v_add_f64 v[1:2], v[1:2], v[8:9]
	v_add_f64 v[3:4], v[3:4], v[10:11]
	s_andn2_b32 exec_lo, exec_lo, s4
	s_cbranch_execnz .LBB38_80
; %bb.81:
	s_or_b32 exec_lo, exec_lo, s4
.LBB38_82:
	s_or_b32 exec_lo, exec_lo, s47
	v_mov_b32_e32 v7, 0
	ds_read_b128 v[7:10], v7 offset:448
	s_waitcnt lgkmcnt(0)
	v_mul_f64 v[11:12], v[3:4], v[9:10]
	v_mul_f64 v[9:10], v[1:2], v[9:10]
	v_fma_f64 v[1:2], v[1:2], v[7:8], -v[11:12]
	v_fma_f64 v[3:4], v[3:4], v[7:8], v[9:10]
	buffer_store_dword v2, off, s[0:3], 0 offset:452
	buffer_store_dword v1, off, s[0:3], 0 offset:448
	;; [unrolled: 1-line block ×4, first 2 shown]
.LBB38_83:
	s_or_b32 exec_lo, exec_lo, s8
	v_mov_b32_e32 v4, s18
	v_cmp_lt_u32_e64 s4, 27, v0
	s_clause 0x3
	buffer_load_dword v1, v4, s[0:3], 0 offen
	buffer_load_dword v2, v4, s[0:3], 0 offen offset:4
	buffer_load_dword v3, v4, s[0:3], 0 offen offset:8
	;; [unrolled: 1-line block ×3, first 2 shown]
	s_waitcnt vmcnt(0)
	ds_write_b128 v6, v[1:4]
	s_waitcnt lgkmcnt(0)
	s_waitcnt_vscnt null, 0x0
	s_barrier
	buffer_gl0_inv
	s_and_saveexec_b32 s8, s4
	s_cbranch_execz .LBB38_91
; %bb.84:
	ds_read_b128 v[1:4], v6
	s_andn2_b32 vcc_lo, exec_lo, s46
	s_cbranch_vccnz .LBB38_86
; %bb.85:
	s_clause 0x3
	buffer_load_dword v7, v5, s[0:3], 0 offen offset:8
	buffer_load_dword v8, v5, s[0:3], 0 offen offset:12
	buffer_load_dword v9, v5, s[0:3], 0 offen
	buffer_load_dword v10, v5, s[0:3], 0 offen offset:4
	s_waitcnt vmcnt(2) lgkmcnt(0)
	v_mul_f64 v[11:12], v[3:4], v[7:8]
	v_mul_f64 v[7:8], v[1:2], v[7:8]
	s_waitcnt vmcnt(0)
	v_fma_f64 v[1:2], v[1:2], v[9:10], -v[11:12]
	v_fma_f64 v[3:4], v[3:4], v[9:10], v[7:8]
.LBB38_86:
	s_and_saveexec_b32 s47, s5
	s_cbranch_execz .LBB38_90
; %bb.87:
	v_subrev_nc_u32_e32 v7, 28, v0
	s_movk_i32 s48, 0x430
	s_mov_b32 s5, 0
	s_mov_b32 s49, s17
	.p2align	6
.LBB38_88:                              ; =>This Inner Loop Header: Depth=1
	v_mov_b32_e32 v8, s49
	v_add_nc_u32_e32 v7, -1, v7
	s_add_i32 s49, s49, 16
	s_clause 0x3
	buffer_load_dword v12, v8, s[0:3], 0 offen offset:8
	buffer_load_dword v13, v8, s[0:3], 0 offen offset:12
	buffer_load_dword v14, v8, s[0:3], 0 offen
	buffer_load_dword v15, v8, s[0:3], 0 offen offset:4
	v_mov_b32_e32 v8, s48
	v_cmp_eq_u32_e32 vcc_lo, 0, v7
	s_add_i32 s48, s48, 16
	ds_read_b128 v[8:11], v8
	s_or_b32 s5, vcc_lo, s5
	s_waitcnt vmcnt(2) lgkmcnt(0)
	v_mul_f64 v[16:17], v[10:11], v[12:13]
	v_mul_f64 v[12:13], v[8:9], v[12:13]
	s_waitcnt vmcnt(0)
	v_fma_f64 v[8:9], v[8:9], v[14:15], -v[16:17]
	v_fma_f64 v[10:11], v[10:11], v[14:15], v[12:13]
	v_add_f64 v[1:2], v[1:2], v[8:9]
	v_add_f64 v[3:4], v[3:4], v[10:11]
	s_andn2_b32 exec_lo, exec_lo, s5
	s_cbranch_execnz .LBB38_88
; %bb.89:
	s_or_b32 exec_lo, exec_lo, s5
.LBB38_90:
	s_or_b32 exec_lo, exec_lo, s47
	v_mov_b32_e32 v7, 0
	ds_read_b128 v[7:10], v7 offset:432
	s_waitcnt lgkmcnt(0)
	v_mul_f64 v[11:12], v[3:4], v[9:10]
	v_mul_f64 v[9:10], v[1:2], v[9:10]
	v_fma_f64 v[1:2], v[1:2], v[7:8], -v[11:12]
	v_fma_f64 v[3:4], v[3:4], v[7:8], v[9:10]
	buffer_store_dword v2, off, s[0:3], 0 offset:436
	buffer_store_dword v1, off, s[0:3], 0 offset:432
	;; [unrolled: 1-line block ×4, first 2 shown]
.LBB38_91:
	s_or_b32 exec_lo, exec_lo, s8
	v_mov_b32_e32 v4, s19
	v_cmp_lt_u32_e64 s5, 26, v0
	s_clause 0x3
	buffer_load_dword v1, v4, s[0:3], 0 offen
	buffer_load_dword v2, v4, s[0:3], 0 offen offset:4
	buffer_load_dword v3, v4, s[0:3], 0 offen offset:8
	buffer_load_dword v4, v4, s[0:3], 0 offen offset:12
	s_waitcnt vmcnt(0)
	ds_write_b128 v6, v[1:4]
	s_waitcnt lgkmcnt(0)
	s_waitcnt_vscnt null, 0x0
	s_barrier
	buffer_gl0_inv
	s_and_saveexec_b32 s8, s5
	s_cbranch_execz .LBB38_99
; %bb.92:
	ds_read_b128 v[1:4], v6
	s_andn2_b32 vcc_lo, exec_lo, s46
	s_cbranch_vccnz .LBB38_94
; %bb.93:
	s_clause 0x3
	buffer_load_dword v7, v5, s[0:3], 0 offen offset:8
	buffer_load_dword v8, v5, s[0:3], 0 offen offset:12
	buffer_load_dword v9, v5, s[0:3], 0 offen
	buffer_load_dword v10, v5, s[0:3], 0 offen offset:4
	s_waitcnt vmcnt(2) lgkmcnt(0)
	v_mul_f64 v[11:12], v[3:4], v[7:8]
	v_mul_f64 v[7:8], v[1:2], v[7:8]
	s_waitcnt vmcnt(0)
	v_fma_f64 v[1:2], v[1:2], v[9:10], -v[11:12]
	v_fma_f64 v[3:4], v[3:4], v[9:10], v[7:8]
.LBB38_94:
	s_and_saveexec_b32 s47, s4
	s_cbranch_execz .LBB38_98
; %bb.95:
	v_subrev_nc_u32_e32 v7, 27, v0
	s_movk_i32 s48, 0x420
	s_mov_b32 s4, 0
	s_mov_b32 s49, s18
	.p2align	6
.LBB38_96:                              ; =>This Inner Loop Header: Depth=1
	v_mov_b32_e32 v8, s49
	v_add_nc_u32_e32 v7, -1, v7
	s_add_i32 s49, s49, 16
	s_clause 0x3
	buffer_load_dword v12, v8, s[0:3], 0 offen offset:8
	buffer_load_dword v13, v8, s[0:3], 0 offen offset:12
	buffer_load_dword v14, v8, s[0:3], 0 offen
	buffer_load_dword v15, v8, s[0:3], 0 offen offset:4
	v_mov_b32_e32 v8, s48
	v_cmp_eq_u32_e32 vcc_lo, 0, v7
	s_add_i32 s48, s48, 16
	ds_read_b128 v[8:11], v8
	s_or_b32 s4, vcc_lo, s4
	s_waitcnt vmcnt(2) lgkmcnt(0)
	v_mul_f64 v[16:17], v[10:11], v[12:13]
	v_mul_f64 v[12:13], v[8:9], v[12:13]
	s_waitcnt vmcnt(0)
	v_fma_f64 v[8:9], v[8:9], v[14:15], -v[16:17]
	v_fma_f64 v[10:11], v[10:11], v[14:15], v[12:13]
	v_add_f64 v[1:2], v[1:2], v[8:9]
	v_add_f64 v[3:4], v[3:4], v[10:11]
	s_andn2_b32 exec_lo, exec_lo, s4
	s_cbranch_execnz .LBB38_96
; %bb.97:
	s_or_b32 exec_lo, exec_lo, s4
.LBB38_98:
	s_or_b32 exec_lo, exec_lo, s47
	v_mov_b32_e32 v7, 0
	ds_read_b128 v[7:10], v7 offset:416
	s_waitcnt lgkmcnt(0)
	v_mul_f64 v[11:12], v[3:4], v[9:10]
	v_mul_f64 v[9:10], v[1:2], v[9:10]
	v_fma_f64 v[1:2], v[1:2], v[7:8], -v[11:12]
	v_fma_f64 v[3:4], v[3:4], v[7:8], v[9:10]
	buffer_store_dword v2, off, s[0:3], 0 offset:420
	buffer_store_dword v1, off, s[0:3], 0 offset:416
	;; [unrolled: 1-line block ×4, first 2 shown]
.LBB38_99:
	s_or_b32 exec_lo, exec_lo, s8
	v_mov_b32_e32 v4, s20
	v_cmp_lt_u32_e64 s4, 25, v0
	s_clause 0x3
	buffer_load_dword v1, v4, s[0:3], 0 offen
	buffer_load_dword v2, v4, s[0:3], 0 offen offset:4
	buffer_load_dword v3, v4, s[0:3], 0 offen offset:8
	;; [unrolled: 1-line block ×3, first 2 shown]
	s_waitcnt vmcnt(0)
	ds_write_b128 v6, v[1:4]
	s_waitcnt lgkmcnt(0)
	s_waitcnt_vscnt null, 0x0
	s_barrier
	buffer_gl0_inv
	s_and_saveexec_b32 s8, s4
	s_cbranch_execz .LBB38_107
; %bb.100:
	ds_read_b128 v[1:4], v6
	s_andn2_b32 vcc_lo, exec_lo, s46
	s_cbranch_vccnz .LBB38_102
; %bb.101:
	s_clause 0x3
	buffer_load_dword v7, v5, s[0:3], 0 offen offset:8
	buffer_load_dword v8, v5, s[0:3], 0 offen offset:12
	buffer_load_dword v9, v5, s[0:3], 0 offen
	buffer_load_dword v10, v5, s[0:3], 0 offen offset:4
	s_waitcnt vmcnt(2) lgkmcnt(0)
	v_mul_f64 v[11:12], v[3:4], v[7:8]
	v_mul_f64 v[7:8], v[1:2], v[7:8]
	s_waitcnt vmcnt(0)
	v_fma_f64 v[1:2], v[1:2], v[9:10], -v[11:12]
	v_fma_f64 v[3:4], v[3:4], v[9:10], v[7:8]
.LBB38_102:
	s_and_saveexec_b32 s47, s5
	s_cbranch_execz .LBB38_106
; %bb.103:
	v_subrev_nc_u32_e32 v7, 26, v0
	s_movk_i32 s48, 0x410
	s_mov_b32 s5, 0
	s_mov_b32 s49, s19
	.p2align	6
.LBB38_104:                             ; =>This Inner Loop Header: Depth=1
	v_mov_b32_e32 v8, s49
	v_add_nc_u32_e32 v7, -1, v7
	s_add_i32 s49, s49, 16
	s_clause 0x3
	buffer_load_dword v12, v8, s[0:3], 0 offen offset:8
	buffer_load_dword v13, v8, s[0:3], 0 offen offset:12
	buffer_load_dword v14, v8, s[0:3], 0 offen
	buffer_load_dword v15, v8, s[0:3], 0 offen offset:4
	v_mov_b32_e32 v8, s48
	v_cmp_eq_u32_e32 vcc_lo, 0, v7
	s_add_i32 s48, s48, 16
	ds_read_b128 v[8:11], v8
	s_or_b32 s5, vcc_lo, s5
	s_waitcnt vmcnt(2) lgkmcnt(0)
	v_mul_f64 v[16:17], v[10:11], v[12:13]
	v_mul_f64 v[12:13], v[8:9], v[12:13]
	s_waitcnt vmcnt(0)
	v_fma_f64 v[8:9], v[8:9], v[14:15], -v[16:17]
	v_fma_f64 v[10:11], v[10:11], v[14:15], v[12:13]
	v_add_f64 v[1:2], v[1:2], v[8:9]
	v_add_f64 v[3:4], v[3:4], v[10:11]
	s_andn2_b32 exec_lo, exec_lo, s5
	s_cbranch_execnz .LBB38_104
; %bb.105:
	s_or_b32 exec_lo, exec_lo, s5
.LBB38_106:
	s_or_b32 exec_lo, exec_lo, s47
	v_mov_b32_e32 v7, 0
	ds_read_b128 v[7:10], v7 offset:400
	s_waitcnt lgkmcnt(0)
	v_mul_f64 v[11:12], v[3:4], v[9:10]
	v_mul_f64 v[9:10], v[1:2], v[9:10]
	v_fma_f64 v[1:2], v[1:2], v[7:8], -v[11:12]
	v_fma_f64 v[3:4], v[3:4], v[7:8], v[9:10]
	buffer_store_dword v2, off, s[0:3], 0 offset:404
	buffer_store_dword v1, off, s[0:3], 0 offset:400
	;; [unrolled: 1-line block ×4, first 2 shown]
.LBB38_107:
	s_or_b32 exec_lo, exec_lo, s8
	v_mov_b32_e32 v4, s21
	v_cmp_lt_u32_e64 s5, 24, v0
	s_clause 0x3
	buffer_load_dword v1, v4, s[0:3], 0 offen
	buffer_load_dword v2, v4, s[0:3], 0 offen offset:4
	buffer_load_dword v3, v4, s[0:3], 0 offen offset:8
	;; [unrolled: 1-line block ×3, first 2 shown]
	s_waitcnt vmcnt(0)
	ds_write_b128 v6, v[1:4]
	s_waitcnt lgkmcnt(0)
	s_waitcnt_vscnt null, 0x0
	s_barrier
	buffer_gl0_inv
	s_and_saveexec_b32 s8, s5
	s_cbranch_execz .LBB38_115
; %bb.108:
	ds_read_b128 v[1:4], v6
	s_andn2_b32 vcc_lo, exec_lo, s46
	s_cbranch_vccnz .LBB38_110
; %bb.109:
	s_clause 0x3
	buffer_load_dword v7, v5, s[0:3], 0 offen offset:8
	buffer_load_dword v8, v5, s[0:3], 0 offen offset:12
	buffer_load_dword v9, v5, s[0:3], 0 offen
	buffer_load_dword v10, v5, s[0:3], 0 offen offset:4
	s_waitcnt vmcnt(2) lgkmcnt(0)
	v_mul_f64 v[11:12], v[3:4], v[7:8]
	v_mul_f64 v[7:8], v[1:2], v[7:8]
	s_waitcnt vmcnt(0)
	v_fma_f64 v[1:2], v[1:2], v[9:10], -v[11:12]
	v_fma_f64 v[3:4], v[3:4], v[9:10], v[7:8]
.LBB38_110:
	s_and_saveexec_b32 s47, s4
	s_cbranch_execz .LBB38_114
; %bb.111:
	v_subrev_nc_u32_e32 v7, 25, v0
	s_movk_i32 s48, 0x400
	s_mov_b32 s4, 0
	s_mov_b32 s49, s20
	.p2align	6
.LBB38_112:                             ; =>This Inner Loop Header: Depth=1
	v_mov_b32_e32 v8, s49
	v_add_nc_u32_e32 v7, -1, v7
	s_add_i32 s49, s49, 16
	s_clause 0x3
	buffer_load_dword v12, v8, s[0:3], 0 offen offset:8
	buffer_load_dword v13, v8, s[0:3], 0 offen offset:12
	buffer_load_dword v14, v8, s[0:3], 0 offen
	buffer_load_dword v15, v8, s[0:3], 0 offen offset:4
	v_mov_b32_e32 v8, s48
	v_cmp_eq_u32_e32 vcc_lo, 0, v7
	s_add_i32 s48, s48, 16
	ds_read_b128 v[8:11], v8
	s_or_b32 s4, vcc_lo, s4
	s_waitcnt vmcnt(2) lgkmcnt(0)
	v_mul_f64 v[16:17], v[10:11], v[12:13]
	v_mul_f64 v[12:13], v[8:9], v[12:13]
	s_waitcnt vmcnt(0)
	v_fma_f64 v[8:9], v[8:9], v[14:15], -v[16:17]
	v_fma_f64 v[10:11], v[10:11], v[14:15], v[12:13]
	v_add_f64 v[1:2], v[1:2], v[8:9]
	v_add_f64 v[3:4], v[3:4], v[10:11]
	s_andn2_b32 exec_lo, exec_lo, s4
	s_cbranch_execnz .LBB38_112
; %bb.113:
	s_or_b32 exec_lo, exec_lo, s4
.LBB38_114:
	s_or_b32 exec_lo, exec_lo, s47
	v_mov_b32_e32 v7, 0
	ds_read_b128 v[7:10], v7 offset:384
	s_waitcnt lgkmcnt(0)
	v_mul_f64 v[11:12], v[3:4], v[9:10]
	v_mul_f64 v[9:10], v[1:2], v[9:10]
	v_fma_f64 v[1:2], v[1:2], v[7:8], -v[11:12]
	v_fma_f64 v[3:4], v[3:4], v[7:8], v[9:10]
	buffer_store_dword v2, off, s[0:3], 0 offset:388
	buffer_store_dword v1, off, s[0:3], 0 offset:384
	;; [unrolled: 1-line block ×4, first 2 shown]
.LBB38_115:
	s_or_b32 exec_lo, exec_lo, s8
	v_mov_b32_e32 v4, s22
	v_cmp_lt_u32_e64 s4, 23, v0
	s_clause 0x3
	buffer_load_dword v1, v4, s[0:3], 0 offen
	buffer_load_dword v2, v4, s[0:3], 0 offen offset:4
	buffer_load_dword v3, v4, s[0:3], 0 offen offset:8
	;; [unrolled: 1-line block ×3, first 2 shown]
	s_waitcnt vmcnt(0)
	ds_write_b128 v6, v[1:4]
	s_waitcnt lgkmcnt(0)
	s_waitcnt_vscnt null, 0x0
	s_barrier
	buffer_gl0_inv
	s_and_saveexec_b32 s8, s4
	s_cbranch_execz .LBB38_123
; %bb.116:
	ds_read_b128 v[1:4], v6
	s_andn2_b32 vcc_lo, exec_lo, s46
	s_cbranch_vccnz .LBB38_118
; %bb.117:
	s_clause 0x3
	buffer_load_dword v7, v5, s[0:3], 0 offen offset:8
	buffer_load_dword v8, v5, s[0:3], 0 offen offset:12
	buffer_load_dword v9, v5, s[0:3], 0 offen
	buffer_load_dword v10, v5, s[0:3], 0 offen offset:4
	s_waitcnt vmcnt(2) lgkmcnt(0)
	v_mul_f64 v[11:12], v[3:4], v[7:8]
	v_mul_f64 v[7:8], v[1:2], v[7:8]
	s_waitcnt vmcnt(0)
	v_fma_f64 v[1:2], v[1:2], v[9:10], -v[11:12]
	v_fma_f64 v[3:4], v[3:4], v[9:10], v[7:8]
.LBB38_118:
	s_and_saveexec_b32 s47, s5
	s_cbranch_execz .LBB38_122
; %bb.119:
	v_subrev_nc_u32_e32 v7, 24, v0
	s_movk_i32 s48, 0x3f0
	s_mov_b32 s5, 0
	s_mov_b32 s49, s21
	.p2align	6
.LBB38_120:                             ; =>This Inner Loop Header: Depth=1
	v_mov_b32_e32 v8, s49
	v_add_nc_u32_e32 v7, -1, v7
	s_add_i32 s49, s49, 16
	s_clause 0x3
	buffer_load_dword v12, v8, s[0:3], 0 offen offset:8
	buffer_load_dword v13, v8, s[0:3], 0 offen offset:12
	buffer_load_dword v14, v8, s[0:3], 0 offen
	buffer_load_dword v15, v8, s[0:3], 0 offen offset:4
	v_mov_b32_e32 v8, s48
	v_cmp_eq_u32_e32 vcc_lo, 0, v7
	s_add_i32 s48, s48, 16
	ds_read_b128 v[8:11], v8
	s_or_b32 s5, vcc_lo, s5
	s_waitcnt vmcnt(2) lgkmcnt(0)
	v_mul_f64 v[16:17], v[10:11], v[12:13]
	v_mul_f64 v[12:13], v[8:9], v[12:13]
	s_waitcnt vmcnt(0)
	v_fma_f64 v[8:9], v[8:9], v[14:15], -v[16:17]
	v_fma_f64 v[10:11], v[10:11], v[14:15], v[12:13]
	v_add_f64 v[1:2], v[1:2], v[8:9]
	v_add_f64 v[3:4], v[3:4], v[10:11]
	s_andn2_b32 exec_lo, exec_lo, s5
	s_cbranch_execnz .LBB38_120
; %bb.121:
	s_or_b32 exec_lo, exec_lo, s5
.LBB38_122:
	s_or_b32 exec_lo, exec_lo, s47
	v_mov_b32_e32 v7, 0
	ds_read_b128 v[7:10], v7 offset:368
	s_waitcnt lgkmcnt(0)
	v_mul_f64 v[11:12], v[3:4], v[9:10]
	v_mul_f64 v[9:10], v[1:2], v[9:10]
	v_fma_f64 v[1:2], v[1:2], v[7:8], -v[11:12]
	v_fma_f64 v[3:4], v[3:4], v[7:8], v[9:10]
	buffer_store_dword v2, off, s[0:3], 0 offset:372
	buffer_store_dword v1, off, s[0:3], 0 offset:368
	;; [unrolled: 1-line block ×4, first 2 shown]
.LBB38_123:
	s_or_b32 exec_lo, exec_lo, s8
	v_mov_b32_e32 v4, s23
	v_cmp_lt_u32_e64 s5, 22, v0
	s_clause 0x3
	buffer_load_dword v1, v4, s[0:3], 0 offen
	buffer_load_dword v2, v4, s[0:3], 0 offen offset:4
	buffer_load_dword v3, v4, s[0:3], 0 offen offset:8
	;; [unrolled: 1-line block ×3, first 2 shown]
	s_waitcnt vmcnt(0)
	ds_write_b128 v6, v[1:4]
	s_waitcnt lgkmcnt(0)
	s_waitcnt_vscnt null, 0x0
	s_barrier
	buffer_gl0_inv
	s_and_saveexec_b32 s8, s5
	s_cbranch_execz .LBB38_131
; %bb.124:
	ds_read_b128 v[1:4], v6
	s_andn2_b32 vcc_lo, exec_lo, s46
	s_cbranch_vccnz .LBB38_126
; %bb.125:
	s_clause 0x3
	buffer_load_dword v7, v5, s[0:3], 0 offen offset:8
	buffer_load_dword v8, v5, s[0:3], 0 offen offset:12
	buffer_load_dword v9, v5, s[0:3], 0 offen
	buffer_load_dword v10, v5, s[0:3], 0 offen offset:4
	s_waitcnt vmcnt(2) lgkmcnt(0)
	v_mul_f64 v[11:12], v[3:4], v[7:8]
	v_mul_f64 v[7:8], v[1:2], v[7:8]
	s_waitcnt vmcnt(0)
	v_fma_f64 v[1:2], v[1:2], v[9:10], -v[11:12]
	v_fma_f64 v[3:4], v[3:4], v[9:10], v[7:8]
.LBB38_126:
	s_and_saveexec_b32 s47, s4
	s_cbranch_execz .LBB38_130
; %bb.127:
	v_subrev_nc_u32_e32 v7, 23, v0
	s_movk_i32 s48, 0x3e0
	s_mov_b32 s4, 0
	s_mov_b32 s49, s22
	.p2align	6
.LBB38_128:                             ; =>This Inner Loop Header: Depth=1
	v_mov_b32_e32 v8, s49
	v_add_nc_u32_e32 v7, -1, v7
	s_add_i32 s49, s49, 16
	s_clause 0x3
	buffer_load_dword v12, v8, s[0:3], 0 offen offset:8
	buffer_load_dword v13, v8, s[0:3], 0 offen offset:12
	buffer_load_dword v14, v8, s[0:3], 0 offen
	buffer_load_dword v15, v8, s[0:3], 0 offen offset:4
	v_mov_b32_e32 v8, s48
	v_cmp_eq_u32_e32 vcc_lo, 0, v7
	s_add_i32 s48, s48, 16
	ds_read_b128 v[8:11], v8
	s_or_b32 s4, vcc_lo, s4
	s_waitcnt vmcnt(2) lgkmcnt(0)
	v_mul_f64 v[16:17], v[10:11], v[12:13]
	v_mul_f64 v[12:13], v[8:9], v[12:13]
	s_waitcnt vmcnt(0)
	v_fma_f64 v[8:9], v[8:9], v[14:15], -v[16:17]
	v_fma_f64 v[10:11], v[10:11], v[14:15], v[12:13]
	v_add_f64 v[1:2], v[1:2], v[8:9]
	v_add_f64 v[3:4], v[3:4], v[10:11]
	s_andn2_b32 exec_lo, exec_lo, s4
	s_cbranch_execnz .LBB38_128
; %bb.129:
	s_or_b32 exec_lo, exec_lo, s4
.LBB38_130:
	s_or_b32 exec_lo, exec_lo, s47
	v_mov_b32_e32 v7, 0
	ds_read_b128 v[7:10], v7 offset:352
	s_waitcnt lgkmcnt(0)
	v_mul_f64 v[11:12], v[3:4], v[9:10]
	v_mul_f64 v[9:10], v[1:2], v[9:10]
	v_fma_f64 v[1:2], v[1:2], v[7:8], -v[11:12]
	v_fma_f64 v[3:4], v[3:4], v[7:8], v[9:10]
	buffer_store_dword v2, off, s[0:3], 0 offset:356
	buffer_store_dword v1, off, s[0:3], 0 offset:352
	;; [unrolled: 1-line block ×4, first 2 shown]
.LBB38_131:
	s_or_b32 exec_lo, exec_lo, s8
	v_mov_b32_e32 v4, s24
	v_cmp_lt_u32_e64 s4, 21, v0
	s_clause 0x3
	buffer_load_dword v1, v4, s[0:3], 0 offen
	buffer_load_dword v2, v4, s[0:3], 0 offen offset:4
	buffer_load_dword v3, v4, s[0:3], 0 offen offset:8
	;; [unrolled: 1-line block ×3, first 2 shown]
	s_waitcnt vmcnt(0)
	ds_write_b128 v6, v[1:4]
	s_waitcnt lgkmcnt(0)
	s_waitcnt_vscnt null, 0x0
	s_barrier
	buffer_gl0_inv
	s_and_saveexec_b32 s8, s4
	s_cbranch_execz .LBB38_139
; %bb.132:
	ds_read_b128 v[1:4], v6
	s_andn2_b32 vcc_lo, exec_lo, s46
	s_cbranch_vccnz .LBB38_134
; %bb.133:
	s_clause 0x3
	buffer_load_dword v7, v5, s[0:3], 0 offen offset:8
	buffer_load_dword v8, v5, s[0:3], 0 offen offset:12
	buffer_load_dword v9, v5, s[0:3], 0 offen
	buffer_load_dword v10, v5, s[0:3], 0 offen offset:4
	s_waitcnt vmcnt(2) lgkmcnt(0)
	v_mul_f64 v[11:12], v[3:4], v[7:8]
	v_mul_f64 v[7:8], v[1:2], v[7:8]
	s_waitcnt vmcnt(0)
	v_fma_f64 v[1:2], v[1:2], v[9:10], -v[11:12]
	v_fma_f64 v[3:4], v[3:4], v[9:10], v[7:8]
.LBB38_134:
	s_and_saveexec_b32 s47, s5
	s_cbranch_execz .LBB38_138
; %bb.135:
	v_subrev_nc_u32_e32 v7, 22, v0
	s_movk_i32 s48, 0x3d0
	s_mov_b32 s5, 0
	s_mov_b32 s49, s23
	.p2align	6
.LBB38_136:                             ; =>This Inner Loop Header: Depth=1
	v_mov_b32_e32 v8, s49
	v_add_nc_u32_e32 v7, -1, v7
	s_add_i32 s49, s49, 16
	s_clause 0x3
	buffer_load_dword v12, v8, s[0:3], 0 offen offset:8
	buffer_load_dword v13, v8, s[0:3], 0 offen offset:12
	buffer_load_dword v14, v8, s[0:3], 0 offen
	buffer_load_dword v15, v8, s[0:3], 0 offen offset:4
	v_mov_b32_e32 v8, s48
	v_cmp_eq_u32_e32 vcc_lo, 0, v7
	s_add_i32 s48, s48, 16
	ds_read_b128 v[8:11], v8
	s_or_b32 s5, vcc_lo, s5
	s_waitcnt vmcnt(2) lgkmcnt(0)
	v_mul_f64 v[16:17], v[10:11], v[12:13]
	v_mul_f64 v[12:13], v[8:9], v[12:13]
	s_waitcnt vmcnt(0)
	v_fma_f64 v[8:9], v[8:9], v[14:15], -v[16:17]
	v_fma_f64 v[10:11], v[10:11], v[14:15], v[12:13]
	v_add_f64 v[1:2], v[1:2], v[8:9]
	v_add_f64 v[3:4], v[3:4], v[10:11]
	s_andn2_b32 exec_lo, exec_lo, s5
	s_cbranch_execnz .LBB38_136
; %bb.137:
	s_or_b32 exec_lo, exec_lo, s5
.LBB38_138:
	s_or_b32 exec_lo, exec_lo, s47
	v_mov_b32_e32 v7, 0
	ds_read_b128 v[7:10], v7 offset:336
	s_waitcnt lgkmcnt(0)
	v_mul_f64 v[11:12], v[3:4], v[9:10]
	v_mul_f64 v[9:10], v[1:2], v[9:10]
	v_fma_f64 v[1:2], v[1:2], v[7:8], -v[11:12]
	v_fma_f64 v[3:4], v[3:4], v[7:8], v[9:10]
	buffer_store_dword v2, off, s[0:3], 0 offset:340
	buffer_store_dword v1, off, s[0:3], 0 offset:336
	;; [unrolled: 1-line block ×4, first 2 shown]
.LBB38_139:
	s_or_b32 exec_lo, exec_lo, s8
	v_mov_b32_e32 v4, s25
	v_cmp_lt_u32_e64 s5, 20, v0
	s_clause 0x3
	buffer_load_dword v1, v4, s[0:3], 0 offen
	buffer_load_dword v2, v4, s[0:3], 0 offen offset:4
	buffer_load_dword v3, v4, s[0:3], 0 offen offset:8
	buffer_load_dword v4, v4, s[0:3], 0 offen offset:12
	s_waitcnt vmcnt(0)
	ds_write_b128 v6, v[1:4]
	s_waitcnt lgkmcnt(0)
	s_waitcnt_vscnt null, 0x0
	s_barrier
	buffer_gl0_inv
	s_and_saveexec_b32 s8, s5
	s_cbranch_execz .LBB38_147
; %bb.140:
	ds_read_b128 v[1:4], v6
	s_andn2_b32 vcc_lo, exec_lo, s46
	s_cbranch_vccnz .LBB38_142
; %bb.141:
	s_clause 0x3
	buffer_load_dword v7, v5, s[0:3], 0 offen offset:8
	buffer_load_dword v8, v5, s[0:3], 0 offen offset:12
	buffer_load_dword v9, v5, s[0:3], 0 offen
	buffer_load_dword v10, v5, s[0:3], 0 offen offset:4
	s_waitcnt vmcnt(2) lgkmcnt(0)
	v_mul_f64 v[11:12], v[3:4], v[7:8]
	v_mul_f64 v[7:8], v[1:2], v[7:8]
	s_waitcnt vmcnt(0)
	v_fma_f64 v[1:2], v[1:2], v[9:10], -v[11:12]
	v_fma_f64 v[3:4], v[3:4], v[9:10], v[7:8]
.LBB38_142:
	s_and_saveexec_b32 s47, s4
	s_cbranch_execz .LBB38_146
; %bb.143:
	v_subrev_nc_u32_e32 v7, 21, v0
	s_movk_i32 s48, 0x3c0
	s_mov_b32 s4, 0
	s_mov_b32 s49, s24
	.p2align	6
.LBB38_144:                             ; =>This Inner Loop Header: Depth=1
	v_mov_b32_e32 v8, s49
	v_add_nc_u32_e32 v7, -1, v7
	s_add_i32 s49, s49, 16
	s_clause 0x3
	buffer_load_dword v12, v8, s[0:3], 0 offen offset:8
	buffer_load_dword v13, v8, s[0:3], 0 offen offset:12
	buffer_load_dword v14, v8, s[0:3], 0 offen
	buffer_load_dword v15, v8, s[0:3], 0 offen offset:4
	v_mov_b32_e32 v8, s48
	v_cmp_eq_u32_e32 vcc_lo, 0, v7
	s_add_i32 s48, s48, 16
	ds_read_b128 v[8:11], v8
	s_or_b32 s4, vcc_lo, s4
	s_waitcnt vmcnt(2) lgkmcnt(0)
	v_mul_f64 v[16:17], v[10:11], v[12:13]
	v_mul_f64 v[12:13], v[8:9], v[12:13]
	s_waitcnt vmcnt(0)
	v_fma_f64 v[8:9], v[8:9], v[14:15], -v[16:17]
	v_fma_f64 v[10:11], v[10:11], v[14:15], v[12:13]
	v_add_f64 v[1:2], v[1:2], v[8:9]
	v_add_f64 v[3:4], v[3:4], v[10:11]
	s_andn2_b32 exec_lo, exec_lo, s4
	s_cbranch_execnz .LBB38_144
; %bb.145:
	s_or_b32 exec_lo, exec_lo, s4
.LBB38_146:
	s_or_b32 exec_lo, exec_lo, s47
	v_mov_b32_e32 v7, 0
	ds_read_b128 v[7:10], v7 offset:320
	s_waitcnt lgkmcnt(0)
	v_mul_f64 v[11:12], v[3:4], v[9:10]
	v_mul_f64 v[9:10], v[1:2], v[9:10]
	v_fma_f64 v[1:2], v[1:2], v[7:8], -v[11:12]
	v_fma_f64 v[3:4], v[3:4], v[7:8], v[9:10]
	buffer_store_dword v2, off, s[0:3], 0 offset:324
	buffer_store_dword v1, off, s[0:3], 0 offset:320
	;; [unrolled: 1-line block ×4, first 2 shown]
.LBB38_147:
	s_or_b32 exec_lo, exec_lo, s8
	v_mov_b32_e32 v4, s26
	v_cmp_lt_u32_e64 s4, 19, v0
	s_clause 0x3
	buffer_load_dword v1, v4, s[0:3], 0 offen
	buffer_load_dword v2, v4, s[0:3], 0 offen offset:4
	buffer_load_dword v3, v4, s[0:3], 0 offen offset:8
	;; [unrolled: 1-line block ×3, first 2 shown]
	s_waitcnt vmcnt(0)
	ds_write_b128 v6, v[1:4]
	s_waitcnt lgkmcnt(0)
	s_waitcnt_vscnt null, 0x0
	s_barrier
	buffer_gl0_inv
	s_and_saveexec_b32 s8, s4
	s_cbranch_execz .LBB38_155
; %bb.148:
	ds_read_b128 v[1:4], v6
	s_andn2_b32 vcc_lo, exec_lo, s46
	s_cbranch_vccnz .LBB38_150
; %bb.149:
	s_clause 0x3
	buffer_load_dword v7, v5, s[0:3], 0 offen offset:8
	buffer_load_dword v8, v5, s[0:3], 0 offen offset:12
	buffer_load_dword v9, v5, s[0:3], 0 offen
	buffer_load_dword v10, v5, s[0:3], 0 offen offset:4
	s_waitcnt vmcnt(2) lgkmcnt(0)
	v_mul_f64 v[11:12], v[3:4], v[7:8]
	v_mul_f64 v[7:8], v[1:2], v[7:8]
	s_waitcnt vmcnt(0)
	v_fma_f64 v[1:2], v[1:2], v[9:10], -v[11:12]
	v_fma_f64 v[3:4], v[3:4], v[9:10], v[7:8]
.LBB38_150:
	s_and_saveexec_b32 s47, s5
	s_cbranch_execz .LBB38_154
; %bb.151:
	v_subrev_nc_u32_e32 v7, 20, v0
	s_movk_i32 s48, 0x3b0
	s_mov_b32 s5, 0
	s_mov_b32 s49, s25
	.p2align	6
.LBB38_152:                             ; =>This Inner Loop Header: Depth=1
	v_mov_b32_e32 v8, s49
	v_add_nc_u32_e32 v7, -1, v7
	s_add_i32 s49, s49, 16
	s_clause 0x3
	buffer_load_dword v12, v8, s[0:3], 0 offen offset:8
	buffer_load_dword v13, v8, s[0:3], 0 offen offset:12
	buffer_load_dword v14, v8, s[0:3], 0 offen
	buffer_load_dword v15, v8, s[0:3], 0 offen offset:4
	v_mov_b32_e32 v8, s48
	v_cmp_eq_u32_e32 vcc_lo, 0, v7
	s_add_i32 s48, s48, 16
	ds_read_b128 v[8:11], v8
	s_or_b32 s5, vcc_lo, s5
	s_waitcnt vmcnt(2) lgkmcnt(0)
	v_mul_f64 v[16:17], v[10:11], v[12:13]
	v_mul_f64 v[12:13], v[8:9], v[12:13]
	s_waitcnt vmcnt(0)
	v_fma_f64 v[8:9], v[8:9], v[14:15], -v[16:17]
	v_fma_f64 v[10:11], v[10:11], v[14:15], v[12:13]
	v_add_f64 v[1:2], v[1:2], v[8:9]
	v_add_f64 v[3:4], v[3:4], v[10:11]
	s_andn2_b32 exec_lo, exec_lo, s5
	s_cbranch_execnz .LBB38_152
; %bb.153:
	s_or_b32 exec_lo, exec_lo, s5
.LBB38_154:
	s_or_b32 exec_lo, exec_lo, s47
	v_mov_b32_e32 v7, 0
	ds_read_b128 v[7:10], v7 offset:304
	s_waitcnt lgkmcnt(0)
	v_mul_f64 v[11:12], v[3:4], v[9:10]
	v_mul_f64 v[9:10], v[1:2], v[9:10]
	v_fma_f64 v[1:2], v[1:2], v[7:8], -v[11:12]
	v_fma_f64 v[3:4], v[3:4], v[7:8], v[9:10]
	buffer_store_dword v2, off, s[0:3], 0 offset:308
	buffer_store_dword v1, off, s[0:3], 0 offset:304
	;; [unrolled: 1-line block ×4, first 2 shown]
.LBB38_155:
	s_or_b32 exec_lo, exec_lo, s8
	v_mov_b32_e32 v4, s27
	v_cmp_lt_u32_e64 s5, 18, v0
	s_clause 0x3
	buffer_load_dword v1, v4, s[0:3], 0 offen
	buffer_load_dword v2, v4, s[0:3], 0 offen offset:4
	buffer_load_dword v3, v4, s[0:3], 0 offen offset:8
	;; [unrolled: 1-line block ×3, first 2 shown]
	s_waitcnt vmcnt(0)
	ds_write_b128 v6, v[1:4]
	s_waitcnt lgkmcnt(0)
	s_waitcnt_vscnt null, 0x0
	s_barrier
	buffer_gl0_inv
	s_and_saveexec_b32 s8, s5
	s_cbranch_execz .LBB38_163
; %bb.156:
	ds_read_b128 v[1:4], v6
	s_andn2_b32 vcc_lo, exec_lo, s46
	s_cbranch_vccnz .LBB38_158
; %bb.157:
	s_clause 0x3
	buffer_load_dword v7, v5, s[0:3], 0 offen offset:8
	buffer_load_dword v8, v5, s[0:3], 0 offen offset:12
	buffer_load_dword v9, v5, s[0:3], 0 offen
	buffer_load_dword v10, v5, s[0:3], 0 offen offset:4
	s_waitcnt vmcnt(2) lgkmcnt(0)
	v_mul_f64 v[11:12], v[3:4], v[7:8]
	v_mul_f64 v[7:8], v[1:2], v[7:8]
	s_waitcnt vmcnt(0)
	v_fma_f64 v[1:2], v[1:2], v[9:10], -v[11:12]
	v_fma_f64 v[3:4], v[3:4], v[9:10], v[7:8]
.LBB38_158:
	s_and_saveexec_b32 s47, s4
	s_cbranch_execz .LBB38_162
; %bb.159:
	v_subrev_nc_u32_e32 v7, 19, v0
	s_movk_i32 s48, 0x3a0
	s_mov_b32 s4, 0
	s_mov_b32 s49, s26
	.p2align	6
.LBB38_160:                             ; =>This Inner Loop Header: Depth=1
	v_mov_b32_e32 v8, s49
	v_add_nc_u32_e32 v7, -1, v7
	s_add_i32 s49, s49, 16
	s_clause 0x3
	buffer_load_dword v12, v8, s[0:3], 0 offen offset:8
	buffer_load_dword v13, v8, s[0:3], 0 offen offset:12
	buffer_load_dword v14, v8, s[0:3], 0 offen
	buffer_load_dword v15, v8, s[0:3], 0 offen offset:4
	v_mov_b32_e32 v8, s48
	v_cmp_eq_u32_e32 vcc_lo, 0, v7
	s_add_i32 s48, s48, 16
	ds_read_b128 v[8:11], v8
	s_or_b32 s4, vcc_lo, s4
	s_waitcnt vmcnt(2) lgkmcnt(0)
	v_mul_f64 v[16:17], v[10:11], v[12:13]
	v_mul_f64 v[12:13], v[8:9], v[12:13]
	s_waitcnt vmcnt(0)
	v_fma_f64 v[8:9], v[8:9], v[14:15], -v[16:17]
	v_fma_f64 v[10:11], v[10:11], v[14:15], v[12:13]
	v_add_f64 v[1:2], v[1:2], v[8:9]
	v_add_f64 v[3:4], v[3:4], v[10:11]
	s_andn2_b32 exec_lo, exec_lo, s4
	s_cbranch_execnz .LBB38_160
; %bb.161:
	s_or_b32 exec_lo, exec_lo, s4
.LBB38_162:
	s_or_b32 exec_lo, exec_lo, s47
	v_mov_b32_e32 v7, 0
	ds_read_b128 v[7:10], v7 offset:288
	s_waitcnt lgkmcnt(0)
	v_mul_f64 v[11:12], v[3:4], v[9:10]
	v_mul_f64 v[9:10], v[1:2], v[9:10]
	v_fma_f64 v[1:2], v[1:2], v[7:8], -v[11:12]
	v_fma_f64 v[3:4], v[3:4], v[7:8], v[9:10]
	buffer_store_dword v2, off, s[0:3], 0 offset:292
	buffer_store_dword v1, off, s[0:3], 0 offset:288
	;; [unrolled: 1-line block ×4, first 2 shown]
.LBB38_163:
	s_or_b32 exec_lo, exec_lo, s8
	v_mov_b32_e32 v4, s28
	v_cmp_lt_u32_e64 s4, 17, v0
	s_clause 0x3
	buffer_load_dword v1, v4, s[0:3], 0 offen
	buffer_load_dword v2, v4, s[0:3], 0 offen offset:4
	buffer_load_dword v3, v4, s[0:3], 0 offen offset:8
	;; [unrolled: 1-line block ×3, first 2 shown]
	s_waitcnt vmcnt(0)
	ds_write_b128 v6, v[1:4]
	s_waitcnt lgkmcnt(0)
	s_waitcnt_vscnt null, 0x0
	s_barrier
	buffer_gl0_inv
	s_and_saveexec_b32 s8, s4
	s_cbranch_execz .LBB38_171
; %bb.164:
	ds_read_b128 v[1:4], v6
	s_andn2_b32 vcc_lo, exec_lo, s46
	s_cbranch_vccnz .LBB38_166
; %bb.165:
	s_clause 0x3
	buffer_load_dword v7, v5, s[0:3], 0 offen offset:8
	buffer_load_dword v8, v5, s[0:3], 0 offen offset:12
	buffer_load_dword v9, v5, s[0:3], 0 offen
	buffer_load_dword v10, v5, s[0:3], 0 offen offset:4
	s_waitcnt vmcnt(2) lgkmcnt(0)
	v_mul_f64 v[11:12], v[3:4], v[7:8]
	v_mul_f64 v[7:8], v[1:2], v[7:8]
	s_waitcnt vmcnt(0)
	v_fma_f64 v[1:2], v[1:2], v[9:10], -v[11:12]
	v_fma_f64 v[3:4], v[3:4], v[9:10], v[7:8]
.LBB38_166:
	s_and_saveexec_b32 s47, s5
	s_cbranch_execz .LBB38_170
; %bb.167:
	v_subrev_nc_u32_e32 v7, 18, v0
	s_movk_i32 s48, 0x390
	s_mov_b32 s5, 0
	s_mov_b32 s49, s27
	.p2align	6
.LBB38_168:                             ; =>This Inner Loop Header: Depth=1
	v_mov_b32_e32 v8, s49
	v_add_nc_u32_e32 v7, -1, v7
	s_add_i32 s49, s49, 16
	s_clause 0x3
	buffer_load_dword v12, v8, s[0:3], 0 offen offset:8
	buffer_load_dword v13, v8, s[0:3], 0 offen offset:12
	buffer_load_dword v14, v8, s[0:3], 0 offen
	buffer_load_dword v15, v8, s[0:3], 0 offen offset:4
	v_mov_b32_e32 v8, s48
	v_cmp_eq_u32_e32 vcc_lo, 0, v7
	s_add_i32 s48, s48, 16
	ds_read_b128 v[8:11], v8
	s_or_b32 s5, vcc_lo, s5
	s_waitcnt vmcnt(2) lgkmcnt(0)
	v_mul_f64 v[16:17], v[10:11], v[12:13]
	v_mul_f64 v[12:13], v[8:9], v[12:13]
	s_waitcnt vmcnt(0)
	v_fma_f64 v[8:9], v[8:9], v[14:15], -v[16:17]
	v_fma_f64 v[10:11], v[10:11], v[14:15], v[12:13]
	v_add_f64 v[1:2], v[1:2], v[8:9]
	v_add_f64 v[3:4], v[3:4], v[10:11]
	s_andn2_b32 exec_lo, exec_lo, s5
	s_cbranch_execnz .LBB38_168
; %bb.169:
	s_or_b32 exec_lo, exec_lo, s5
.LBB38_170:
	s_or_b32 exec_lo, exec_lo, s47
	v_mov_b32_e32 v7, 0
	ds_read_b128 v[7:10], v7 offset:272
	s_waitcnt lgkmcnt(0)
	v_mul_f64 v[11:12], v[3:4], v[9:10]
	v_mul_f64 v[9:10], v[1:2], v[9:10]
	v_fma_f64 v[1:2], v[1:2], v[7:8], -v[11:12]
	v_fma_f64 v[3:4], v[3:4], v[7:8], v[9:10]
	buffer_store_dword v2, off, s[0:3], 0 offset:276
	buffer_store_dword v1, off, s[0:3], 0 offset:272
	;; [unrolled: 1-line block ×4, first 2 shown]
.LBB38_171:
	s_or_b32 exec_lo, exec_lo, s8
	v_mov_b32_e32 v4, s29
	v_cmp_lt_u32_e64 s5, 16, v0
	s_clause 0x3
	buffer_load_dword v1, v4, s[0:3], 0 offen
	buffer_load_dword v2, v4, s[0:3], 0 offen offset:4
	buffer_load_dword v3, v4, s[0:3], 0 offen offset:8
	buffer_load_dword v4, v4, s[0:3], 0 offen offset:12
	s_waitcnt vmcnt(0)
	ds_write_b128 v6, v[1:4]
	s_waitcnt lgkmcnt(0)
	s_waitcnt_vscnt null, 0x0
	s_barrier
	buffer_gl0_inv
	s_and_saveexec_b32 s8, s5
	s_cbranch_execz .LBB38_179
; %bb.172:
	ds_read_b128 v[1:4], v6
	s_andn2_b32 vcc_lo, exec_lo, s46
	s_cbranch_vccnz .LBB38_174
; %bb.173:
	s_clause 0x3
	buffer_load_dword v7, v5, s[0:3], 0 offen offset:8
	buffer_load_dword v8, v5, s[0:3], 0 offen offset:12
	buffer_load_dword v9, v5, s[0:3], 0 offen
	buffer_load_dword v10, v5, s[0:3], 0 offen offset:4
	s_waitcnt vmcnt(2) lgkmcnt(0)
	v_mul_f64 v[11:12], v[3:4], v[7:8]
	v_mul_f64 v[7:8], v[1:2], v[7:8]
	s_waitcnt vmcnt(0)
	v_fma_f64 v[1:2], v[1:2], v[9:10], -v[11:12]
	v_fma_f64 v[3:4], v[3:4], v[9:10], v[7:8]
.LBB38_174:
	s_and_saveexec_b32 s47, s4
	s_cbranch_execz .LBB38_178
; %bb.175:
	v_subrev_nc_u32_e32 v7, 17, v0
	s_movk_i32 s48, 0x380
	s_mov_b32 s4, 0
	s_mov_b32 s49, s28
	.p2align	6
.LBB38_176:                             ; =>This Inner Loop Header: Depth=1
	v_mov_b32_e32 v8, s49
	v_add_nc_u32_e32 v7, -1, v7
	s_add_i32 s49, s49, 16
	s_clause 0x3
	buffer_load_dword v12, v8, s[0:3], 0 offen offset:8
	buffer_load_dword v13, v8, s[0:3], 0 offen offset:12
	buffer_load_dword v14, v8, s[0:3], 0 offen
	buffer_load_dword v15, v8, s[0:3], 0 offen offset:4
	v_mov_b32_e32 v8, s48
	v_cmp_eq_u32_e32 vcc_lo, 0, v7
	s_add_i32 s48, s48, 16
	ds_read_b128 v[8:11], v8
	s_or_b32 s4, vcc_lo, s4
	s_waitcnt vmcnt(2) lgkmcnt(0)
	v_mul_f64 v[16:17], v[10:11], v[12:13]
	v_mul_f64 v[12:13], v[8:9], v[12:13]
	s_waitcnt vmcnt(0)
	v_fma_f64 v[8:9], v[8:9], v[14:15], -v[16:17]
	v_fma_f64 v[10:11], v[10:11], v[14:15], v[12:13]
	v_add_f64 v[1:2], v[1:2], v[8:9]
	v_add_f64 v[3:4], v[3:4], v[10:11]
	s_andn2_b32 exec_lo, exec_lo, s4
	s_cbranch_execnz .LBB38_176
; %bb.177:
	s_or_b32 exec_lo, exec_lo, s4
.LBB38_178:
	s_or_b32 exec_lo, exec_lo, s47
	v_mov_b32_e32 v7, 0
	ds_read_b128 v[7:10], v7 offset:256
	s_waitcnt lgkmcnt(0)
	v_mul_f64 v[11:12], v[3:4], v[9:10]
	v_mul_f64 v[9:10], v[1:2], v[9:10]
	v_fma_f64 v[1:2], v[1:2], v[7:8], -v[11:12]
	v_fma_f64 v[3:4], v[3:4], v[7:8], v[9:10]
	buffer_store_dword v2, off, s[0:3], 0 offset:260
	buffer_store_dword v1, off, s[0:3], 0 offset:256
	;; [unrolled: 1-line block ×4, first 2 shown]
.LBB38_179:
	s_or_b32 exec_lo, exec_lo, s8
	v_mov_b32_e32 v4, s30
	v_cmp_lt_u32_e64 s4, 15, v0
	s_clause 0x3
	buffer_load_dword v1, v4, s[0:3], 0 offen
	buffer_load_dword v2, v4, s[0:3], 0 offen offset:4
	buffer_load_dword v3, v4, s[0:3], 0 offen offset:8
	;; [unrolled: 1-line block ×3, first 2 shown]
	s_waitcnt vmcnt(0)
	ds_write_b128 v6, v[1:4]
	s_waitcnt lgkmcnt(0)
	s_waitcnt_vscnt null, 0x0
	s_barrier
	buffer_gl0_inv
	s_and_saveexec_b32 s8, s4
	s_cbranch_execz .LBB38_187
; %bb.180:
	ds_read_b128 v[1:4], v6
	s_andn2_b32 vcc_lo, exec_lo, s46
	s_cbranch_vccnz .LBB38_182
; %bb.181:
	s_clause 0x3
	buffer_load_dword v7, v5, s[0:3], 0 offen offset:8
	buffer_load_dword v8, v5, s[0:3], 0 offen offset:12
	buffer_load_dword v9, v5, s[0:3], 0 offen
	buffer_load_dword v10, v5, s[0:3], 0 offen offset:4
	s_waitcnt vmcnt(2) lgkmcnt(0)
	v_mul_f64 v[11:12], v[3:4], v[7:8]
	v_mul_f64 v[7:8], v[1:2], v[7:8]
	s_waitcnt vmcnt(0)
	v_fma_f64 v[1:2], v[1:2], v[9:10], -v[11:12]
	v_fma_f64 v[3:4], v[3:4], v[9:10], v[7:8]
.LBB38_182:
	s_and_saveexec_b32 s47, s5
	s_cbranch_execz .LBB38_186
; %bb.183:
	v_add_nc_u32_e32 v7, -16, v0
	s_movk_i32 s48, 0x370
	s_mov_b32 s5, 0
	s_mov_b32 s49, s29
	.p2align	6
.LBB38_184:                             ; =>This Inner Loop Header: Depth=1
	v_mov_b32_e32 v8, s49
	v_add_nc_u32_e32 v7, -1, v7
	s_add_i32 s49, s49, 16
	s_clause 0x3
	buffer_load_dword v12, v8, s[0:3], 0 offen offset:8
	buffer_load_dword v13, v8, s[0:3], 0 offen offset:12
	buffer_load_dword v14, v8, s[0:3], 0 offen
	buffer_load_dword v15, v8, s[0:3], 0 offen offset:4
	v_mov_b32_e32 v8, s48
	v_cmp_eq_u32_e32 vcc_lo, 0, v7
	s_add_i32 s48, s48, 16
	ds_read_b128 v[8:11], v8
	s_or_b32 s5, vcc_lo, s5
	s_waitcnt vmcnt(2) lgkmcnt(0)
	v_mul_f64 v[16:17], v[10:11], v[12:13]
	v_mul_f64 v[12:13], v[8:9], v[12:13]
	s_waitcnt vmcnt(0)
	v_fma_f64 v[8:9], v[8:9], v[14:15], -v[16:17]
	v_fma_f64 v[10:11], v[10:11], v[14:15], v[12:13]
	v_add_f64 v[1:2], v[1:2], v[8:9]
	v_add_f64 v[3:4], v[3:4], v[10:11]
	s_andn2_b32 exec_lo, exec_lo, s5
	s_cbranch_execnz .LBB38_184
; %bb.185:
	s_or_b32 exec_lo, exec_lo, s5
.LBB38_186:
	s_or_b32 exec_lo, exec_lo, s47
	v_mov_b32_e32 v7, 0
	ds_read_b128 v[7:10], v7 offset:240
	s_waitcnt lgkmcnt(0)
	v_mul_f64 v[11:12], v[3:4], v[9:10]
	v_mul_f64 v[9:10], v[1:2], v[9:10]
	v_fma_f64 v[1:2], v[1:2], v[7:8], -v[11:12]
	v_fma_f64 v[3:4], v[3:4], v[7:8], v[9:10]
	buffer_store_dword v2, off, s[0:3], 0 offset:244
	buffer_store_dword v1, off, s[0:3], 0 offset:240
	;; [unrolled: 1-line block ×4, first 2 shown]
.LBB38_187:
	s_or_b32 exec_lo, exec_lo, s8
	v_mov_b32_e32 v4, s31
	v_cmp_lt_u32_e64 s5, 14, v0
	s_clause 0x3
	buffer_load_dword v1, v4, s[0:3], 0 offen
	buffer_load_dword v2, v4, s[0:3], 0 offen offset:4
	buffer_load_dword v3, v4, s[0:3], 0 offen offset:8
	;; [unrolled: 1-line block ×3, first 2 shown]
	s_waitcnt vmcnt(0)
	ds_write_b128 v6, v[1:4]
	s_waitcnt lgkmcnt(0)
	s_waitcnt_vscnt null, 0x0
	s_barrier
	buffer_gl0_inv
	s_and_saveexec_b32 s8, s5
	s_cbranch_execz .LBB38_195
; %bb.188:
	ds_read_b128 v[1:4], v6
	s_andn2_b32 vcc_lo, exec_lo, s46
	s_cbranch_vccnz .LBB38_190
; %bb.189:
	s_clause 0x3
	buffer_load_dword v7, v5, s[0:3], 0 offen offset:8
	buffer_load_dword v8, v5, s[0:3], 0 offen offset:12
	buffer_load_dword v9, v5, s[0:3], 0 offen
	buffer_load_dword v10, v5, s[0:3], 0 offen offset:4
	s_waitcnt vmcnt(2) lgkmcnt(0)
	v_mul_f64 v[11:12], v[3:4], v[7:8]
	v_mul_f64 v[7:8], v[1:2], v[7:8]
	s_waitcnt vmcnt(0)
	v_fma_f64 v[1:2], v[1:2], v[9:10], -v[11:12]
	v_fma_f64 v[3:4], v[3:4], v[9:10], v[7:8]
.LBB38_190:
	s_and_saveexec_b32 s47, s4
	s_cbranch_execz .LBB38_194
; %bb.191:
	v_add_nc_u32_e32 v7, -15, v0
	s_movk_i32 s48, 0x360
	s_mov_b32 s4, 0
	s_mov_b32 s49, s30
	.p2align	6
.LBB38_192:                             ; =>This Inner Loop Header: Depth=1
	v_mov_b32_e32 v8, s49
	v_add_nc_u32_e32 v7, -1, v7
	s_add_i32 s49, s49, 16
	s_clause 0x3
	buffer_load_dword v12, v8, s[0:3], 0 offen offset:8
	buffer_load_dword v13, v8, s[0:3], 0 offen offset:12
	buffer_load_dword v14, v8, s[0:3], 0 offen
	buffer_load_dword v15, v8, s[0:3], 0 offen offset:4
	v_mov_b32_e32 v8, s48
	v_cmp_eq_u32_e32 vcc_lo, 0, v7
	s_add_i32 s48, s48, 16
	ds_read_b128 v[8:11], v8
	s_or_b32 s4, vcc_lo, s4
	s_waitcnt vmcnt(2) lgkmcnt(0)
	v_mul_f64 v[16:17], v[10:11], v[12:13]
	v_mul_f64 v[12:13], v[8:9], v[12:13]
	s_waitcnt vmcnt(0)
	v_fma_f64 v[8:9], v[8:9], v[14:15], -v[16:17]
	v_fma_f64 v[10:11], v[10:11], v[14:15], v[12:13]
	v_add_f64 v[1:2], v[1:2], v[8:9]
	v_add_f64 v[3:4], v[3:4], v[10:11]
	s_andn2_b32 exec_lo, exec_lo, s4
	s_cbranch_execnz .LBB38_192
; %bb.193:
	s_or_b32 exec_lo, exec_lo, s4
.LBB38_194:
	s_or_b32 exec_lo, exec_lo, s47
	v_mov_b32_e32 v7, 0
	ds_read_b128 v[7:10], v7 offset:224
	s_waitcnt lgkmcnt(0)
	v_mul_f64 v[11:12], v[3:4], v[9:10]
	v_mul_f64 v[9:10], v[1:2], v[9:10]
	v_fma_f64 v[1:2], v[1:2], v[7:8], -v[11:12]
	v_fma_f64 v[3:4], v[3:4], v[7:8], v[9:10]
	buffer_store_dword v2, off, s[0:3], 0 offset:228
	buffer_store_dword v1, off, s[0:3], 0 offset:224
	;; [unrolled: 1-line block ×4, first 2 shown]
.LBB38_195:
	s_or_b32 exec_lo, exec_lo, s8
	v_mov_b32_e32 v4, s33
	v_cmp_lt_u32_e64 s4, 13, v0
	s_clause 0x3
	buffer_load_dword v1, v4, s[0:3], 0 offen
	buffer_load_dword v2, v4, s[0:3], 0 offen offset:4
	buffer_load_dword v3, v4, s[0:3], 0 offen offset:8
	;; [unrolled: 1-line block ×3, first 2 shown]
	s_waitcnt vmcnt(0)
	ds_write_b128 v6, v[1:4]
	s_waitcnt lgkmcnt(0)
	s_waitcnt_vscnt null, 0x0
	s_barrier
	buffer_gl0_inv
	s_and_saveexec_b32 s8, s4
	s_cbranch_execz .LBB38_203
; %bb.196:
	ds_read_b128 v[1:4], v6
	s_andn2_b32 vcc_lo, exec_lo, s46
	s_cbranch_vccnz .LBB38_198
; %bb.197:
	s_clause 0x3
	buffer_load_dword v7, v5, s[0:3], 0 offen offset:8
	buffer_load_dword v8, v5, s[0:3], 0 offen offset:12
	buffer_load_dword v9, v5, s[0:3], 0 offen
	buffer_load_dword v10, v5, s[0:3], 0 offen offset:4
	s_waitcnt vmcnt(2) lgkmcnt(0)
	v_mul_f64 v[11:12], v[3:4], v[7:8]
	v_mul_f64 v[7:8], v[1:2], v[7:8]
	s_waitcnt vmcnt(0)
	v_fma_f64 v[1:2], v[1:2], v[9:10], -v[11:12]
	v_fma_f64 v[3:4], v[3:4], v[9:10], v[7:8]
.LBB38_198:
	s_and_saveexec_b32 s47, s5
	s_cbranch_execz .LBB38_202
; %bb.199:
	v_add_nc_u32_e32 v7, -14, v0
	s_movk_i32 s48, 0x350
	s_mov_b32 s5, 0
	s_mov_b32 s49, s31
	.p2align	6
.LBB38_200:                             ; =>This Inner Loop Header: Depth=1
	v_mov_b32_e32 v8, s49
	v_add_nc_u32_e32 v7, -1, v7
	s_add_i32 s49, s49, 16
	s_clause 0x3
	buffer_load_dword v12, v8, s[0:3], 0 offen offset:8
	buffer_load_dword v13, v8, s[0:3], 0 offen offset:12
	buffer_load_dword v14, v8, s[0:3], 0 offen
	buffer_load_dword v15, v8, s[0:3], 0 offen offset:4
	v_mov_b32_e32 v8, s48
	v_cmp_eq_u32_e32 vcc_lo, 0, v7
	s_add_i32 s48, s48, 16
	ds_read_b128 v[8:11], v8
	s_or_b32 s5, vcc_lo, s5
	s_waitcnt vmcnt(2) lgkmcnt(0)
	v_mul_f64 v[16:17], v[10:11], v[12:13]
	v_mul_f64 v[12:13], v[8:9], v[12:13]
	s_waitcnt vmcnt(0)
	v_fma_f64 v[8:9], v[8:9], v[14:15], -v[16:17]
	v_fma_f64 v[10:11], v[10:11], v[14:15], v[12:13]
	v_add_f64 v[1:2], v[1:2], v[8:9]
	v_add_f64 v[3:4], v[3:4], v[10:11]
	s_andn2_b32 exec_lo, exec_lo, s5
	s_cbranch_execnz .LBB38_200
; %bb.201:
	s_or_b32 exec_lo, exec_lo, s5
.LBB38_202:
	s_or_b32 exec_lo, exec_lo, s47
	v_mov_b32_e32 v7, 0
	ds_read_b128 v[7:10], v7 offset:208
	s_waitcnt lgkmcnt(0)
	v_mul_f64 v[11:12], v[3:4], v[9:10]
	v_mul_f64 v[9:10], v[1:2], v[9:10]
	v_fma_f64 v[1:2], v[1:2], v[7:8], -v[11:12]
	v_fma_f64 v[3:4], v[3:4], v[7:8], v[9:10]
	buffer_store_dword v2, off, s[0:3], 0 offset:212
	buffer_store_dword v1, off, s[0:3], 0 offset:208
	;; [unrolled: 1-line block ×4, first 2 shown]
.LBB38_203:
	s_or_b32 exec_lo, exec_lo, s8
	v_mov_b32_e32 v4, s34
	v_cmp_lt_u32_e64 s5, 12, v0
	s_clause 0x3
	buffer_load_dword v1, v4, s[0:3], 0 offen
	buffer_load_dword v2, v4, s[0:3], 0 offen offset:4
	buffer_load_dword v3, v4, s[0:3], 0 offen offset:8
	;; [unrolled: 1-line block ×3, first 2 shown]
	s_waitcnt vmcnt(0)
	ds_write_b128 v6, v[1:4]
	s_waitcnt lgkmcnt(0)
	s_waitcnt_vscnt null, 0x0
	s_barrier
	buffer_gl0_inv
	s_and_saveexec_b32 s8, s5
	s_cbranch_execz .LBB38_211
; %bb.204:
	ds_read_b128 v[1:4], v6
	s_andn2_b32 vcc_lo, exec_lo, s46
	s_cbranch_vccnz .LBB38_206
; %bb.205:
	s_clause 0x3
	buffer_load_dword v7, v5, s[0:3], 0 offen offset:8
	buffer_load_dword v8, v5, s[0:3], 0 offen offset:12
	buffer_load_dword v9, v5, s[0:3], 0 offen
	buffer_load_dword v10, v5, s[0:3], 0 offen offset:4
	s_waitcnt vmcnt(2) lgkmcnt(0)
	v_mul_f64 v[11:12], v[3:4], v[7:8]
	v_mul_f64 v[7:8], v[1:2], v[7:8]
	s_waitcnt vmcnt(0)
	v_fma_f64 v[1:2], v[1:2], v[9:10], -v[11:12]
	v_fma_f64 v[3:4], v[3:4], v[9:10], v[7:8]
.LBB38_206:
	s_and_saveexec_b32 s47, s4
	s_cbranch_execz .LBB38_210
; %bb.207:
	v_add_nc_u32_e32 v7, -13, v0
	s_movk_i32 s48, 0x340
	s_mov_b32 s4, 0
	s_mov_b32 s49, s33
	.p2align	6
.LBB38_208:                             ; =>This Inner Loop Header: Depth=1
	v_mov_b32_e32 v8, s49
	v_add_nc_u32_e32 v7, -1, v7
	s_add_i32 s49, s49, 16
	s_clause 0x3
	buffer_load_dword v12, v8, s[0:3], 0 offen offset:8
	buffer_load_dword v13, v8, s[0:3], 0 offen offset:12
	buffer_load_dword v14, v8, s[0:3], 0 offen
	buffer_load_dword v15, v8, s[0:3], 0 offen offset:4
	v_mov_b32_e32 v8, s48
	v_cmp_eq_u32_e32 vcc_lo, 0, v7
	s_add_i32 s48, s48, 16
	ds_read_b128 v[8:11], v8
	s_or_b32 s4, vcc_lo, s4
	s_waitcnt vmcnt(2) lgkmcnt(0)
	v_mul_f64 v[16:17], v[10:11], v[12:13]
	v_mul_f64 v[12:13], v[8:9], v[12:13]
	s_waitcnt vmcnt(0)
	v_fma_f64 v[8:9], v[8:9], v[14:15], -v[16:17]
	v_fma_f64 v[10:11], v[10:11], v[14:15], v[12:13]
	v_add_f64 v[1:2], v[1:2], v[8:9]
	v_add_f64 v[3:4], v[3:4], v[10:11]
	s_andn2_b32 exec_lo, exec_lo, s4
	s_cbranch_execnz .LBB38_208
; %bb.209:
	s_or_b32 exec_lo, exec_lo, s4
.LBB38_210:
	s_or_b32 exec_lo, exec_lo, s47
	v_mov_b32_e32 v7, 0
	ds_read_b128 v[7:10], v7 offset:192
	s_waitcnt lgkmcnt(0)
	v_mul_f64 v[11:12], v[3:4], v[9:10]
	v_mul_f64 v[9:10], v[1:2], v[9:10]
	v_fma_f64 v[1:2], v[1:2], v[7:8], -v[11:12]
	v_fma_f64 v[3:4], v[3:4], v[7:8], v[9:10]
	buffer_store_dword v2, off, s[0:3], 0 offset:196
	buffer_store_dword v1, off, s[0:3], 0 offset:192
	buffer_store_dword v4, off, s[0:3], 0 offset:204
	buffer_store_dword v3, off, s[0:3], 0 offset:200
.LBB38_211:
	s_or_b32 exec_lo, exec_lo, s8
	v_mov_b32_e32 v4, s35
	v_cmp_lt_u32_e64 s4, 11, v0
	s_clause 0x3
	buffer_load_dword v1, v4, s[0:3], 0 offen
	buffer_load_dword v2, v4, s[0:3], 0 offen offset:4
	buffer_load_dword v3, v4, s[0:3], 0 offen offset:8
	;; [unrolled: 1-line block ×3, first 2 shown]
	s_waitcnt vmcnt(0)
	ds_write_b128 v6, v[1:4]
	s_waitcnt lgkmcnt(0)
	s_waitcnt_vscnt null, 0x0
	s_barrier
	buffer_gl0_inv
	s_and_saveexec_b32 s8, s4
	s_cbranch_execz .LBB38_219
; %bb.212:
	ds_read_b128 v[1:4], v6
	s_andn2_b32 vcc_lo, exec_lo, s46
	s_cbranch_vccnz .LBB38_214
; %bb.213:
	s_clause 0x3
	buffer_load_dword v7, v5, s[0:3], 0 offen offset:8
	buffer_load_dword v8, v5, s[0:3], 0 offen offset:12
	buffer_load_dword v9, v5, s[0:3], 0 offen
	buffer_load_dword v10, v5, s[0:3], 0 offen offset:4
	s_waitcnt vmcnt(2) lgkmcnt(0)
	v_mul_f64 v[11:12], v[3:4], v[7:8]
	v_mul_f64 v[7:8], v[1:2], v[7:8]
	s_waitcnt vmcnt(0)
	v_fma_f64 v[1:2], v[1:2], v[9:10], -v[11:12]
	v_fma_f64 v[3:4], v[3:4], v[9:10], v[7:8]
.LBB38_214:
	s_and_saveexec_b32 s47, s5
	s_cbranch_execz .LBB38_218
; %bb.215:
	v_add_nc_u32_e32 v7, -12, v0
	s_movk_i32 s48, 0x330
	s_mov_b32 s5, 0
	s_mov_b32 s49, s34
	.p2align	6
.LBB38_216:                             ; =>This Inner Loop Header: Depth=1
	v_mov_b32_e32 v8, s49
	v_add_nc_u32_e32 v7, -1, v7
	s_add_i32 s49, s49, 16
	s_clause 0x3
	buffer_load_dword v12, v8, s[0:3], 0 offen offset:8
	buffer_load_dword v13, v8, s[0:3], 0 offen offset:12
	buffer_load_dword v14, v8, s[0:3], 0 offen
	buffer_load_dword v15, v8, s[0:3], 0 offen offset:4
	v_mov_b32_e32 v8, s48
	v_cmp_eq_u32_e32 vcc_lo, 0, v7
	s_add_i32 s48, s48, 16
	ds_read_b128 v[8:11], v8
	s_or_b32 s5, vcc_lo, s5
	s_waitcnt vmcnt(2) lgkmcnt(0)
	v_mul_f64 v[16:17], v[10:11], v[12:13]
	v_mul_f64 v[12:13], v[8:9], v[12:13]
	s_waitcnt vmcnt(0)
	v_fma_f64 v[8:9], v[8:9], v[14:15], -v[16:17]
	v_fma_f64 v[10:11], v[10:11], v[14:15], v[12:13]
	v_add_f64 v[1:2], v[1:2], v[8:9]
	v_add_f64 v[3:4], v[3:4], v[10:11]
	s_andn2_b32 exec_lo, exec_lo, s5
	s_cbranch_execnz .LBB38_216
; %bb.217:
	s_or_b32 exec_lo, exec_lo, s5
.LBB38_218:
	s_or_b32 exec_lo, exec_lo, s47
	v_mov_b32_e32 v7, 0
	ds_read_b128 v[7:10], v7 offset:176
	s_waitcnt lgkmcnt(0)
	v_mul_f64 v[11:12], v[3:4], v[9:10]
	v_mul_f64 v[9:10], v[1:2], v[9:10]
	v_fma_f64 v[1:2], v[1:2], v[7:8], -v[11:12]
	v_fma_f64 v[3:4], v[3:4], v[7:8], v[9:10]
	buffer_store_dword v2, off, s[0:3], 0 offset:180
	buffer_store_dword v1, off, s[0:3], 0 offset:176
	;; [unrolled: 1-line block ×4, first 2 shown]
.LBB38_219:
	s_or_b32 exec_lo, exec_lo, s8
	v_mov_b32_e32 v4, s36
	v_cmp_lt_u32_e64 s5, 10, v0
	s_clause 0x3
	buffer_load_dword v1, v4, s[0:3], 0 offen
	buffer_load_dword v2, v4, s[0:3], 0 offen offset:4
	buffer_load_dword v3, v4, s[0:3], 0 offen offset:8
	;; [unrolled: 1-line block ×3, first 2 shown]
	s_waitcnt vmcnt(0)
	ds_write_b128 v6, v[1:4]
	s_waitcnt lgkmcnt(0)
	s_waitcnt_vscnt null, 0x0
	s_barrier
	buffer_gl0_inv
	s_and_saveexec_b32 s8, s5
	s_cbranch_execz .LBB38_227
; %bb.220:
	ds_read_b128 v[1:4], v6
	s_andn2_b32 vcc_lo, exec_lo, s46
	s_cbranch_vccnz .LBB38_222
; %bb.221:
	s_clause 0x3
	buffer_load_dword v7, v5, s[0:3], 0 offen offset:8
	buffer_load_dword v8, v5, s[0:3], 0 offen offset:12
	buffer_load_dword v9, v5, s[0:3], 0 offen
	buffer_load_dword v10, v5, s[0:3], 0 offen offset:4
	s_waitcnt vmcnt(2) lgkmcnt(0)
	v_mul_f64 v[11:12], v[3:4], v[7:8]
	v_mul_f64 v[7:8], v[1:2], v[7:8]
	s_waitcnt vmcnt(0)
	v_fma_f64 v[1:2], v[1:2], v[9:10], -v[11:12]
	v_fma_f64 v[3:4], v[3:4], v[9:10], v[7:8]
.LBB38_222:
	s_and_saveexec_b32 s47, s4
	s_cbranch_execz .LBB38_226
; %bb.223:
	v_add_nc_u32_e32 v7, -11, v0
	s_movk_i32 s48, 0x320
	s_mov_b32 s4, 0
	s_mov_b32 s49, s35
	.p2align	6
.LBB38_224:                             ; =>This Inner Loop Header: Depth=1
	v_mov_b32_e32 v8, s49
	v_add_nc_u32_e32 v7, -1, v7
	s_add_i32 s49, s49, 16
	s_clause 0x3
	buffer_load_dword v12, v8, s[0:3], 0 offen offset:8
	buffer_load_dword v13, v8, s[0:3], 0 offen offset:12
	buffer_load_dword v14, v8, s[0:3], 0 offen
	buffer_load_dword v15, v8, s[0:3], 0 offen offset:4
	v_mov_b32_e32 v8, s48
	v_cmp_eq_u32_e32 vcc_lo, 0, v7
	s_add_i32 s48, s48, 16
	ds_read_b128 v[8:11], v8
	s_or_b32 s4, vcc_lo, s4
	s_waitcnt vmcnt(2) lgkmcnt(0)
	v_mul_f64 v[16:17], v[10:11], v[12:13]
	v_mul_f64 v[12:13], v[8:9], v[12:13]
	s_waitcnt vmcnt(0)
	v_fma_f64 v[8:9], v[8:9], v[14:15], -v[16:17]
	v_fma_f64 v[10:11], v[10:11], v[14:15], v[12:13]
	v_add_f64 v[1:2], v[1:2], v[8:9]
	v_add_f64 v[3:4], v[3:4], v[10:11]
	s_andn2_b32 exec_lo, exec_lo, s4
	s_cbranch_execnz .LBB38_224
; %bb.225:
	s_or_b32 exec_lo, exec_lo, s4
.LBB38_226:
	s_or_b32 exec_lo, exec_lo, s47
	v_mov_b32_e32 v7, 0
	ds_read_b128 v[7:10], v7 offset:160
	s_waitcnt lgkmcnt(0)
	v_mul_f64 v[11:12], v[3:4], v[9:10]
	v_mul_f64 v[9:10], v[1:2], v[9:10]
	v_fma_f64 v[1:2], v[1:2], v[7:8], -v[11:12]
	v_fma_f64 v[3:4], v[3:4], v[7:8], v[9:10]
	buffer_store_dword v2, off, s[0:3], 0 offset:164
	buffer_store_dword v1, off, s[0:3], 0 offset:160
	;; [unrolled: 1-line block ×4, first 2 shown]
.LBB38_227:
	s_or_b32 exec_lo, exec_lo, s8
	v_mov_b32_e32 v4, s37
	v_cmp_lt_u32_e64 s4, 9, v0
	s_clause 0x3
	buffer_load_dword v1, v4, s[0:3], 0 offen
	buffer_load_dword v2, v4, s[0:3], 0 offen offset:4
	buffer_load_dword v3, v4, s[0:3], 0 offen offset:8
	;; [unrolled: 1-line block ×3, first 2 shown]
	s_waitcnt vmcnt(0)
	ds_write_b128 v6, v[1:4]
	s_waitcnt lgkmcnt(0)
	s_waitcnt_vscnt null, 0x0
	s_barrier
	buffer_gl0_inv
	s_and_saveexec_b32 s8, s4
	s_cbranch_execz .LBB38_235
; %bb.228:
	ds_read_b128 v[1:4], v6
	s_andn2_b32 vcc_lo, exec_lo, s46
	s_cbranch_vccnz .LBB38_230
; %bb.229:
	s_clause 0x3
	buffer_load_dword v7, v5, s[0:3], 0 offen offset:8
	buffer_load_dword v8, v5, s[0:3], 0 offen offset:12
	buffer_load_dword v9, v5, s[0:3], 0 offen
	buffer_load_dword v10, v5, s[0:3], 0 offen offset:4
	s_waitcnt vmcnt(2) lgkmcnt(0)
	v_mul_f64 v[11:12], v[3:4], v[7:8]
	v_mul_f64 v[7:8], v[1:2], v[7:8]
	s_waitcnt vmcnt(0)
	v_fma_f64 v[1:2], v[1:2], v[9:10], -v[11:12]
	v_fma_f64 v[3:4], v[3:4], v[9:10], v[7:8]
.LBB38_230:
	s_and_saveexec_b32 s47, s5
	s_cbranch_execz .LBB38_234
; %bb.231:
	v_add_nc_u32_e32 v7, -10, v0
	s_movk_i32 s48, 0x310
	s_mov_b32 s5, 0
	s_mov_b32 s49, s36
	.p2align	6
.LBB38_232:                             ; =>This Inner Loop Header: Depth=1
	v_mov_b32_e32 v8, s49
	v_add_nc_u32_e32 v7, -1, v7
	s_add_i32 s49, s49, 16
	s_clause 0x3
	buffer_load_dword v12, v8, s[0:3], 0 offen offset:8
	buffer_load_dword v13, v8, s[0:3], 0 offen offset:12
	buffer_load_dword v14, v8, s[0:3], 0 offen
	buffer_load_dword v15, v8, s[0:3], 0 offen offset:4
	v_mov_b32_e32 v8, s48
	v_cmp_eq_u32_e32 vcc_lo, 0, v7
	s_add_i32 s48, s48, 16
	ds_read_b128 v[8:11], v8
	s_or_b32 s5, vcc_lo, s5
	s_waitcnt vmcnt(2) lgkmcnt(0)
	v_mul_f64 v[16:17], v[10:11], v[12:13]
	v_mul_f64 v[12:13], v[8:9], v[12:13]
	s_waitcnt vmcnt(0)
	v_fma_f64 v[8:9], v[8:9], v[14:15], -v[16:17]
	v_fma_f64 v[10:11], v[10:11], v[14:15], v[12:13]
	v_add_f64 v[1:2], v[1:2], v[8:9]
	v_add_f64 v[3:4], v[3:4], v[10:11]
	s_andn2_b32 exec_lo, exec_lo, s5
	s_cbranch_execnz .LBB38_232
; %bb.233:
	s_or_b32 exec_lo, exec_lo, s5
.LBB38_234:
	s_or_b32 exec_lo, exec_lo, s47
	v_mov_b32_e32 v7, 0
	ds_read_b128 v[7:10], v7 offset:144
	s_waitcnt lgkmcnt(0)
	v_mul_f64 v[11:12], v[3:4], v[9:10]
	v_mul_f64 v[9:10], v[1:2], v[9:10]
	v_fma_f64 v[1:2], v[1:2], v[7:8], -v[11:12]
	v_fma_f64 v[3:4], v[3:4], v[7:8], v[9:10]
	buffer_store_dword v2, off, s[0:3], 0 offset:148
	buffer_store_dword v1, off, s[0:3], 0 offset:144
	buffer_store_dword v4, off, s[0:3], 0 offset:156
	buffer_store_dword v3, off, s[0:3], 0 offset:152
.LBB38_235:
	s_or_b32 exec_lo, exec_lo, s8
	v_mov_b32_e32 v4, s38
	v_cmp_lt_u32_e64 s5, 8, v0
	s_clause 0x3
	buffer_load_dword v1, v4, s[0:3], 0 offen
	buffer_load_dword v2, v4, s[0:3], 0 offen offset:4
	buffer_load_dword v3, v4, s[0:3], 0 offen offset:8
	;; [unrolled: 1-line block ×3, first 2 shown]
	s_waitcnt vmcnt(0)
	ds_write_b128 v6, v[1:4]
	s_waitcnt lgkmcnt(0)
	s_waitcnt_vscnt null, 0x0
	s_barrier
	buffer_gl0_inv
	s_and_saveexec_b32 s8, s5
	s_cbranch_execz .LBB38_243
; %bb.236:
	ds_read_b128 v[1:4], v6
	s_andn2_b32 vcc_lo, exec_lo, s46
	s_cbranch_vccnz .LBB38_238
; %bb.237:
	s_clause 0x3
	buffer_load_dword v7, v5, s[0:3], 0 offen offset:8
	buffer_load_dword v8, v5, s[0:3], 0 offen offset:12
	buffer_load_dword v9, v5, s[0:3], 0 offen
	buffer_load_dword v10, v5, s[0:3], 0 offen offset:4
	s_waitcnt vmcnt(2) lgkmcnt(0)
	v_mul_f64 v[11:12], v[3:4], v[7:8]
	v_mul_f64 v[7:8], v[1:2], v[7:8]
	s_waitcnt vmcnt(0)
	v_fma_f64 v[1:2], v[1:2], v[9:10], -v[11:12]
	v_fma_f64 v[3:4], v[3:4], v[9:10], v[7:8]
.LBB38_238:
	s_and_saveexec_b32 s47, s4
	s_cbranch_execz .LBB38_242
; %bb.239:
	v_add_nc_u32_e32 v7, -9, v0
	s_movk_i32 s48, 0x300
	s_mov_b32 s4, 0
	s_mov_b32 s49, s37
	.p2align	6
.LBB38_240:                             ; =>This Inner Loop Header: Depth=1
	v_mov_b32_e32 v8, s49
	v_add_nc_u32_e32 v7, -1, v7
	s_add_i32 s49, s49, 16
	s_clause 0x3
	buffer_load_dword v12, v8, s[0:3], 0 offen offset:8
	buffer_load_dword v13, v8, s[0:3], 0 offen offset:12
	buffer_load_dword v14, v8, s[0:3], 0 offen
	buffer_load_dword v15, v8, s[0:3], 0 offen offset:4
	v_mov_b32_e32 v8, s48
	v_cmp_eq_u32_e32 vcc_lo, 0, v7
	s_add_i32 s48, s48, 16
	ds_read_b128 v[8:11], v8
	s_or_b32 s4, vcc_lo, s4
	s_waitcnt vmcnt(2) lgkmcnt(0)
	v_mul_f64 v[16:17], v[10:11], v[12:13]
	v_mul_f64 v[12:13], v[8:9], v[12:13]
	s_waitcnt vmcnt(0)
	v_fma_f64 v[8:9], v[8:9], v[14:15], -v[16:17]
	v_fma_f64 v[10:11], v[10:11], v[14:15], v[12:13]
	v_add_f64 v[1:2], v[1:2], v[8:9]
	v_add_f64 v[3:4], v[3:4], v[10:11]
	s_andn2_b32 exec_lo, exec_lo, s4
	s_cbranch_execnz .LBB38_240
; %bb.241:
	s_or_b32 exec_lo, exec_lo, s4
.LBB38_242:
	s_or_b32 exec_lo, exec_lo, s47
	v_mov_b32_e32 v7, 0
	ds_read_b128 v[7:10], v7 offset:128
	s_waitcnt lgkmcnt(0)
	v_mul_f64 v[11:12], v[3:4], v[9:10]
	v_mul_f64 v[9:10], v[1:2], v[9:10]
	v_fma_f64 v[1:2], v[1:2], v[7:8], -v[11:12]
	v_fma_f64 v[3:4], v[3:4], v[7:8], v[9:10]
	buffer_store_dword v2, off, s[0:3], 0 offset:132
	buffer_store_dword v1, off, s[0:3], 0 offset:128
	;; [unrolled: 1-line block ×4, first 2 shown]
.LBB38_243:
	s_or_b32 exec_lo, exec_lo, s8
	v_mov_b32_e32 v4, s39
	v_cmp_lt_u32_e64 s4, 7, v0
	s_clause 0x3
	buffer_load_dword v1, v4, s[0:3], 0 offen
	buffer_load_dword v2, v4, s[0:3], 0 offen offset:4
	buffer_load_dword v3, v4, s[0:3], 0 offen offset:8
	;; [unrolled: 1-line block ×3, first 2 shown]
	s_waitcnt vmcnt(0)
	ds_write_b128 v6, v[1:4]
	s_waitcnt lgkmcnt(0)
	s_waitcnt_vscnt null, 0x0
	s_barrier
	buffer_gl0_inv
	s_and_saveexec_b32 s8, s4
	s_cbranch_execz .LBB38_251
; %bb.244:
	ds_read_b128 v[1:4], v6
	s_andn2_b32 vcc_lo, exec_lo, s46
	s_cbranch_vccnz .LBB38_246
; %bb.245:
	s_clause 0x3
	buffer_load_dword v7, v5, s[0:3], 0 offen offset:8
	buffer_load_dword v8, v5, s[0:3], 0 offen offset:12
	buffer_load_dword v9, v5, s[0:3], 0 offen
	buffer_load_dword v10, v5, s[0:3], 0 offen offset:4
	s_waitcnt vmcnt(2) lgkmcnt(0)
	v_mul_f64 v[11:12], v[3:4], v[7:8]
	v_mul_f64 v[7:8], v[1:2], v[7:8]
	s_waitcnt vmcnt(0)
	v_fma_f64 v[1:2], v[1:2], v[9:10], -v[11:12]
	v_fma_f64 v[3:4], v[3:4], v[9:10], v[7:8]
.LBB38_246:
	s_and_saveexec_b32 s47, s5
	s_cbranch_execz .LBB38_250
; %bb.247:
	v_add_nc_u32_e32 v7, -8, v0
	s_movk_i32 s48, 0x2f0
	s_mov_b32 s5, 0
	s_mov_b32 s49, s38
	.p2align	6
.LBB38_248:                             ; =>This Inner Loop Header: Depth=1
	v_mov_b32_e32 v8, s49
	v_add_nc_u32_e32 v7, -1, v7
	s_add_i32 s49, s49, 16
	s_clause 0x3
	buffer_load_dword v12, v8, s[0:3], 0 offen offset:8
	buffer_load_dword v13, v8, s[0:3], 0 offen offset:12
	buffer_load_dword v14, v8, s[0:3], 0 offen
	buffer_load_dword v15, v8, s[0:3], 0 offen offset:4
	v_mov_b32_e32 v8, s48
	v_cmp_eq_u32_e32 vcc_lo, 0, v7
	s_add_i32 s48, s48, 16
	ds_read_b128 v[8:11], v8
	s_or_b32 s5, vcc_lo, s5
	s_waitcnt vmcnt(2) lgkmcnt(0)
	v_mul_f64 v[16:17], v[10:11], v[12:13]
	v_mul_f64 v[12:13], v[8:9], v[12:13]
	s_waitcnt vmcnt(0)
	v_fma_f64 v[8:9], v[8:9], v[14:15], -v[16:17]
	v_fma_f64 v[10:11], v[10:11], v[14:15], v[12:13]
	v_add_f64 v[1:2], v[1:2], v[8:9]
	v_add_f64 v[3:4], v[3:4], v[10:11]
	s_andn2_b32 exec_lo, exec_lo, s5
	s_cbranch_execnz .LBB38_248
; %bb.249:
	s_or_b32 exec_lo, exec_lo, s5
.LBB38_250:
	s_or_b32 exec_lo, exec_lo, s47
	v_mov_b32_e32 v7, 0
	ds_read_b128 v[7:10], v7 offset:112
	s_waitcnt lgkmcnt(0)
	v_mul_f64 v[11:12], v[3:4], v[9:10]
	v_mul_f64 v[9:10], v[1:2], v[9:10]
	v_fma_f64 v[1:2], v[1:2], v[7:8], -v[11:12]
	v_fma_f64 v[3:4], v[3:4], v[7:8], v[9:10]
	buffer_store_dword v2, off, s[0:3], 0 offset:116
	buffer_store_dword v1, off, s[0:3], 0 offset:112
	;; [unrolled: 1-line block ×4, first 2 shown]
.LBB38_251:
	s_or_b32 exec_lo, exec_lo, s8
	v_mov_b32_e32 v4, s40
	v_cmp_lt_u32_e64 s5, 6, v0
	s_clause 0x3
	buffer_load_dword v1, v4, s[0:3], 0 offen
	buffer_load_dword v2, v4, s[0:3], 0 offen offset:4
	buffer_load_dword v3, v4, s[0:3], 0 offen offset:8
	;; [unrolled: 1-line block ×3, first 2 shown]
	s_waitcnt vmcnt(0)
	ds_write_b128 v6, v[1:4]
	s_waitcnt lgkmcnt(0)
	s_waitcnt_vscnt null, 0x0
	s_barrier
	buffer_gl0_inv
	s_and_saveexec_b32 s8, s5
	s_cbranch_execz .LBB38_259
; %bb.252:
	ds_read_b128 v[1:4], v6
	s_andn2_b32 vcc_lo, exec_lo, s46
	s_cbranch_vccnz .LBB38_254
; %bb.253:
	s_clause 0x3
	buffer_load_dword v7, v5, s[0:3], 0 offen offset:8
	buffer_load_dword v8, v5, s[0:3], 0 offen offset:12
	buffer_load_dword v9, v5, s[0:3], 0 offen
	buffer_load_dword v10, v5, s[0:3], 0 offen offset:4
	s_waitcnt vmcnt(2) lgkmcnt(0)
	v_mul_f64 v[11:12], v[3:4], v[7:8]
	v_mul_f64 v[7:8], v[1:2], v[7:8]
	s_waitcnt vmcnt(0)
	v_fma_f64 v[1:2], v[1:2], v[9:10], -v[11:12]
	v_fma_f64 v[3:4], v[3:4], v[9:10], v[7:8]
.LBB38_254:
	s_and_saveexec_b32 s47, s4
	s_cbranch_execz .LBB38_258
; %bb.255:
	v_add_nc_u32_e32 v7, -7, v0
	s_movk_i32 s48, 0x2e0
	s_mov_b32 s4, 0
	s_mov_b32 s49, s39
	.p2align	6
.LBB38_256:                             ; =>This Inner Loop Header: Depth=1
	v_mov_b32_e32 v8, s49
	v_add_nc_u32_e32 v7, -1, v7
	s_add_i32 s49, s49, 16
	s_clause 0x3
	buffer_load_dword v12, v8, s[0:3], 0 offen offset:8
	buffer_load_dword v13, v8, s[0:3], 0 offen offset:12
	buffer_load_dword v14, v8, s[0:3], 0 offen
	buffer_load_dword v15, v8, s[0:3], 0 offen offset:4
	v_mov_b32_e32 v8, s48
	v_cmp_eq_u32_e32 vcc_lo, 0, v7
	s_add_i32 s48, s48, 16
	ds_read_b128 v[8:11], v8
	s_or_b32 s4, vcc_lo, s4
	s_waitcnt vmcnt(2) lgkmcnt(0)
	v_mul_f64 v[16:17], v[10:11], v[12:13]
	v_mul_f64 v[12:13], v[8:9], v[12:13]
	s_waitcnt vmcnt(0)
	v_fma_f64 v[8:9], v[8:9], v[14:15], -v[16:17]
	v_fma_f64 v[10:11], v[10:11], v[14:15], v[12:13]
	v_add_f64 v[1:2], v[1:2], v[8:9]
	v_add_f64 v[3:4], v[3:4], v[10:11]
	s_andn2_b32 exec_lo, exec_lo, s4
	s_cbranch_execnz .LBB38_256
; %bb.257:
	s_or_b32 exec_lo, exec_lo, s4
.LBB38_258:
	s_or_b32 exec_lo, exec_lo, s47
	v_mov_b32_e32 v7, 0
	ds_read_b128 v[7:10], v7 offset:96
	s_waitcnt lgkmcnt(0)
	v_mul_f64 v[11:12], v[3:4], v[9:10]
	v_mul_f64 v[9:10], v[1:2], v[9:10]
	v_fma_f64 v[1:2], v[1:2], v[7:8], -v[11:12]
	v_fma_f64 v[3:4], v[3:4], v[7:8], v[9:10]
	buffer_store_dword v2, off, s[0:3], 0 offset:100
	buffer_store_dword v1, off, s[0:3], 0 offset:96
	;; [unrolled: 1-line block ×4, first 2 shown]
.LBB38_259:
	s_or_b32 exec_lo, exec_lo, s8
	v_mov_b32_e32 v4, s41
	v_cmp_lt_u32_e64 s4, 5, v0
	s_clause 0x3
	buffer_load_dword v1, v4, s[0:3], 0 offen
	buffer_load_dword v2, v4, s[0:3], 0 offen offset:4
	buffer_load_dword v3, v4, s[0:3], 0 offen offset:8
	;; [unrolled: 1-line block ×3, first 2 shown]
	s_waitcnt vmcnt(0)
	ds_write_b128 v6, v[1:4]
	s_waitcnt lgkmcnt(0)
	s_waitcnt_vscnt null, 0x0
	s_barrier
	buffer_gl0_inv
	s_and_saveexec_b32 s8, s4
	s_cbranch_execz .LBB38_267
; %bb.260:
	ds_read_b128 v[1:4], v6
	s_andn2_b32 vcc_lo, exec_lo, s46
	s_cbranch_vccnz .LBB38_262
; %bb.261:
	s_clause 0x3
	buffer_load_dword v7, v5, s[0:3], 0 offen offset:8
	buffer_load_dword v8, v5, s[0:3], 0 offen offset:12
	buffer_load_dword v9, v5, s[0:3], 0 offen
	buffer_load_dword v10, v5, s[0:3], 0 offen offset:4
	s_waitcnt vmcnt(2) lgkmcnt(0)
	v_mul_f64 v[11:12], v[3:4], v[7:8]
	v_mul_f64 v[7:8], v[1:2], v[7:8]
	s_waitcnt vmcnt(0)
	v_fma_f64 v[1:2], v[1:2], v[9:10], -v[11:12]
	v_fma_f64 v[3:4], v[3:4], v[9:10], v[7:8]
.LBB38_262:
	s_and_saveexec_b32 s47, s5
	s_cbranch_execz .LBB38_266
; %bb.263:
	v_add_nc_u32_e32 v7, -6, v0
	s_movk_i32 s48, 0x2d0
	s_mov_b32 s5, 0
	s_mov_b32 s49, s40
	.p2align	6
.LBB38_264:                             ; =>This Inner Loop Header: Depth=1
	v_mov_b32_e32 v8, s49
	v_add_nc_u32_e32 v7, -1, v7
	s_add_i32 s49, s49, 16
	s_clause 0x3
	buffer_load_dword v12, v8, s[0:3], 0 offen offset:8
	buffer_load_dword v13, v8, s[0:3], 0 offen offset:12
	buffer_load_dword v14, v8, s[0:3], 0 offen
	buffer_load_dword v15, v8, s[0:3], 0 offen offset:4
	v_mov_b32_e32 v8, s48
	v_cmp_eq_u32_e32 vcc_lo, 0, v7
	s_add_i32 s48, s48, 16
	ds_read_b128 v[8:11], v8
	s_or_b32 s5, vcc_lo, s5
	s_waitcnt vmcnt(2) lgkmcnt(0)
	v_mul_f64 v[16:17], v[10:11], v[12:13]
	v_mul_f64 v[12:13], v[8:9], v[12:13]
	s_waitcnt vmcnt(0)
	v_fma_f64 v[8:9], v[8:9], v[14:15], -v[16:17]
	v_fma_f64 v[10:11], v[10:11], v[14:15], v[12:13]
	v_add_f64 v[1:2], v[1:2], v[8:9]
	v_add_f64 v[3:4], v[3:4], v[10:11]
	s_andn2_b32 exec_lo, exec_lo, s5
	s_cbranch_execnz .LBB38_264
; %bb.265:
	s_or_b32 exec_lo, exec_lo, s5
.LBB38_266:
	s_or_b32 exec_lo, exec_lo, s47
	v_mov_b32_e32 v7, 0
	ds_read_b128 v[7:10], v7 offset:80
	s_waitcnt lgkmcnt(0)
	v_mul_f64 v[11:12], v[3:4], v[9:10]
	v_mul_f64 v[9:10], v[1:2], v[9:10]
	v_fma_f64 v[1:2], v[1:2], v[7:8], -v[11:12]
	v_fma_f64 v[3:4], v[3:4], v[7:8], v[9:10]
	buffer_store_dword v2, off, s[0:3], 0 offset:84
	buffer_store_dword v1, off, s[0:3], 0 offset:80
	;; [unrolled: 1-line block ×4, first 2 shown]
.LBB38_267:
	s_or_b32 exec_lo, exec_lo, s8
	v_mov_b32_e32 v4, s42
	v_cmp_lt_u32_e64 s5, 4, v0
	s_clause 0x3
	buffer_load_dword v1, v4, s[0:3], 0 offen
	buffer_load_dword v2, v4, s[0:3], 0 offen offset:4
	buffer_load_dword v3, v4, s[0:3], 0 offen offset:8
	;; [unrolled: 1-line block ×3, first 2 shown]
	s_waitcnt vmcnt(0)
	ds_write_b128 v6, v[1:4]
	s_waitcnt lgkmcnt(0)
	s_waitcnt_vscnt null, 0x0
	s_barrier
	buffer_gl0_inv
	s_and_saveexec_b32 s8, s5
	s_cbranch_execz .LBB38_275
; %bb.268:
	ds_read_b128 v[1:4], v6
	s_andn2_b32 vcc_lo, exec_lo, s46
	s_cbranch_vccnz .LBB38_270
; %bb.269:
	s_clause 0x3
	buffer_load_dword v7, v5, s[0:3], 0 offen offset:8
	buffer_load_dword v8, v5, s[0:3], 0 offen offset:12
	buffer_load_dword v9, v5, s[0:3], 0 offen
	buffer_load_dword v10, v5, s[0:3], 0 offen offset:4
	s_waitcnt vmcnt(2) lgkmcnt(0)
	v_mul_f64 v[11:12], v[3:4], v[7:8]
	v_mul_f64 v[7:8], v[1:2], v[7:8]
	s_waitcnt vmcnt(0)
	v_fma_f64 v[1:2], v[1:2], v[9:10], -v[11:12]
	v_fma_f64 v[3:4], v[3:4], v[9:10], v[7:8]
.LBB38_270:
	s_and_saveexec_b32 s47, s4
	s_cbranch_execz .LBB38_274
; %bb.271:
	v_add_nc_u32_e32 v7, -5, v0
	s_movk_i32 s48, 0x2c0
	s_mov_b32 s4, 0
	s_mov_b32 s49, s41
	.p2align	6
.LBB38_272:                             ; =>This Inner Loop Header: Depth=1
	v_mov_b32_e32 v8, s49
	v_add_nc_u32_e32 v7, -1, v7
	s_add_i32 s49, s49, 16
	s_clause 0x3
	buffer_load_dword v12, v8, s[0:3], 0 offen offset:8
	buffer_load_dword v13, v8, s[0:3], 0 offen offset:12
	buffer_load_dword v14, v8, s[0:3], 0 offen
	buffer_load_dword v15, v8, s[0:3], 0 offen offset:4
	v_mov_b32_e32 v8, s48
	v_cmp_eq_u32_e32 vcc_lo, 0, v7
	s_add_i32 s48, s48, 16
	ds_read_b128 v[8:11], v8
	s_or_b32 s4, vcc_lo, s4
	s_waitcnt vmcnt(2) lgkmcnt(0)
	v_mul_f64 v[16:17], v[10:11], v[12:13]
	v_mul_f64 v[12:13], v[8:9], v[12:13]
	s_waitcnt vmcnt(0)
	v_fma_f64 v[8:9], v[8:9], v[14:15], -v[16:17]
	v_fma_f64 v[10:11], v[10:11], v[14:15], v[12:13]
	v_add_f64 v[1:2], v[1:2], v[8:9]
	v_add_f64 v[3:4], v[3:4], v[10:11]
	s_andn2_b32 exec_lo, exec_lo, s4
	s_cbranch_execnz .LBB38_272
; %bb.273:
	s_or_b32 exec_lo, exec_lo, s4
.LBB38_274:
	s_or_b32 exec_lo, exec_lo, s47
	v_mov_b32_e32 v7, 0
	ds_read_b128 v[7:10], v7 offset:64
	s_waitcnt lgkmcnt(0)
	v_mul_f64 v[11:12], v[3:4], v[9:10]
	v_mul_f64 v[9:10], v[1:2], v[9:10]
	v_fma_f64 v[1:2], v[1:2], v[7:8], -v[11:12]
	v_fma_f64 v[3:4], v[3:4], v[7:8], v[9:10]
	buffer_store_dword v2, off, s[0:3], 0 offset:68
	buffer_store_dword v1, off, s[0:3], 0 offset:64
	;; [unrolled: 1-line block ×4, first 2 shown]
.LBB38_275:
	s_or_b32 exec_lo, exec_lo, s8
	v_mov_b32_e32 v4, s43
	v_cmp_lt_u32_e64 s4, 3, v0
	s_clause 0x3
	buffer_load_dword v1, v4, s[0:3], 0 offen
	buffer_load_dword v2, v4, s[0:3], 0 offen offset:4
	buffer_load_dword v3, v4, s[0:3], 0 offen offset:8
	;; [unrolled: 1-line block ×3, first 2 shown]
	s_waitcnt vmcnt(0)
	ds_write_b128 v6, v[1:4]
	s_waitcnt lgkmcnt(0)
	s_waitcnt_vscnt null, 0x0
	s_barrier
	buffer_gl0_inv
	s_and_saveexec_b32 s8, s4
	s_cbranch_execz .LBB38_283
; %bb.276:
	ds_read_b128 v[1:4], v6
	s_andn2_b32 vcc_lo, exec_lo, s46
	s_cbranch_vccnz .LBB38_278
; %bb.277:
	s_clause 0x3
	buffer_load_dword v7, v5, s[0:3], 0 offen offset:8
	buffer_load_dword v8, v5, s[0:3], 0 offen offset:12
	buffer_load_dword v9, v5, s[0:3], 0 offen
	buffer_load_dword v10, v5, s[0:3], 0 offen offset:4
	s_waitcnt vmcnt(2) lgkmcnt(0)
	v_mul_f64 v[11:12], v[3:4], v[7:8]
	v_mul_f64 v[7:8], v[1:2], v[7:8]
	s_waitcnt vmcnt(0)
	v_fma_f64 v[1:2], v[1:2], v[9:10], -v[11:12]
	v_fma_f64 v[3:4], v[3:4], v[9:10], v[7:8]
.LBB38_278:
	s_and_saveexec_b32 s47, s5
	s_cbranch_execz .LBB38_282
; %bb.279:
	v_add_nc_u32_e32 v7, -4, v0
	s_movk_i32 s48, 0x2b0
	s_mov_b32 s5, 0
	s_mov_b32 s49, s42
	.p2align	6
.LBB38_280:                             ; =>This Inner Loop Header: Depth=1
	v_mov_b32_e32 v8, s49
	v_add_nc_u32_e32 v7, -1, v7
	s_add_i32 s49, s49, 16
	s_clause 0x3
	buffer_load_dword v12, v8, s[0:3], 0 offen offset:8
	buffer_load_dword v13, v8, s[0:3], 0 offen offset:12
	buffer_load_dword v14, v8, s[0:3], 0 offen
	buffer_load_dword v15, v8, s[0:3], 0 offen offset:4
	v_mov_b32_e32 v8, s48
	v_cmp_eq_u32_e32 vcc_lo, 0, v7
	s_add_i32 s48, s48, 16
	ds_read_b128 v[8:11], v8
	s_or_b32 s5, vcc_lo, s5
	s_waitcnt vmcnt(2) lgkmcnt(0)
	v_mul_f64 v[16:17], v[10:11], v[12:13]
	v_mul_f64 v[12:13], v[8:9], v[12:13]
	s_waitcnt vmcnt(0)
	v_fma_f64 v[8:9], v[8:9], v[14:15], -v[16:17]
	v_fma_f64 v[10:11], v[10:11], v[14:15], v[12:13]
	v_add_f64 v[1:2], v[1:2], v[8:9]
	v_add_f64 v[3:4], v[3:4], v[10:11]
	s_andn2_b32 exec_lo, exec_lo, s5
	s_cbranch_execnz .LBB38_280
; %bb.281:
	s_or_b32 exec_lo, exec_lo, s5
.LBB38_282:
	s_or_b32 exec_lo, exec_lo, s47
	v_mov_b32_e32 v7, 0
	ds_read_b128 v[7:10], v7 offset:48
	s_waitcnt lgkmcnt(0)
	v_mul_f64 v[11:12], v[3:4], v[9:10]
	v_mul_f64 v[9:10], v[1:2], v[9:10]
	v_fma_f64 v[1:2], v[1:2], v[7:8], -v[11:12]
	v_fma_f64 v[3:4], v[3:4], v[7:8], v[9:10]
	buffer_store_dword v2, off, s[0:3], 0 offset:52
	buffer_store_dword v1, off, s[0:3], 0 offset:48
	;; [unrolled: 1-line block ×4, first 2 shown]
.LBB38_283:
	s_or_b32 exec_lo, exec_lo, s8
	v_mov_b32_e32 v4, s44
	v_cmp_lt_u32_e64 s5, 2, v0
	s_clause 0x3
	buffer_load_dword v1, v4, s[0:3], 0 offen
	buffer_load_dword v2, v4, s[0:3], 0 offen offset:4
	buffer_load_dword v3, v4, s[0:3], 0 offen offset:8
	;; [unrolled: 1-line block ×3, first 2 shown]
	s_waitcnt vmcnt(0)
	ds_write_b128 v6, v[1:4]
	s_waitcnt lgkmcnt(0)
	s_waitcnt_vscnt null, 0x0
	s_barrier
	buffer_gl0_inv
	s_and_saveexec_b32 s8, s5
	s_cbranch_execz .LBB38_291
; %bb.284:
	ds_read_b128 v[1:4], v6
	s_andn2_b32 vcc_lo, exec_lo, s46
	s_cbranch_vccnz .LBB38_286
; %bb.285:
	s_clause 0x3
	buffer_load_dword v7, v5, s[0:3], 0 offen offset:8
	buffer_load_dword v8, v5, s[0:3], 0 offen offset:12
	buffer_load_dword v9, v5, s[0:3], 0 offen
	buffer_load_dword v10, v5, s[0:3], 0 offen offset:4
	s_waitcnt vmcnt(2) lgkmcnt(0)
	v_mul_f64 v[11:12], v[3:4], v[7:8]
	v_mul_f64 v[7:8], v[1:2], v[7:8]
	s_waitcnt vmcnt(0)
	v_fma_f64 v[1:2], v[1:2], v[9:10], -v[11:12]
	v_fma_f64 v[3:4], v[3:4], v[9:10], v[7:8]
.LBB38_286:
	s_and_saveexec_b32 s47, s4
	s_cbranch_execz .LBB38_290
; %bb.287:
	v_add_nc_u32_e32 v7, -3, v0
	s_movk_i32 s48, 0x2a0
	s_mov_b32 s4, 0
	s_mov_b32 s49, s43
	.p2align	6
.LBB38_288:                             ; =>This Inner Loop Header: Depth=1
	v_mov_b32_e32 v8, s49
	v_add_nc_u32_e32 v7, -1, v7
	s_add_i32 s49, s49, 16
	s_clause 0x3
	buffer_load_dword v12, v8, s[0:3], 0 offen offset:8
	buffer_load_dword v13, v8, s[0:3], 0 offen offset:12
	buffer_load_dword v14, v8, s[0:3], 0 offen
	buffer_load_dword v15, v8, s[0:3], 0 offen offset:4
	v_mov_b32_e32 v8, s48
	v_cmp_eq_u32_e32 vcc_lo, 0, v7
	s_add_i32 s48, s48, 16
	ds_read_b128 v[8:11], v8
	s_or_b32 s4, vcc_lo, s4
	s_waitcnt vmcnt(2) lgkmcnt(0)
	v_mul_f64 v[16:17], v[10:11], v[12:13]
	v_mul_f64 v[12:13], v[8:9], v[12:13]
	s_waitcnt vmcnt(0)
	v_fma_f64 v[8:9], v[8:9], v[14:15], -v[16:17]
	v_fma_f64 v[10:11], v[10:11], v[14:15], v[12:13]
	v_add_f64 v[1:2], v[1:2], v[8:9]
	v_add_f64 v[3:4], v[3:4], v[10:11]
	s_andn2_b32 exec_lo, exec_lo, s4
	s_cbranch_execnz .LBB38_288
; %bb.289:
	s_or_b32 exec_lo, exec_lo, s4
.LBB38_290:
	s_or_b32 exec_lo, exec_lo, s47
	v_mov_b32_e32 v7, 0
	ds_read_b128 v[7:10], v7 offset:32
	s_waitcnt lgkmcnt(0)
	v_mul_f64 v[11:12], v[3:4], v[9:10]
	v_mul_f64 v[9:10], v[1:2], v[9:10]
	v_fma_f64 v[1:2], v[1:2], v[7:8], -v[11:12]
	v_fma_f64 v[3:4], v[3:4], v[7:8], v[9:10]
	buffer_store_dword v2, off, s[0:3], 0 offset:36
	buffer_store_dword v1, off, s[0:3], 0 offset:32
	;; [unrolled: 1-line block ×4, first 2 shown]
.LBB38_291:
	s_or_b32 exec_lo, exec_lo, s8
	v_mov_b32_e32 v4, s45
	v_cmp_lt_u32_e64 s4, 1, v0
	s_clause 0x3
	buffer_load_dword v1, v4, s[0:3], 0 offen
	buffer_load_dword v2, v4, s[0:3], 0 offen offset:4
	buffer_load_dword v3, v4, s[0:3], 0 offen offset:8
	;; [unrolled: 1-line block ×3, first 2 shown]
	s_waitcnt vmcnt(0)
	ds_write_b128 v6, v[1:4]
	s_waitcnt lgkmcnt(0)
	s_waitcnt_vscnt null, 0x0
	s_barrier
	buffer_gl0_inv
	s_and_saveexec_b32 s8, s4
	s_cbranch_execz .LBB38_299
; %bb.292:
	ds_read_b128 v[1:4], v6
	s_andn2_b32 vcc_lo, exec_lo, s46
	s_cbranch_vccnz .LBB38_294
; %bb.293:
	s_clause 0x3
	buffer_load_dword v7, v5, s[0:3], 0 offen offset:8
	buffer_load_dword v8, v5, s[0:3], 0 offen offset:12
	buffer_load_dword v9, v5, s[0:3], 0 offen
	buffer_load_dword v10, v5, s[0:3], 0 offen offset:4
	s_waitcnt vmcnt(2) lgkmcnt(0)
	v_mul_f64 v[11:12], v[3:4], v[7:8]
	v_mul_f64 v[7:8], v[1:2], v[7:8]
	s_waitcnt vmcnt(0)
	v_fma_f64 v[1:2], v[1:2], v[9:10], -v[11:12]
	v_fma_f64 v[3:4], v[3:4], v[9:10], v[7:8]
.LBB38_294:
	s_and_saveexec_b32 s47, s5
	s_cbranch_execz .LBB38_298
; %bb.295:
	v_add_nc_u32_e32 v7, -2, v0
	s_movk_i32 s48, 0x290
	s_mov_b32 s5, 0
	s_mov_b32 s49, s44
	.p2align	6
.LBB38_296:                             ; =>This Inner Loop Header: Depth=1
	v_mov_b32_e32 v8, s49
	v_add_nc_u32_e32 v7, -1, v7
	s_add_i32 s49, s49, 16
	s_clause 0x3
	buffer_load_dword v12, v8, s[0:3], 0 offen offset:8
	buffer_load_dword v13, v8, s[0:3], 0 offen offset:12
	buffer_load_dword v14, v8, s[0:3], 0 offen
	buffer_load_dword v15, v8, s[0:3], 0 offen offset:4
	v_mov_b32_e32 v8, s48
	v_cmp_eq_u32_e32 vcc_lo, 0, v7
	s_add_i32 s48, s48, 16
	ds_read_b128 v[8:11], v8
	s_or_b32 s5, vcc_lo, s5
	s_waitcnt vmcnt(2) lgkmcnt(0)
	v_mul_f64 v[16:17], v[10:11], v[12:13]
	v_mul_f64 v[12:13], v[8:9], v[12:13]
	s_waitcnt vmcnt(0)
	v_fma_f64 v[8:9], v[8:9], v[14:15], -v[16:17]
	v_fma_f64 v[10:11], v[10:11], v[14:15], v[12:13]
	v_add_f64 v[1:2], v[1:2], v[8:9]
	v_add_f64 v[3:4], v[3:4], v[10:11]
	s_andn2_b32 exec_lo, exec_lo, s5
	s_cbranch_execnz .LBB38_296
; %bb.297:
	s_or_b32 exec_lo, exec_lo, s5
.LBB38_298:
	s_or_b32 exec_lo, exec_lo, s47
	v_mov_b32_e32 v7, 0
	ds_read_b128 v[7:10], v7 offset:16
	s_waitcnt lgkmcnt(0)
	v_mul_f64 v[11:12], v[3:4], v[9:10]
	v_mul_f64 v[9:10], v[1:2], v[9:10]
	v_fma_f64 v[1:2], v[1:2], v[7:8], -v[11:12]
	v_fma_f64 v[3:4], v[3:4], v[7:8], v[9:10]
	buffer_store_dword v2, off, s[0:3], 0 offset:20
	buffer_store_dword v1, off, s[0:3], 0 offset:16
	;; [unrolled: 1-line block ×4, first 2 shown]
.LBB38_299:
	s_or_b32 exec_lo, exec_lo, s8
	s_clause 0x3
	buffer_load_dword v1, off, s[0:3], 0
	buffer_load_dword v2, off, s[0:3], 0 offset:4
	buffer_load_dword v3, off, s[0:3], 0 offset:8
	;; [unrolled: 1-line block ×3, first 2 shown]
	s_mov_b32 s8, 0
	s_mov_b32 s5, 0
	s_mov_b32 s47, exec_lo
                                        ; implicit-def: $sgpr48
	s_waitcnt vmcnt(0)
	ds_write_b128 v6, v[1:4]
	s_waitcnt lgkmcnt(0)
	s_waitcnt_vscnt null, 0x0
	s_barrier
	buffer_gl0_inv
                                        ; implicit-def: $vgpr1_vgpr2
	v_cmpx_ne_u32_e32 0, v0
	s_cbranch_execz .LBB38_307
; %bb.300:
	ds_read_b128 v[1:4], v6
	s_andn2_b32 vcc_lo, exec_lo, s46
	s_cbranch_vccnz .LBB38_302
; %bb.301:
	s_clause 0x3
	buffer_load_dword v7, v5, s[0:3], 0 offen offset:8
	buffer_load_dword v8, v5, s[0:3], 0 offen offset:12
	buffer_load_dword v9, v5, s[0:3], 0 offen
	buffer_load_dword v10, v5, s[0:3], 0 offen offset:4
	s_waitcnt vmcnt(2) lgkmcnt(0)
	v_mul_f64 v[11:12], v[3:4], v[7:8]
	v_mul_f64 v[7:8], v[1:2], v[7:8]
	s_waitcnt vmcnt(0)
	v_fma_f64 v[1:2], v[1:2], v[9:10], -v[11:12]
	v_fma_f64 v[3:4], v[3:4], v[9:10], v[7:8]
.LBB38_302:
	s_and_saveexec_b32 s5, s4
	s_cbranch_execz .LBB38_306
; %bb.303:
	v_add_nc_u32_e32 v7, -1, v0
	s_movk_i32 s48, 0x280
	s_mov_b32 s4, 0
	s_mov_b32 s49, s45
	.p2align	6
.LBB38_304:                             ; =>This Inner Loop Header: Depth=1
	v_mov_b32_e32 v8, s49
	v_add_nc_u32_e32 v7, -1, v7
	s_add_i32 s49, s49, 16
	s_clause 0x3
	buffer_load_dword v12, v8, s[0:3], 0 offen offset:8
	buffer_load_dword v13, v8, s[0:3], 0 offen offset:12
	buffer_load_dword v14, v8, s[0:3], 0 offen
	buffer_load_dword v15, v8, s[0:3], 0 offen offset:4
	v_mov_b32_e32 v8, s48
	v_cmp_eq_u32_e32 vcc_lo, 0, v7
	s_add_i32 s48, s48, 16
	ds_read_b128 v[8:11], v8
	s_or_b32 s4, vcc_lo, s4
	s_waitcnt vmcnt(2) lgkmcnt(0)
	v_mul_f64 v[16:17], v[10:11], v[12:13]
	v_mul_f64 v[12:13], v[8:9], v[12:13]
	s_waitcnt vmcnt(0)
	v_fma_f64 v[8:9], v[8:9], v[14:15], -v[16:17]
	v_fma_f64 v[10:11], v[10:11], v[14:15], v[12:13]
	v_add_f64 v[1:2], v[1:2], v[8:9]
	v_add_f64 v[3:4], v[3:4], v[10:11]
	s_andn2_b32 exec_lo, exec_lo, s4
	s_cbranch_execnz .LBB38_304
; %bb.305:
	s_or_b32 exec_lo, exec_lo, s4
.LBB38_306:
	s_or_b32 exec_lo, exec_lo, s5
	v_mov_b32_e32 v7, 0
	s_mov_b32 s5, exec_lo
	s_or_b32 s48, 0, 8
	ds_read_b128 v[7:10], v7
	s_waitcnt lgkmcnt(0)
	v_mul_f64 v[11:12], v[3:4], v[9:10]
	v_mul_f64 v[9:10], v[1:2], v[9:10]
	v_fma_f64 v[11:12], v[1:2], v[7:8], -v[11:12]
	v_fma_f64 v[1:2], v[3:4], v[7:8], v[9:10]
	buffer_store_dword v12, off, s[0:3], 0 offset:4
	buffer_store_dword v11, off, s[0:3], 0
.LBB38_307:
	s_or_b32 exec_lo, exec_lo, s47
	s_and_b32 vcc_lo, exec_lo, s8
	s_cbranch_vccnz .LBB38_309
	s_branch .LBB38_608
.LBB38_308:
	s_mov_b32 s5, 0
                                        ; implicit-def: $vgpr1_vgpr2
                                        ; implicit-def: $sgpr48
	s_cbranch_execz .LBB38_608
.LBB38_309:
	v_mov_b32_e32 v4, s45
	v_cmp_eq_u32_e64 s4, 0, v0
	v_cndmask_b32_e64 v7, 0, 1, s46
	s_clause 0x3
	buffer_load_dword v1, v4, s[0:3], 0 offen
	buffer_load_dword v2, v4, s[0:3], 0 offen offset:4
	buffer_load_dword v3, v4, s[0:3], 0 offen offset:8
	;; [unrolled: 1-line block ×3, first 2 shown]
	s_waitcnt vmcnt(0)
	ds_write_b128 v6, v[1:4]
	s_waitcnt lgkmcnt(0)
	s_waitcnt_vscnt null, 0x0
	s_barrier
	buffer_gl0_inv
	s_and_saveexec_b32 s8, s4
	s_cbranch_execz .LBB38_313
; %bb.310:
	ds_read_b128 v[1:4], v6
	s_andn2_b32 vcc_lo, exec_lo, s46
	s_cbranch_vccnz .LBB38_312
; %bb.311:
	s_clause 0x3
	buffer_load_dword v8, v5, s[0:3], 0 offen offset:8
	buffer_load_dword v9, v5, s[0:3], 0 offen offset:12
	buffer_load_dword v10, v5, s[0:3], 0 offen
	buffer_load_dword v11, v5, s[0:3], 0 offen offset:4
	s_waitcnt vmcnt(2) lgkmcnt(0)
	v_mul_f64 v[12:13], v[3:4], v[8:9]
	v_mul_f64 v[8:9], v[1:2], v[8:9]
	s_waitcnt vmcnt(0)
	v_fma_f64 v[1:2], v[1:2], v[10:11], -v[12:13]
	v_fma_f64 v[3:4], v[3:4], v[10:11], v[8:9]
.LBB38_312:
	v_mov_b32_e32 v8, 0
	ds_read_b128 v[8:11], v8 offset:16
	s_waitcnt lgkmcnt(0)
	v_mul_f64 v[12:13], v[3:4], v[10:11]
	v_mul_f64 v[10:11], v[1:2], v[10:11]
	v_fma_f64 v[1:2], v[1:2], v[8:9], -v[12:13]
	v_fma_f64 v[3:4], v[3:4], v[8:9], v[10:11]
	buffer_store_dword v2, off, s[0:3], 0 offset:20
	buffer_store_dword v1, off, s[0:3], 0 offset:16
	buffer_store_dword v4, off, s[0:3], 0 offset:28
	buffer_store_dword v3, off, s[0:3], 0 offset:24
.LBB38_313:
	s_or_b32 exec_lo, exec_lo, s8
	v_mov_b32_e32 v4, s44
	s_mov_b32 s8, exec_lo
	s_clause 0x3
	buffer_load_dword v1, v4, s[0:3], 0 offen
	buffer_load_dword v2, v4, s[0:3], 0 offen offset:4
	buffer_load_dword v3, v4, s[0:3], 0 offen offset:8
	;; [unrolled: 1-line block ×3, first 2 shown]
	s_waitcnt vmcnt(0)
	ds_write_b128 v6, v[1:4]
	s_waitcnt lgkmcnt(0)
	s_waitcnt_vscnt null, 0x0
	s_barrier
	buffer_gl0_inv
	v_cmpx_gt_u32_e32 2, v0
	s_cbranch_execz .LBB38_319
; %bb.314:
	ds_read_b128 v[1:4], v6
	v_cmp_ne_u32_e32 vcc_lo, 1, v7
	s_cbranch_vccnz .LBB38_316
; %bb.315:
	s_clause 0x3
	buffer_load_dword v8, v5, s[0:3], 0 offen offset:8
	buffer_load_dword v9, v5, s[0:3], 0 offen offset:12
	buffer_load_dword v10, v5, s[0:3], 0 offen
	buffer_load_dword v11, v5, s[0:3], 0 offen offset:4
	s_waitcnt vmcnt(2) lgkmcnt(0)
	v_mul_f64 v[12:13], v[3:4], v[8:9]
	v_mul_f64 v[8:9], v[1:2], v[8:9]
	s_waitcnt vmcnt(0)
	v_fma_f64 v[1:2], v[1:2], v[10:11], -v[12:13]
	v_fma_f64 v[3:4], v[3:4], v[10:11], v[8:9]
.LBB38_316:
	s_and_saveexec_b32 s46, s4
	s_cbranch_execz .LBB38_318
; %bb.317:
	s_clause 0x3
	buffer_load_dword v12, off, s[0:3], 0 offset:24
	buffer_load_dword v13, off, s[0:3], 0 offset:28
	;; [unrolled: 1-line block ×4, first 2 shown]
	v_mov_b32_e32 v8, 0
	ds_read_b128 v[8:11], v8 offset:640
	s_waitcnt vmcnt(2) lgkmcnt(0)
	v_mul_f64 v[16:17], v[10:11], v[12:13]
	v_mul_f64 v[12:13], v[8:9], v[12:13]
	s_waitcnt vmcnt(0)
	v_fma_f64 v[8:9], v[8:9], v[14:15], -v[16:17]
	v_fma_f64 v[10:11], v[10:11], v[14:15], v[12:13]
	v_add_f64 v[1:2], v[1:2], v[8:9]
	v_add_f64 v[3:4], v[3:4], v[10:11]
.LBB38_318:
	s_or_b32 exec_lo, exec_lo, s46
	v_mov_b32_e32 v8, 0
	ds_read_b128 v[8:11], v8 offset:32
	s_waitcnt lgkmcnt(0)
	v_mul_f64 v[12:13], v[3:4], v[10:11]
	v_mul_f64 v[10:11], v[1:2], v[10:11]
	v_fma_f64 v[1:2], v[1:2], v[8:9], -v[12:13]
	v_fma_f64 v[3:4], v[3:4], v[8:9], v[10:11]
	buffer_store_dword v2, off, s[0:3], 0 offset:36
	buffer_store_dword v1, off, s[0:3], 0 offset:32
	;; [unrolled: 1-line block ×4, first 2 shown]
.LBB38_319:
	s_or_b32 exec_lo, exec_lo, s8
	v_mov_b32_e32 v4, s43
	s_mov_b32 s8, exec_lo
	s_clause 0x3
	buffer_load_dword v1, v4, s[0:3], 0 offen
	buffer_load_dword v2, v4, s[0:3], 0 offen offset:4
	buffer_load_dword v3, v4, s[0:3], 0 offen offset:8
	;; [unrolled: 1-line block ×3, first 2 shown]
	s_waitcnt vmcnt(0)
	ds_write_b128 v6, v[1:4]
	s_waitcnt lgkmcnt(0)
	s_waitcnt_vscnt null, 0x0
	s_barrier
	buffer_gl0_inv
	v_cmpx_gt_u32_e32 3, v0
	s_cbranch_execz .LBB38_327
; %bb.320:
	ds_read_b128 v[1:4], v6
	v_cmp_ne_u32_e32 vcc_lo, 1, v7
	s_cbranch_vccnz .LBB38_322
; %bb.321:
	s_clause 0x3
	buffer_load_dword v8, v5, s[0:3], 0 offen offset:8
	buffer_load_dword v9, v5, s[0:3], 0 offen offset:12
	buffer_load_dword v10, v5, s[0:3], 0 offen
	buffer_load_dword v11, v5, s[0:3], 0 offen offset:4
	s_waitcnt vmcnt(2) lgkmcnt(0)
	v_mul_f64 v[12:13], v[3:4], v[8:9]
	v_mul_f64 v[8:9], v[1:2], v[8:9]
	s_waitcnt vmcnt(0)
	v_fma_f64 v[1:2], v[1:2], v[10:11], -v[12:13]
	v_fma_f64 v[3:4], v[3:4], v[10:11], v[8:9]
.LBB38_322:
	s_mov_b32 s46, exec_lo
	v_cmpx_ne_u32_e32 2, v0
	s_cbranch_execz .LBB38_326
; %bb.323:
	s_clause 0x3
	buffer_load_dword v12, v5, s[0:3], 0 offen offset:24
	buffer_load_dword v13, v5, s[0:3], 0 offen offset:28
	;; [unrolled: 1-line block ×4, first 2 shown]
	ds_read_b128 v[8:11], v6 offset:16
	s_waitcnt vmcnt(2) lgkmcnt(0)
	v_mul_f64 v[16:17], v[10:11], v[12:13]
	v_mul_f64 v[12:13], v[8:9], v[12:13]
	s_waitcnt vmcnt(0)
	v_fma_f64 v[8:9], v[8:9], v[14:15], -v[16:17]
	v_fma_f64 v[10:11], v[10:11], v[14:15], v[12:13]
	v_add_f64 v[1:2], v[1:2], v[8:9]
	v_add_f64 v[3:4], v[3:4], v[10:11]
	s_and_saveexec_b32 s47, s4
	s_cbranch_execz .LBB38_325
; %bb.324:
	s_clause 0x3
	buffer_load_dword v12, off, s[0:3], 0 offset:40
	buffer_load_dword v13, off, s[0:3], 0 offset:44
	;; [unrolled: 1-line block ×4, first 2 shown]
	v_mov_b32_e32 v8, 0
	ds_read_b128 v[8:11], v8 offset:656
	s_waitcnt vmcnt(2) lgkmcnt(0)
	v_mul_f64 v[16:17], v[8:9], v[12:13]
	v_mul_f64 v[12:13], v[10:11], v[12:13]
	s_waitcnt vmcnt(0)
	v_fma_f64 v[10:11], v[10:11], v[14:15], v[16:17]
	v_fma_f64 v[8:9], v[8:9], v[14:15], -v[12:13]
	v_add_f64 v[3:4], v[3:4], v[10:11]
	v_add_f64 v[1:2], v[1:2], v[8:9]
.LBB38_325:
	s_or_b32 exec_lo, exec_lo, s47
.LBB38_326:
	s_or_b32 exec_lo, exec_lo, s46
	v_mov_b32_e32 v8, 0
	ds_read_b128 v[8:11], v8 offset:48
	s_waitcnt lgkmcnt(0)
	v_mul_f64 v[12:13], v[3:4], v[10:11]
	v_mul_f64 v[10:11], v[1:2], v[10:11]
	v_fma_f64 v[1:2], v[1:2], v[8:9], -v[12:13]
	v_fma_f64 v[3:4], v[3:4], v[8:9], v[10:11]
	buffer_store_dword v2, off, s[0:3], 0 offset:52
	buffer_store_dword v1, off, s[0:3], 0 offset:48
	;; [unrolled: 1-line block ×4, first 2 shown]
.LBB38_327:
	s_or_b32 exec_lo, exec_lo, s8
	v_mov_b32_e32 v4, s42
	s_mov_b32 s4, exec_lo
	s_clause 0x3
	buffer_load_dword v1, v4, s[0:3], 0 offen
	buffer_load_dword v2, v4, s[0:3], 0 offen offset:4
	buffer_load_dword v3, v4, s[0:3], 0 offen offset:8
	;; [unrolled: 1-line block ×3, first 2 shown]
	s_waitcnt vmcnt(0)
	ds_write_b128 v6, v[1:4]
	s_waitcnt lgkmcnt(0)
	s_waitcnt_vscnt null, 0x0
	s_barrier
	buffer_gl0_inv
	v_cmpx_gt_u32_e32 4, v0
	s_cbranch_execz .LBB38_335
; %bb.328:
	ds_read_b128 v[1:4], v6
	v_cmp_ne_u32_e32 vcc_lo, 1, v7
	s_cbranch_vccnz .LBB38_330
; %bb.329:
	s_clause 0x3
	buffer_load_dword v8, v5, s[0:3], 0 offen offset:8
	buffer_load_dword v9, v5, s[0:3], 0 offen offset:12
	buffer_load_dword v10, v5, s[0:3], 0 offen
	buffer_load_dword v11, v5, s[0:3], 0 offen offset:4
	s_waitcnt vmcnt(2) lgkmcnt(0)
	v_mul_f64 v[12:13], v[3:4], v[8:9]
	v_mul_f64 v[8:9], v[1:2], v[8:9]
	s_waitcnt vmcnt(0)
	v_fma_f64 v[1:2], v[1:2], v[10:11], -v[12:13]
	v_fma_f64 v[3:4], v[3:4], v[10:11], v[8:9]
.LBB38_330:
	s_mov_b32 s8, exec_lo
	v_cmpx_ne_u32_e32 3, v0
	s_cbranch_execz .LBB38_334
; %bb.331:
	v_add_nc_u32_e32 v8, 0x280, v103
	v_add3_u32 v9, 0, v103, 16
	v_mov_b32_e32 v10, v0
	s_mov_b32 s46, 0
	.p2align	6
.LBB38_332:                             ; =>This Inner Loop Header: Depth=1
	s_clause 0x3
	buffer_load_dword v15, v9, s[0:3], 0 offen offset:8
	buffer_load_dword v16, v9, s[0:3], 0 offen offset:12
	buffer_load_dword v17, v9, s[0:3], 0 offen
	buffer_load_dword v18, v9, s[0:3], 0 offen offset:4
	ds_read_b128 v[11:14], v8
	v_add_nc_u32_e32 v10, 1, v10
	v_add_nc_u32_e32 v8, 16, v8
	;; [unrolled: 1-line block ×3, first 2 shown]
	v_cmp_lt_u32_e32 vcc_lo, 2, v10
	s_or_b32 s46, vcc_lo, s46
	s_waitcnt vmcnt(2) lgkmcnt(0)
	v_mul_f64 v[19:20], v[13:14], v[15:16]
	v_mul_f64 v[15:16], v[11:12], v[15:16]
	s_waitcnt vmcnt(0)
	v_fma_f64 v[11:12], v[11:12], v[17:18], -v[19:20]
	v_fma_f64 v[13:14], v[13:14], v[17:18], v[15:16]
	v_add_f64 v[1:2], v[1:2], v[11:12]
	v_add_f64 v[3:4], v[3:4], v[13:14]
	s_andn2_b32 exec_lo, exec_lo, s46
	s_cbranch_execnz .LBB38_332
; %bb.333:
	s_or_b32 exec_lo, exec_lo, s46
.LBB38_334:
	s_or_b32 exec_lo, exec_lo, s8
	v_mov_b32_e32 v8, 0
	ds_read_b128 v[8:11], v8 offset:64
	s_waitcnt lgkmcnt(0)
	v_mul_f64 v[12:13], v[3:4], v[10:11]
	v_mul_f64 v[10:11], v[1:2], v[10:11]
	v_fma_f64 v[1:2], v[1:2], v[8:9], -v[12:13]
	v_fma_f64 v[3:4], v[3:4], v[8:9], v[10:11]
	buffer_store_dword v2, off, s[0:3], 0 offset:68
	buffer_store_dword v1, off, s[0:3], 0 offset:64
	;; [unrolled: 1-line block ×4, first 2 shown]
.LBB38_335:
	s_or_b32 exec_lo, exec_lo, s4
	v_mov_b32_e32 v4, s41
	s_mov_b32 s4, exec_lo
	s_clause 0x3
	buffer_load_dword v1, v4, s[0:3], 0 offen
	buffer_load_dword v2, v4, s[0:3], 0 offen offset:4
	buffer_load_dword v3, v4, s[0:3], 0 offen offset:8
	;; [unrolled: 1-line block ×3, first 2 shown]
	s_waitcnt vmcnt(0)
	ds_write_b128 v6, v[1:4]
	s_waitcnt lgkmcnt(0)
	s_waitcnt_vscnt null, 0x0
	s_barrier
	buffer_gl0_inv
	v_cmpx_gt_u32_e32 5, v0
	s_cbranch_execz .LBB38_343
; %bb.336:
	ds_read_b128 v[1:4], v6
	v_cmp_ne_u32_e32 vcc_lo, 1, v7
	s_cbranch_vccnz .LBB38_338
; %bb.337:
	s_clause 0x3
	buffer_load_dword v8, v5, s[0:3], 0 offen offset:8
	buffer_load_dword v9, v5, s[0:3], 0 offen offset:12
	buffer_load_dword v10, v5, s[0:3], 0 offen
	buffer_load_dword v11, v5, s[0:3], 0 offen offset:4
	s_waitcnt vmcnt(2) lgkmcnt(0)
	v_mul_f64 v[12:13], v[3:4], v[8:9]
	v_mul_f64 v[8:9], v[1:2], v[8:9]
	s_waitcnt vmcnt(0)
	v_fma_f64 v[1:2], v[1:2], v[10:11], -v[12:13]
	v_fma_f64 v[3:4], v[3:4], v[10:11], v[8:9]
.LBB38_338:
	s_mov_b32 s8, exec_lo
	v_cmpx_ne_u32_e32 4, v0
	s_cbranch_execz .LBB38_342
; %bb.339:
	v_add_nc_u32_e32 v8, 0x280, v103
	v_add3_u32 v9, 0, v103, 16
	v_mov_b32_e32 v10, v0
	s_mov_b32 s46, 0
	.p2align	6
.LBB38_340:                             ; =>This Inner Loop Header: Depth=1
	s_clause 0x3
	buffer_load_dword v15, v9, s[0:3], 0 offen offset:8
	buffer_load_dword v16, v9, s[0:3], 0 offen offset:12
	buffer_load_dword v17, v9, s[0:3], 0 offen
	buffer_load_dword v18, v9, s[0:3], 0 offen offset:4
	ds_read_b128 v[11:14], v8
	v_add_nc_u32_e32 v10, 1, v10
	v_add_nc_u32_e32 v8, 16, v8
	v_add_nc_u32_e32 v9, 16, v9
	v_cmp_lt_u32_e32 vcc_lo, 3, v10
	s_or_b32 s46, vcc_lo, s46
	s_waitcnt vmcnt(2) lgkmcnt(0)
	v_mul_f64 v[19:20], v[13:14], v[15:16]
	v_mul_f64 v[15:16], v[11:12], v[15:16]
	s_waitcnt vmcnt(0)
	v_fma_f64 v[11:12], v[11:12], v[17:18], -v[19:20]
	v_fma_f64 v[13:14], v[13:14], v[17:18], v[15:16]
	v_add_f64 v[1:2], v[1:2], v[11:12]
	v_add_f64 v[3:4], v[3:4], v[13:14]
	s_andn2_b32 exec_lo, exec_lo, s46
	s_cbranch_execnz .LBB38_340
; %bb.341:
	s_or_b32 exec_lo, exec_lo, s46
.LBB38_342:
	s_or_b32 exec_lo, exec_lo, s8
	v_mov_b32_e32 v8, 0
	ds_read_b128 v[8:11], v8 offset:80
	s_waitcnt lgkmcnt(0)
	v_mul_f64 v[12:13], v[3:4], v[10:11]
	v_mul_f64 v[10:11], v[1:2], v[10:11]
	v_fma_f64 v[1:2], v[1:2], v[8:9], -v[12:13]
	v_fma_f64 v[3:4], v[3:4], v[8:9], v[10:11]
	buffer_store_dword v2, off, s[0:3], 0 offset:84
	buffer_store_dword v1, off, s[0:3], 0 offset:80
	buffer_store_dword v4, off, s[0:3], 0 offset:92
	buffer_store_dword v3, off, s[0:3], 0 offset:88
.LBB38_343:
	s_or_b32 exec_lo, exec_lo, s4
	v_mov_b32_e32 v4, s40
	s_mov_b32 s4, exec_lo
	s_clause 0x3
	buffer_load_dword v1, v4, s[0:3], 0 offen
	buffer_load_dword v2, v4, s[0:3], 0 offen offset:4
	buffer_load_dword v3, v4, s[0:3], 0 offen offset:8
	;; [unrolled: 1-line block ×3, first 2 shown]
	s_waitcnt vmcnt(0)
	ds_write_b128 v6, v[1:4]
	s_waitcnt lgkmcnt(0)
	s_waitcnt_vscnt null, 0x0
	s_barrier
	buffer_gl0_inv
	v_cmpx_gt_u32_e32 6, v0
	s_cbranch_execz .LBB38_351
; %bb.344:
	ds_read_b128 v[1:4], v6
	v_cmp_ne_u32_e32 vcc_lo, 1, v7
	s_cbranch_vccnz .LBB38_346
; %bb.345:
	s_clause 0x3
	buffer_load_dword v8, v5, s[0:3], 0 offen offset:8
	buffer_load_dword v9, v5, s[0:3], 0 offen offset:12
	buffer_load_dword v10, v5, s[0:3], 0 offen
	buffer_load_dword v11, v5, s[0:3], 0 offen offset:4
	s_waitcnt vmcnt(2) lgkmcnt(0)
	v_mul_f64 v[12:13], v[3:4], v[8:9]
	v_mul_f64 v[8:9], v[1:2], v[8:9]
	s_waitcnt vmcnt(0)
	v_fma_f64 v[1:2], v[1:2], v[10:11], -v[12:13]
	v_fma_f64 v[3:4], v[3:4], v[10:11], v[8:9]
.LBB38_346:
	s_mov_b32 s8, exec_lo
	v_cmpx_ne_u32_e32 5, v0
	s_cbranch_execz .LBB38_350
; %bb.347:
	v_add_nc_u32_e32 v8, 0x280, v103
	v_add3_u32 v9, 0, v103, 16
	v_mov_b32_e32 v10, v0
	s_mov_b32 s46, 0
	.p2align	6
.LBB38_348:                             ; =>This Inner Loop Header: Depth=1
	s_clause 0x3
	buffer_load_dword v15, v9, s[0:3], 0 offen offset:8
	buffer_load_dword v16, v9, s[0:3], 0 offen offset:12
	buffer_load_dword v17, v9, s[0:3], 0 offen
	buffer_load_dword v18, v9, s[0:3], 0 offen offset:4
	ds_read_b128 v[11:14], v8
	v_add_nc_u32_e32 v10, 1, v10
	v_add_nc_u32_e32 v8, 16, v8
	;; [unrolled: 1-line block ×3, first 2 shown]
	v_cmp_lt_u32_e32 vcc_lo, 4, v10
	s_or_b32 s46, vcc_lo, s46
	s_waitcnt vmcnt(2) lgkmcnt(0)
	v_mul_f64 v[19:20], v[13:14], v[15:16]
	v_mul_f64 v[15:16], v[11:12], v[15:16]
	s_waitcnt vmcnt(0)
	v_fma_f64 v[11:12], v[11:12], v[17:18], -v[19:20]
	v_fma_f64 v[13:14], v[13:14], v[17:18], v[15:16]
	v_add_f64 v[1:2], v[1:2], v[11:12]
	v_add_f64 v[3:4], v[3:4], v[13:14]
	s_andn2_b32 exec_lo, exec_lo, s46
	s_cbranch_execnz .LBB38_348
; %bb.349:
	s_or_b32 exec_lo, exec_lo, s46
.LBB38_350:
	s_or_b32 exec_lo, exec_lo, s8
	v_mov_b32_e32 v8, 0
	ds_read_b128 v[8:11], v8 offset:96
	s_waitcnt lgkmcnt(0)
	v_mul_f64 v[12:13], v[3:4], v[10:11]
	v_mul_f64 v[10:11], v[1:2], v[10:11]
	v_fma_f64 v[1:2], v[1:2], v[8:9], -v[12:13]
	v_fma_f64 v[3:4], v[3:4], v[8:9], v[10:11]
	buffer_store_dword v2, off, s[0:3], 0 offset:100
	buffer_store_dword v1, off, s[0:3], 0 offset:96
	;; [unrolled: 1-line block ×4, first 2 shown]
.LBB38_351:
	s_or_b32 exec_lo, exec_lo, s4
	v_mov_b32_e32 v4, s39
	s_mov_b32 s4, exec_lo
	s_clause 0x3
	buffer_load_dword v1, v4, s[0:3], 0 offen
	buffer_load_dword v2, v4, s[0:3], 0 offen offset:4
	buffer_load_dword v3, v4, s[0:3], 0 offen offset:8
	;; [unrolled: 1-line block ×3, first 2 shown]
	s_waitcnt vmcnt(0)
	ds_write_b128 v6, v[1:4]
	s_waitcnt lgkmcnt(0)
	s_waitcnt_vscnt null, 0x0
	s_barrier
	buffer_gl0_inv
	v_cmpx_gt_u32_e32 7, v0
	s_cbranch_execz .LBB38_359
; %bb.352:
	ds_read_b128 v[1:4], v6
	v_cmp_ne_u32_e32 vcc_lo, 1, v7
	s_cbranch_vccnz .LBB38_354
; %bb.353:
	s_clause 0x3
	buffer_load_dword v8, v5, s[0:3], 0 offen offset:8
	buffer_load_dword v9, v5, s[0:3], 0 offen offset:12
	buffer_load_dword v10, v5, s[0:3], 0 offen
	buffer_load_dword v11, v5, s[0:3], 0 offen offset:4
	s_waitcnt vmcnt(2) lgkmcnt(0)
	v_mul_f64 v[12:13], v[3:4], v[8:9]
	v_mul_f64 v[8:9], v[1:2], v[8:9]
	s_waitcnt vmcnt(0)
	v_fma_f64 v[1:2], v[1:2], v[10:11], -v[12:13]
	v_fma_f64 v[3:4], v[3:4], v[10:11], v[8:9]
.LBB38_354:
	s_mov_b32 s8, exec_lo
	v_cmpx_ne_u32_e32 6, v0
	s_cbranch_execz .LBB38_358
; %bb.355:
	v_add_nc_u32_e32 v8, 0x280, v103
	v_add3_u32 v9, 0, v103, 16
	v_mov_b32_e32 v10, v0
	s_mov_b32 s46, 0
	.p2align	6
.LBB38_356:                             ; =>This Inner Loop Header: Depth=1
	s_clause 0x3
	buffer_load_dword v15, v9, s[0:3], 0 offen offset:8
	buffer_load_dword v16, v9, s[0:3], 0 offen offset:12
	buffer_load_dword v17, v9, s[0:3], 0 offen
	buffer_load_dword v18, v9, s[0:3], 0 offen offset:4
	ds_read_b128 v[11:14], v8
	v_add_nc_u32_e32 v10, 1, v10
	v_add_nc_u32_e32 v8, 16, v8
	;; [unrolled: 1-line block ×3, first 2 shown]
	v_cmp_lt_u32_e32 vcc_lo, 5, v10
	s_or_b32 s46, vcc_lo, s46
	s_waitcnt vmcnt(2) lgkmcnt(0)
	v_mul_f64 v[19:20], v[13:14], v[15:16]
	v_mul_f64 v[15:16], v[11:12], v[15:16]
	s_waitcnt vmcnt(0)
	v_fma_f64 v[11:12], v[11:12], v[17:18], -v[19:20]
	v_fma_f64 v[13:14], v[13:14], v[17:18], v[15:16]
	v_add_f64 v[1:2], v[1:2], v[11:12]
	v_add_f64 v[3:4], v[3:4], v[13:14]
	s_andn2_b32 exec_lo, exec_lo, s46
	s_cbranch_execnz .LBB38_356
; %bb.357:
	s_or_b32 exec_lo, exec_lo, s46
.LBB38_358:
	s_or_b32 exec_lo, exec_lo, s8
	v_mov_b32_e32 v8, 0
	ds_read_b128 v[8:11], v8 offset:112
	s_waitcnt lgkmcnt(0)
	v_mul_f64 v[12:13], v[3:4], v[10:11]
	v_mul_f64 v[10:11], v[1:2], v[10:11]
	v_fma_f64 v[1:2], v[1:2], v[8:9], -v[12:13]
	v_fma_f64 v[3:4], v[3:4], v[8:9], v[10:11]
	buffer_store_dword v2, off, s[0:3], 0 offset:116
	buffer_store_dword v1, off, s[0:3], 0 offset:112
	;; [unrolled: 1-line block ×4, first 2 shown]
.LBB38_359:
	s_or_b32 exec_lo, exec_lo, s4
	v_mov_b32_e32 v4, s38
	s_mov_b32 s4, exec_lo
	s_clause 0x3
	buffer_load_dword v1, v4, s[0:3], 0 offen
	buffer_load_dword v2, v4, s[0:3], 0 offen offset:4
	buffer_load_dword v3, v4, s[0:3], 0 offen offset:8
	;; [unrolled: 1-line block ×3, first 2 shown]
	s_waitcnt vmcnt(0)
	ds_write_b128 v6, v[1:4]
	s_waitcnt lgkmcnt(0)
	s_waitcnt_vscnt null, 0x0
	s_barrier
	buffer_gl0_inv
	v_cmpx_gt_u32_e32 8, v0
	s_cbranch_execz .LBB38_367
; %bb.360:
	ds_read_b128 v[1:4], v6
	v_cmp_ne_u32_e32 vcc_lo, 1, v7
	s_cbranch_vccnz .LBB38_362
; %bb.361:
	s_clause 0x3
	buffer_load_dword v8, v5, s[0:3], 0 offen offset:8
	buffer_load_dword v9, v5, s[0:3], 0 offen offset:12
	buffer_load_dword v10, v5, s[0:3], 0 offen
	buffer_load_dword v11, v5, s[0:3], 0 offen offset:4
	s_waitcnt vmcnt(2) lgkmcnt(0)
	v_mul_f64 v[12:13], v[3:4], v[8:9]
	v_mul_f64 v[8:9], v[1:2], v[8:9]
	s_waitcnt vmcnt(0)
	v_fma_f64 v[1:2], v[1:2], v[10:11], -v[12:13]
	v_fma_f64 v[3:4], v[3:4], v[10:11], v[8:9]
.LBB38_362:
	s_mov_b32 s8, exec_lo
	v_cmpx_ne_u32_e32 7, v0
	s_cbranch_execz .LBB38_366
; %bb.363:
	v_add_nc_u32_e32 v8, 0x280, v103
	v_add3_u32 v9, 0, v103, 16
	v_mov_b32_e32 v10, v0
	s_mov_b32 s46, 0
	.p2align	6
.LBB38_364:                             ; =>This Inner Loop Header: Depth=1
	s_clause 0x3
	buffer_load_dword v15, v9, s[0:3], 0 offen offset:8
	buffer_load_dword v16, v9, s[0:3], 0 offen offset:12
	buffer_load_dword v17, v9, s[0:3], 0 offen
	buffer_load_dword v18, v9, s[0:3], 0 offen offset:4
	ds_read_b128 v[11:14], v8
	v_add_nc_u32_e32 v10, 1, v10
	v_add_nc_u32_e32 v8, 16, v8
	;; [unrolled: 1-line block ×3, first 2 shown]
	v_cmp_lt_u32_e32 vcc_lo, 6, v10
	s_or_b32 s46, vcc_lo, s46
	s_waitcnt vmcnt(2) lgkmcnt(0)
	v_mul_f64 v[19:20], v[13:14], v[15:16]
	v_mul_f64 v[15:16], v[11:12], v[15:16]
	s_waitcnt vmcnt(0)
	v_fma_f64 v[11:12], v[11:12], v[17:18], -v[19:20]
	v_fma_f64 v[13:14], v[13:14], v[17:18], v[15:16]
	v_add_f64 v[1:2], v[1:2], v[11:12]
	v_add_f64 v[3:4], v[3:4], v[13:14]
	s_andn2_b32 exec_lo, exec_lo, s46
	s_cbranch_execnz .LBB38_364
; %bb.365:
	s_or_b32 exec_lo, exec_lo, s46
.LBB38_366:
	s_or_b32 exec_lo, exec_lo, s8
	v_mov_b32_e32 v8, 0
	ds_read_b128 v[8:11], v8 offset:128
	s_waitcnt lgkmcnt(0)
	v_mul_f64 v[12:13], v[3:4], v[10:11]
	v_mul_f64 v[10:11], v[1:2], v[10:11]
	v_fma_f64 v[1:2], v[1:2], v[8:9], -v[12:13]
	v_fma_f64 v[3:4], v[3:4], v[8:9], v[10:11]
	buffer_store_dword v2, off, s[0:3], 0 offset:132
	buffer_store_dword v1, off, s[0:3], 0 offset:128
	buffer_store_dword v4, off, s[0:3], 0 offset:140
	buffer_store_dword v3, off, s[0:3], 0 offset:136
.LBB38_367:
	s_or_b32 exec_lo, exec_lo, s4
	v_mov_b32_e32 v4, s37
	s_mov_b32 s4, exec_lo
	s_clause 0x3
	buffer_load_dword v1, v4, s[0:3], 0 offen
	buffer_load_dword v2, v4, s[0:3], 0 offen offset:4
	buffer_load_dword v3, v4, s[0:3], 0 offen offset:8
	;; [unrolled: 1-line block ×3, first 2 shown]
	s_waitcnt vmcnt(0)
	ds_write_b128 v6, v[1:4]
	s_waitcnt lgkmcnt(0)
	s_waitcnt_vscnt null, 0x0
	s_barrier
	buffer_gl0_inv
	v_cmpx_gt_u32_e32 9, v0
	s_cbranch_execz .LBB38_375
; %bb.368:
	ds_read_b128 v[1:4], v6
	v_cmp_ne_u32_e32 vcc_lo, 1, v7
	s_cbranch_vccnz .LBB38_370
; %bb.369:
	s_clause 0x3
	buffer_load_dword v8, v5, s[0:3], 0 offen offset:8
	buffer_load_dword v9, v5, s[0:3], 0 offen offset:12
	buffer_load_dword v10, v5, s[0:3], 0 offen
	buffer_load_dword v11, v5, s[0:3], 0 offen offset:4
	s_waitcnt vmcnt(2) lgkmcnt(0)
	v_mul_f64 v[12:13], v[3:4], v[8:9]
	v_mul_f64 v[8:9], v[1:2], v[8:9]
	s_waitcnt vmcnt(0)
	v_fma_f64 v[1:2], v[1:2], v[10:11], -v[12:13]
	v_fma_f64 v[3:4], v[3:4], v[10:11], v[8:9]
.LBB38_370:
	s_mov_b32 s8, exec_lo
	v_cmpx_ne_u32_e32 8, v0
	s_cbranch_execz .LBB38_374
; %bb.371:
	v_add_nc_u32_e32 v8, 0x280, v103
	v_add3_u32 v9, 0, v103, 16
	v_mov_b32_e32 v10, v0
	s_mov_b32 s46, 0
	.p2align	6
.LBB38_372:                             ; =>This Inner Loop Header: Depth=1
	s_clause 0x3
	buffer_load_dword v15, v9, s[0:3], 0 offen offset:8
	buffer_load_dword v16, v9, s[0:3], 0 offen offset:12
	buffer_load_dword v17, v9, s[0:3], 0 offen
	buffer_load_dword v18, v9, s[0:3], 0 offen offset:4
	ds_read_b128 v[11:14], v8
	v_add_nc_u32_e32 v10, 1, v10
	v_add_nc_u32_e32 v8, 16, v8
	;; [unrolled: 1-line block ×3, first 2 shown]
	v_cmp_lt_u32_e32 vcc_lo, 7, v10
	s_or_b32 s46, vcc_lo, s46
	s_waitcnt vmcnt(2) lgkmcnt(0)
	v_mul_f64 v[19:20], v[13:14], v[15:16]
	v_mul_f64 v[15:16], v[11:12], v[15:16]
	s_waitcnt vmcnt(0)
	v_fma_f64 v[11:12], v[11:12], v[17:18], -v[19:20]
	v_fma_f64 v[13:14], v[13:14], v[17:18], v[15:16]
	v_add_f64 v[1:2], v[1:2], v[11:12]
	v_add_f64 v[3:4], v[3:4], v[13:14]
	s_andn2_b32 exec_lo, exec_lo, s46
	s_cbranch_execnz .LBB38_372
; %bb.373:
	s_or_b32 exec_lo, exec_lo, s46
.LBB38_374:
	s_or_b32 exec_lo, exec_lo, s8
	v_mov_b32_e32 v8, 0
	ds_read_b128 v[8:11], v8 offset:144
	s_waitcnt lgkmcnt(0)
	v_mul_f64 v[12:13], v[3:4], v[10:11]
	v_mul_f64 v[10:11], v[1:2], v[10:11]
	v_fma_f64 v[1:2], v[1:2], v[8:9], -v[12:13]
	v_fma_f64 v[3:4], v[3:4], v[8:9], v[10:11]
	buffer_store_dword v2, off, s[0:3], 0 offset:148
	buffer_store_dword v1, off, s[0:3], 0 offset:144
	;; [unrolled: 1-line block ×4, first 2 shown]
.LBB38_375:
	s_or_b32 exec_lo, exec_lo, s4
	v_mov_b32_e32 v4, s36
	s_mov_b32 s4, exec_lo
	s_clause 0x3
	buffer_load_dword v1, v4, s[0:3], 0 offen
	buffer_load_dword v2, v4, s[0:3], 0 offen offset:4
	buffer_load_dword v3, v4, s[0:3], 0 offen offset:8
	;; [unrolled: 1-line block ×3, first 2 shown]
	s_waitcnt vmcnt(0)
	ds_write_b128 v6, v[1:4]
	s_waitcnt lgkmcnt(0)
	s_waitcnt_vscnt null, 0x0
	s_barrier
	buffer_gl0_inv
	v_cmpx_gt_u32_e32 10, v0
	s_cbranch_execz .LBB38_383
; %bb.376:
	ds_read_b128 v[1:4], v6
	v_cmp_ne_u32_e32 vcc_lo, 1, v7
	s_cbranch_vccnz .LBB38_378
; %bb.377:
	s_clause 0x3
	buffer_load_dword v8, v5, s[0:3], 0 offen offset:8
	buffer_load_dword v9, v5, s[0:3], 0 offen offset:12
	buffer_load_dword v10, v5, s[0:3], 0 offen
	buffer_load_dword v11, v5, s[0:3], 0 offen offset:4
	s_waitcnt vmcnt(2) lgkmcnt(0)
	v_mul_f64 v[12:13], v[3:4], v[8:9]
	v_mul_f64 v[8:9], v[1:2], v[8:9]
	s_waitcnt vmcnt(0)
	v_fma_f64 v[1:2], v[1:2], v[10:11], -v[12:13]
	v_fma_f64 v[3:4], v[3:4], v[10:11], v[8:9]
.LBB38_378:
	s_mov_b32 s8, exec_lo
	v_cmpx_ne_u32_e32 9, v0
	s_cbranch_execz .LBB38_382
; %bb.379:
	v_add_nc_u32_e32 v8, 0x280, v103
	v_add3_u32 v9, 0, v103, 16
	v_mov_b32_e32 v10, v0
	s_mov_b32 s46, 0
	.p2align	6
.LBB38_380:                             ; =>This Inner Loop Header: Depth=1
	s_clause 0x3
	buffer_load_dword v15, v9, s[0:3], 0 offen offset:8
	buffer_load_dword v16, v9, s[0:3], 0 offen offset:12
	buffer_load_dword v17, v9, s[0:3], 0 offen
	buffer_load_dword v18, v9, s[0:3], 0 offen offset:4
	ds_read_b128 v[11:14], v8
	v_add_nc_u32_e32 v10, 1, v10
	v_add_nc_u32_e32 v8, 16, v8
	;; [unrolled: 1-line block ×3, first 2 shown]
	v_cmp_lt_u32_e32 vcc_lo, 8, v10
	s_or_b32 s46, vcc_lo, s46
	s_waitcnt vmcnt(2) lgkmcnt(0)
	v_mul_f64 v[19:20], v[13:14], v[15:16]
	v_mul_f64 v[15:16], v[11:12], v[15:16]
	s_waitcnt vmcnt(0)
	v_fma_f64 v[11:12], v[11:12], v[17:18], -v[19:20]
	v_fma_f64 v[13:14], v[13:14], v[17:18], v[15:16]
	v_add_f64 v[1:2], v[1:2], v[11:12]
	v_add_f64 v[3:4], v[3:4], v[13:14]
	s_andn2_b32 exec_lo, exec_lo, s46
	s_cbranch_execnz .LBB38_380
; %bb.381:
	s_or_b32 exec_lo, exec_lo, s46
.LBB38_382:
	s_or_b32 exec_lo, exec_lo, s8
	v_mov_b32_e32 v8, 0
	ds_read_b128 v[8:11], v8 offset:160
	s_waitcnt lgkmcnt(0)
	v_mul_f64 v[12:13], v[3:4], v[10:11]
	v_mul_f64 v[10:11], v[1:2], v[10:11]
	v_fma_f64 v[1:2], v[1:2], v[8:9], -v[12:13]
	v_fma_f64 v[3:4], v[3:4], v[8:9], v[10:11]
	buffer_store_dword v2, off, s[0:3], 0 offset:164
	buffer_store_dword v1, off, s[0:3], 0 offset:160
	buffer_store_dword v4, off, s[0:3], 0 offset:172
	buffer_store_dword v3, off, s[0:3], 0 offset:168
.LBB38_383:
	s_or_b32 exec_lo, exec_lo, s4
	v_mov_b32_e32 v4, s35
	s_mov_b32 s4, exec_lo
	s_clause 0x3
	buffer_load_dword v1, v4, s[0:3], 0 offen
	buffer_load_dword v2, v4, s[0:3], 0 offen offset:4
	buffer_load_dword v3, v4, s[0:3], 0 offen offset:8
	;; [unrolled: 1-line block ×3, first 2 shown]
	s_waitcnt vmcnt(0)
	ds_write_b128 v6, v[1:4]
	s_waitcnt lgkmcnt(0)
	s_waitcnt_vscnt null, 0x0
	s_barrier
	buffer_gl0_inv
	v_cmpx_gt_u32_e32 11, v0
	s_cbranch_execz .LBB38_391
; %bb.384:
	ds_read_b128 v[1:4], v6
	v_cmp_ne_u32_e32 vcc_lo, 1, v7
	s_cbranch_vccnz .LBB38_386
; %bb.385:
	s_clause 0x3
	buffer_load_dword v8, v5, s[0:3], 0 offen offset:8
	buffer_load_dword v9, v5, s[0:3], 0 offen offset:12
	buffer_load_dword v10, v5, s[0:3], 0 offen
	buffer_load_dword v11, v5, s[0:3], 0 offen offset:4
	s_waitcnt vmcnt(2) lgkmcnt(0)
	v_mul_f64 v[12:13], v[3:4], v[8:9]
	v_mul_f64 v[8:9], v[1:2], v[8:9]
	s_waitcnt vmcnt(0)
	v_fma_f64 v[1:2], v[1:2], v[10:11], -v[12:13]
	v_fma_f64 v[3:4], v[3:4], v[10:11], v[8:9]
.LBB38_386:
	s_mov_b32 s8, exec_lo
	v_cmpx_ne_u32_e32 10, v0
	s_cbranch_execz .LBB38_390
; %bb.387:
	v_add_nc_u32_e32 v8, 0x280, v103
	v_add3_u32 v9, 0, v103, 16
	v_mov_b32_e32 v10, v0
	s_mov_b32 s46, 0
	.p2align	6
.LBB38_388:                             ; =>This Inner Loop Header: Depth=1
	s_clause 0x3
	buffer_load_dword v15, v9, s[0:3], 0 offen offset:8
	buffer_load_dword v16, v9, s[0:3], 0 offen offset:12
	buffer_load_dword v17, v9, s[0:3], 0 offen
	buffer_load_dword v18, v9, s[0:3], 0 offen offset:4
	ds_read_b128 v[11:14], v8
	v_add_nc_u32_e32 v10, 1, v10
	v_add_nc_u32_e32 v8, 16, v8
	v_add_nc_u32_e32 v9, 16, v9
	v_cmp_lt_u32_e32 vcc_lo, 9, v10
	s_or_b32 s46, vcc_lo, s46
	s_waitcnt vmcnt(2) lgkmcnt(0)
	v_mul_f64 v[19:20], v[13:14], v[15:16]
	v_mul_f64 v[15:16], v[11:12], v[15:16]
	s_waitcnt vmcnt(0)
	v_fma_f64 v[11:12], v[11:12], v[17:18], -v[19:20]
	v_fma_f64 v[13:14], v[13:14], v[17:18], v[15:16]
	v_add_f64 v[1:2], v[1:2], v[11:12]
	v_add_f64 v[3:4], v[3:4], v[13:14]
	s_andn2_b32 exec_lo, exec_lo, s46
	s_cbranch_execnz .LBB38_388
; %bb.389:
	s_or_b32 exec_lo, exec_lo, s46
.LBB38_390:
	s_or_b32 exec_lo, exec_lo, s8
	v_mov_b32_e32 v8, 0
	ds_read_b128 v[8:11], v8 offset:176
	s_waitcnt lgkmcnt(0)
	v_mul_f64 v[12:13], v[3:4], v[10:11]
	v_mul_f64 v[10:11], v[1:2], v[10:11]
	v_fma_f64 v[1:2], v[1:2], v[8:9], -v[12:13]
	v_fma_f64 v[3:4], v[3:4], v[8:9], v[10:11]
	buffer_store_dword v2, off, s[0:3], 0 offset:180
	buffer_store_dword v1, off, s[0:3], 0 offset:176
	;; [unrolled: 1-line block ×4, first 2 shown]
.LBB38_391:
	s_or_b32 exec_lo, exec_lo, s4
	v_mov_b32_e32 v4, s34
	s_mov_b32 s4, exec_lo
	s_clause 0x3
	buffer_load_dword v1, v4, s[0:3], 0 offen
	buffer_load_dword v2, v4, s[0:3], 0 offen offset:4
	buffer_load_dword v3, v4, s[0:3], 0 offen offset:8
	;; [unrolled: 1-line block ×3, first 2 shown]
	s_waitcnt vmcnt(0)
	ds_write_b128 v6, v[1:4]
	s_waitcnt lgkmcnt(0)
	s_waitcnt_vscnt null, 0x0
	s_barrier
	buffer_gl0_inv
	v_cmpx_gt_u32_e32 12, v0
	s_cbranch_execz .LBB38_399
; %bb.392:
	ds_read_b128 v[1:4], v6
	v_cmp_ne_u32_e32 vcc_lo, 1, v7
	s_cbranch_vccnz .LBB38_394
; %bb.393:
	s_clause 0x3
	buffer_load_dword v8, v5, s[0:3], 0 offen offset:8
	buffer_load_dword v9, v5, s[0:3], 0 offen offset:12
	buffer_load_dword v10, v5, s[0:3], 0 offen
	buffer_load_dword v11, v5, s[0:3], 0 offen offset:4
	s_waitcnt vmcnt(2) lgkmcnt(0)
	v_mul_f64 v[12:13], v[3:4], v[8:9]
	v_mul_f64 v[8:9], v[1:2], v[8:9]
	s_waitcnt vmcnt(0)
	v_fma_f64 v[1:2], v[1:2], v[10:11], -v[12:13]
	v_fma_f64 v[3:4], v[3:4], v[10:11], v[8:9]
.LBB38_394:
	s_mov_b32 s8, exec_lo
	v_cmpx_ne_u32_e32 11, v0
	s_cbranch_execz .LBB38_398
; %bb.395:
	v_add_nc_u32_e32 v8, 0x280, v103
	v_add3_u32 v9, 0, v103, 16
	v_mov_b32_e32 v10, v0
	s_mov_b32 s46, 0
	.p2align	6
.LBB38_396:                             ; =>This Inner Loop Header: Depth=1
	s_clause 0x3
	buffer_load_dword v15, v9, s[0:3], 0 offen offset:8
	buffer_load_dword v16, v9, s[0:3], 0 offen offset:12
	buffer_load_dword v17, v9, s[0:3], 0 offen
	buffer_load_dword v18, v9, s[0:3], 0 offen offset:4
	ds_read_b128 v[11:14], v8
	v_add_nc_u32_e32 v10, 1, v10
	v_add_nc_u32_e32 v8, 16, v8
	;; [unrolled: 1-line block ×3, first 2 shown]
	v_cmp_lt_u32_e32 vcc_lo, 10, v10
	s_or_b32 s46, vcc_lo, s46
	s_waitcnt vmcnt(2) lgkmcnt(0)
	v_mul_f64 v[19:20], v[13:14], v[15:16]
	v_mul_f64 v[15:16], v[11:12], v[15:16]
	s_waitcnt vmcnt(0)
	v_fma_f64 v[11:12], v[11:12], v[17:18], -v[19:20]
	v_fma_f64 v[13:14], v[13:14], v[17:18], v[15:16]
	v_add_f64 v[1:2], v[1:2], v[11:12]
	v_add_f64 v[3:4], v[3:4], v[13:14]
	s_andn2_b32 exec_lo, exec_lo, s46
	s_cbranch_execnz .LBB38_396
; %bb.397:
	s_or_b32 exec_lo, exec_lo, s46
.LBB38_398:
	s_or_b32 exec_lo, exec_lo, s8
	v_mov_b32_e32 v8, 0
	ds_read_b128 v[8:11], v8 offset:192
	s_waitcnt lgkmcnt(0)
	v_mul_f64 v[12:13], v[3:4], v[10:11]
	v_mul_f64 v[10:11], v[1:2], v[10:11]
	v_fma_f64 v[1:2], v[1:2], v[8:9], -v[12:13]
	v_fma_f64 v[3:4], v[3:4], v[8:9], v[10:11]
	buffer_store_dword v2, off, s[0:3], 0 offset:196
	buffer_store_dword v1, off, s[0:3], 0 offset:192
	;; [unrolled: 1-line block ×4, first 2 shown]
.LBB38_399:
	s_or_b32 exec_lo, exec_lo, s4
	v_mov_b32_e32 v4, s33
	s_mov_b32 s4, exec_lo
	s_clause 0x3
	buffer_load_dword v1, v4, s[0:3], 0 offen
	buffer_load_dword v2, v4, s[0:3], 0 offen offset:4
	buffer_load_dword v3, v4, s[0:3], 0 offen offset:8
	;; [unrolled: 1-line block ×3, first 2 shown]
	s_waitcnt vmcnt(0)
	ds_write_b128 v6, v[1:4]
	s_waitcnt lgkmcnt(0)
	s_waitcnt_vscnt null, 0x0
	s_barrier
	buffer_gl0_inv
	v_cmpx_gt_u32_e32 13, v0
	s_cbranch_execz .LBB38_407
; %bb.400:
	ds_read_b128 v[1:4], v6
	v_cmp_ne_u32_e32 vcc_lo, 1, v7
	s_cbranch_vccnz .LBB38_402
; %bb.401:
	s_clause 0x3
	buffer_load_dword v8, v5, s[0:3], 0 offen offset:8
	buffer_load_dword v9, v5, s[0:3], 0 offen offset:12
	buffer_load_dword v10, v5, s[0:3], 0 offen
	buffer_load_dword v11, v5, s[0:3], 0 offen offset:4
	s_waitcnt vmcnt(2) lgkmcnt(0)
	v_mul_f64 v[12:13], v[3:4], v[8:9]
	v_mul_f64 v[8:9], v[1:2], v[8:9]
	s_waitcnt vmcnt(0)
	v_fma_f64 v[1:2], v[1:2], v[10:11], -v[12:13]
	v_fma_f64 v[3:4], v[3:4], v[10:11], v[8:9]
.LBB38_402:
	s_mov_b32 s8, exec_lo
	v_cmpx_ne_u32_e32 12, v0
	s_cbranch_execz .LBB38_406
; %bb.403:
	v_add_nc_u32_e32 v8, 0x280, v103
	v_add3_u32 v9, 0, v103, 16
	v_mov_b32_e32 v10, v0
	s_mov_b32 s46, 0
	.p2align	6
.LBB38_404:                             ; =>This Inner Loop Header: Depth=1
	s_clause 0x3
	buffer_load_dword v15, v9, s[0:3], 0 offen offset:8
	buffer_load_dword v16, v9, s[0:3], 0 offen offset:12
	buffer_load_dword v17, v9, s[0:3], 0 offen
	buffer_load_dword v18, v9, s[0:3], 0 offen offset:4
	ds_read_b128 v[11:14], v8
	v_add_nc_u32_e32 v10, 1, v10
	v_add_nc_u32_e32 v8, 16, v8
	;; [unrolled: 1-line block ×3, first 2 shown]
	v_cmp_lt_u32_e32 vcc_lo, 11, v10
	s_or_b32 s46, vcc_lo, s46
	s_waitcnt vmcnt(2) lgkmcnt(0)
	v_mul_f64 v[19:20], v[13:14], v[15:16]
	v_mul_f64 v[15:16], v[11:12], v[15:16]
	s_waitcnt vmcnt(0)
	v_fma_f64 v[11:12], v[11:12], v[17:18], -v[19:20]
	v_fma_f64 v[13:14], v[13:14], v[17:18], v[15:16]
	v_add_f64 v[1:2], v[1:2], v[11:12]
	v_add_f64 v[3:4], v[3:4], v[13:14]
	s_andn2_b32 exec_lo, exec_lo, s46
	s_cbranch_execnz .LBB38_404
; %bb.405:
	s_or_b32 exec_lo, exec_lo, s46
.LBB38_406:
	s_or_b32 exec_lo, exec_lo, s8
	v_mov_b32_e32 v8, 0
	ds_read_b128 v[8:11], v8 offset:208
	s_waitcnt lgkmcnt(0)
	v_mul_f64 v[12:13], v[3:4], v[10:11]
	v_mul_f64 v[10:11], v[1:2], v[10:11]
	v_fma_f64 v[1:2], v[1:2], v[8:9], -v[12:13]
	v_fma_f64 v[3:4], v[3:4], v[8:9], v[10:11]
	buffer_store_dword v2, off, s[0:3], 0 offset:212
	buffer_store_dword v1, off, s[0:3], 0 offset:208
	;; [unrolled: 1-line block ×4, first 2 shown]
.LBB38_407:
	s_or_b32 exec_lo, exec_lo, s4
	v_mov_b32_e32 v4, s31
	s_mov_b32 s4, exec_lo
	s_clause 0x3
	buffer_load_dword v1, v4, s[0:3], 0 offen
	buffer_load_dword v2, v4, s[0:3], 0 offen offset:4
	buffer_load_dword v3, v4, s[0:3], 0 offen offset:8
	;; [unrolled: 1-line block ×3, first 2 shown]
	s_waitcnt vmcnt(0)
	ds_write_b128 v6, v[1:4]
	s_waitcnt lgkmcnt(0)
	s_waitcnt_vscnt null, 0x0
	s_barrier
	buffer_gl0_inv
	v_cmpx_gt_u32_e32 14, v0
	s_cbranch_execz .LBB38_415
; %bb.408:
	ds_read_b128 v[1:4], v6
	v_cmp_ne_u32_e32 vcc_lo, 1, v7
	s_cbranch_vccnz .LBB38_410
; %bb.409:
	s_clause 0x3
	buffer_load_dword v8, v5, s[0:3], 0 offen offset:8
	buffer_load_dword v9, v5, s[0:3], 0 offen offset:12
	buffer_load_dword v10, v5, s[0:3], 0 offen
	buffer_load_dword v11, v5, s[0:3], 0 offen offset:4
	s_waitcnt vmcnt(2) lgkmcnt(0)
	v_mul_f64 v[12:13], v[3:4], v[8:9]
	v_mul_f64 v[8:9], v[1:2], v[8:9]
	s_waitcnt vmcnt(0)
	v_fma_f64 v[1:2], v[1:2], v[10:11], -v[12:13]
	v_fma_f64 v[3:4], v[3:4], v[10:11], v[8:9]
.LBB38_410:
	s_mov_b32 s8, exec_lo
	v_cmpx_ne_u32_e32 13, v0
	s_cbranch_execz .LBB38_414
; %bb.411:
	v_add_nc_u32_e32 v8, 0x280, v103
	v_add3_u32 v9, 0, v103, 16
	v_mov_b32_e32 v10, v0
	s_mov_b32 s46, 0
	.p2align	6
.LBB38_412:                             ; =>This Inner Loop Header: Depth=1
	s_clause 0x3
	buffer_load_dword v15, v9, s[0:3], 0 offen offset:8
	buffer_load_dword v16, v9, s[0:3], 0 offen offset:12
	buffer_load_dword v17, v9, s[0:3], 0 offen
	buffer_load_dword v18, v9, s[0:3], 0 offen offset:4
	ds_read_b128 v[11:14], v8
	v_add_nc_u32_e32 v10, 1, v10
	v_add_nc_u32_e32 v8, 16, v8
	;; [unrolled: 1-line block ×3, first 2 shown]
	v_cmp_lt_u32_e32 vcc_lo, 12, v10
	s_or_b32 s46, vcc_lo, s46
	s_waitcnt vmcnt(2) lgkmcnt(0)
	v_mul_f64 v[19:20], v[13:14], v[15:16]
	v_mul_f64 v[15:16], v[11:12], v[15:16]
	s_waitcnt vmcnt(0)
	v_fma_f64 v[11:12], v[11:12], v[17:18], -v[19:20]
	v_fma_f64 v[13:14], v[13:14], v[17:18], v[15:16]
	v_add_f64 v[1:2], v[1:2], v[11:12]
	v_add_f64 v[3:4], v[3:4], v[13:14]
	s_andn2_b32 exec_lo, exec_lo, s46
	s_cbranch_execnz .LBB38_412
; %bb.413:
	s_or_b32 exec_lo, exec_lo, s46
.LBB38_414:
	s_or_b32 exec_lo, exec_lo, s8
	v_mov_b32_e32 v8, 0
	ds_read_b128 v[8:11], v8 offset:224
	s_waitcnt lgkmcnt(0)
	v_mul_f64 v[12:13], v[3:4], v[10:11]
	v_mul_f64 v[10:11], v[1:2], v[10:11]
	v_fma_f64 v[1:2], v[1:2], v[8:9], -v[12:13]
	v_fma_f64 v[3:4], v[3:4], v[8:9], v[10:11]
	buffer_store_dword v2, off, s[0:3], 0 offset:228
	buffer_store_dword v1, off, s[0:3], 0 offset:224
	buffer_store_dword v4, off, s[0:3], 0 offset:236
	buffer_store_dword v3, off, s[0:3], 0 offset:232
.LBB38_415:
	s_or_b32 exec_lo, exec_lo, s4
	v_mov_b32_e32 v4, s30
	s_mov_b32 s4, exec_lo
	s_clause 0x3
	buffer_load_dword v1, v4, s[0:3], 0 offen
	buffer_load_dword v2, v4, s[0:3], 0 offen offset:4
	buffer_load_dword v3, v4, s[0:3], 0 offen offset:8
	;; [unrolled: 1-line block ×3, first 2 shown]
	s_waitcnt vmcnt(0)
	ds_write_b128 v6, v[1:4]
	s_waitcnt lgkmcnt(0)
	s_waitcnt_vscnt null, 0x0
	s_barrier
	buffer_gl0_inv
	v_cmpx_gt_u32_e32 15, v0
	s_cbranch_execz .LBB38_423
; %bb.416:
	ds_read_b128 v[1:4], v6
	v_cmp_ne_u32_e32 vcc_lo, 1, v7
	s_cbranch_vccnz .LBB38_418
; %bb.417:
	s_clause 0x3
	buffer_load_dword v8, v5, s[0:3], 0 offen offset:8
	buffer_load_dword v9, v5, s[0:3], 0 offen offset:12
	buffer_load_dword v10, v5, s[0:3], 0 offen
	buffer_load_dword v11, v5, s[0:3], 0 offen offset:4
	s_waitcnt vmcnt(2) lgkmcnt(0)
	v_mul_f64 v[12:13], v[3:4], v[8:9]
	v_mul_f64 v[8:9], v[1:2], v[8:9]
	s_waitcnt vmcnt(0)
	v_fma_f64 v[1:2], v[1:2], v[10:11], -v[12:13]
	v_fma_f64 v[3:4], v[3:4], v[10:11], v[8:9]
.LBB38_418:
	s_mov_b32 s8, exec_lo
	v_cmpx_ne_u32_e32 14, v0
	s_cbranch_execz .LBB38_422
; %bb.419:
	v_add_nc_u32_e32 v8, 0x280, v103
	v_add3_u32 v9, 0, v103, 16
	v_mov_b32_e32 v10, v0
	s_mov_b32 s46, 0
	.p2align	6
.LBB38_420:                             ; =>This Inner Loop Header: Depth=1
	s_clause 0x3
	buffer_load_dword v15, v9, s[0:3], 0 offen offset:8
	buffer_load_dword v16, v9, s[0:3], 0 offen offset:12
	buffer_load_dword v17, v9, s[0:3], 0 offen
	buffer_load_dword v18, v9, s[0:3], 0 offen offset:4
	ds_read_b128 v[11:14], v8
	v_add_nc_u32_e32 v10, 1, v10
	v_add_nc_u32_e32 v8, 16, v8
	;; [unrolled: 1-line block ×3, first 2 shown]
	v_cmp_lt_u32_e32 vcc_lo, 13, v10
	s_or_b32 s46, vcc_lo, s46
	s_waitcnt vmcnt(2) lgkmcnt(0)
	v_mul_f64 v[19:20], v[13:14], v[15:16]
	v_mul_f64 v[15:16], v[11:12], v[15:16]
	s_waitcnt vmcnt(0)
	v_fma_f64 v[11:12], v[11:12], v[17:18], -v[19:20]
	v_fma_f64 v[13:14], v[13:14], v[17:18], v[15:16]
	v_add_f64 v[1:2], v[1:2], v[11:12]
	v_add_f64 v[3:4], v[3:4], v[13:14]
	s_andn2_b32 exec_lo, exec_lo, s46
	s_cbranch_execnz .LBB38_420
; %bb.421:
	s_or_b32 exec_lo, exec_lo, s46
.LBB38_422:
	s_or_b32 exec_lo, exec_lo, s8
	v_mov_b32_e32 v8, 0
	ds_read_b128 v[8:11], v8 offset:240
	s_waitcnt lgkmcnt(0)
	v_mul_f64 v[12:13], v[3:4], v[10:11]
	v_mul_f64 v[10:11], v[1:2], v[10:11]
	v_fma_f64 v[1:2], v[1:2], v[8:9], -v[12:13]
	v_fma_f64 v[3:4], v[3:4], v[8:9], v[10:11]
	buffer_store_dword v2, off, s[0:3], 0 offset:244
	buffer_store_dword v1, off, s[0:3], 0 offset:240
	;; [unrolled: 1-line block ×4, first 2 shown]
.LBB38_423:
	s_or_b32 exec_lo, exec_lo, s4
	v_mov_b32_e32 v4, s29
	s_mov_b32 s4, exec_lo
	s_clause 0x3
	buffer_load_dword v1, v4, s[0:3], 0 offen
	buffer_load_dword v2, v4, s[0:3], 0 offen offset:4
	buffer_load_dword v3, v4, s[0:3], 0 offen offset:8
	;; [unrolled: 1-line block ×3, first 2 shown]
	s_waitcnt vmcnt(0)
	ds_write_b128 v6, v[1:4]
	s_waitcnt lgkmcnt(0)
	s_waitcnt_vscnt null, 0x0
	s_barrier
	buffer_gl0_inv
	v_cmpx_gt_u32_e32 16, v0
	s_cbranch_execz .LBB38_431
; %bb.424:
	ds_read_b128 v[1:4], v6
	v_cmp_ne_u32_e32 vcc_lo, 1, v7
	s_cbranch_vccnz .LBB38_426
; %bb.425:
	s_clause 0x3
	buffer_load_dword v8, v5, s[0:3], 0 offen offset:8
	buffer_load_dword v9, v5, s[0:3], 0 offen offset:12
	buffer_load_dword v10, v5, s[0:3], 0 offen
	buffer_load_dword v11, v5, s[0:3], 0 offen offset:4
	s_waitcnt vmcnt(2) lgkmcnt(0)
	v_mul_f64 v[12:13], v[3:4], v[8:9]
	v_mul_f64 v[8:9], v[1:2], v[8:9]
	s_waitcnt vmcnt(0)
	v_fma_f64 v[1:2], v[1:2], v[10:11], -v[12:13]
	v_fma_f64 v[3:4], v[3:4], v[10:11], v[8:9]
.LBB38_426:
	s_mov_b32 s8, exec_lo
	v_cmpx_ne_u32_e32 15, v0
	s_cbranch_execz .LBB38_430
; %bb.427:
	v_add_nc_u32_e32 v8, 0x280, v103
	v_add3_u32 v9, 0, v103, 16
	v_mov_b32_e32 v10, v0
	s_mov_b32 s46, 0
	.p2align	6
.LBB38_428:                             ; =>This Inner Loop Header: Depth=1
	s_clause 0x3
	buffer_load_dword v15, v9, s[0:3], 0 offen offset:8
	buffer_load_dword v16, v9, s[0:3], 0 offen offset:12
	buffer_load_dword v17, v9, s[0:3], 0 offen
	buffer_load_dword v18, v9, s[0:3], 0 offen offset:4
	ds_read_b128 v[11:14], v8
	v_add_nc_u32_e32 v10, 1, v10
	v_add_nc_u32_e32 v8, 16, v8
	;; [unrolled: 1-line block ×3, first 2 shown]
	v_cmp_lt_u32_e32 vcc_lo, 14, v10
	s_or_b32 s46, vcc_lo, s46
	s_waitcnt vmcnt(2) lgkmcnt(0)
	v_mul_f64 v[19:20], v[13:14], v[15:16]
	v_mul_f64 v[15:16], v[11:12], v[15:16]
	s_waitcnt vmcnt(0)
	v_fma_f64 v[11:12], v[11:12], v[17:18], -v[19:20]
	v_fma_f64 v[13:14], v[13:14], v[17:18], v[15:16]
	v_add_f64 v[1:2], v[1:2], v[11:12]
	v_add_f64 v[3:4], v[3:4], v[13:14]
	s_andn2_b32 exec_lo, exec_lo, s46
	s_cbranch_execnz .LBB38_428
; %bb.429:
	s_or_b32 exec_lo, exec_lo, s46
.LBB38_430:
	s_or_b32 exec_lo, exec_lo, s8
	v_mov_b32_e32 v8, 0
	ds_read_b128 v[8:11], v8 offset:256
	s_waitcnt lgkmcnt(0)
	v_mul_f64 v[12:13], v[3:4], v[10:11]
	v_mul_f64 v[10:11], v[1:2], v[10:11]
	v_fma_f64 v[1:2], v[1:2], v[8:9], -v[12:13]
	v_fma_f64 v[3:4], v[3:4], v[8:9], v[10:11]
	buffer_store_dword v2, off, s[0:3], 0 offset:260
	buffer_store_dword v1, off, s[0:3], 0 offset:256
	;; [unrolled: 1-line block ×4, first 2 shown]
.LBB38_431:
	s_or_b32 exec_lo, exec_lo, s4
	v_mov_b32_e32 v4, s28
	s_mov_b32 s4, exec_lo
	s_clause 0x3
	buffer_load_dword v1, v4, s[0:3], 0 offen
	buffer_load_dword v2, v4, s[0:3], 0 offen offset:4
	buffer_load_dword v3, v4, s[0:3], 0 offen offset:8
	;; [unrolled: 1-line block ×3, first 2 shown]
	s_waitcnt vmcnt(0)
	ds_write_b128 v6, v[1:4]
	s_waitcnt lgkmcnt(0)
	s_waitcnt_vscnt null, 0x0
	s_barrier
	buffer_gl0_inv
	v_cmpx_gt_u32_e32 17, v0
	s_cbranch_execz .LBB38_439
; %bb.432:
	ds_read_b128 v[1:4], v6
	v_cmp_ne_u32_e32 vcc_lo, 1, v7
	s_cbranch_vccnz .LBB38_434
; %bb.433:
	s_clause 0x3
	buffer_load_dword v8, v5, s[0:3], 0 offen offset:8
	buffer_load_dword v9, v5, s[0:3], 0 offen offset:12
	buffer_load_dword v10, v5, s[0:3], 0 offen
	buffer_load_dword v11, v5, s[0:3], 0 offen offset:4
	s_waitcnt vmcnt(2) lgkmcnt(0)
	v_mul_f64 v[12:13], v[3:4], v[8:9]
	v_mul_f64 v[8:9], v[1:2], v[8:9]
	s_waitcnt vmcnt(0)
	v_fma_f64 v[1:2], v[1:2], v[10:11], -v[12:13]
	v_fma_f64 v[3:4], v[3:4], v[10:11], v[8:9]
.LBB38_434:
	s_mov_b32 s8, exec_lo
	v_cmpx_ne_u32_e32 16, v0
	s_cbranch_execz .LBB38_438
; %bb.435:
	v_add_nc_u32_e32 v8, 0x280, v103
	v_add3_u32 v9, 0, v103, 16
	v_mov_b32_e32 v10, v0
	s_mov_b32 s46, 0
	.p2align	6
.LBB38_436:                             ; =>This Inner Loop Header: Depth=1
	s_clause 0x3
	buffer_load_dword v15, v9, s[0:3], 0 offen offset:8
	buffer_load_dword v16, v9, s[0:3], 0 offen offset:12
	buffer_load_dword v17, v9, s[0:3], 0 offen
	buffer_load_dword v18, v9, s[0:3], 0 offen offset:4
	ds_read_b128 v[11:14], v8
	v_add_nc_u32_e32 v10, 1, v10
	v_add_nc_u32_e32 v8, 16, v8
	;; [unrolled: 1-line block ×3, first 2 shown]
	v_cmp_lt_u32_e32 vcc_lo, 15, v10
	s_or_b32 s46, vcc_lo, s46
	s_waitcnt vmcnt(2) lgkmcnt(0)
	v_mul_f64 v[19:20], v[13:14], v[15:16]
	v_mul_f64 v[15:16], v[11:12], v[15:16]
	s_waitcnt vmcnt(0)
	v_fma_f64 v[11:12], v[11:12], v[17:18], -v[19:20]
	v_fma_f64 v[13:14], v[13:14], v[17:18], v[15:16]
	v_add_f64 v[1:2], v[1:2], v[11:12]
	v_add_f64 v[3:4], v[3:4], v[13:14]
	s_andn2_b32 exec_lo, exec_lo, s46
	s_cbranch_execnz .LBB38_436
; %bb.437:
	s_or_b32 exec_lo, exec_lo, s46
.LBB38_438:
	s_or_b32 exec_lo, exec_lo, s8
	v_mov_b32_e32 v8, 0
	ds_read_b128 v[8:11], v8 offset:272
	s_waitcnt lgkmcnt(0)
	v_mul_f64 v[12:13], v[3:4], v[10:11]
	v_mul_f64 v[10:11], v[1:2], v[10:11]
	v_fma_f64 v[1:2], v[1:2], v[8:9], -v[12:13]
	v_fma_f64 v[3:4], v[3:4], v[8:9], v[10:11]
	buffer_store_dword v2, off, s[0:3], 0 offset:276
	buffer_store_dword v1, off, s[0:3], 0 offset:272
	;; [unrolled: 1-line block ×4, first 2 shown]
.LBB38_439:
	s_or_b32 exec_lo, exec_lo, s4
	v_mov_b32_e32 v4, s27
	s_mov_b32 s4, exec_lo
	s_clause 0x3
	buffer_load_dword v1, v4, s[0:3], 0 offen
	buffer_load_dword v2, v4, s[0:3], 0 offen offset:4
	buffer_load_dword v3, v4, s[0:3], 0 offen offset:8
	;; [unrolled: 1-line block ×3, first 2 shown]
	s_waitcnt vmcnt(0)
	ds_write_b128 v6, v[1:4]
	s_waitcnt lgkmcnt(0)
	s_waitcnt_vscnt null, 0x0
	s_barrier
	buffer_gl0_inv
	v_cmpx_gt_u32_e32 18, v0
	s_cbranch_execz .LBB38_447
; %bb.440:
	ds_read_b128 v[1:4], v6
	v_cmp_ne_u32_e32 vcc_lo, 1, v7
	s_cbranch_vccnz .LBB38_442
; %bb.441:
	s_clause 0x3
	buffer_load_dword v8, v5, s[0:3], 0 offen offset:8
	buffer_load_dword v9, v5, s[0:3], 0 offen offset:12
	buffer_load_dword v10, v5, s[0:3], 0 offen
	buffer_load_dword v11, v5, s[0:3], 0 offen offset:4
	s_waitcnt vmcnt(2) lgkmcnt(0)
	v_mul_f64 v[12:13], v[3:4], v[8:9]
	v_mul_f64 v[8:9], v[1:2], v[8:9]
	s_waitcnt vmcnt(0)
	v_fma_f64 v[1:2], v[1:2], v[10:11], -v[12:13]
	v_fma_f64 v[3:4], v[3:4], v[10:11], v[8:9]
.LBB38_442:
	s_mov_b32 s8, exec_lo
	v_cmpx_ne_u32_e32 17, v0
	s_cbranch_execz .LBB38_446
; %bb.443:
	v_add_nc_u32_e32 v8, 0x280, v103
	v_add3_u32 v9, 0, v103, 16
	v_mov_b32_e32 v10, v0
	s_mov_b32 s46, 0
	.p2align	6
.LBB38_444:                             ; =>This Inner Loop Header: Depth=1
	s_clause 0x3
	buffer_load_dword v15, v9, s[0:3], 0 offen offset:8
	buffer_load_dword v16, v9, s[0:3], 0 offen offset:12
	buffer_load_dword v17, v9, s[0:3], 0 offen
	buffer_load_dword v18, v9, s[0:3], 0 offen offset:4
	ds_read_b128 v[11:14], v8
	v_add_nc_u32_e32 v10, 1, v10
	v_add_nc_u32_e32 v8, 16, v8
	;; [unrolled: 1-line block ×3, first 2 shown]
	v_cmp_lt_u32_e32 vcc_lo, 16, v10
	s_or_b32 s46, vcc_lo, s46
	s_waitcnt vmcnt(2) lgkmcnt(0)
	v_mul_f64 v[19:20], v[13:14], v[15:16]
	v_mul_f64 v[15:16], v[11:12], v[15:16]
	s_waitcnt vmcnt(0)
	v_fma_f64 v[11:12], v[11:12], v[17:18], -v[19:20]
	v_fma_f64 v[13:14], v[13:14], v[17:18], v[15:16]
	v_add_f64 v[1:2], v[1:2], v[11:12]
	v_add_f64 v[3:4], v[3:4], v[13:14]
	s_andn2_b32 exec_lo, exec_lo, s46
	s_cbranch_execnz .LBB38_444
; %bb.445:
	s_or_b32 exec_lo, exec_lo, s46
.LBB38_446:
	s_or_b32 exec_lo, exec_lo, s8
	v_mov_b32_e32 v8, 0
	ds_read_b128 v[8:11], v8 offset:288
	s_waitcnt lgkmcnt(0)
	v_mul_f64 v[12:13], v[3:4], v[10:11]
	v_mul_f64 v[10:11], v[1:2], v[10:11]
	v_fma_f64 v[1:2], v[1:2], v[8:9], -v[12:13]
	v_fma_f64 v[3:4], v[3:4], v[8:9], v[10:11]
	buffer_store_dword v2, off, s[0:3], 0 offset:292
	buffer_store_dword v1, off, s[0:3], 0 offset:288
	;; [unrolled: 1-line block ×4, first 2 shown]
.LBB38_447:
	s_or_b32 exec_lo, exec_lo, s4
	v_mov_b32_e32 v4, s26
	s_mov_b32 s4, exec_lo
	s_clause 0x3
	buffer_load_dword v1, v4, s[0:3], 0 offen
	buffer_load_dword v2, v4, s[0:3], 0 offen offset:4
	buffer_load_dword v3, v4, s[0:3], 0 offen offset:8
	;; [unrolled: 1-line block ×3, first 2 shown]
	s_waitcnt vmcnt(0)
	ds_write_b128 v6, v[1:4]
	s_waitcnt lgkmcnt(0)
	s_waitcnt_vscnt null, 0x0
	s_barrier
	buffer_gl0_inv
	v_cmpx_gt_u32_e32 19, v0
	s_cbranch_execz .LBB38_455
; %bb.448:
	ds_read_b128 v[1:4], v6
	v_cmp_ne_u32_e32 vcc_lo, 1, v7
	s_cbranch_vccnz .LBB38_450
; %bb.449:
	s_clause 0x3
	buffer_load_dword v8, v5, s[0:3], 0 offen offset:8
	buffer_load_dword v9, v5, s[0:3], 0 offen offset:12
	buffer_load_dword v10, v5, s[0:3], 0 offen
	buffer_load_dword v11, v5, s[0:3], 0 offen offset:4
	s_waitcnt vmcnt(2) lgkmcnt(0)
	v_mul_f64 v[12:13], v[3:4], v[8:9]
	v_mul_f64 v[8:9], v[1:2], v[8:9]
	s_waitcnt vmcnt(0)
	v_fma_f64 v[1:2], v[1:2], v[10:11], -v[12:13]
	v_fma_f64 v[3:4], v[3:4], v[10:11], v[8:9]
.LBB38_450:
	s_mov_b32 s8, exec_lo
	v_cmpx_ne_u32_e32 18, v0
	s_cbranch_execz .LBB38_454
; %bb.451:
	v_add_nc_u32_e32 v8, 0x280, v103
	v_add3_u32 v9, 0, v103, 16
	v_mov_b32_e32 v10, v0
	s_mov_b32 s46, 0
	.p2align	6
.LBB38_452:                             ; =>This Inner Loop Header: Depth=1
	s_clause 0x3
	buffer_load_dword v15, v9, s[0:3], 0 offen offset:8
	buffer_load_dword v16, v9, s[0:3], 0 offen offset:12
	buffer_load_dword v17, v9, s[0:3], 0 offen
	buffer_load_dword v18, v9, s[0:3], 0 offen offset:4
	ds_read_b128 v[11:14], v8
	v_add_nc_u32_e32 v10, 1, v10
	v_add_nc_u32_e32 v8, 16, v8
	;; [unrolled: 1-line block ×3, first 2 shown]
	v_cmp_lt_u32_e32 vcc_lo, 17, v10
	s_or_b32 s46, vcc_lo, s46
	s_waitcnt vmcnt(2) lgkmcnt(0)
	v_mul_f64 v[19:20], v[13:14], v[15:16]
	v_mul_f64 v[15:16], v[11:12], v[15:16]
	s_waitcnt vmcnt(0)
	v_fma_f64 v[11:12], v[11:12], v[17:18], -v[19:20]
	v_fma_f64 v[13:14], v[13:14], v[17:18], v[15:16]
	v_add_f64 v[1:2], v[1:2], v[11:12]
	v_add_f64 v[3:4], v[3:4], v[13:14]
	s_andn2_b32 exec_lo, exec_lo, s46
	s_cbranch_execnz .LBB38_452
; %bb.453:
	s_or_b32 exec_lo, exec_lo, s46
.LBB38_454:
	s_or_b32 exec_lo, exec_lo, s8
	v_mov_b32_e32 v8, 0
	ds_read_b128 v[8:11], v8 offset:304
	s_waitcnt lgkmcnt(0)
	v_mul_f64 v[12:13], v[3:4], v[10:11]
	v_mul_f64 v[10:11], v[1:2], v[10:11]
	v_fma_f64 v[1:2], v[1:2], v[8:9], -v[12:13]
	v_fma_f64 v[3:4], v[3:4], v[8:9], v[10:11]
	buffer_store_dword v2, off, s[0:3], 0 offset:308
	buffer_store_dword v1, off, s[0:3], 0 offset:304
	;; [unrolled: 1-line block ×4, first 2 shown]
.LBB38_455:
	s_or_b32 exec_lo, exec_lo, s4
	v_mov_b32_e32 v4, s25
	s_mov_b32 s4, exec_lo
	s_clause 0x3
	buffer_load_dword v1, v4, s[0:3], 0 offen
	buffer_load_dword v2, v4, s[0:3], 0 offen offset:4
	buffer_load_dword v3, v4, s[0:3], 0 offen offset:8
	buffer_load_dword v4, v4, s[0:3], 0 offen offset:12
	s_waitcnt vmcnt(0)
	ds_write_b128 v6, v[1:4]
	s_waitcnt lgkmcnt(0)
	s_waitcnt_vscnt null, 0x0
	s_barrier
	buffer_gl0_inv
	v_cmpx_gt_u32_e32 20, v0
	s_cbranch_execz .LBB38_463
; %bb.456:
	ds_read_b128 v[1:4], v6
	v_cmp_ne_u32_e32 vcc_lo, 1, v7
	s_cbranch_vccnz .LBB38_458
; %bb.457:
	s_clause 0x3
	buffer_load_dword v8, v5, s[0:3], 0 offen offset:8
	buffer_load_dword v9, v5, s[0:3], 0 offen offset:12
	buffer_load_dword v10, v5, s[0:3], 0 offen
	buffer_load_dword v11, v5, s[0:3], 0 offen offset:4
	s_waitcnt vmcnt(2) lgkmcnt(0)
	v_mul_f64 v[12:13], v[3:4], v[8:9]
	v_mul_f64 v[8:9], v[1:2], v[8:9]
	s_waitcnt vmcnt(0)
	v_fma_f64 v[1:2], v[1:2], v[10:11], -v[12:13]
	v_fma_f64 v[3:4], v[3:4], v[10:11], v[8:9]
.LBB38_458:
	s_mov_b32 s8, exec_lo
	v_cmpx_ne_u32_e32 19, v0
	s_cbranch_execz .LBB38_462
; %bb.459:
	v_add_nc_u32_e32 v8, 0x280, v103
	v_add3_u32 v9, 0, v103, 16
	v_mov_b32_e32 v10, v0
	s_mov_b32 s46, 0
	.p2align	6
.LBB38_460:                             ; =>This Inner Loop Header: Depth=1
	s_clause 0x3
	buffer_load_dword v15, v9, s[0:3], 0 offen offset:8
	buffer_load_dword v16, v9, s[0:3], 0 offen offset:12
	buffer_load_dword v17, v9, s[0:3], 0 offen
	buffer_load_dword v18, v9, s[0:3], 0 offen offset:4
	ds_read_b128 v[11:14], v8
	v_add_nc_u32_e32 v10, 1, v10
	v_add_nc_u32_e32 v8, 16, v8
	;; [unrolled: 1-line block ×3, first 2 shown]
	v_cmp_lt_u32_e32 vcc_lo, 18, v10
	s_or_b32 s46, vcc_lo, s46
	s_waitcnt vmcnt(2) lgkmcnt(0)
	v_mul_f64 v[19:20], v[13:14], v[15:16]
	v_mul_f64 v[15:16], v[11:12], v[15:16]
	s_waitcnt vmcnt(0)
	v_fma_f64 v[11:12], v[11:12], v[17:18], -v[19:20]
	v_fma_f64 v[13:14], v[13:14], v[17:18], v[15:16]
	v_add_f64 v[1:2], v[1:2], v[11:12]
	v_add_f64 v[3:4], v[3:4], v[13:14]
	s_andn2_b32 exec_lo, exec_lo, s46
	s_cbranch_execnz .LBB38_460
; %bb.461:
	s_or_b32 exec_lo, exec_lo, s46
.LBB38_462:
	s_or_b32 exec_lo, exec_lo, s8
	v_mov_b32_e32 v8, 0
	ds_read_b128 v[8:11], v8 offset:320
	s_waitcnt lgkmcnt(0)
	v_mul_f64 v[12:13], v[3:4], v[10:11]
	v_mul_f64 v[10:11], v[1:2], v[10:11]
	v_fma_f64 v[1:2], v[1:2], v[8:9], -v[12:13]
	v_fma_f64 v[3:4], v[3:4], v[8:9], v[10:11]
	buffer_store_dword v2, off, s[0:3], 0 offset:324
	buffer_store_dword v1, off, s[0:3], 0 offset:320
	;; [unrolled: 1-line block ×4, first 2 shown]
.LBB38_463:
	s_or_b32 exec_lo, exec_lo, s4
	v_mov_b32_e32 v4, s24
	s_mov_b32 s4, exec_lo
	s_clause 0x3
	buffer_load_dword v1, v4, s[0:3], 0 offen
	buffer_load_dword v2, v4, s[0:3], 0 offen offset:4
	buffer_load_dword v3, v4, s[0:3], 0 offen offset:8
	;; [unrolled: 1-line block ×3, first 2 shown]
	s_waitcnt vmcnt(0)
	ds_write_b128 v6, v[1:4]
	s_waitcnt lgkmcnt(0)
	s_waitcnt_vscnt null, 0x0
	s_barrier
	buffer_gl0_inv
	v_cmpx_gt_u32_e32 21, v0
	s_cbranch_execz .LBB38_471
; %bb.464:
	ds_read_b128 v[1:4], v6
	v_cmp_ne_u32_e32 vcc_lo, 1, v7
	s_cbranch_vccnz .LBB38_466
; %bb.465:
	s_clause 0x3
	buffer_load_dword v8, v5, s[0:3], 0 offen offset:8
	buffer_load_dword v9, v5, s[0:3], 0 offen offset:12
	buffer_load_dword v10, v5, s[0:3], 0 offen
	buffer_load_dword v11, v5, s[0:3], 0 offen offset:4
	s_waitcnt vmcnt(2) lgkmcnt(0)
	v_mul_f64 v[12:13], v[3:4], v[8:9]
	v_mul_f64 v[8:9], v[1:2], v[8:9]
	s_waitcnt vmcnt(0)
	v_fma_f64 v[1:2], v[1:2], v[10:11], -v[12:13]
	v_fma_f64 v[3:4], v[3:4], v[10:11], v[8:9]
.LBB38_466:
	s_mov_b32 s8, exec_lo
	v_cmpx_ne_u32_e32 20, v0
	s_cbranch_execz .LBB38_470
; %bb.467:
	v_add_nc_u32_e32 v8, 0x280, v103
	v_add3_u32 v9, 0, v103, 16
	v_mov_b32_e32 v10, v0
	s_mov_b32 s46, 0
	.p2align	6
.LBB38_468:                             ; =>This Inner Loop Header: Depth=1
	s_clause 0x3
	buffer_load_dword v15, v9, s[0:3], 0 offen offset:8
	buffer_load_dword v16, v9, s[0:3], 0 offen offset:12
	buffer_load_dword v17, v9, s[0:3], 0 offen
	buffer_load_dword v18, v9, s[0:3], 0 offen offset:4
	ds_read_b128 v[11:14], v8
	v_add_nc_u32_e32 v10, 1, v10
	v_add_nc_u32_e32 v8, 16, v8
	;; [unrolled: 1-line block ×3, first 2 shown]
	v_cmp_lt_u32_e32 vcc_lo, 19, v10
	s_or_b32 s46, vcc_lo, s46
	s_waitcnt vmcnt(2) lgkmcnt(0)
	v_mul_f64 v[19:20], v[13:14], v[15:16]
	v_mul_f64 v[15:16], v[11:12], v[15:16]
	s_waitcnt vmcnt(0)
	v_fma_f64 v[11:12], v[11:12], v[17:18], -v[19:20]
	v_fma_f64 v[13:14], v[13:14], v[17:18], v[15:16]
	v_add_f64 v[1:2], v[1:2], v[11:12]
	v_add_f64 v[3:4], v[3:4], v[13:14]
	s_andn2_b32 exec_lo, exec_lo, s46
	s_cbranch_execnz .LBB38_468
; %bb.469:
	s_or_b32 exec_lo, exec_lo, s46
.LBB38_470:
	s_or_b32 exec_lo, exec_lo, s8
	v_mov_b32_e32 v8, 0
	ds_read_b128 v[8:11], v8 offset:336
	s_waitcnt lgkmcnt(0)
	v_mul_f64 v[12:13], v[3:4], v[10:11]
	v_mul_f64 v[10:11], v[1:2], v[10:11]
	v_fma_f64 v[1:2], v[1:2], v[8:9], -v[12:13]
	v_fma_f64 v[3:4], v[3:4], v[8:9], v[10:11]
	buffer_store_dword v2, off, s[0:3], 0 offset:340
	buffer_store_dword v1, off, s[0:3], 0 offset:336
	;; [unrolled: 1-line block ×4, first 2 shown]
.LBB38_471:
	s_or_b32 exec_lo, exec_lo, s4
	v_mov_b32_e32 v4, s23
	s_mov_b32 s4, exec_lo
	s_clause 0x3
	buffer_load_dword v1, v4, s[0:3], 0 offen
	buffer_load_dword v2, v4, s[0:3], 0 offen offset:4
	buffer_load_dword v3, v4, s[0:3], 0 offen offset:8
	;; [unrolled: 1-line block ×3, first 2 shown]
	s_waitcnt vmcnt(0)
	ds_write_b128 v6, v[1:4]
	s_waitcnt lgkmcnt(0)
	s_waitcnt_vscnt null, 0x0
	s_barrier
	buffer_gl0_inv
	v_cmpx_gt_u32_e32 22, v0
	s_cbranch_execz .LBB38_479
; %bb.472:
	ds_read_b128 v[1:4], v6
	v_cmp_ne_u32_e32 vcc_lo, 1, v7
	s_cbranch_vccnz .LBB38_474
; %bb.473:
	s_clause 0x3
	buffer_load_dword v8, v5, s[0:3], 0 offen offset:8
	buffer_load_dword v9, v5, s[0:3], 0 offen offset:12
	buffer_load_dword v10, v5, s[0:3], 0 offen
	buffer_load_dword v11, v5, s[0:3], 0 offen offset:4
	s_waitcnt vmcnt(2) lgkmcnt(0)
	v_mul_f64 v[12:13], v[3:4], v[8:9]
	v_mul_f64 v[8:9], v[1:2], v[8:9]
	s_waitcnt vmcnt(0)
	v_fma_f64 v[1:2], v[1:2], v[10:11], -v[12:13]
	v_fma_f64 v[3:4], v[3:4], v[10:11], v[8:9]
.LBB38_474:
	s_mov_b32 s8, exec_lo
	v_cmpx_ne_u32_e32 21, v0
	s_cbranch_execz .LBB38_478
; %bb.475:
	v_add_nc_u32_e32 v8, 0x280, v103
	v_add3_u32 v9, 0, v103, 16
	v_mov_b32_e32 v10, v0
	s_mov_b32 s46, 0
	.p2align	6
.LBB38_476:                             ; =>This Inner Loop Header: Depth=1
	s_clause 0x3
	buffer_load_dword v15, v9, s[0:3], 0 offen offset:8
	buffer_load_dword v16, v9, s[0:3], 0 offen offset:12
	buffer_load_dword v17, v9, s[0:3], 0 offen
	buffer_load_dword v18, v9, s[0:3], 0 offen offset:4
	ds_read_b128 v[11:14], v8
	v_add_nc_u32_e32 v10, 1, v10
	v_add_nc_u32_e32 v8, 16, v8
	;; [unrolled: 1-line block ×3, first 2 shown]
	v_cmp_lt_u32_e32 vcc_lo, 20, v10
	s_or_b32 s46, vcc_lo, s46
	s_waitcnt vmcnt(2) lgkmcnt(0)
	v_mul_f64 v[19:20], v[13:14], v[15:16]
	v_mul_f64 v[15:16], v[11:12], v[15:16]
	s_waitcnt vmcnt(0)
	v_fma_f64 v[11:12], v[11:12], v[17:18], -v[19:20]
	v_fma_f64 v[13:14], v[13:14], v[17:18], v[15:16]
	v_add_f64 v[1:2], v[1:2], v[11:12]
	v_add_f64 v[3:4], v[3:4], v[13:14]
	s_andn2_b32 exec_lo, exec_lo, s46
	s_cbranch_execnz .LBB38_476
; %bb.477:
	s_or_b32 exec_lo, exec_lo, s46
.LBB38_478:
	s_or_b32 exec_lo, exec_lo, s8
	v_mov_b32_e32 v8, 0
	ds_read_b128 v[8:11], v8 offset:352
	s_waitcnt lgkmcnt(0)
	v_mul_f64 v[12:13], v[3:4], v[10:11]
	v_mul_f64 v[10:11], v[1:2], v[10:11]
	v_fma_f64 v[1:2], v[1:2], v[8:9], -v[12:13]
	v_fma_f64 v[3:4], v[3:4], v[8:9], v[10:11]
	buffer_store_dword v2, off, s[0:3], 0 offset:356
	buffer_store_dword v1, off, s[0:3], 0 offset:352
	;; [unrolled: 1-line block ×4, first 2 shown]
.LBB38_479:
	s_or_b32 exec_lo, exec_lo, s4
	v_mov_b32_e32 v4, s22
	s_mov_b32 s4, exec_lo
	s_clause 0x3
	buffer_load_dword v1, v4, s[0:3], 0 offen
	buffer_load_dword v2, v4, s[0:3], 0 offen offset:4
	buffer_load_dword v3, v4, s[0:3], 0 offen offset:8
	buffer_load_dword v4, v4, s[0:3], 0 offen offset:12
	s_waitcnt vmcnt(0)
	ds_write_b128 v6, v[1:4]
	s_waitcnt lgkmcnt(0)
	s_waitcnt_vscnt null, 0x0
	s_barrier
	buffer_gl0_inv
	v_cmpx_gt_u32_e32 23, v0
	s_cbranch_execz .LBB38_487
; %bb.480:
	ds_read_b128 v[1:4], v6
	v_cmp_ne_u32_e32 vcc_lo, 1, v7
	s_cbranch_vccnz .LBB38_482
; %bb.481:
	s_clause 0x3
	buffer_load_dword v8, v5, s[0:3], 0 offen offset:8
	buffer_load_dword v9, v5, s[0:3], 0 offen offset:12
	buffer_load_dword v10, v5, s[0:3], 0 offen
	buffer_load_dword v11, v5, s[0:3], 0 offen offset:4
	s_waitcnt vmcnt(2) lgkmcnt(0)
	v_mul_f64 v[12:13], v[3:4], v[8:9]
	v_mul_f64 v[8:9], v[1:2], v[8:9]
	s_waitcnt vmcnt(0)
	v_fma_f64 v[1:2], v[1:2], v[10:11], -v[12:13]
	v_fma_f64 v[3:4], v[3:4], v[10:11], v[8:9]
.LBB38_482:
	s_mov_b32 s8, exec_lo
	v_cmpx_ne_u32_e32 22, v0
	s_cbranch_execz .LBB38_486
; %bb.483:
	v_add_nc_u32_e32 v8, 0x280, v103
	v_add3_u32 v9, 0, v103, 16
	v_mov_b32_e32 v10, v0
	s_mov_b32 s46, 0
	.p2align	6
.LBB38_484:                             ; =>This Inner Loop Header: Depth=1
	s_clause 0x3
	buffer_load_dword v15, v9, s[0:3], 0 offen offset:8
	buffer_load_dword v16, v9, s[0:3], 0 offen offset:12
	buffer_load_dword v17, v9, s[0:3], 0 offen
	buffer_load_dword v18, v9, s[0:3], 0 offen offset:4
	ds_read_b128 v[11:14], v8
	v_add_nc_u32_e32 v10, 1, v10
	v_add_nc_u32_e32 v8, 16, v8
	;; [unrolled: 1-line block ×3, first 2 shown]
	v_cmp_lt_u32_e32 vcc_lo, 21, v10
	s_or_b32 s46, vcc_lo, s46
	s_waitcnt vmcnt(2) lgkmcnt(0)
	v_mul_f64 v[19:20], v[13:14], v[15:16]
	v_mul_f64 v[15:16], v[11:12], v[15:16]
	s_waitcnt vmcnt(0)
	v_fma_f64 v[11:12], v[11:12], v[17:18], -v[19:20]
	v_fma_f64 v[13:14], v[13:14], v[17:18], v[15:16]
	v_add_f64 v[1:2], v[1:2], v[11:12]
	v_add_f64 v[3:4], v[3:4], v[13:14]
	s_andn2_b32 exec_lo, exec_lo, s46
	s_cbranch_execnz .LBB38_484
; %bb.485:
	s_or_b32 exec_lo, exec_lo, s46
.LBB38_486:
	s_or_b32 exec_lo, exec_lo, s8
	v_mov_b32_e32 v8, 0
	ds_read_b128 v[8:11], v8 offset:368
	s_waitcnt lgkmcnt(0)
	v_mul_f64 v[12:13], v[3:4], v[10:11]
	v_mul_f64 v[10:11], v[1:2], v[10:11]
	v_fma_f64 v[1:2], v[1:2], v[8:9], -v[12:13]
	v_fma_f64 v[3:4], v[3:4], v[8:9], v[10:11]
	buffer_store_dword v2, off, s[0:3], 0 offset:372
	buffer_store_dword v1, off, s[0:3], 0 offset:368
	buffer_store_dword v4, off, s[0:3], 0 offset:380
	buffer_store_dword v3, off, s[0:3], 0 offset:376
.LBB38_487:
	s_or_b32 exec_lo, exec_lo, s4
	v_mov_b32_e32 v4, s21
	s_mov_b32 s4, exec_lo
	s_clause 0x3
	buffer_load_dword v1, v4, s[0:3], 0 offen
	buffer_load_dword v2, v4, s[0:3], 0 offen offset:4
	buffer_load_dword v3, v4, s[0:3], 0 offen offset:8
	;; [unrolled: 1-line block ×3, first 2 shown]
	s_waitcnt vmcnt(0)
	ds_write_b128 v6, v[1:4]
	s_waitcnt lgkmcnt(0)
	s_waitcnt_vscnt null, 0x0
	s_barrier
	buffer_gl0_inv
	v_cmpx_gt_u32_e32 24, v0
	s_cbranch_execz .LBB38_495
; %bb.488:
	ds_read_b128 v[1:4], v6
	v_cmp_ne_u32_e32 vcc_lo, 1, v7
	s_cbranch_vccnz .LBB38_490
; %bb.489:
	s_clause 0x3
	buffer_load_dword v8, v5, s[0:3], 0 offen offset:8
	buffer_load_dword v9, v5, s[0:3], 0 offen offset:12
	buffer_load_dword v10, v5, s[0:3], 0 offen
	buffer_load_dword v11, v5, s[0:3], 0 offen offset:4
	s_waitcnt vmcnt(2) lgkmcnt(0)
	v_mul_f64 v[12:13], v[3:4], v[8:9]
	v_mul_f64 v[8:9], v[1:2], v[8:9]
	s_waitcnt vmcnt(0)
	v_fma_f64 v[1:2], v[1:2], v[10:11], -v[12:13]
	v_fma_f64 v[3:4], v[3:4], v[10:11], v[8:9]
.LBB38_490:
	s_mov_b32 s8, exec_lo
	v_cmpx_ne_u32_e32 23, v0
	s_cbranch_execz .LBB38_494
; %bb.491:
	v_add_nc_u32_e32 v8, 0x280, v103
	v_add3_u32 v9, 0, v103, 16
	v_mov_b32_e32 v10, v0
	s_mov_b32 s46, 0
	.p2align	6
.LBB38_492:                             ; =>This Inner Loop Header: Depth=1
	s_clause 0x3
	buffer_load_dword v15, v9, s[0:3], 0 offen offset:8
	buffer_load_dword v16, v9, s[0:3], 0 offen offset:12
	buffer_load_dword v17, v9, s[0:3], 0 offen
	buffer_load_dword v18, v9, s[0:3], 0 offen offset:4
	ds_read_b128 v[11:14], v8
	v_add_nc_u32_e32 v10, 1, v10
	v_add_nc_u32_e32 v8, 16, v8
	;; [unrolled: 1-line block ×3, first 2 shown]
	v_cmp_lt_u32_e32 vcc_lo, 22, v10
	s_or_b32 s46, vcc_lo, s46
	s_waitcnt vmcnt(2) lgkmcnt(0)
	v_mul_f64 v[19:20], v[13:14], v[15:16]
	v_mul_f64 v[15:16], v[11:12], v[15:16]
	s_waitcnt vmcnt(0)
	v_fma_f64 v[11:12], v[11:12], v[17:18], -v[19:20]
	v_fma_f64 v[13:14], v[13:14], v[17:18], v[15:16]
	v_add_f64 v[1:2], v[1:2], v[11:12]
	v_add_f64 v[3:4], v[3:4], v[13:14]
	s_andn2_b32 exec_lo, exec_lo, s46
	s_cbranch_execnz .LBB38_492
; %bb.493:
	s_or_b32 exec_lo, exec_lo, s46
.LBB38_494:
	s_or_b32 exec_lo, exec_lo, s8
	v_mov_b32_e32 v8, 0
	ds_read_b128 v[8:11], v8 offset:384
	s_waitcnt lgkmcnt(0)
	v_mul_f64 v[12:13], v[3:4], v[10:11]
	v_mul_f64 v[10:11], v[1:2], v[10:11]
	v_fma_f64 v[1:2], v[1:2], v[8:9], -v[12:13]
	v_fma_f64 v[3:4], v[3:4], v[8:9], v[10:11]
	buffer_store_dword v2, off, s[0:3], 0 offset:388
	buffer_store_dword v1, off, s[0:3], 0 offset:384
	;; [unrolled: 1-line block ×4, first 2 shown]
.LBB38_495:
	s_or_b32 exec_lo, exec_lo, s4
	v_mov_b32_e32 v4, s20
	s_mov_b32 s4, exec_lo
	s_clause 0x3
	buffer_load_dword v1, v4, s[0:3], 0 offen
	buffer_load_dword v2, v4, s[0:3], 0 offen offset:4
	buffer_load_dword v3, v4, s[0:3], 0 offen offset:8
	;; [unrolled: 1-line block ×3, first 2 shown]
	s_waitcnt vmcnt(0)
	ds_write_b128 v6, v[1:4]
	s_waitcnt lgkmcnt(0)
	s_waitcnt_vscnt null, 0x0
	s_barrier
	buffer_gl0_inv
	v_cmpx_gt_u32_e32 25, v0
	s_cbranch_execz .LBB38_503
; %bb.496:
	ds_read_b128 v[1:4], v6
	v_cmp_ne_u32_e32 vcc_lo, 1, v7
	s_cbranch_vccnz .LBB38_498
; %bb.497:
	s_clause 0x3
	buffer_load_dword v8, v5, s[0:3], 0 offen offset:8
	buffer_load_dword v9, v5, s[0:3], 0 offen offset:12
	buffer_load_dword v10, v5, s[0:3], 0 offen
	buffer_load_dword v11, v5, s[0:3], 0 offen offset:4
	s_waitcnt vmcnt(2) lgkmcnt(0)
	v_mul_f64 v[12:13], v[3:4], v[8:9]
	v_mul_f64 v[8:9], v[1:2], v[8:9]
	s_waitcnt vmcnt(0)
	v_fma_f64 v[1:2], v[1:2], v[10:11], -v[12:13]
	v_fma_f64 v[3:4], v[3:4], v[10:11], v[8:9]
.LBB38_498:
	s_mov_b32 s8, exec_lo
	v_cmpx_ne_u32_e32 24, v0
	s_cbranch_execz .LBB38_502
; %bb.499:
	v_add_nc_u32_e32 v8, 0x280, v103
	v_add3_u32 v9, 0, v103, 16
	v_mov_b32_e32 v10, v0
	s_mov_b32 s46, 0
	.p2align	6
.LBB38_500:                             ; =>This Inner Loop Header: Depth=1
	s_clause 0x3
	buffer_load_dword v15, v9, s[0:3], 0 offen offset:8
	buffer_load_dword v16, v9, s[0:3], 0 offen offset:12
	buffer_load_dword v17, v9, s[0:3], 0 offen
	buffer_load_dword v18, v9, s[0:3], 0 offen offset:4
	ds_read_b128 v[11:14], v8
	v_add_nc_u32_e32 v10, 1, v10
	v_add_nc_u32_e32 v8, 16, v8
	v_add_nc_u32_e32 v9, 16, v9
	v_cmp_lt_u32_e32 vcc_lo, 23, v10
	s_or_b32 s46, vcc_lo, s46
	s_waitcnt vmcnt(2) lgkmcnt(0)
	v_mul_f64 v[19:20], v[13:14], v[15:16]
	v_mul_f64 v[15:16], v[11:12], v[15:16]
	s_waitcnt vmcnt(0)
	v_fma_f64 v[11:12], v[11:12], v[17:18], -v[19:20]
	v_fma_f64 v[13:14], v[13:14], v[17:18], v[15:16]
	v_add_f64 v[1:2], v[1:2], v[11:12]
	v_add_f64 v[3:4], v[3:4], v[13:14]
	s_andn2_b32 exec_lo, exec_lo, s46
	s_cbranch_execnz .LBB38_500
; %bb.501:
	s_or_b32 exec_lo, exec_lo, s46
.LBB38_502:
	s_or_b32 exec_lo, exec_lo, s8
	v_mov_b32_e32 v8, 0
	ds_read_b128 v[8:11], v8 offset:400
	s_waitcnt lgkmcnt(0)
	v_mul_f64 v[12:13], v[3:4], v[10:11]
	v_mul_f64 v[10:11], v[1:2], v[10:11]
	v_fma_f64 v[1:2], v[1:2], v[8:9], -v[12:13]
	v_fma_f64 v[3:4], v[3:4], v[8:9], v[10:11]
	buffer_store_dword v2, off, s[0:3], 0 offset:404
	buffer_store_dword v1, off, s[0:3], 0 offset:400
	;; [unrolled: 1-line block ×4, first 2 shown]
.LBB38_503:
	s_or_b32 exec_lo, exec_lo, s4
	v_mov_b32_e32 v4, s19
	s_mov_b32 s4, exec_lo
	s_clause 0x3
	buffer_load_dword v1, v4, s[0:3], 0 offen
	buffer_load_dword v2, v4, s[0:3], 0 offen offset:4
	buffer_load_dword v3, v4, s[0:3], 0 offen offset:8
	;; [unrolled: 1-line block ×3, first 2 shown]
	s_waitcnt vmcnt(0)
	ds_write_b128 v6, v[1:4]
	s_waitcnt lgkmcnt(0)
	s_waitcnt_vscnt null, 0x0
	s_barrier
	buffer_gl0_inv
	v_cmpx_gt_u32_e32 26, v0
	s_cbranch_execz .LBB38_511
; %bb.504:
	ds_read_b128 v[1:4], v6
	v_cmp_ne_u32_e32 vcc_lo, 1, v7
	s_cbranch_vccnz .LBB38_506
; %bb.505:
	s_clause 0x3
	buffer_load_dword v8, v5, s[0:3], 0 offen offset:8
	buffer_load_dword v9, v5, s[0:3], 0 offen offset:12
	buffer_load_dword v10, v5, s[0:3], 0 offen
	buffer_load_dword v11, v5, s[0:3], 0 offen offset:4
	s_waitcnt vmcnt(2) lgkmcnt(0)
	v_mul_f64 v[12:13], v[3:4], v[8:9]
	v_mul_f64 v[8:9], v[1:2], v[8:9]
	s_waitcnt vmcnt(0)
	v_fma_f64 v[1:2], v[1:2], v[10:11], -v[12:13]
	v_fma_f64 v[3:4], v[3:4], v[10:11], v[8:9]
.LBB38_506:
	s_mov_b32 s8, exec_lo
	v_cmpx_ne_u32_e32 25, v0
	s_cbranch_execz .LBB38_510
; %bb.507:
	v_add_nc_u32_e32 v8, 0x280, v103
	v_add3_u32 v9, 0, v103, 16
	v_mov_b32_e32 v10, v0
	s_mov_b32 s46, 0
	.p2align	6
.LBB38_508:                             ; =>This Inner Loop Header: Depth=1
	s_clause 0x3
	buffer_load_dword v15, v9, s[0:3], 0 offen offset:8
	buffer_load_dword v16, v9, s[0:3], 0 offen offset:12
	buffer_load_dword v17, v9, s[0:3], 0 offen
	buffer_load_dword v18, v9, s[0:3], 0 offen offset:4
	ds_read_b128 v[11:14], v8
	v_add_nc_u32_e32 v10, 1, v10
	v_add_nc_u32_e32 v8, 16, v8
	;; [unrolled: 1-line block ×3, first 2 shown]
	v_cmp_lt_u32_e32 vcc_lo, 24, v10
	s_or_b32 s46, vcc_lo, s46
	s_waitcnt vmcnt(2) lgkmcnt(0)
	v_mul_f64 v[19:20], v[13:14], v[15:16]
	v_mul_f64 v[15:16], v[11:12], v[15:16]
	s_waitcnt vmcnt(0)
	v_fma_f64 v[11:12], v[11:12], v[17:18], -v[19:20]
	v_fma_f64 v[13:14], v[13:14], v[17:18], v[15:16]
	v_add_f64 v[1:2], v[1:2], v[11:12]
	v_add_f64 v[3:4], v[3:4], v[13:14]
	s_andn2_b32 exec_lo, exec_lo, s46
	s_cbranch_execnz .LBB38_508
; %bb.509:
	s_or_b32 exec_lo, exec_lo, s46
.LBB38_510:
	s_or_b32 exec_lo, exec_lo, s8
	v_mov_b32_e32 v8, 0
	ds_read_b128 v[8:11], v8 offset:416
	s_waitcnt lgkmcnt(0)
	v_mul_f64 v[12:13], v[3:4], v[10:11]
	v_mul_f64 v[10:11], v[1:2], v[10:11]
	v_fma_f64 v[1:2], v[1:2], v[8:9], -v[12:13]
	v_fma_f64 v[3:4], v[3:4], v[8:9], v[10:11]
	buffer_store_dword v2, off, s[0:3], 0 offset:420
	buffer_store_dword v1, off, s[0:3], 0 offset:416
	;; [unrolled: 1-line block ×4, first 2 shown]
.LBB38_511:
	s_or_b32 exec_lo, exec_lo, s4
	v_mov_b32_e32 v4, s18
	s_mov_b32 s4, exec_lo
	s_clause 0x3
	buffer_load_dword v1, v4, s[0:3], 0 offen
	buffer_load_dword v2, v4, s[0:3], 0 offen offset:4
	buffer_load_dword v3, v4, s[0:3], 0 offen offset:8
	;; [unrolled: 1-line block ×3, first 2 shown]
	s_waitcnt vmcnt(0)
	ds_write_b128 v6, v[1:4]
	s_waitcnt lgkmcnt(0)
	s_waitcnt_vscnt null, 0x0
	s_barrier
	buffer_gl0_inv
	v_cmpx_gt_u32_e32 27, v0
	s_cbranch_execz .LBB38_519
; %bb.512:
	ds_read_b128 v[1:4], v6
	v_cmp_ne_u32_e32 vcc_lo, 1, v7
	s_cbranch_vccnz .LBB38_514
; %bb.513:
	s_clause 0x3
	buffer_load_dword v8, v5, s[0:3], 0 offen offset:8
	buffer_load_dword v9, v5, s[0:3], 0 offen offset:12
	buffer_load_dword v10, v5, s[0:3], 0 offen
	buffer_load_dword v11, v5, s[0:3], 0 offen offset:4
	s_waitcnt vmcnt(2) lgkmcnt(0)
	v_mul_f64 v[12:13], v[3:4], v[8:9]
	v_mul_f64 v[8:9], v[1:2], v[8:9]
	s_waitcnt vmcnt(0)
	v_fma_f64 v[1:2], v[1:2], v[10:11], -v[12:13]
	v_fma_f64 v[3:4], v[3:4], v[10:11], v[8:9]
.LBB38_514:
	s_mov_b32 s8, exec_lo
	v_cmpx_ne_u32_e32 26, v0
	s_cbranch_execz .LBB38_518
; %bb.515:
	v_add_nc_u32_e32 v8, 0x280, v103
	v_add3_u32 v9, 0, v103, 16
	v_mov_b32_e32 v10, v0
	s_mov_b32 s46, 0
	.p2align	6
.LBB38_516:                             ; =>This Inner Loop Header: Depth=1
	s_clause 0x3
	buffer_load_dword v15, v9, s[0:3], 0 offen offset:8
	buffer_load_dword v16, v9, s[0:3], 0 offen offset:12
	buffer_load_dword v17, v9, s[0:3], 0 offen
	buffer_load_dword v18, v9, s[0:3], 0 offen offset:4
	ds_read_b128 v[11:14], v8
	v_add_nc_u32_e32 v10, 1, v10
	v_add_nc_u32_e32 v8, 16, v8
	;; [unrolled: 1-line block ×3, first 2 shown]
	v_cmp_lt_u32_e32 vcc_lo, 25, v10
	s_or_b32 s46, vcc_lo, s46
	s_waitcnt vmcnt(2) lgkmcnt(0)
	v_mul_f64 v[19:20], v[13:14], v[15:16]
	v_mul_f64 v[15:16], v[11:12], v[15:16]
	s_waitcnt vmcnt(0)
	v_fma_f64 v[11:12], v[11:12], v[17:18], -v[19:20]
	v_fma_f64 v[13:14], v[13:14], v[17:18], v[15:16]
	v_add_f64 v[1:2], v[1:2], v[11:12]
	v_add_f64 v[3:4], v[3:4], v[13:14]
	s_andn2_b32 exec_lo, exec_lo, s46
	s_cbranch_execnz .LBB38_516
; %bb.517:
	s_or_b32 exec_lo, exec_lo, s46
.LBB38_518:
	s_or_b32 exec_lo, exec_lo, s8
	v_mov_b32_e32 v8, 0
	ds_read_b128 v[8:11], v8 offset:432
	s_waitcnt lgkmcnt(0)
	v_mul_f64 v[12:13], v[3:4], v[10:11]
	v_mul_f64 v[10:11], v[1:2], v[10:11]
	v_fma_f64 v[1:2], v[1:2], v[8:9], -v[12:13]
	v_fma_f64 v[3:4], v[3:4], v[8:9], v[10:11]
	buffer_store_dword v2, off, s[0:3], 0 offset:436
	buffer_store_dword v1, off, s[0:3], 0 offset:432
	;; [unrolled: 1-line block ×4, first 2 shown]
.LBB38_519:
	s_or_b32 exec_lo, exec_lo, s4
	v_mov_b32_e32 v4, s17
	s_mov_b32 s4, exec_lo
	s_clause 0x3
	buffer_load_dword v1, v4, s[0:3], 0 offen
	buffer_load_dword v2, v4, s[0:3], 0 offen offset:4
	buffer_load_dword v3, v4, s[0:3], 0 offen offset:8
	;; [unrolled: 1-line block ×3, first 2 shown]
	s_waitcnt vmcnt(0)
	ds_write_b128 v6, v[1:4]
	s_waitcnt lgkmcnt(0)
	s_waitcnt_vscnt null, 0x0
	s_barrier
	buffer_gl0_inv
	v_cmpx_gt_u32_e32 28, v0
	s_cbranch_execz .LBB38_527
; %bb.520:
	ds_read_b128 v[1:4], v6
	v_cmp_ne_u32_e32 vcc_lo, 1, v7
	s_cbranch_vccnz .LBB38_522
; %bb.521:
	s_clause 0x3
	buffer_load_dword v8, v5, s[0:3], 0 offen offset:8
	buffer_load_dword v9, v5, s[0:3], 0 offen offset:12
	buffer_load_dword v10, v5, s[0:3], 0 offen
	buffer_load_dword v11, v5, s[0:3], 0 offen offset:4
	s_waitcnt vmcnt(2) lgkmcnt(0)
	v_mul_f64 v[12:13], v[3:4], v[8:9]
	v_mul_f64 v[8:9], v[1:2], v[8:9]
	s_waitcnt vmcnt(0)
	v_fma_f64 v[1:2], v[1:2], v[10:11], -v[12:13]
	v_fma_f64 v[3:4], v[3:4], v[10:11], v[8:9]
.LBB38_522:
	s_mov_b32 s8, exec_lo
	v_cmpx_ne_u32_e32 27, v0
	s_cbranch_execz .LBB38_526
; %bb.523:
	v_add_nc_u32_e32 v8, 0x280, v103
	v_add3_u32 v9, 0, v103, 16
	v_mov_b32_e32 v10, v0
	s_mov_b32 s46, 0
	.p2align	6
.LBB38_524:                             ; =>This Inner Loop Header: Depth=1
	s_clause 0x3
	buffer_load_dword v15, v9, s[0:3], 0 offen offset:8
	buffer_load_dword v16, v9, s[0:3], 0 offen offset:12
	buffer_load_dword v17, v9, s[0:3], 0 offen
	buffer_load_dword v18, v9, s[0:3], 0 offen offset:4
	ds_read_b128 v[11:14], v8
	v_add_nc_u32_e32 v10, 1, v10
	v_add_nc_u32_e32 v8, 16, v8
	;; [unrolled: 1-line block ×3, first 2 shown]
	v_cmp_lt_u32_e32 vcc_lo, 26, v10
	s_or_b32 s46, vcc_lo, s46
	s_waitcnt vmcnt(2) lgkmcnt(0)
	v_mul_f64 v[19:20], v[13:14], v[15:16]
	v_mul_f64 v[15:16], v[11:12], v[15:16]
	s_waitcnt vmcnt(0)
	v_fma_f64 v[11:12], v[11:12], v[17:18], -v[19:20]
	v_fma_f64 v[13:14], v[13:14], v[17:18], v[15:16]
	v_add_f64 v[1:2], v[1:2], v[11:12]
	v_add_f64 v[3:4], v[3:4], v[13:14]
	s_andn2_b32 exec_lo, exec_lo, s46
	s_cbranch_execnz .LBB38_524
; %bb.525:
	s_or_b32 exec_lo, exec_lo, s46
.LBB38_526:
	s_or_b32 exec_lo, exec_lo, s8
	v_mov_b32_e32 v8, 0
	ds_read_b128 v[8:11], v8 offset:448
	s_waitcnt lgkmcnt(0)
	v_mul_f64 v[12:13], v[3:4], v[10:11]
	v_mul_f64 v[10:11], v[1:2], v[10:11]
	v_fma_f64 v[1:2], v[1:2], v[8:9], -v[12:13]
	v_fma_f64 v[3:4], v[3:4], v[8:9], v[10:11]
	buffer_store_dword v2, off, s[0:3], 0 offset:452
	buffer_store_dword v1, off, s[0:3], 0 offset:448
	;; [unrolled: 1-line block ×4, first 2 shown]
.LBB38_527:
	s_or_b32 exec_lo, exec_lo, s4
	v_mov_b32_e32 v4, s16
	s_mov_b32 s4, exec_lo
	s_clause 0x3
	buffer_load_dword v1, v4, s[0:3], 0 offen
	buffer_load_dword v2, v4, s[0:3], 0 offen offset:4
	buffer_load_dword v3, v4, s[0:3], 0 offen offset:8
	;; [unrolled: 1-line block ×3, first 2 shown]
	s_waitcnt vmcnt(0)
	ds_write_b128 v6, v[1:4]
	s_waitcnt lgkmcnt(0)
	s_waitcnt_vscnt null, 0x0
	s_barrier
	buffer_gl0_inv
	v_cmpx_gt_u32_e32 29, v0
	s_cbranch_execz .LBB38_535
; %bb.528:
	ds_read_b128 v[1:4], v6
	v_cmp_ne_u32_e32 vcc_lo, 1, v7
	s_cbranch_vccnz .LBB38_530
; %bb.529:
	s_clause 0x3
	buffer_load_dword v8, v5, s[0:3], 0 offen offset:8
	buffer_load_dword v9, v5, s[0:3], 0 offen offset:12
	buffer_load_dword v10, v5, s[0:3], 0 offen
	buffer_load_dword v11, v5, s[0:3], 0 offen offset:4
	s_waitcnt vmcnt(2) lgkmcnt(0)
	v_mul_f64 v[12:13], v[3:4], v[8:9]
	v_mul_f64 v[8:9], v[1:2], v[8:9]
	s_waitcnt vmcnt(0)
	v_fma_f64 v[1:2], v[1:2], v[10:11], -v[12:13]
	v_fma_f64 v[3:4], v[3:4], v[10:11], v[8:9]
.LBB38_530:
	s_mov_b32 s8, exec_lo
	v_cmpx_ne_u32_e32 28, v0
	s_cbranch_execz .LBB38_534
; %bb.531:
	v_add_nc_u32_e32 v8, 0x280, v103
	v_add3_u32 v9, 0, v103, 16
	v_mov_b32_e32 v10, v0
	s_mov_b32 s46, 0
	.p2align	6
.LBB38_532:                             ; =>This Inner Loop Header: Depth=1
	s_clause 0x3
	buffer_load_dword v15, v9, s[0:3], 0 offen offset:8
	buffer_load_dword v16, v9, s[0:3], 0 offen offset:12
	buffer_load_dword v17, v9, s[0:3], 0 offen
	buffer_load_dword v18, v9, s[0:3], 0 offen offset:4
	ds_read_b128 v[11:14], v8
	v_add_nc_u32_e32 v10, 1, v10
	v_add_nc_u32_e32 v8, 16, v8
	;; [unrolled: 1-line block ×3, first 2 shown]
	v_cmp_lt_u32_e32 vcc_lo, 27, v10
	s_or_b32 s46, vcc_lo, s46
	s_waitcnt vmcnt(2) lgkmcnt(0)
	v_mul_f64 v[19:20], v[13:14], v[15:16]
	v_mul_f64 v[15:16], v[11:12], v[15:16]
	s_waitcnt vmcnt(0)
	v_fma_f64 v[11:12], v[11:12], v[17:18], -v[19:20]
	v_fma_f64 v[13:14], v[13:14], v[17:18], v[15:16]
	v_add_f64 v[1:2], v[1:2], v[11:12]
	v_add_f64 v[3:4], v[3:4], v[13:14]
	s_andn2_b32 exec_lo, exec_lo, s46
	s_cbranch_execnz .LBB38_532
; %bb.533:
	s_or_b32 exec_lo, exec_lo, s46
.LBB38_534:
	s_or_b32 exec_lo, exec_lo, s8
	v_mov_b32_e32 v8, 0
	ds_read_b128 v[8:11], v8 offset:464
	s_waitcnt lgkmcnt(0)
	v_mul_f64 v[12:13], v[3:4], v[10:11]
	v_mul_f64 v[10:11], v[1:2], v[10:11]
	v_fma_f64 v[1:2], v[1:2], v[8:9], -v[12:13]
	v_fma_f64 v[3:4], v[3:4], v[8:9], v[10:11]
	buffer_store_dword v2, off, s[0:3], 0 offset:468
	buffer_store_dword v1, off, s[0:3], 0 offset:464
	;; [unrolled: 1-line block ×4, first 2 shown]
.LBB38_535:
	s_or_b32 exec_lo, exec_lo, s4
	v_mov_b32_e32 v4, s15
	s_mov_b32 s4, exec_lo
	s_clause 0x3
	buffer_load_dword v1, v4, s[0:3], 0 offen
	buffer_load_dword v2, v4, s[0:3], 0 offen offset:4
	buffer_load_dword v3, v4, s[0:3], 0 offen offset:8
	;; [unrolled: 1-line block ×3, first 2 shown]
	s_waitcnt vmcnt(0)
	ds_write_b128 v6, v[1:4]
	s_waitcnt lgkmcnt(0)
	s_waitcnt_vscnt null, 0x0
	s_barrier
	buffer_gl0_inv
	v_cmpx_gt_u32_e32 30, v0
	s_cbranch_execz .LBB38_543
; %bb.536:
	ds_read_b128 v[1:4], v6
	v_cmp_ne_u32_e32 vcc_lo, 1, v7
	s_cbranch_vccnz .LBB38_538
; %bb.537:
	s_clause 0x3
	buffer_load_dword v8, v5, s[0:3], 0 offen offset:8
	buffer_load_dword v9, v5, s[0:3], 0 offen offset:12
	buffer_load_dword v10, v5, s[0:3], 0 offen
	buffer_load_dword v11, v5, s[0:3], 0 offen offset:4
	s_waitcnt vmcnt(2) lgkmcnt(0)
	v_mul_f64 v[12:13], v[3:4], v[8:9]
	v_mul_f64 v[8:9], v[1:2], v[8:9]
	s_waitcnt vmcnt(0)
	v_fma_f64 v[1:2], v[1:2], v[10:11], -v[12:13]
	v_fma_f64 v[3:4], v[3:4], v[10:11], v[8:9]
.LBB38_538:
	s_mov_b32 s8, exec_lo
	v_cmpx_ne_u32_e32 29, v0
	s_cbranch_execz .LBB38_542
; %bb.539:
	v_add_nc_u32_e32 v8, 0x280, v103
	v_add3_u32 v9, 0, v103, 16
	v_mov_b32_e32 v10, v0
	s_mov_b32 s46, 0
	.p2align	6
.LBB38_540:                             ; =>This Inner Loop Header: Depth=1
	s_clause 0x3
	buffer_load_dword v15, v9, s[0:3], 0 offen offset:8
	buffer_load_dword v16, v9, s[0:3], 0 offen offset:12
	buffer_load_dword v17, v9, s[0:3], 0 offen
	buffer_load_dword v18, v9, s[0:3], 0 offen offset:4
	ds_read_b128 v[11:14], v8
	v_add_nc_u32_e32 v10, 1, v10
	v_add_nc_u32_e32 v8, 16, v8
	;; [unrolled: 1-line block ×3, first 2 shown]
	v_cmp_lt_u32_e32 vcc_lo, 28, v10
	s_or_b32 s46, vcc_lo, s46
	s_waitcnt vmcnt(2) lgkmcnt(0)
	v_mul_f64 v[19:20], v[13:14], v[15:16]
	v_mul_f64 v[15:16], v[11:12], v[15:16]
	s_waitcnt vmcnt(0)
	v_fma_f64 v[11:12], v[11:12], v[17:18], -v[19:20]
	v_fma_f64 v[13:14], v[13:14], v[17:18], v[15:16]
	v_add_f64 v[1:2], v[1:2], v[11:12]
	v_add_f64 v[3:4], v[3:4], v[13:14]
	s_andn2_b32 exec_lo, exec_lo, s46
	s_cbranch_execnz .LBB38_540
; %bb.541:
	s_or_b32 exec_lo, exec_lo, s46
.LBB38_542:
	s_or_b32 exec_lo, exec_lo, s8
	v_mov_b32_e32 v8, 0
	ds_read_b128 v[8:11], v8 offset:480
	s_waitcnt lgkmcnt(0)
	v_mul_f64 v[12:13], v[3:4], v[10:11]
	v_mul_f64 v[10:11], v[1:2], v[10:11]
	v_fma_f64 v[1:2], v[1:2], v[8:9], -v[12:13]
	v_fma_f64 v[3:4], v[3:4], v[8:9], v[10:11]
	buffer_store_dword v2, off, s[0:3], 0 offset:484
	buffer_store_dword v1, off, s[0:3], 0 offset:480
	;; [unrolled: 1-line block ×4, first 2 shown]
.LBB38_543:
	s_or_b32 exec_lo, exec_lo, s4
	v_mov_b32_e32 v4, s14
	s_mov_b32 s4, exec_lo
	s_clause 0x3
	buffer_load_dword v1, v4, s[0:3], 0 offen
	buffer_load_dword v2, v4, s[0:3], 0 offen offset:4
	buffer_load_dword v3, v4, s[0:3], 0 offen offset:8
	;; [unrolled: 1-line block ×3, first 2 shown]
	s_waitcnt vmcnt(0)
	ds_write_b128 v6, v[1:4]
	s_waitcnt lgkmcnt(0)
	s_waitcnt_vscnt null, 0x0
	s_barrier
	buffer_gl0_inv
	v_cmpx_gt_u32_e32 31, v0
	s_cbranch_execz .LBB38_551
; %bb.544:
	ds_read_b128 v[1:4], v6
	v_cmp_ne_u32_e32 vcc_lo, 1, v7
	s_cbranch_vccnz .LBB38_546
; %bb.545:
	s_clause 0x3
	buffer_load_dword v8, v5, s[0:3], 0 offen offset:8
	buffer_load_dword v9, v5, s[0:3], 0 offen offset:12
	buffer_load_dword v10, v5, s[0:3], 0 offen
	buffer_load_dword v11, v5, s[0:3], 0 offen offset:4
	s_waitcnt vmcnt(2) lgkmcnt(0)
	v_mul_f64 v[12:13], v[3:4], v[8:9]
	v_mul_f64 v[8:9], v[1:2], v[8:9]
	s_waitcnt vmcnt(0)
	v_fma_f64 v[1:2], v[1:2], v[10:11], -v[12:13]
	v_fma_f64 v[3:4], v[3:4], v[10:11], v[8:9]
.LBB38_546:
	s_mov_b32 s8, exec_lo
	v_cmpx_ne_u32_e32 30, v0
	s_cbranch_execz .LBB38_550
; %bb.547:
	v_add_nc_u32_e32 v8, 0x280, v103
	v_add3_u32 v9, 0, v103, 16
	v_mov_b32_e32 v10, v0
	s_mov_b32 s46, 0
	.p2align	6
.LBB38_548:                             ; =>This Inner Loop Header: Depth=1
	s_clause 0x3
	buffer_load_dword v15, v9, s[0:3], 0 offen offset:8
	buffer_load_dword v16, v9, s[0:3], 0 offen offset:12
	buffer_load_dword v17, v9, s[0:3], 0 offen
	buffer_load_dword v18, v9, s[0:3], 0 offen offset:4
	ds_read_b128 v[11:14], v8
	v_add_nc_u32_e32 v10, 1, v10
	v_add_nc_u32_e32 v8, 16, v8
	v_add_nc_u32_e32 v9, 16, v9
	v_cmp_lt_u32_e32 vcc_lo, 29, v10
	s_or_b32 s46, vcc_lo, s46
	s_waitcnt vmcnt(2) lgkmcnt(0)
	v_mul_f64 v[19:20], v[13:14], v[15:16]
	v_mul_f64 v[15:16], v[11:12], v[15:16]
	s_waitcnt vmcnt(0)
	v_fma_f64 v[11:12], v[11:12], v[17:18], -v[19:20]
	v_fma_f64 v[13:14], v[13:14], v[17:18], v[15:16]
	v_add_f64 v[1:2], v[1:2], v[11:12]
	v_add_f64 v[3:4], v[3:4], v[13:14]
	s_andn2_b32 exec_lo, exec_lo, s46
	s_cbranch_execnz .LBB38_548
; %bb.549:
	s_or_b32 exec_lo, exec_lo, s46
.LBB38_550:
	s_or_b32 exec_lo, exec_lo, s8
	v_mov_b32_e32 v8, 0
	ds_read_b128 v[8:11], v8 offset:496
	s_waitcnt lgkmcnt(0)
	v_mul_f64 v[12:13], v[3:4], v[10:11]
	v_mul_f64 v[10:11], v[1:2], v[10:11]
	v_fma_f64 v[1:2], v[1:2], v[8:9], -v[12:13]
	v_fma_f64 v[3:4], v[3:4], v[8:9], v[10:11]
	buffer_store_dword v2, off, s[0:3], 0 offset:500
	buffer_store_dword v1, off, s[0:3], 0 offset:496
	;; [unrolled: 1-line block ×4, first 2 shown]
.LBB38_551:
	s_or_b32 exec_lo, exec_lo, s4
	v_mov_b32_e32 v4, s13
	s_mov_b32 s4, exec_lo
	s_clause 0x3
	buffer_load_dword v1, v4, s[0:3], 0 offen
	buffer_load_dword v2, v4, s[0:3], 0 offen offset:4
	buffer_load_dword v3, v4, s[0:3], 0 offen offset:8
	;; [unrolled: 1-line block ×3, first 2 shown]
	s_waitcnt vmcnt(0)
	ds_write_b128 v6, v[1:4]
	s_waitcnt lgkmcnt(0)
	s_waitcnt_vscnt null, 0x0
	s_barrier
	buffer_gl0_inv
	v_cmpx_gt_u32_e32 32, v0
	s_cbranch_execz .LBB38_559
; %bb.552:
	ds_read_b128 v[1:4], v6
	v_cmp_ne_u32_e32 vcc_lo, 1, v7
	s_cbranch_vccnz .LBB38_554
; %bb.553:
	s_clause 0x3
	buffer_load_dword v8, v5, s[0:3], 0 offen offset:8
	buffer_load_dword v9, v5, s[0:3], 0 offen offset:12
	buffer_load_dword v10, v5, s[0:3], 0 offen
	buffer_load_dword v11, v5, s[0:3], 0 offen offset:4
	s_waitcnt vmcnt(2) lgkmcnt(0)
	v_mul_f64 v[12:13], v[3:4], v[8:9]
	v_mul_f64 v[8:9], v[1:2], v[8:9]
	s_waitcnt vmcnt(0)
	v_fma_f64 v[1:2], v[1:2], v[10:11], -v[12:13]
	v_fma_f64 v[3:4], v[3:4], v[10:11], v[8:9]
.LBB38_554:
	s_mov_b32 s8, exec_lo
	v_cmpx_ne_u32_e32 31, v0
	s_cbranch_execz .LBB38_558
; %bb.555:
	v_add_nc_u32_e32 v8, 0x280, v103
	v_add3_u32 v9, 0, v103, 16
	v_mov_b32_e32 v10, v0
	s_mov_b32 s46, 0
	.p2align	6
.LBB38_556:                             ; =>This Inner Loop Header: Depth=1
	s_clause 0x3
	buffer_load_dword v15, v9, s[0:3], 0 offen offset:8
	buffer_load_dword v16, v9, s[0:3], 0 offen offset:12
	buffer_load_dword v17, v9, s[0:3], 0 offen
	buffer_load_dword v18, v9, s[0:3], 0 offen offset:4
	ds_read_b128 v[11:14], v8
	v_add_nc_u32_e32 v10, 1, v10
	v_add_nc_u32_e32 v8, 16, v8
	;; [unrolled: 1-line block ×3, first 2 shown]
	v_cmp_lt_u32_e32 vcc_lo, 30, v10
	s_or_b32 s46, vcc_lo, s46
	s_waitcnt vmcnt(2) lgkmcnt(0)
	v_mul_f64 v[19:20], v[13:14], v[15:16]
	v_mul_f64 v[15:16], v[11:12], v[15:16]
	s_waitcnt vmcnt(0)
	v_fma_f64 v[11:12], v[11:12], v[17:18], -v[19:20]
	v_fma_f64 v[13:14], v[13:14], v[17:18], v[15:16]
	v_add_f64 v[1:2], v[1:2], v[11:12]
	v_add_f64 v[3:4], v[3:4], v[13:14]
	s_andn2_b32 exec_lo, exec_lo, s46
	s_cbranch_execnz .LBB38_556
; %bb.557:
	s_or_b32 exec_lo, exec_lo, s46
.LBB38_558:
	s_or_b32 exec_lo, exec_lo, s8
	v_mov_b32_e32 v8, 0
	ds_read_b128 v[8:11], v8 offset:512
	s_waitcnt lgkmcnt(0)
	v_mul_f64 v[12:13], v[3:4], v[10:11]
	v_mul_f64 v[10:11], v[1:2], v[10:11]
	v_fma_f64 v[1:2], v[1:2], v[8:9], -v[12:13]
	v_fma_f64 v[3:4], v[3:4], v[8:9], v[10:11]
	buffer_store_dword v2, off, s[0:3], 0 offset:516
	buffer_store_dword v1, off, s[0:3], 0 offset:512
	;; [unrolled: 1-line block ×4, first 2 shown]
.LBB38_559:
	s_or_b32 exec_lo, exec_lo, s4
	v_mov_b32_e32 v4, s12
	s_mov_b32 s4, exec_lo
	s_clause 0x3
	buffer_load_dword v1, v4, s[0:3], 0 offen
	buffer_load_dword v2, v4, s[0:3], 0 offen offset:4
	buffer_load_dword v3, v4, s[0:3], 0 offen offset:8
	;; [unrolled: 1-line block ×3, first 2 shown]
	s_waitcnt vmcnt(0)
	ds_write_b128 v6, v[1:4]
	s_waitcnt lgkmcnt(0)
	s_waitcnt_vscnt null, 0x0
	s_barrier
	buffer_gl0_inv
	v_cmpx_gt_u32_e32 33, v0
	s_cbranch_execz .LBB38_567
; %bb.560:
	ds_read_b128 v[1:4], v6
	v_cmp_ne_u32_e32 vcc_lo, 1, v7
	s_cbranch_vccnz .LBB38_562
; %bb.561:
	s_clause 0x3
	buffer_load_dword v8, v5, s[0:3], 0 offen offset:8
	buffer_load_dword v9, v5, s[0:3], 0 offen offset:12
	buffer_load_dword v10, v5, s[0:3], 0 offen
	buffer_load_dword v11, v5, s[0:3], 0 offen offset:4
	s_waitcnt vmcnt(2) lgkmcnt(0)
	v_mul_f64 v[12:13], v[3:4], v[8:9]
	v_mul_f64 v[8:9], v[1:2], v[8:9]
	s_waitcnt vmcnt(0)
	v_fma_f64 v[1:2], v[1:2], v[10:11], -v[12:13]
	v_fma_f64 v[3:4], v[3:4], v[10:11], v[8:9]
.LBB38_562:
	s_mov_b32 s8, exec_lo
	v_cmpx_ne_u32_e32 32, v0
	s_cbranch_execz .LBB38_566
; %bb.563:
	v_add_nc_u32_e32 v8, 0x280, v103
	v_add3_u32 v9, 0, v103, 16
	v_mov_b32_e32 v10, v0
	s_mov_b32 s46, 0
	.p2align	6
.LBB38_564:                             ; =>This Inner Loop Header: Depth=1
	s_clause 0x3
	buffer_load_dword v15, v9, s[0:3], 0 offen offset:8
	buffer_load_dword v16, v9, s[0:3], 0 offen offset:12
	buffer_load_dword v17, v9, s[0:3], 0 offen
	buffer_load_dword v18, v9, s[0:3], 0 offen offset:4
	ds_read_b128 v[11:14], v8
	v_add_nc_u32_e32 v10, 1, v10
	v_add_nc_u32_e32 v8, 16, v8
	;; [unrolled: 1-line block ×3, first 2 shown]
	v_cmp_lt_u32_e32 vcc_lo, 31, v10
	s_or_b32 s46, vcc_lo, s46
	s_waitcnt vmcnt(2) lgkmcnt(0)
	v_mul_f64 v[19:20], v[13:14], v[15:16]
	v_mul_f64 v[15:16], v[11:12], v[15:16]
	s_waitcnt vmcnt(0)
	v_fma_f64 v[11:12], v[11:12], v[17:18], -v[19:20]
	v_fma_f64 v[13:14], v[13:14], v[17:18], v[15:16]
	v_add_f64 v[1:2], v[1:2], v[11:12]
	v_add_f64 v[3:4], v[3:4], v[13:14]
	s_andn2_b32 exec_lo, exec_lo, s46
	s_cbranch_execnz .LBB38_564
; %bb.565:
	s_or_b32 exec_lo, exec_lo, s46
.LBB38_566:
	s_or_b32 exec_lo, exec_lo, s8
	v_mov_b32_e32 v8, 0
	ds_read_b128 v[8:11], v8 offset:528
	s_waitcnt lgkmcnt(0)
	v_mul_f64 v[12:13], v[3:4], v[10:11]
	v_mul_f64 v[10:11], v[1:2], v[10:11]
	v_fma_f64 v[1:2], v[1:2], v[8:9], -v[12:13]
	v_fma_f64 v[3:4], v[3:4], v[8:9], v[10:11]
	buffer_store_dword v2, off, s[0:3], 0 offset:532
	buffer_store_dword v1, off, s[0:3], 0 offset:528
	;; [unrolled: 1-line block ×4, first 2 shown]
.LBB38_567:
	s_or_b32 exec_lo, exec_lo, s4
	v_mov_b32_e32 v4, s11
	s_mov_b32 s4, exec_lo
	s_clause 0x3
	buffer_load_dword v1, v4, s[0:3], 0 offen
	buffer_load_dword v2, v4, s[0:3], 0 offen offset:4
	buffer_load_dword v3, v4, s[0:3], 0 offen offset:8
	;; [unrolled: 1-line block ×3, first 2 shown]
	s_waitcnt vmcnt(0)
	ds_write_b128 v6, v[1:4]
	s_waitcnt lgkmcnt(0)
	s_waitcnt_vscnt null, 0x0
	s_barrier
	buffer_gl0_inv
	v_cmpx_gt_u32_e32 34, v0
	s_cbranch_execz .LBB38_575
; %bb.568:
	ds_read_b128 v[1:4], v6
	v_cmp_ne_u32_e32 vcc_lo, 1, v7
	s_cbranch_vccnz .LBB38_570
; %bb.569:
	s_clause 0x3
	buffer_load_dword v8, v5, s[0:3], 0 offen offset:8
	buffer_load_dword v9, v5, s[0:3], 0 offen offset:12
	buffer_load_dword v10, v5, s[0:3], 0 offen
	buffer_load_dword v11, v5, s[0:3], 0 offen offset:4
	s_waitcnt vmcnt(2) lgkmcnt(0)
	v_mul_f64 v[12:13], v[3:4], v[8:9]
	v_mul_f64 v[8:9], v[1:2], v[8:9]
	s_waitcnt vmcnt(0)
	v_fma_f64 v[1:2], v[1:2], v[10:11], -v[12:13]
	v_fma_f64 v[3:4], v[3:4], v[10:11], v[8:9]
.LBB38_570:
	s_mov_b32 s8, exec_lo
	v_cmpx_ne_u32_e32 33, v0
	s_cbranch_execz .LBB38_574
; %bb.571:
	v_add_nc_u32_e32 v8, 0x280, v103
	v_add3_u32 v9, 0, v103, 16
	v_mov_b32_e32 v10, v0
	s_mov_b32 s46, 0
	.p2align	6
.LBB38_572:                             ; =>This Inner Loop Header: Depth=1
	s_clause 0x3
	buffer_load_dword v15, v9, s[0:3], 0 offen offset:8
	buffer_load_dword v16, v9, s[0:3], 0 offen offset:12
	buffer_load_dword v17, v9, s[0:3], 0 offen
	buffer_load_dword v18, v9, s[0:3], 0 offen offset:4
	ds_read_b128 v[11:14], v8
	v_add_nc_u32_e32 v10, 1, v10
	v_add_nc_u32_e32 v8, 16, v8
	;; [unrolled: 1-line block ×3, first 2 shown]
	v_cmp_lt_u32_e32 vcc_lo, 32, v10
	s_or_b32 s46, vcc_lo, s46
	s_waitcnt vmcnt(2) lgkmcnt(0)
	v_mul_f64 v[19:20], v[13:14], v[15:16]
	v_mul_f64 v[15:16], v[11:12], v[15:16]
	s_waitcnt vmcnt(0)
	v_fma_f64 v[11:12], v[11:12], v[17:18], -v[19:20]
	v_fma_f64 v[13:14], v[13:14], v[17:18], v[15:16]
	v_add_f64 v[1:2], v[1:2], v[11:12]
	v_add_f64 v[3:4], v[3:4], v[13:14]
	s_andn2_b32 exec_lo, exec_lo, s46
	s_cbranch_execnz .LBB38_572
; %bb.573:
	s_or_b32 exec_lo, exec_lo, s46
.LBB38_574:
	s_or_b32 exec_lo, exec_lo, s8
	v_mov_b32_e32 v8, 0
	ds_read_b128 v[8:11], v8 offset:544
	s_waitcnt lgkmcnt(0)
	v_mul_f64 v[12:13], v[3:4], v[10:11]
	v_mul_f64 v[10:11], v[1:2], v[10:11]
	v_fma_f64 v[1:2], v[1:2], v[8:9], -v[12:13]
	v_fma_f64 v[3:4], v[3:4], v[8:9], v[10:11]
	buffer_store_dword v2, off, s[0:3], 0 offset:548
	buffer_store_dword v1, off, s[0:3], 0 offset:544
	buffer_store_dword v4, off, s[0:3], 0 offset:556
	buffer_store_dword v3, off, s[0:3], 0 offset:552
.LBB38_575:
	s_or_b32 exec_lo, exec_lo, s4
	v_mov_b32_e32 v4, s10
	s_mov_b32 s4, exec_lo
	s_clause 0x3
	buffer_load_dword v1, v4, s[0:3], 0 offen
	buffer_load_dword v2, v4, s[0:3], 0 offen offset:4
	buffer_load_dword v3, v4, s[0:3], 0 offen offset:8
	;; [unrolled: 1-line block ×3, first 2 shown]
	s_waitcnt vmcnt(0)
	ds_write_b128 v6, v[1:4]
	s_waitcnt lgkmcnt(0)
	s_waitcnt_vscnt null, 0x0
	s_barrier
	buffer_gl0_inv
	v_cmpx_gt_u32_e32 35, v0
	s_cbranch_execz .LBB38_583
; %bb.576:
	ds_read_b128 v[1:4], v6
	v_cmp_ne_u32_e32 vcc_lo, 1, v7
	s_cbranch_vccnz .LBB38_578
; %bb.577:
	s_clause 0x3
	buffer_load_dword v8, v5, s[0:3], 0 offen offset:8
	buffer_load_dword v9, v5, s[0:3], 0 offen offset:12
	buffer_load_dword v10, v5, s[0:3], 0 offen
	buffer_load_dword v11, v5, s[0:3], 0 offen offset:4
	s_waitcnt vmcnt(2) lgkmcnt(0)
	v_mul_f64 v[12:13], v[3:4], v[8:9]
	v_mul_f64 v[8:9], v[1:2], v[8:9]
	s_waitcnt vmcnt(0)
	v_fma_f64 v[1:2], v[1:2], v[10:11], -v[12:13]
	v_fma_f64 v[3:4], v[3:4], v[10:11], v[8:9]
.LBB38_578:
	s_mov_b32 s8, exec_lo
	v_cmpx_ne_u32_e32 34, v0
	s_cbranch_execz .LBB38_582
; %bb.579:
	v_add_nc_u32_e32 v8, 0x280, v103
	v_add3_u32 v9, 0, v103, 16
	v_mov_b32_e32 v10, v0
	s_mov_b32 s46, 0
	.p2align	6
.LBB38_580:                             ; =>This Inner Loop Header: Depth=1
	s_clause 0x3
	buffer_load_dword v15, v9, s[0:3], 0 offen offset:8
	buffer_load_dword v16, v9, s[0:3], 0 offen offset:12
	buffer_load_dword v17, v9, s[0:3], 0 offen
	buffer_load_dword v18, v9, s[0:3], 0 offen offset:4
	ds_read_b128 v[11:14], v8
	v_add_nc_u32_e32 v10, 1, v10
	v_add_nc_u32_e32 v8, 16, v8
	;; [unrolled: 1-line block ×3, first 2 shown]
	v_cmp_lt_u32_e32 vcc_lo, 33, v10
	s_or_b32 s46, vcc_lo, s46
	s_waitcnt vmcnt(2) lgkmcnt(0)
	v_mul_f64 v[19:20], v[13:14], v[15:16]
	v_mul_f64 v[15:16], v[11:12], v[15:16]
	s_waitcnt vmcnt(0)
	v_fma_f64 v[11:12], v[11:12], v[17:18], -v[19:20]
	v_fma_f64 v[13:14], v[13:14], v[17:18], v[15:16]
	v_add_f64 v[1:2], v[1:2], v[11:12]
	v_add_f64 v[3:4], v[3:4], v[13:14]
	s_andn2_b32 exec_lo, exec_lo, s46
	s_cbranch_execnz .LBB38_580
; %bb.581:
	s_or_b32 exec_lo, exec_lo, s46
.LBB38_582:
	s_or_b32 exec_lo, exec_lo, s8
	v_mov_b32_e32 v8, 0
	ds_read_b128 v[8:11], v8 offset:560
	s_waitcnt lgkmcnt(0)
	v_mul_f64 v[12:13], v[3:4], v[10:11]
	v_mul_f64 v[10:11], v[1:2], v[10:11]
	v_fma_f64 v[1:2], v[1:2], v[8:9], -v[12:13]
	v_fma_f64 v[3:4], v[3:4], v[8:9], v[10:11]
	buffer_store_dword v2, off, s[0:3], 0 offset:564
	buffer_store_dword v1, off, s[0:3], 0 offset:560
	;; [unrolled: 1-line block ×4, first 2 shown]
.LBB38_583:
	s_or_b32 exec_lo, exec_lo, s4
	v_mov_b32_e32 v4, s9
	s_mov_b32 s4, exec_lo
	s_clause 0x3
	buffer_load_dword v1, v4, s[0:3], 0 offen
	buffer_load_dword v2, v4, s[0:3], 0 offen offset:4
	buffer_load_dword v3, v4, s[0:3], 0 offen offset:8
	;; [unrolled: 1-line block ×3, first 2 shown]
	s_waitcnt vmcnt(0)
	ds_write_b128 v6, v[1:4]
	s_waitcnt lgkmcnt(0)
	s_waitcnt_vscnt null, 0x0
	s_barrier
	buffer_gl0_inv
	v_cmpx_gt_u32_e32 36, v0
	s_cbranch_execz .LBB38_591
; %bb.584:
	ds_read_b128 v[1:4], v6
	v_cmp_ne_u32_e32 vcc_lo, 1, v7
	s_cbranch_vccnz .LBB38_586
; %bb.585:
	s_clause 0x3
	buffer_load_dword v8, v5, s[0:3], 0 offen offset:8
	buffer_load_dword v9, v5, s[0:3], 0 offen offset:12
	buffer_load_dword v10, v5, s[0:3], 0 offen
	buffer_load_dword v11, v5, s[0:3], 0 offen offset:4
	s_waitcnt vmcnt(2) lgkmcnt(0)
	v_mul_f64 v[12:13], v[3:4], v[8:9]
	v_mul_f64 v[8:9], v[1:2], v[8:9]
	s_waitcnt vmcnt(0)
	v_fma_f64 v[1:2], v[1:2], v[10:11], -v[12:13]
	v_fma_f64 v[3:4], v[3:4], v[10:11], v[8:9]
.LBB38_586:
	s_mov_b32 s8, exec_lo
	v_cmpx_ne_u32_e32 35, v0
	s_cbranch_execz .LBB38_590
; %bb.587:
	v_add_nc_u32_e32 v8, 0x280, v103
	v_add3_u32 v9, 0, v103, 16
	v_mov_b32_e32 v10, v0
	s_mov_b32 s46, 0
	.p2align	6
.LBB38_588:                             ; =>This Inner Loop Header: Depth=1
	s_clause 0x3
	buffer_load_dword v15, v9, s[0:3], 0 offen offset:8
	buffer_load_dword v16, v9, s[0:3], 0 offen offset:12
	buffer_load_dword v17, v9, s[0:3], 0 offen
	buffer_load_dword v18, v9, s[0:3], 0 offen offset:4
	ds_read_b128 v[11:14], v8
	v_add_nc_u32_e32 v10, 1, v10
	v_add_nc_u32_e32 v8, 16, v8
	;; [unrolled: 1-line block ×3, first 2 shown]
	v_cmp_lt_u32_e32 vcc_lo, 34, v10
	s_or_b32 s46, vcc_lo, s46
	s_waitcnt vmcnt(2) lgkmcnt(0)
	v_mul_f64 v[19:20], v[13:14], v[15:16]
	v_mul_f64 v[15:16], v[11:12], v[15:16]
	s_waitcnt vmcnt(0)
	v_fma_f64 v[11:12], v[11:12], v[17:18], -v[19:20]
	v_fma_f64 v[13:14], v[13:14], v[17:18], v[15:16]
	v_add_f64 v[1:2], v[1:2], v[11:12]
	v_add_f64 v[3:4], v[3:4], v[13:14]
	s_andn2_b32 exec_lo, exec_lo, s46
	s_cbranch_execnz .LBB38_588
; %bb.589:
	s_or_b32 exec_lo, exec_lo, s46
.LBB38_590:
	s_or_b32 exec_lo, exec_lo, s8
	v_mov_b32_e32 v8, 0
	ds_read_b128 v[8:11], v8 offset:576
	s_waitcnt lgkmcnt(0)
	v_mul_f64 v[12:13], v[3:4], v[10:11]
	v_mul_f64 v[10:11], v[1:2], v[10:11]
	v_fma_f64 v[1:2], v[1:2], v[8:9], -v[12:13]
	v_fma_f64 v[3:4], v[3:4], v[8:9], v[10:11]
	buffer_store_dword v2, off, s[0:3], 0 offset:580
	buffer_store_dword v1, off, s[0:3], 0 offset:576
	;; [unrolled: 1-line block ×4, first 2 shown]
.LBB38_591:
	s_or_b32 exec_lo, exec_lo, s4
	v_mov_b32_e32 v4, s7
	v_cmp_gt_u32_e64 s4, 37, v0
	s_clause 0x3
	buffer_load_dword v1, v4, s[0:3], 0 offen
	buffer_load_dword v2, v4, s[0:3], 0 offen offset:4
	buffer_load_dword v3, v4, s[0:3], 0 offen offset:8
	;; [unrolled: 1-line block ×3, first 2 shown]
	s_waitcnt vmcnt(0)
	ds_write_b128 v6, v[1:4]
	s_waitcnt lgkmcnt(0)
	s_waitcnt_vscnt null, 0x0
	s_barrier
	buffer_gl0_inv
	s_and_saveexec_b32 s8, s4
	s_cbranch_execz .LBB38_599
; %bb.592:
	ds_read_b128 v[1:4], v6
	v_cmp_ne_u32_e32 vcc_lo, 1, v7
	s_cbranch_vccnz .LBB38_594
; %bb.593:
	s_clause 0x3
	buffer_load_dword v8, v5, s[0:3], 0 offen offset:8
	buffer_load_dword v9, v5, s[0:3], 0 offen offset:12
	buffer_load_dword v10, v5, s[0:3], 0 offen
	buffer_load_dword v11, v5, s[0:3], 0 offen offset:4
	s_waitcnt vmcnt(2) lgkmcnt(0)
	v_mul_f64 v[12:13], v[3:4], v[8:9]
	v_mul_f64 v[8:9], v[1:2], v[8:9]
	s_waitcnt vmcnt(0)
	v_fma_f64 v[1:2], v[1:2], v[10:11], -v[12:13]
	v_fma_f64 v[3:4], v[3:4], v[10:11], v[8:9]
.LBB38_594:
	s_mov_b32 s46, exec_lo
	v_cmpx_ne_u32_e32 36, v0
	s_cbranch_execz .LBB38_598
; %bb.595:
	v_add_nc_u32_e32 v8, 0x280, v103
	v_add3_u32 v9, 0, v103, 16
	v_mov_b32_e32 v10, v0
	s_mov_b32 s47, 0
	.p2align	6
.LBB38_596:                             ; =>This Inner Loop Header: Depth=1
	s_clause 0x3
	buffer_load_dword v15, v9, s[0:3], 0 offen offset:8
	buffer_load_dword v16, v9, s[0:3], 0 offen offset:12
	buffer_load_dword v17, v9, s[0:3], 0 offen
	buffer_load_dword v18, v9, s[0:3], 0 offen offset:4
	ds_read_b128 v[11:14], v8
	v_add_nc_u32_e32 v10, 1, v10
	v_add_nc_u32_e32 v8, 16, v8
	;; [unrolled: 1-line block ×3, first 2 shown]
	v_cmp_lt_u32_e32 vcc_lo, 35, v10
	s_or_b32 s47, vcc_lo, s47
	s_waitcnt vmcnt(2) lgkmcnt(0)
	v_mul_f64 v[19:20], v[13:14], v[15:16]
	v_mul_f64 v[15:16], v[11:12], v[15:16]
	s_waitcnt vmcnt(0)
	v_fma_f64 v[11:12], v[11:12], v[17:18], -v[19:20]
	v_fma_f64 v[13:14], v[13:14], v[17:18], v[15:16]
	v_add_f64 v[1:2], v[1:2], v[11:12]
	v_add_f64 v[3:4], v[3:4], v[13:14]
	s_andn2_b32 exec_lo, exec_lo, s47
	s_cbranch_execnz .LBB38_596
; %bb.597:
	s_or_b32 exec_lo, exec_lo, s47
.LBB38_598:
	s_or_b32 exec_lo, exec_lo, s46
	v_mov_b32_e32 v8, 0
	ds_read_b128 v[8:11], v8 offset:592
	s_waitcnt lgkmcnt(0)
	v_mul_f64 v[12:13], v[3:4], v[10:11]
	v_mul_f64 v[10:11], v[1:2], v[10:11]
	v_fma_f64 v[1:2], v[1:2], v[8:9], -v[12:13]
	v_fma_f64 v[3:4], v[3:4], v[8:9], v[10:11]
	buffer_store_dword v2, off, s[0:3], 0 offset:596
	buffer_store_dword v1, off, s[0:3], 0 offset:592
	;; [unrolled: 1-line block ×4, first 2 shown]
.LBB38_599:
	s_or_b32 exec_lo, exec_lo, s8
	v_mov_b32_e32 v4, s6
	s_mov_b32 s8, exec_lo
                                        ; implicit-def: $sgpr48
	s_clause 0x3
	buffer_load_dword v1, v4, s[0:3], 0 offen
	buffer_load_dword v2, v4, s[0:3], 0 offen offset:4
	buffer_load_dword v3, v4, s[0:3], 0 offen offset:8
	;; [unrolled: 1-line block ×3, first 2 shown]
	s_waitcnt vmcnt(0)
	ds_write_b128 v6, v[1:4]
	s_waitcnt lgkmcnt(0)
	s_waitcnt_vscnt null, 0x0
	s_barrier
	buffer_gl0_inv
                                        ; implicit-def: $vgpr1_vgpr2
	v_cmpx_ne_u32_e32 38, v0
	s_cbranch_execz .LBB38_607
; %bb.600:
	ds_read_b128 v[1:4], v6
	v_cmp_ne_u32_e32 vcc_lo, 1, v7
	s_cbranch_vccnz .LBB38_602
; %bb.601:
	s_clause 0x3
	buffer_load_dword v6, v5, s[0:3], 0 offen offset:8
	buffer_load_dword v7, v5, s[0:3], 0 offen offset:12
	buffer_load_dword v8, v5, s[0:3], 0 offen
	buffer_load_dword v9, v5, s[0:3], 0 offen offset:4
	s_waitcnt vmcnt(2) lgkmcnt(0)
	v_mul_f64 v[10:11], v[3:4], v[6:7]
	v_mul_f64 v[5:6], v[1:2], v[6:7]
	s_waitcnt vmcnt(0)
	v_fma_f64 v[1:2], v[1:2], v[8:9], -v[10:11]
	v_fma_f64 v[3:4], v[3:4], v[8:9], v[5:6]
.LBB38_602:
	s_and_saveexec_b32 s46, s4
	s_cbranch_execz .LBB38_606
; %bb.603:
	v_add_nc_u32_e32 v5, 0x280, v103
	v_add3_u32 v6, 0, v103, 16
	s_mov_b32 s4, 0
	.p2align	6
.LBB38_604:                             ; =>This Inner Loop Header: Depth=1
	s_clause 0x3
	buffer_load_dword v11, v6, s[0:3], 0 offen offset:8
	buffer_load_dword v12, v6, s[0:3], 0 offen offset:12
	buffer_load_dword v13, v6, s[0:3], 0 offen
	buffer_load_dword v14, v6, s[0:3], 0 offen offset:4
	ds_read_b128 v[7:10], v5
	v_add_nc_u32_e32 v0, 1, v0
	v_add_nc_u32_e32 v5, 16, v5
	;; [unrolled: 1-line block ×3, first 2 shown]
	v_cmp_lt_u32_e32 vcc_lo, 36, v0
	s_or_b32 s4, vcc_lo, s4
	s_waitcnt vmcnt(2) lgkmcnt(0)
	v_mul_f64 v[15:16], v[9:10], v[11:12]
	v_mul_f64 v[11:12], v[7:8], v[11:12]
	s_waitcnt vmcnt(0)
	v_fma_f64 v[7:8], v[7:8], v[13:14], -v[15:16]
	v_fma_f64 v[9:10], v[9:10], v[13:14], v[11:12]
	v_add_f64 v[1:2], v[1:2], v[7:8]
	v_add_f64 v[3:4], v[3:4], v[9:10]
	s_andn2_b32 exec_lo, exec_lo, s4
	s_cbranch_execnz .LBB38_604
; %bb.605:
	s_or_b32 exec_lo, exec_lo, s4
.LBB38_606:
	s_or_b32 exec_lo, exec_lo, s46
	v_mov_b32_e32 v0, 0
	s_movk_i32 s48, 0x268
	s_or_b32 s5, s5, exec_lo
	ds_read_b128 v[5:8], v0 offset:608
	s_waitcnt lgkmcnt(0)
	v_mul_f64 v[9:10], v[3:4], v[7:8]
	v_mul_f64 v[7:8], v[1:2], v[7:8]
	v_fma_f64 v[9:10], v[1:2], v[5:6], -v[9:10]
	v_fma_f64 v[1:2], v[3:4], v[5:6], v[7:8]
	buffer_store_dword v10, off, s[0:3], 0 offset:612
	buffer_store_dword v9, off, s[0:3], 0 offset:608
.LBB38_607:
	s_or_b32 exec_lo, exec_lo, s8
.LBB38_608:
	s_and_saveexec_b32 s4, s5
	s_cbranch_execz .LBB38_610
; %bb.609:
	v_mov_b32_e32 v0, s48
	buffer_store_dword v2, v0, s[0:3], 0 offen offset:4
	buffer_store_dword v1, v0, s[0:3], 0 offen
.LBB38_610:
	s_or_b32 exec_lo, exec_lo, s4
	s_clause 0x3
	buffer_load_dword v0, off, s[0:3], 0
	buffer_load_dword v1, off, s[0:3], 0 offset:4
	buffer_load_dword v2, off, s[0:3], 0 offset:8
	;; [unrolled: 1-line block ×3, first 2 shown]
	v_mov_b32_e32 v7, s45
	v_mov_b32_e32 v11, s44
	;; [unrolled: 1-line block ×4, first 2 shown]
	s_clause 0x3
	buffer_load_dword v4, v7, s[0:3], 0 offen
	buffer_load_dword v5, v7, s[0:3], 0 offen offset:4
	buffer_load_dword v6, v7, s[0:3], 0 offen offset:8
	;; [unrolled: 1-line block ×3, first 2 shown]
	v_mov_b32_e32 v24, s40
	v_mov_b32_e32 v15, s43
	s_clause 0x13
	buffer_load_dword v8, v11, s[0:3], 0 offen
	buffer_load_dword v9, v11, s[0:3], 0 offen offset:4
	buffer_load_dword v10, v11, s[0:3], 0 offen offset:8
	buffer_load_dword v11, v11, s[0:3], 0 offen offset:12
	buffer_load_dword v12, v15, s[0:3], 0 offen
	buffer_load_dword v13, v15, s[0:3], 0 offen offset:4
	buffer_load_dword v14, v15, s[0:3], 0 offen offset:8
	buffer_load_dword v15, v15, s[0:3], 0 offen offset:12
	buffer_load_dword v16, v19, s[0:3], 0 offen
	buffer_load_dword v17, v19, s[0:3], 0 offen offset:4
	buffer_load_dword v18, v19, s[0:3], 0 offen offset:8
	buffer_load_dword v19, v19, s[0:3], 0 offen offset:12
	buffer_load_dword v20, v23, s[0:3], 0 offen
	buffer_load_dword v21, v23, s[0:3], 0 offen offset:4
	buffer_load_dword v22, v23, s[0:3], 0 offen offset:8
	buffer_load_dword v23, v23, s[0:3], 0 offen offset:12
	buffer_load_dword v103, v24, s[0:3], 0 offen
	buffer_load_dword v104, v24, s[0:3], 0 offen offset:4
	buffer_load_dword v105, v24, s[0:3], 0 offen offset:8
	buffer_load_dword v106, v24, s[0:3], 0 offen offset:12
	v_mov_b32_e32 v24, s39
	v_mov_b32_e32 v116, s9
	;; [unrolled: 1-line block ×5, first 2 shown]
	s_waitcnt vmcnt(24)
	global_store_dwordx4 v[27:28], v[0:3], off
	s_clause 0x3
	buffer_load_dword v0, v24, s[0:3], 0 offen
	buffer_load_dword v1, v24, s[0:3], 0 offen offset:4
	buffer_load_dword v2, v24, s[0:3], 0 offen offset:8
	;; [unrolled: 1-line block ×3, first 2 shown]
	v_mov_b32_e32 v24, s38
	v_mov_b32_e32 v27, s35
	;; [unrolled: 1-line block ×3, first 2 shown]
	s_clause 0x3
	buffer_load_dword v107, v24, s[0:3], 0 offen
	buffer_load_dword v108, v24, s[0:3], 0 offen offset:4
	buffer_load_dword v109, v24, s[0:3], 0 offen offset:8
	;; [unrolled: 1-line block ×3, first 2 shown]
	s_waitcnt vmcnt(28)
	global_store_dwordx4 v[29:30], v[4:7], off
	v_mov_b32_e32 v7, s37
	v_mov_b32_e32 v24, s36
	;; [unrolled: 1-line block ×3, first 2 shown]
	s_clause 0x3
	buffer_load_dword v4, v7, s[0:3], 0 offen
	buffer_load_dword v5, v7, s[0:3], 0 offen offset:4
	buffer_load_dword v6, v7, s[0:3], 0 offen offset:8
	;; [unrolled: 1-line block ×3, first 2 shown]
	s_waitcnt vmcnt(28)
	global_store_dwordx4 v[25:26], v[8:11], off
	s_clause 0x3
	buffer_load_dword v8, v24, s[0:3], 0 offen
	buffer_load_dword v9, v24, s[0:3], 0 offen offset:4
	buffer_load_dword v10, v24, s[0:3], 0 offen offset:8
	;; [unrolled: 1-line block ×3, first 2 shown]
	s_waitcnt vmcnt(28)
	global_store_dwordx4 v[81:82], v[12:15], off
	s_clause 0x7
	buffer_load_dword v12, v27, s[0:3], 0 offen
	buffer_load_dword v13, v27, s[0:3], 0 offen offset:4
	buffer_load_dword v14, v27, s[0:3], 0 offen offset:8
	;; [unrolled: 1-line block ×3, first 2 shown]
	buffer_load_dword v24, v28, s[0:3], 0 offen
	buffer_load_dword v25, v28, s[0:3], 0 offen offset:4
	buffer_load_dword v26, v28, s[0:3], 0 offen offset:8
	;; [unrolled: 1-line block ×3, first 2 shown]
	v_mov_b32_e32 v28, s31
	s_waitcnt vmcnt(32)
	global_store_dwordx4 v[77:78], v[16:19], off
	s_clause 0x7
	buffer_load_dword v16, v29, s[0:3], 0 offen
	buffer_load_dword v17, v29, s[0:3], 0 offen offset:4
	buffer_load_dword v18, v29, s[0:3], 0 offen offset:8
	;; [unrolled: 1-line block ×3, first 2 shown]
	buffer_load_dword v111, v28, s[0:3], 0 offen
	buffer_load_dword v112, v28, s[0:3], 0 offen offset:4
	buffer_load_dword v113, v28, s[0:3], 0 offen offset:8
	;; [unrolled: 1-line block ×3, first 2 shown]
	s_waitcnt vmcnt(36)
	global_store_dwordx4 v[75:76], v[20:23], off
	v_mov_b32_e32 v23, s30
	v_mov_b32_e32 v28, s29
	s_clause 0x3
	buffer_load_dword v20, v23, s[0:3], 0 offen
	buffer_load_dword v21, v23, s[0:3], 0 offen offset:4
	buffer_load_dword v22, v23, s[0:3], 0 offen offset:8
	buffer_load_dword v23, v23, s[0:3], 0 offen offset:12
	v_mov_b32_e32 v29, s28
	s_waitcnt vmcnt(36)
	global_store_dwordx4 v[69:70], v[103:106], off
	s_clause 0x7
	buffer_load_dword v75, v28, s[0:3], 0 offen
	buffer_load_dword v76, v28, s[0:3], 0 offen offset:4
	buffer_load_dword v77, v28, s[0:3], 0 offen offset:8
	;; [unrolled: 1-line block ×3, first 2 shown]
	buffer_load_dword v103, v29, s[0:3], 0 offen
	buffer_load_dword v104, v29, s[0:3], 0 offen offset:4
	buffer_load_dword v105, v29, s[0:3], 0 offen offset:8
	;; [unrolled: 1-line block ×3, first 2 shown]
	v_mov_b32_e32 v28, s26
	v_mov_b32_e32 v30, s21
	;; [unrolled: 1-line block ×5, first 2 shown]
	s_waitcnt vmcnt(40)
	global_store_dwordx4 v[71:72], v[0:3], off
	v_mov_b32_e32 v3, s27
	v_mov_b32_e32 v72, s15
	;; [unrolled: 1-line block ×3, first 2 shown]
	s_clause 0x3
	buffer_load_dword v0, v3, s[0:3], 0 offen
	buffer_load_dword v1, v3, s[0:3], 0 offen offset:4
	buffer_load_dword v2, v3, s[0:3], 0 offen offset:8
	buffer_load_dword v3, v3, s[0:3], 0 offen offset:12
	s_waitcnt vmcnt(40)
	global_store_dwordx4 v[67:68], v[107:110], off
	s_clause 0x3
	buffer_load_dword v67, v28, s[0:3], 0 offen
	buffer_load_dword v68, v28, s[0:3], 0 offen offset:4
	buffer_load_dword v69, v28, s[0:3], 0 offen offset:8
	;; [unrolled: 1-line block ×3, first 2 shown]
	v_mov_b32_e32 v28, s25
	s_clause 0x3
	buffer_load_dword v107, v28, s[0:3], 0 offen
	buffer_load_dword v108, v28, s[0:3], 0 offen offset:4
	buffer_load_dword v109, v28, s[0:3], 0 offen offset:8
	buffer_load_dword v110, v28, s[0:3], 0 offen offset:12
	s_waitcnt vmcnt(44)
	global_store_dwordx4 v[63:64], v[4:7], off
	v_mov_b32_e32 v7, s24
	v_mov_b32_e32 v28, s23
	;; [unrolled: 1-line block ×3, first 2 shown]
	s_waitcnt vmcnt(40)
	global_store_dwordx4 v[57:58], v[8:11], off
	v_mov_b32_e32 v58, s17
	s_waitcnt vmcnt(36)
	global_store_dwordx4 v[49:50], v[12:15], off
	s_waitcnt vmcnt(32)
	global_store_dwordx4 v[45:46], v[24:27], off
	s_clause 0x3
	buffer_load_dword v4, v7, s[0:3], 0 offen
	buffer_load_dword v5, v7, s[0:3], 0 offen offset:4
	buffer_load_dword v6, v7, s[0:3], 0 offen offset:8
	;; [unrolled: 1-line block ×3, first 2 shown]
	s_waitcnt vmcnt(32)
	global_store_dwordx4 v[47:48], v[16:19], off
	v_mov_b32_e32 v63, s20
	s_clause 0x7
	buffer_load_dword v8, v28, s[0:3], 0 offen
	buffer_load_dword v9, v28, s[0:3], 0 offen offset:4
	buffer_load_dword v10, v28, s[0:3], 0 offen offset:8
	;; [unrolled: 1-line block ×3, first 2 shown]
	buffer_load_dword v12, v29, s[0:3], 0 offen
	buffer_load_dword v13, v29, s[0:3], 0 offen offset:4
	buffer_load_dword v14, v29, s[0:3], 0 offen offset:8
	;; [unrolled: 1-line block ×3, first 2 shown]
	s_waitcnt vmcnt(36)
	global_store_dwordx4 v[43:44], v[111:114], off
	v_mov_b32_e32 v57, s18
	v_mov_b32_e32 v50, s11
	s_clause 0x7
	buffer_load_dword v16, v30, s[0:3], 0 offen
	buffer_load_dword v17, v30, s[0:3], 0 offen offset:4
	buffer_load_dword v18, v30, s[0:3], 0 offen offset:8
	buffer_load_dword v19, v30, s[0:3], 0 offen offset:12
	buffer_load_dword v24, v63, s[0:3], 0 offen
	buffer_load_dword v25, v63, s[0:3], 0 offen offset:4
	buffer_load_dword v26, v63, s[0:3], 0 offen offset:8
	buffer_load_dword v27, v63, s[0:3], 0 offen offset:12
	s_waitcnt vmcnt(40)
	global_store_dwordx4 v[41:42], v[20:23], off
	s_clause 0x7
	buffer_load_dword v20, v64, s[0:3], 0 offen
	buffer_load_dword v21, v64, s[0:3], 0 offen offset:4
	buffer_load_dword v22, v64, s[0:3], 0 offen offset:8
	buffer_load_dword v23, v64, s[0:3], 0 offen offset:12
	buffer_load_dword v41, v57, s[0:3], 0 offen
	buffer_load_dword v42, v57, s[0:3], 0 offen offset:4
	buffer_load_dword v43, v57, s[0:3], 0 offen offset:8
	buffer_load_dword v44, v57, s[0:3], 0 offen offset:12
	s_waitcnt vmcnt(44)
	global_store_dwordx4 v[39:40], v[75:78], off
	;; [unrolled: 11-line block ×3, first 2 shown]
	v_mov_b32_e32 v49, s12
	s_clause 0x7
	buffer_load_dword v37, v72, s[0:3], 0 offen
	buffer_load_dword v38, v72, s[0:3], 0 offen offset:4
	buffer_load_dword v39, v72, s[0:3], 0 offen offset:8
	buffer_load_dword v40, v72, s[0:3], 0 offen offset:12
	buffer_load_dword v103, v81, s[0:3], 0 offen
	buffer_load_dword v104, v81, s[0:3], 0 offen offset:4
	buffer_load_dword v105, v81, s[0:3], 0 offen offset:8
	buffer_load_dword v106, v81, s[0:3], 0 offen offset:12
	s_waitcnt vmcnt(52)
	global_store_dwordx4 v[35:36], v[0:3], off
	s_clause 0x7
	buffer_load_dword v0, v82, s[0:3], 0 offen
	buffer_load_dword v1, v82, s[0:3], 0 offen offset:4
	buffer_load_dword v2, v82, s[0:3], 0 offen offset:8
	buffer_load_dword v3, v82, s[0:3], 0 offen offset:12
	buffer_load_dword v111, v49, s[0:3], 0 offen
	buffer_load_dword v112, v49, s[0:3], 0 offen offset:4
	buffer_load_dword v113, v49, s[0:3], 0 offen offset:8
	buffer_load_dword v114, v49, s[0:3], 0 offen offset:12
	s_waitcnt vmcnt(56)
	global_store_dwordx4 v[33:34], v[67:70], off
	;; [unrolled: 11-line block ×3, first 2 shown]
	s_clause 0xb
	buffer_load_dword v28, v116, s[0:3], 0 offen
	buffer_load_dword v29, v116, s[0:3], 0 offen offset:4
	buffer_load_dword v30, v116, s[0:3], 0 offen offset:8
	buffer_load_dword v31, v116, s[0:3], 0 offen offset:12
	buffer_load_dword v107, v117, s[0:3], 0 offen
	buffer_load_dword v108, v117, s[0:3], 0 offen offset:4
	buffer_load_dword v109, v117, s[0:3], 0 offen offset:8
	buffer_load_dword v110, v117, s[0:3], 0 offen offset:12
	;; [unrolled: 4-line block ×3, first 2 shown]
	s_waitcnt vmcnt(62)
	global_store_dwordx4 v[51:52], v[4:7], off
	global_store_dwordx4 v[53:54], v[8:11], off
	s_waitcnt vmcnt(60)
	global_store_dwordx4 v[55:56], v[12:15], off
	s_waitcnt vmcnt(56)
	;; [unrolled: 2-line block ×16, first 2 shown]
	global_store_dwordx4 v[99:100], v[115:118], off
.LBB38_611:
	s_endpgm
	.section	.rodata,"a",@progbits
	.p2align	6, 0x0
	.amdhsa_kernel _ZN9rocsolver6v33100L18trti2_kernel_smallILi39E19rocblas_complex_numIdEPS3_EEv13rocblas_fill_17rocblas_diagonal_T1_iil
		.amdhsa_group_segment_fixed_size 1248
		.amdhsa_private_segment_fixed_size 640
		.amdhsa_kernarg_size 32
		.amdhsa_user_sgpr_count 6
		.amdhsa_user_sgpr_private_segment_buffer 1
		.amdhsa_user_sgpr_dispatch_ptr 0
		.amdhsa_user_sgpr_queue_ptr 0
		.amdhsa_user_sgpr_kernarg_segment_ptr 1
		.amdhsa_user_sgpr_dispatch_id 0
		.amdhsa_user_sgpr_flat_scratch_init 0
		.amdhsa_user_sgpr_private_segment_size 0
		.amdhsa_wavefront_size32 1
		.amdhsa_uses_dynamic_stack 0
		.amdhsa_system_sgpr_private_segment_wavefront_offset 1
		.amdhsa_system_sgpr_workgroup_id_x 1
		.amdhsa_system_sgpr_workgroup_id_y 0
		.amdhsa_system_sgpr_workgroup_id_z 0
		.amdhsa_system_sgpr_workgroup_info 0
		.amdhsa_system_vgpr_workitem_id 0
		.amdhsa_next_free_vgpr 119
		.amdhsa_next_free_sgpr 63
		.amdhsa_reserve_vcc 1
		.amdhsa_reserve_flat_scratch 0
		.amdhsa_float_round_mode_32 0
		.amdhsa_float_round_mode_16_64 0
		.amdhsa_float_denorm_mode_32 3
		.amdhsa_float_denorm_mode_16_64 3
		.amdhsa_dx10_clamp 1
		.amdhsa_ieee_mode 1
		.amdhsa_fp16_overflow 0
		.amdhsa_workgroup_processor_mode 1
		.amdhsa_memory_ordered 1
		.amdhsa_forward_progress 1
		.amdhsa_shared_vgpr_count 0
		.amdhsa_exception_fp_ieee_invalid_op 0
		.amdhsa_exception_fp_denorm_src 0
		.amdhsa_exception_fp_ieee_div_zero 0
		.amdhsa_exception_fp_ieee_overflow 0
		.amdhsa_exception_fp_ieee_underflow 0
		.amdhsa_exception_fp_ieee_inexact 0
		.amdhsa_exception_int_div_zero 0
	.end_amdhsa_kernel
	.section	.text._ZN9rocsolver6v33100L18trti2_kernel_smallILi39E19rocblas_complex_numIdEPS3_EEv13rocblas_fill_17rocblas_diagonal_T1_iil,"axG",@progbits,_ZN9rocsolver6v33100L18trti2_kernel_smallILi39E19rocblas_complex_numIdEPS3_EEv13rocblas_fill_17rocblas_diagonal_T1_iil,comdat
.Lfunc_end38:
	.size	_ZN9rocsolver6v33100L18trti2_kernel_smallILi39E19rocblas_complex_numIdEPS3_EEv13rocblas_fill_17rocblas_diagonal_T1_iil, .Lfunc_end38-_ZN9rocsolver6v33100L18trti2_kernel_smallILi39E19rocblas_complex_numIdEPS3_EEv13rocblas_fill_17rocblas_diagonal_T1_iil
                                        ; -- End function
	.set _ZN9rocsolver6v33100L18trti2_kernel_smallILi39E19rocblas_complex_numIdEPS3_EEv13rocblas_fill_17rocblas_diagonal_T1_iil.num_vgpr, 119
	.set _ZN9rocsolver6v33100L18trti2_kernel_smallILi39E19rocblas_complex_numIdEPS3_EEv13rocblas_fill_17rocblas_diagonal_T1_iil.num_agpr, 0
	.set _ZN9rocsolver6v33100L18trti2_kernel_smallILi39E19rocblas_complex_numIdEPS3_EEv13rocblas_fill_17rocblas_diagonal_T1_iil.numbered_sgpr, 63
	.set _ZN9rocsolver6v33100L18trti2_kernel_smallILi39E19rocblas_complex_numIdEPS3_EEv13rocblas_fill_17rocblas_diagonal_T1_iil.num_named_barrier, 0
	.set _ZN9rocsolver6v33100L18trti2_kernel_smallILi39E19rocblas_complex_numIdEPS3_EEv13rocblas_fill_17rocblas_diagonal_T1_iil.private_seg_size, 640
	.set _ZN9rocsolver6v33100L18trti2_kernel_smallILi39E19rocblas_complex_numIdEPS3_EEv13rocblas_fill_17rocblas_diagonal_T1_iil.uses_vcc, 1
	.set _ZN9rocsolver6v33100L18trti2_kernel_smallILi39E19rocblas_complex_numIdEPS3_EEv13rocblas_fill_17rocblas_diagonal_T1_iil.uses_flat_scratch, 0
	.set _ZN9rocsolver6v33100L18trti2_kernel_smallILi39E19rocblas_complex_numIdEPS3_EEv13rocblas_fill_17rocblas_diagonal_T1_iil.has_dyn_sized_stack, 0
	.set _ZN9rocsolver6v33100L18trti2_kernel_smallILi39E19rocblas_complex_numIdEPS3_EEv13rocblas_fill_17rocblas_diagonal_T1_iil.has_recursion, 0
	.set _ZN9rocsolver6v33100L18trti2_kernel_smallILi39E19rocblas_complex_numIdEPS3_EEv13rocblas_fill_17rocblas_diagonal_T1_iil.has_indirect_call, 0
	.section	.AMDGPU.csdata,"",@progbits
; Kernel info:
; codeLenInByte = 39516
; TotalNumSgprs: 65
; NumVgprs: 119
; ScratchSize: 640
; MemoryBound: 0
; FloatMode: 240
; IeeeMode: 1
; LDSByteSize: 1248 bytes/workgroup (compile time only)
; SGPRBlocks: 0
; VGPRBlocks: 14
; NumSGPRsForWavesPerEU: 65
; NumVGPRsForWavesPerEU: 119
; Occupancy: 8
; WaveLimiterHint : 0
; COMPUTE_PGM_RSRC2:SCRATCH_EN: 1
; COMPUTE_PGM_RSRC2:USER_SGPR: 6
; COMPUTE_PGM_RSRC2:TRAP_HANDLER: 0
; COMPUTE_PGM_RSRC2:TGID_X_EN: 1
; COMPUTE_PGM_RSRC2:TGID_Y_EN: 0
; COMPUTE_PGM_RSRC2:TGID_Z_EN: 0
; COMPUTE_PGM_RSRC2:TIDIG_COMP_CNT: 0
	.section	.text._ZN9rocsolver6v33100L18trti2_kernel_smallILi40E19rocblas_complex_numIdEPS3_EEv13rocblas_fill_17rocblas_diagonal_T1_iil,"axG",@progbits,_ZN9rocsolver6v33100L18trti2_kernel_smallILi40E19rocblas_complex_numIdEPS3_EEv13rocblas_fill_17rocblas_diagonal_T1_iil,comdat
	.globl	_ZN9rocsolver6v33100L18trti2_kernel_smallILi40E19rocblas_complex_numIdEPS3_EEv13rocblas_fill_17rocblas_diagonal_T1_iil ; -- Begin function _ZN9rocsolver6v33100L18trti2_kernel_smallILi40E19rocblas_complex_numIdEPS3_EEv13rocblas_fill_17rocblas_diagonal_T1_iil
	.p2align	8
	.type	_ZN9rocsolver6v33100L18trti2_kernel_smallILi40E19rocblas_complex_numIdEPS3_EEv13rocblas_fill_17rocblas_diagonal_T1_iil,@function
_ZN9rocsolver6v33100L18trti2_kernel_smallILi40E19rocblas_complex_numIdEPS3_EEv13rocblas_fill_17rocblas_diagonal_T1_iil: ; @_ZN9rocsolver6v33100L18trti2_kernel_smallILi40E19rocblas_complex_numIdEPS3_EEv13rocblas_fill_17rocblas_diagonal_T1_iil
; %bb.0:
	s_add_u32 s0, s0, s7
	s_addc_u32 s1, s1, 0
	s_mov_b32 s7, exec_lo
	v_cmpx_gt_u32_e32 40, v0
	s_cbranch_execz .LBB39_627
; %bb.1:
	s_load_dwordx8 s[8:15], s[4:5], 0x0
	s_ashr_i32 s4, s6, 31
	v_lshlrev_b32_e32 v91, 4, v0
	s_movk_i32 s16, 0xf0
	s_movk_i32 s17, 0x100
	;; [unrolled: 1-line block ×17, first 2 shown]
	s_waitcnt lgkmcnt(0)
	s_mul_hi_u32 s7, s14, s6
	s_mul_i32 s4, s14, s4
	s_mul_i32 s15, s15, s6
	s_add_i32 s4, s7, s4
	s_mul_i32 s6, s14, s6
	s_add_i32 s7, s4, s15
	v_add3_u32 v1, s13, s13, v0
	s_lshl_b64 s[6:7], s[6:7], 4
	s_ashr_i32 s5, s12, 31
	s_mov_b32 s4, s12
	s_add_u32 s6, s10, s6
	s_addc_u32 s7, s11, s7
	s_lshl_b64 s[4:5], s[4:5], 4
	v_ashrrev_i32_e32 v2, 31, v1
	s_add_u32 s4, s6, s4
	s_addc_u32 s5, s7, s5
	v_add_co_u32 v53, s6, s4, v91
	s_mov_b32 s14, s13
	s_ashr_i32 s15, s13, 31
	v_add_nc_u32_e32 v3, s13, v1
	v_add_co_ci_u32_e64 v54, null, s5, 0, s6
	s_lshl_b64 s[6:7], s[14:15], 4
	v_lshlrev_b64 v[1:2], 4, v[1:2]
	v_add_co_u32 v43, vcc_lo, v53, s6
	global_load_dwordx4 v[7:10], v91, s[4:5]
	v_ashrrev_i32_e32 v4, 31, v3
	v_add_co_ci_u32_e64 v44, null, s7, v54, vcc_lo
	v_add_co_u32 v45, vcc_lo, s4, v1
	v_add_co_ci_u32_e64 v46, null, s5, v2, vcc_lo
	v_lshlrev_b64 v[1:2], 4, v[3:4]
	global_load_dwordx4 v[11:14], v[43:44], off
	s_cmpk_lg_i32 s9, 0x84
	global_load_dwordx4 v[15:18], v[45:46], off
	s_movk_i32 s6, 0x70
	s_movk_i32 s7, 0x80
	v_add_co_u32 v33, vcc_lo, s4, v1
	v_add_co_ci_u32_e64 v34, null, s5, v2, vcc_lo
	v_add_nc_u32_e32 v1, s13, v3
	s_movk_i32 s10, 0x90
	s_movk_i32 s11, 0xa0
	global_load_dwordx4 v[19:22], v[33:34], off
	s_movk_i32 s12, 0xb0
	v_add_nc_u32_e32 v3, s13, v1
	v_ashrrev_i32_e32 v2, 31, v1
	s_movk_i32 s14, 0xd0
	s_movk_i32 s15, 0xe0
	;; [unrolled: 1-line block ×3, first 2 shown]
	v_add_nc_u32_e32 v5, s13, v3
	v_lshlrev_b64 v[1:2], 4, v[1:2]
	v_ashrrev_i32_e32 v4, 31, v3
	s_movk_i32 s58, 0x210
	s_movk_i32 s59, 0x220
	v_add_nc_u32_e32 v27, s13, v5
	v_ashrrev_i32_e32 v6, 31, v5
	v_add_co_u32 v63, vcc_lo, s4, v1
	v_add_co_ci_u32_e64 v64, null, s5, v2, vcc_lo
	v_add_nc_u32_e32 v29, s13, v27
	v_lshlrev_b64 v[3:4], 4, v[3:4]
	v_lshlrev_b64 v[38:39], 4, v[5:6]
	v_ashrrev_i32_e32 v28, 31, v27
	s_movk_i32 s60, 0x230
	v_add_nc_u32_e32 v31, s13, v29
	v_ashrrev_i32_e32 v30, 31, v29
	s_movk_i32 s61, 0x240
	v_lshlrev_b64 v[27:28], 4, v[27:28]
	s_movk_i32 s62, 0x250
	v_add_nc_u32_e32 v35, s13, v31
	v_lshlrev_b64 v[29:30], 4, v[29:30]
	v_ashrrev_i32_e32 v32, 31, v31
	s_movk_i32 s63, 0x260
	s_movk_i32 s64, 0x270
	v_add_nc_u32_e32 v37, s13, v35
	v_ashrrev_i32_e32 v36, 31, v35
	s_cselect_b32 s48, -1, 0
	s_cmpk_eq_i32 s9, 0x84
	v_add_nc_u32_e32 v47, s13, v37
	v_add_nc_u32_e32 v59, s13, v47
	v_ashrrev_i32_e32 v48, 31, v47
	v_add_nc_u32_e32 v73, s13, v59
	v_ashrrev_i32_e32 v60, 31, v59
	;; [unrolled: 2-line block ×26, first 2 shown]
	v_add_nc_u32_e32 v23, s13, v81
	s_movk_i32 s13, 0xc0
	v_ashrrev_i32_e32 v24, 31, v23
	v_lshlrev_b64 v[1:2], 4, v[23:24]
	global_load_dwordx4 v[23:26], v[63:64], off
	v_add_co_u32 v5, vcc_lo, s4, v1
	v_add_co_ci_u32_e64 v6, null, s5, v2, vcc_lo
	v_add_co_u32 v55, vcc_lo, s4, v3
	v_add_co_ci_u32_e64 v56, null, s5, v4, vcc_lo
	global_load_dwordx4 v[1:4], v[5:6], off
	v_add_co_u32 v61, vcc_lo, s4, v38
	v_add_co_ci_u32_e64 v62, null, s5, v39, vcc_lo
	v_add_co_u32 v39, vcc_lo, s4, v27
	v_add_co_ci_u32_e64 v40, null, s5, v28, vcc_lo
	;; [unrolled: 2-line block ×3, first 2 shown]
	v_ashrrev_i32_e32 v38, 31, v37
	s_waitcnt vmcnt(5)
	buffer_store_dword v10, off, s[0:3], 0 offset:12
	buffer_store_dword v9, off, s[0:3], 0 offset:8
	buffer_store_dword v8, off, s[0:3], 0 offset:4
	buffer_store_dword v7, off, s[0:3], 0
	global_load_dwordx4 v[7:10], v[55:56], off
	s_waitcnt vmcnt(5)
	buffer_store_dword v14, off, s[0:3], 0 offset:28
	buffer_store_dword v13, off, s[0:3], 0 offset:24
	buffer_store_dword v12, off, s[0:3], 0 offset:20
	buffer_store_dword v11, off, s[0:3], 0 offset:16
	global_load_dwordx4 v[11:14], v[61:62], off
	s_waitcnt vmcnt(5)
	buffer_store_dword v18, off, s[0:3], 0 offset:44
	buffer_store_dword v17, off, s[0:3], 0 offset:40
	buffer_store_dword v16, off, s[0:3], 0 offset:36
	buffer_store_dword v15, off, s[0:3], 0 offset:32
	;; [unrolled: 6-line block ×3, first 2 shown]
	global_load_dwordx4 v[27:30], v[41:42], off
	v_lshlrev_b64 v[19:20], 4, v[31:32]
	v_lshlrev_b64 v[31:32], 4, v[35:36]
	s_waitcnt vmcnt(5)
	buffer_store_dword v26, off, s[0:3], 0 offset:76
	buffer_store_dword v25, off, s[0:3], 0 offset:72
	;; [unrolled: 1-line block ×4, first 2 shown]
	v_add_co_u32 v57, vcc_lo, s4, v19
	v_add_co_ci_u32_e64 v58, null, s5, v20, vcc_lo
	v_lshlrev_b64 v[19:20], 4, v[37:38]
	v_add_co_u32 v51, vcc_lo, s4, v31
	v_add_co_ci_u32_e64 v52, null, s5, v32, vcc_lo
	global_load_dwordx4 v[21:24], v[57:58], off
	v_add_co_u32 v35, vcc_lo, s4, v19
	v_lshlrev_b64 v[25:26], 4, v[47:48]
	v_add_co_ci_u32_e64 v36, null, s5, v20, vcc_lo
	v_lshlrev_b64 v[37:38], 4, v[100:101]
	s_waitcnt vmcnt(4)
	buffer_store_dword v10, off, s[0:3], 0 offset:92
	buffer_store_dword v9, off, s[0:3], 0 offset:88
	;; [unrolled: 1-line block ×4, first 2 shown]
	global_load_dwordx4 v[47:50], v[51:52], off
	s_waitcnt vmcnt(4)
	buffer_store_dword v14, off, s[0:3], 0 offset:108
	buffer_store_dword v13, off, s[0:3], 0 offset:104
	;; [unrolled: 1-line block ×4, first 2 shown]
	v_lshlrev_b64 v[7:8], 4, v[59:60]
	global_load_dwordx4 v[65:68], v[35:36], off
	v_add_co_u32 v19, vcc_lo, s4, v25
	v_add_co_ci_u32_e64 v20, null, s5, v26, vcc_lo
	v_add_co_u32 v7, vcc_lo, s4, v7
	s_waitcnt vmcnt(4)
	buffer_store_dword v18, off, s[0:3], 0 offset:124
	buffer_store_dword v17, off, s[0:3], 0 offset:120
	;; [unrolled: 1-line block ×4, first 2 shown]
	v_add_co_ci_u32_e64 v8, null, s5, v8, vcc_lo
	global_load_dwordx4 v[69:72], v[19:20], off
	s_waitcnt vmcnt(4)
	buffer_store_dword v30, off, s[0:3], 0 offset:140
	buffer_store_dword v29, off, s[0:3], 0 offset:136
	buffer_store_dword v28, off, s[0:3], 0 offset:132
	buffer_store_dword v27, off, s[0:3], 0 offset:128
	v_lshlrev_b64 v[9:10], 4, v[73:74]
	global_load_dwordx4 v[25:28], v[7:8], off
	v_lshlrev_b64 v[11:12], 4, v[75:76]
	v_lshlrev_b64 v[13:14], 4, v[77:78]
	;; [unrolled: 1-line block ×4, first 2 shown]
	v_add_co_u32 v9, vcc_lo, s4, v9
	v_add_co_ci_u32_e64 v10, null, s5, v10, vcc_lo
	v_add_co_u32 v11, vcc_lo, s4, v11
	v_add_co_ci_u32_e64 v12, null, s5, v12, vcc_lo
	;; [unrolled: 2-line block ×4, first 2 shown]
	v_lshlrev_b64 v[77:78], 4, v[104:105]
	s_waitcnt vmcnt(4)
	buffer_store_dword v21, off, s[0:3], 0 offset:144
	buffer_store_dword v22, off, s[0:3], 0 offset:148
	;; [unrolled: 1-line block ×4, first 2 shown]
	global_load_dwordx4 v[29:32], v[9:10], off
	v_lshlrev_b64 v[21:22], 4, v[84:85]
	v_lshlrev_b64 v[23:24], 4, v[88:89]
	s_waitcnt vmcnt(4)
	buffer_store_dword v47, off, s[0:3], 0 offset:160
	buffer_store_dword v48, off, s[0:3], 0 offset:164
	;; [unrolled: 1-line block ×4, first 2 shown]
	global_load_dwordx4 v[47:50], v[11:12], off
	s_waitcnt vmcnt(4)
	buffer_store_dword v65, off, s[0:3], 0 offset:176
	buffer_store_dword v66, off, s[0:3], 0 offset:180
	buffer_store_dword v67, off, s[0:3], 0 offset:184
	buffer_store_dword v68, off, s[0:3], 0 offset:188
	global_load_dwordx4 v[65:68], v[17:18], off
	v_add_co_u32 v15, vcc_lo, s4, v21
	s_waitcnt vmcnt(4)
	buffer_store_dword v72, off, s[0:3], 0 offset:204
	buffer_store_dword v71, off, s[0:3], 0 offset:200
	;; [unrolled: 1-line block ×4, first 2 shown]
	v_add_co_ci_u32_e64 v16, null, s5, v22, vcc_lo
	global_load_dwordx4 v[69:72], v[13:14], off
	s_waitcnt vmcnt(4)
	buffer_store_dword v28, off, s[0:3], 0 offset:220
	buffer_store_dword v27, off, s[0:3], 0 offset:216
	;; [unrolled: 1-line block ×4, first 2 shown]
	v_lshlrev_b64 v[21:22], 4, v[86:87]
	global_load_dwordx4 v[73:76], v[15:16], off
	v_lshlrev_b64 v[25:26], 4, v[92:93]
	s_waitcnt vmcnt(4)
	buffer_store_dword v32, off, s[0:3], 0 offset:236
	buffer_store_dword v31, off, s[0:3], 0 offset:232
	;; [unrolled: 1-line block ×4, first 2 shown]
	v_add_co_u32 v21, vcc_lo, s4, v21
	v_add_co_ci_u32_e64 v22, null, s5, v22, vcc_lo
	v_add_co_u32 v23, vcc_lo, s4, v23
	v_add_co_ci_u32_e64 v24, null, s5, v24, vcc_lo
	global_load_dwordx4 v[82:85], v[21:22], off
	v_add_co_u32 v27, vcc_lo, s4, v25
	v_lshlrev_b64 v[29:30], 4, v[94:95]
	v_add_co_ci_u32_e64 v28, null, s5, v26, vcc_lo
	v_lshlrev_b64 v[31:32], 4, v[96:97]
	s_waitcnt vmcnt(4)
	buffer_store_dword v50, off, s[0:3], 0 offset:252
	buffer_store_dword v49, off, s[0:3], 0 offset:248
	;; [unrolled: 1-line block ×4, first 2 shown]
	global_load_dwordx4 v[47:50], v[23:24], off
	s_waitcnt vmcnt(4)
	buffer_store_dword v68, off, s[0:3], 0 offset:268
	buffer_store_dword v67, off, s[0:3], 0 offset:264
	buffer_store_dword v66, off, s[0:3], 0 offset:260
	buffer_store_dword v65, off, s[0:3], 0 offset:256
	global_load_dwordx4 v[65:68], v[27:28], off
	v_add_co_u32 v25, vcc_lo, s4, v29
	v_add_co_ci_u32_e64 v26, null, s5, v30, vcc_lo
	v_add_co_u32 v29, vcc_lo, s4, v31
	s_waitcnt vmcnt(4)
	buffer_store_dword v72, off, s[0:3], 0 offset:284
	buffer_store_dword v71, off, s[0:3], 0 offset:280
	;; [unrolled: 1-line block ×4, first 2 shown]
	v_add_co_ci_u32_e64 v30, null, s5, v32, vcc_lo
	global_load_dwordx4 v[69:72], v[25:26], off
	s_waitcnt vmcnt(4)
	buffer_store_dword v76, off, s[0:3], 0 offset:300
	buffer_store_dword v75, off, s[0:3], 0 offset:296
	;; [unrolled: 1-line block ×4, first 2 shown]
	v_lshlrev_b64 v[31:32], 4, v[98:99]
	global_load_dwordx4 v[73:76], v[29:30], off
	s_waitcnt vmcnt(4)
	buffer_store_dword v85, off, s[0:3], 0 offset:316
	buffer_store_dword v84, off, s[0:3], 0 offset:312
	;; [unrolled: 1-line block ×4, first 2 shown]
	v_add_co_u32 v31, vcc_lo, s4, v31
	v_add_co_ci_u32_e64 v32, null, s5, v32, vcc_lo
	v_add_co_u32 v37, vcc_lo, s4, v37
	v_add_co_ci_u32_e64 v38, null, s5, v38, vcc_lo
	global_load_dwordx4 v[82:85], v[31:32], off
	s_waitcnt vmcnt(4)
	buffer_store_dword v50, off, s[0:3], 0 offset:332
	buffer_store_dword v49, off, s[0:3], 0 offset:328
	;; [unrolled: 1-line block ×4, first 2 shown]
	v_add_co_u32 v47, vcc_lo, s4, v59
	v_add_co_ci_u32_e64 v48, null, s5, v60, vcc_lo
	global_load_dwordx4 v[86:89], v[37:38], off
	s_waitcnt vmcnt(4)
	buffer_store_dword v68, off, s[0:3], 0 offset:348
	buffer_store_dword v67, off, s[0:3], 0 offset:344
	;; [unrolled: 1-line block ×4, first 2 shown]
	v_lshlrev_b64 v[59:60], 4, v[106:107]
	global_load_dwordx4 v[92:95], v[47:48], off
	v_add_co_u32 v49, vcc_lo, s4, v77
	v_add_co_ci_u32_e64 v50, null, s5, v78, vcc_lo
	v_add_co_u32 v59, vcc_lo, s4, v59
	s_waitcnt vmcnt(4)
	buffer_store_dword v72, off, s[0:3], 0 offset:364
	buffer_store_dword v71, off, s[0:3], 0 offset:360
	;; [unrolled: 1-line block ×4, first 2 shown]
	v_add_co_ci_u32_e64 v60, null, s5, v60, vcc_lo
	global_load_dwordx4 v[96:99], v[49:50], off
	s_waitcnt vmcnt(4)
	buffer_store_dword v76, off, s[0:3], 0 offset:380
	buffer_store_dword v75, off, s[0:3], 0 offset:376
	;; [unrolled: 1-line block ×4, first 2 shown]
	v_lshlrev_b64 v[65:66], 4, v[108:109]
	global_load_dwordx4 v[75:78], v[59:60], off
	v_lshlrev_b64 v[67:68], 4, v[110:111]
	v_lshlrev_b64 v[69:70], 4, v[112:113]
	;; [unrolled: 1-line block ×4, first 2 shown]
	v_add_co_u32 v65, vcc_lo, s4, v65
	v_add_co_ci_u32_e64 v66, null, s5, v66, vcc_lo
	v_add_co_u32 v67, vcc_lo, s4, v67
	v_add_co_ci_u32_e64 v68, null, s5, v68, vcc_lo
	;; [unrolled: 2-line block ×5, first 2 shown]
	v_lshlrev_b64 v[108:109], 4, v[122:123]
	s_waitcnt vmcnt(4)
	buffer_store_dword v85, off, s[0:3], 0 offset:396
	buffer_store_dword v84, off, s[0:3], 0 offset:392
	buffer_store_dword v83, off, s[0:3], 0 offset:388
	buffer_store_dword v82, off, s[0:3], 0 offset:384
	global_load_dwordx4 v[82:85], v[65:66], off
	s_waitcnt vmcnt(4)
	buffer_store_dword v89, off, s[0:3], 0 offset:412
	buffer_store_dword v88, off, s[0:3], 0 offset:408
	buffer_store_dword v87, off, s[0:3], 0 offset:404
	buffer_store_dword v86, off, s[0:3], 0 offset:400
	global_load_dwordx4 v[86:89], v[67:68], off
	;; [unrolled: 6-line block ×5, first 2 shown]
	v_lshlrev_b64 v[75:76], 4, v[118:119]
	v_lshlrev_b64 v[77:78], 4, v[120:121]
	s_waitcnt vmcnt(4)
	buffer_store_dword v85, off, s[0:3], 0 offset:476
	buffer_store_dword v84, off, s[0:3], 0 offset:472
	;; [unrolled: 1-line block ×4, first 2 shown]
	v_add_co_u32 v75, vcc_lo, s4, v75
	v_add_co_ci_u32_e64 v76, null, s5, v76, vcc_lo
	v_add_co_u32 v77, vcc_lo, s4, v77
	v_add_co_ci_u32_e64 v78, null, s5, v78, vcc_lo
	v_lshlrev_b64 v[83:84], 4, v[79:80]
	v_add_co_u32 v79, vcc_lo, s4, v108
	v_add_co_ci_u32_e64 v80, null, s5, v109, vcc_lo
	v_ashrrev_i32_e32 v82, 31, v81
	global_load_dwordx4 v[104:107], v[75:76], off
	s_waitcnt vmcnt(4)
	buffer_store_dword v89, off, s[0:3], 0 offset:492
	buffer_store_dword v88, off, s[0:3], 0 offset:488
	;; [unrolled: 1-line block ×4, first 2 shown]
	s_waitcnt vmcnt(3)
	buffer_store_dword v95, off, s[0:3], 0 offset:508
	buffer_store_dword v94, off, s[0:3], 0 offset:504
	;; [unrolled: 1-line block ×4, first 2 shown]
	s_clause 0x1
	global_load_dwordx4 v[85:88], v[77:78], off
	global_load_dwordx4 v[92:95], v[79:80], off
	v_lshlrev_b64 v[108:109], 4, v[81:82]
	v_add_co_u32 v81, vcc_lo, s4, v83
	v_add_co_ci_u32_e64 v82, null, s5, v84, vcc_lo
	s_waitcnt vmcnt(4)
	buffer_store_dword v99, off, s[0:3], 0 offset:524
	buffer_store_dword v98, off, s[0:3], 0 offset:520
	buffer_store_dword v97, off, s[0:3], 0 offset:516
	buffer_store_dword v96, off, s[0:3], 0 offset:512
	v_add_co_u32 v83, vcc_lo, s4, v108
	v_add_co_ci_u32_e64 v84, null, s5, v109, vcc_lo
	global_load_dwordx4 v[96:99], v[81:82], off
	s_waitcnt vmcnt(4)
	buffer_store_dword v103, off, s[0:3], 0 offset:540
	buffer_store_dword v102, off, s[0:3], 0 offset:536
	;; [unrolled: 1-line block ×4, first 2 shown]
	s_movk_i32 s4, 0x50
	global_load_dwordx4 v[100:103], v[83:84], off
	s_movk_i32 s5, 0x60
	s_waitcnt vmcnt(4)
	buffer_store_dword v107, off, s[0:3], 0 offset:556
	buffer_store_dword v106, off, s[0:3], 0 offset:552
	buffer_store_dword v105, off, s[0:3], 0 offset:548
	buffer_store_dword v104, off, s[0:3], 0 offset:544
	s_waitcnt vmcnt(3)
	buffer_store_dword v88, off, s[0:3], 0 offset:572
	buffer_store_dword v87, off, s[0:3], 0 offset:568
	buffer_store_dword v86, off, s[0:3], 0 offset:564
	buffer_store_dword v85, off, s[0:3], 0 offset:560
	;; [unrolled: 5-line block ×5, first 2 shown]
	buffer_store_dword v4, off, s[0:3], 0 offset:636
	buffer_store_dword v3, off, s[0:3], 0 offset:632
	;; [unrolled: 1-line block ×4, first 2 shown]
	s_cbranch_scc1 .LBB39_7
; %bb.2:
	v_lshl_add_u32 v92, v0, 4, 0
                                        ; implicit-def: $vgpr87_vgpr88
                                        ; implicit-def: $vgpr3_vgpr4
	s_clause 0x3
	buffer_load_dword v85, v92, s[0:3], 0 offen
	buffer_load_dword v86, v92, s[0:3], 0 offen offset:4
	buffer_load_dword v89, v92, s[0:3], 0 offen offset:8
	;; [unrolled: 1-line block ×3, first 2 shown]
	s_waitcnt vmcnt(0)
	v_cmp_ngt_f64_e64 s9, |v[85:86]|, |v[89:90]|
	s_and_saveexec_b32 s25, s9
	s_xor_b32 s9, exec_lo, s25
	s_cbranch_execz .LBB39_4
; %bb.3:
	v_div_scale_f64 v[1:2], null, v[89:90], v[89:90], v[85:86]
	v_div_scale_f64 v[93:94], vcc_lo, v[85:86], v[89:90], v[85:86]
	v_rcp_f64_e32 v[3:4], v[1:2]
	v_fma_f64 v[87:88], -v[1:2], v[3:4], 1.0
	v_fma_f64 v[3:4], v[3:4], v[87:88], v[3:4]
	v_fma_f64 v[87:88], -v[1:2], v[3:4], 1.0
	v_fma_f64 v[3:4], v[3:4], v[87:88], v[3:4]
	v_mul_f64 v[87:88], v[93:94], v[3:4]
	v_fma_f64 v[1:2], -v[1:2], v[87:88], v[93:94]
	v_div_fmas_f64 v[1:2], v[1:2], v[3:4], v[87:88]
	v_div_fixup_f64 v[1:2], v[1:2], v[89:90], v[85:86]
	v_fma_f64 v[3:4], v[85:86], v[1:2], v[89:90]
	v_div_scale_f64 v[85:86], null, v[3:4], v[3:4], 1.0
	v_div_scale_f64 v[93:94], vcc_lo, 1.0, v[3:4], 1.0
	v_rcp_f64_e32 v[87:88], v[85:86]
	v_fma_f64 v[89:90], -v[85:86], v[87:88], 1.0
	v_fma_f64 v[87:88], v[87:88], v[89:90], v[87:88]
	v_fma_f64 v[89:90], -v[85:86], v[87:88], 1.0
	v_fma_f64 v[87:88], v[87:88], v[89:90], v[87:88]
	v_mul_f64 v[89:90], v[93:94], v[87:88]
	v_fma_f64 v[85:86], -v[85:86], v[89:90], v[93:94]
	v_div_fmas_f64 v[85:86], v[85:86], v[87:88], v[89:90]
                                        ; implicit-def: $vgpr89_vgpr90
	v_div_fixup_f64 v[3:4], v[85:86], v[3:4], 1.0
                                        ; implicit-def: $vgpr85_vgpr86
	v_mul_f64 v[87:88], v[1:2], v[3:4]
	v_xor_b32_e32 v4, 0x80000000, v4
	v_xor_b32_e32 v2, 0x80000000, v88
	v_mov_b32_e32 v1, v87
.LBB39_4:
	s_andn2_saveexec_b32 s9, s9
	s_cbranch_execz .LBB39_6
; %bb.5:
	v_div_scale_f64 v[1:2], null, v[85:86], v[85:86], v[89:90]
	v_div_scale_f64 v[93:94], vcc_lo, v[89:90], v[85:86], v[89:90]
	v_rcp_f64_e32 v[3:4], v[1:2]
	v_fma_f64 v[87:88], -v[1:2], v[3:4], 1.0
	v_fma_f64 v[3:4], v[3:4], v[87:88], v[3:4]
	v_fma_f64 v[87:88], -v[1:2], v[3:4], 1.0
	v_fma_f64 v[3:4], v[3:4], v[87:88], v[3:4]
	v_mul_f64 v[87:88], v[93:94], v[3:4]
	v_fma_f64 v[1:2], -v[1:2], v[87:88], v[93:94]
	v_div_fmas_f64 v[1:2], v[1:2], v[3:4], v[87:88]
	v_div_fixup_f64 v[1:2], v[1:2], v[85:86], v[89:90]
	v_fma_f64 v[3:4], v[89:90], v[1:2], v[85:86]
	v_div_scale_f64 v[85:86], null, v[3:4], v[3:4], 1.0
	v_rcp_f64_e32 v[87:88], v[85:86]
	v_fma_f64 v[89:90], -v[85:86], v[87:88], 1.0
	v_fma_f64 v[87:88], v[87:88], v[89:90], v[87:88]
	v_fma_f64 v[89:90], -v[85:86], v[87:88], 1.0
	v_fma_f64 v[87:88], v[87:88], v[89:90], v[87:88]
	v_div_scale_f64 v[89:90], vcc_lo, 1.0, v[3:4], 1.0
	v_mul_f64 v[93:94], v[89:90], v[87:88]
	v_fma_f64 v[85:86], -v[85:86], v[93:94], v[89:90]
	v_div_fmas_f64 v[85:86], v[85:86], v[87:88], v[93:94]
	v_div_fixup_f64 v[87:88], v[85:86], v[3:4], 1.0
	v_mul_f64 v[3:4], v[1:2], -v[87:88]
	v_xor_b32_e32 v2, 0x80000000, v88
	v_mov_b32_e32 v1, v87
.LBB39_6:
	s_or_b32 exec_lo, exec_lo, s9
	buffer_store_dword v4, v92, s[0:3], 0 offen offset:12
	v_xor_b32_e32 v4, 0x80000000, v4
	buffer_store_dword v88, v92, s[0:3], 0 offen offset:4
	buffer_store_dword v87, v92, s[0:3], 0 offen
	buffer_store_dword v3, v92, s[0:3], 0 offen offset:8
	s_branch .LBB39_8
.LBB39_7:
	v_mov_b32_e32 v1, 0
	v_mov_b32_e32 v3, 0
	;; [unrolled: 1-line block ×4, first 2 shown]
.LBB39_8:
	v_add_nc_u32_e32 v86, 0x280, v91
	v_mov_b32_e32 v85, v91
	s_mov_b32 s46, 16
	s_mov_b32 s47, 32
	;; [unrolled: 1-line block ×38, first 2 shown]
	s_cmpk_eq_i32 s8, 0x79
	ds_write_b128 v91, v[1:4]
	s_cbranch_scc1 .LBB39_316
; %bb.9:
	v_mov_b32_e32 v4, s9
	v_cmp_eq_u32_e64 s4, 39, v0
	s_clause 0x3
	buffer_load_dword v1, v4, s[0:3], 0 offen
	buffer_load_dword v2, v4, s[0:3], 0 offen offset:4
	buffer_load_dword v3, v4, s[0:3], 0 offen offset:8
	;; [unrolled: 1-line block ×3, first 2 shown]
	s_waitcnt vmcnt(0)
	ds_write_b128 v86, v[1:4]
	s_waitcnt lgkmcnt(0)
	s_waitcnt_vscnt null, 0x0
	s_barrier
	buffer_gl0_inv
	s_and_saveexec_b32 s5, s4
	s_cbranch_execz .LBB39_13
; %bb.10:
	ds_read_b128 v[1:4], v86
	s_andn2_b32 vcc_lo, exec_lo, s48
	s_cbranch_vccnz .LBB39_12
; %bb.11:
	s_clause 0x3
	buffer_load_dword v87, v85, s[0:3], 0 offen offset:8
	buffer_load_dword v88, v85, s[0:3], 0 offen offset:12
	buffer_load_dword v89, v85, s[0:3], 0 offen
	buffer_load_dword v90, v85, s[0:3], 0 offen offset:4
	s_waitcnt vmcnt(2) lgkmcnt(0)
	v_mul_f64 v[92:93], v[3:4], v[87:88]
	v_mul_f64 v[87:88], v[1:2], v[87:88]
	s_waitcnt vmcnt(0)
	v_fma_f64 v[1:2], v[1:2], v[89:90], -v[92:93]
	v_fma_f64 v[3:4], v[3:4], v[89:90], v[87:88]
.LBB39_12:
	v_mov_b32_e32 v87, 0
	ds_read_b128 v[87:90], v87 offset:608
	s_waitcnt lgkmcnt(0)
	v_mul_f64 v[92:93], v[3:4], v[89:90]
	v_mul_f64 v[89:90], v[1:2], v[89:90]
	v_fma_f64 v[1:2], v[1:2], v[87:88], -v[92:93]
	v_fma_f64 v[3:4], v[3:4], v[87:88], v[89:90]
	buffer_store_dword v2, off, s[0:3], 0 offset:612
	buffer_store_dword v1, off, s[0:3], 0 offset:608
	;; [unrolled: 1-line block ×4, first 2 shown]
.LBB39_13:
	s_or_b32 exec_lo, exec_lo, s5
	v_mov_b32_e32 v4, s10
	v_cmp_lt_u32_e64 s5, 37, v0
	s_clause 0x3
	buffer_load_dword v1, v4, s[0:3], 0 offen
	buffer_load_dword v2, v4, s[0:3], 0 offen offset:4
	buffer_load_dword v3, v4, s[0:3], 0 offen offset:8
	;; [unrolled: 1-line block ×3, first 2 shown]
	s_waitcnt vmcnt(0)
	ds_write_b128 v86, v[1:4]
	s_waitcnt lgkmcnt(0)
	s_waitcnt_vscnt null, 0x0
	s_barrier
	buffer_gl0_inv
	s_and_saveexec_b32 s6, s5
	s_cbranch_execz .LBB39_19
; %bb.14:
	ds_read_b128 v[1:4], v86
	s_andn2_b32 vcc_lo, exec_lo, s48
	s_cbranch_vccnz .LBB39_16
; %bb.15:
	s_clause 0x3
	buffer_load_dword v87, v85, s[0:3], 0 offen offset:8
	buffer_load_dword v88, v85, s[0:3], 0 offen offset:12
	buffer_load_dword v89, v85, s[0:3], 0 offen
	buffer_load_dword v90, v85, s[0:3], 0 offen offset:4
	s_waitcnt vmcnt(2) lgkmcnt(0)
	v_mul_f64 v[92:93], v[3:4], v[87:88]
	v_mul_f64 v[87:88], v[1:2], v[87:88]
	s_waitcnt vmcnt(0)
	v_fma_f64 v[1:2], v[1:2], v[89:90], -v[92:93]
	v_fma_f64 v[3:4], v[3:4], v[89:90], v[87:88]
.LBB39_16:
	s_and_saveexec_b32 s8, s4
	s_cbranch_execz .LBB39_18
; %bb.17:
	s_clause 0x3
	buffer_load_dword v92, off, s[0:3], 0 offset:616
	buffer_load_dword v93, off, s[0:3], 0 offset:620
	;; [unrolled: 1-line block ×4, first 2 shown]
	v_mov_b32_e32 v87, 0
	ds_read_b128 v[87:90], v87 offset:1248
	s_waitcnt vmcnt(2) lgkmcnt(0)
	v_mul_f64 v[96:97], v[87:88], v[92:93]
	v_mul_f64 v[92:93], v[89:90], v[92:93]
	s_waitcnt vmcnt(0)
	v_fma_f64 v[89:90], v[89:90], v[94:95], v[96:97]
	v_fma_f64 v[87:88], v[87:88], v[94:95], -v[92:93]
	v_add_f64 v[3:4], v[3:4], v[89:90]
	v_add_f64 v[1:2], v[1:2], v[87:88]
.LBB39_18:
	s_or_b32 exec_lo, exec_lo, s8
	v_mov_b32_e32 v87, 0
	ds_read_b128 v[87:90], v87 offset:592
	s_waitcnt lgkmcnt(0)
	v_mul_f64 v[92:93], v[3:4], v[89:90]
	v_mul_f64 v[89:90], v[1:2], v[89:90]
	v_fma_f64 v[1:2], v[1:2], v[87:88], -v[92:93]
	v_fma_f64 v[3:4], v[3:4], v[87:88], v[89:90]
	buffer_store_dword v2, off, s[0:3], 0 offset:596
	buffer_store_dword v1, off, s[0:3], 0 offset:592
	;; [unrolled: 1-line block ×4, first 2 shown]
.LBB39_19:
	s_or_b32 exec_lo, exec_lo, s6
	v_mov_b32_e32 v4, s11
	v_cmp_lt_u32_e64 s4, 36, v0
	s_clause 0x3
	buffer_load_dword v1, v4, s[0:3], 0 offen
	buffer_load_dword v2, v4, s[0:3], 0 offen offset:4
	buffer_load_dword v3, v4, s[0:3], 0 offen offset:8
	;; [unrolled: 1-line block ×3, first 2 shown]
	s_waitcnt vmcnt(0)
	ds_write_b128 v86, v[1:4]
	s_waitcnt lgkmcnt(0)
	s_waitcnt_vscnt null, 0x0
	s_barrier
	buffer_gl0_inv
	s_and_saveexec_b32 s6, s4
	s_cbranch_execz .LBB39_27
; %bb.20:
	ds_read_b128 v[1:4], v86
	s_andn2_b32 vcc_lo, exec_lo, s48
	s_cbranch_vccnz .LBB39_22
; %bb.21:
	s_clause 0x3
	buffer_load_dword v87, v85, s[0:3], 0 offen offset:8
	buffer_load_dword v88, v85, s[0:3], 0 offen offset:12
	buffer_load_dword v89, v85, s[0:3], 0 offen
	buffer_load_dword v90, v85, s[0:3], 0 offen offset:4
	s_waitcnt vmcnt(2) lgkmcnt(0)
	v_mul_f64 v[92:93], v[3:4], v[87:88]
	v_mul_f64 v[87:88], v[1:2], v[87:88]
	s_waitcnt vmcnt(0)
	v_fma_f64 v[1:2], v[1:2], v[89:90], -v[92:93]
	v_fma_f64 v[3:4], v[3:4], v[89:90], v[87:88]
.LBB39_22:
	s_and_saveexec_b32 s8, s5
	s_cbranch_execz .LBB39_26
; %bb.23:
	v_subrev_nc_u32_e32 v87, 37, v0
	s_movk_i32 s49, 0x4d0
	s_mov_b32 s5, 0
	s_mov_b32 s50, s10
	.p2align	6
.LBB39_24:                              ; =>This Inner Loop Header: Depth=1
	v_mov_b32_e32 v90, s50
	v_add_nc_u32_e32 v87, -1, v87
	s_add_i32 s50, s50, 16
	s_clause 0x3
	buffer_load_dword v88, v90, s[0:3], 0 offen offset:8
	buffer_load_dword v89, v90, s[0:3], 0 offen offset:12
	buffer_load_dword v96, v90, s[0:3], 0 offen
	buffer_load_dword v97, v90, s[0:3], 0 offen offset:4
	v_mov_b32_e32 v90, s49
	v_cmp_eq_u32_e32 vcc_lo, 0, v87
	s_add_i32 s49, s49, 16
	ds_read_b128 v[92:95], v90
	s_or_b32 s5, vcc_lo, s5
	s_waitcnt vmcnt(2) lgkmcnt(0)
	v_mul_f64 v[98:99], v[94:95], v[88:89]
	v_mul_f64 v[88:89], v[92:93], v[88:89]
	s_waitcnt vmcnt(0)
	v_fma_f64 v[92:93], v[92:93], v[96:97], -v[98:99]
	v_fma_f64 v[88:89], v[94:95], v[96:97], v[88:89]
	v_add_f64 v[1:2], v[1:2], v[92:93]
	v_add_f64 v[3:4], v[3:4], v[88:89]
	s_andn2_b32 exec_lo, exec_lo, s5
	s_cbranch_execnz .LBB39_24
; %bb.25:
	s_or_b32 exec_lo, exec_lo, s5
.LBB39_26:
	s_or_b32 exec_lo, exec_lo, s8
	v_mov_b32_e32 v87, 0
	ds_read_b128 v[87:90], v87 offset:576
	s_waitcnt lgkmcnt(0)
	v_mul_f64 v[92:93], v[3:4], v[89:90]
	v_mul_f64 v[89:90], v[1:2], v[89:90]
	v_fma_f64 v[1:2], v[1:2], v[87:88], -v[92:93]
	v_fma_f64 v[3:4], v[3:4], v[87:88], v[89:90]
	buffer_store_dword v2, off, s[0:3], 0 offset:580
	buffer_store_dword v1, off, s[0:3], 0 offset:576
	;; [unrolled: 1-line block ×4, first 2 shown]
.LBB39_27:
	s_or_b32 exec_lo, exec_lo, s6
	v_mov_b32_e32 v4, s12
	v_cmp_lt_u32_e64 s5, 35, v0
	s_clause 0x3
	buffer_load_dword v1, v4, s[0:3], 0 offen
	buffer_load_dword v2, v4, s[0:3], 0 offen offset:4
	buffer_load_dword v3, v4, s[0:3], 0 offen offset:8
	;; [unrolled: 1-line block ×3, first 2 shown]
	s_waitcnt vmcnt(0)
	ds_write_b128 v86, v[1:4]
	s_waitcnt lgkmcnt(0)
	s_waitcnt_vscnt null, 0x0
	s_barrier
	buffer_gl0_inv
	s_and_saveexec_b32 s6, s5
	s_cbranch_execz .LBB39_35
; %bb.28:
	ds_read_b128 v[1:4], v86
	s_andn2_b32 vcc_lo, exec_lo, s48
	s_cbranch_vccnz .LBB39_30
; %bb.29:
	s_clause 0x3
	buffer_load_dword v87, v85, s[0:3], 0 offen offset:8
	buffer_load_dword v88, v85, s[0:3], 0 offen offset:12
	buffer_load_dword v89, v85, s[0:3], 0 offen
	buffer_load_dword v90, v85, s[0:3], 0 offen offset:4
	s_waitcnt vmcnt(2) lgkmcnt(0)
	v_mul_f64 v[92:93], v[3:4], v[87:88]
	v_mul_f64 v[87:88], v[1:2], v[87:88]
	s_waitcnt vmcnt(0)
	v_fma_f64 v[1:2], v[1:2], v[89:90], -v[92:93]
	v_fma_f64 v[3:4], v[3:4], v[89:90], v[87:88]
.LBB39_30:
	s_and_saveexec_b32 s8, s4
	s_cbranch_execz .LBB39_34
; %bb.31:
	v_subrev_nc_u32_e32 v87, 36, v0
	s_movk_i32 s49, 0x4c0
	s_mov_b32 s4, 0
	s_mov_b32 s50, s11
	.p2align	6
.LBB39_32:                              ; =>This Inner Loop Header: Depth=1
	v_mov_b32_e32 v90, s50
	v_add_nc_u32_e32 v87, -1, v87
	s_add_i32 s50, s50, 16
	s_clause 0x3
	buffer_load_dword v88, v90, s[0:3], 0 offen offset:8
	buffer_load_dword v89, v90, s[0:3], 0 offen offset:12
	buffer_load_dword v96, v90, s[0:3], 0 offen
	buffer_load_dword v97, v90, s[0:3], 0 offen offset:4
	v_mov_b32_e32 v90, s49
	v_cmp_eq_u32_e32 vcc_lo, 0, v87
	s_add_i32 s49, s49, 16
	ds_read_b128 v[92:95], v90
	s_or_b32 s4, vcc_lo, s4
	s_waitcnt vmcnt(2) lgkmcnt(0)
	v_mul_f64 v[98:99], v[94:95], v[88:89]
	v_mul_f64 v[88:89], v[92:93], v[88:89]
	s_waitcnt vmcnt(0)
	v_fma_f64 v[92:93], v[92:93], v[96:97], -v[98:99]
	v_fma_f64 v[88:89], v[94:95], v[96:97], v[88:89]
	v_add_f64 v[1:2], v[1:2], v[92:93]
	v_add_f64 v[3:4], v[3:4], v[88:89]
	s_andn2_b32 exec_lo, exec_lo, s4
	s_cbranch_execnz .LBB39_32
; %bb.33:
	s_or_b32 exec_lo, exec_lo, s4
.LBB39_34:
	s_or_b32 exec_lo, exec_lo, s8
	v_mov_b32_e32 v87, 0
	ds_read_b128 v[87:90], v87 offset:560
	s_waitcnt lgkmcnt(0)
	v_mul_f64 v[92:93], v[3:4], v[89:90]
	v_mul_f64 v[89:90], v[1:2], v[89:90]
	v_fma_f64 v[1:2], v[1:2], v[87:88], -v[92:93]
	v_fma_f64 v[3:4], v[3:4], v[87:88], v[89:90]
	buffer_store_dword v2, off, s[0:3], 0 offset:564
	buffer_store_dword v1, off, s[0:3], 0 offset:560
	;; [unrolled: 1-line block ×4, first 2 shown]
.LBB39_35:
	s_or_b32 exec_lo, exec_lo, s6
	v_mov_b32_e32 v4, s13
	v_cmp_lt_u32_e64 s4, 34, v0
	s_clause 0x3
	buffer_load_dword v1, v4, s[0:3], 0 offen
	buffer_load_dword v2, v4, s[0:3], 0 offen offset:4
	buffer_load_dword v3, v4, s[0:3], 0 offen offset:8
	buffer_load_dword v4, v4, s[0:3], 0 offen offset:12
	s_waitcnt vmcnt(0)
	ds_write_b128 v86, v[1:4]
	s_waitcnt lgkmcnt(0)
	s_waitcnt_vscnt null, 0x0
	s_barrier
	buffer_gl0_inv
	s_and_saveexec_b32 s6, s4
	s_cbranch_execz .LBB39_43
; %bb.36:
	ds_read_b128 v[1:4], v86
	s_andn2_b32 vcc_lo, exec_lo, s48
	s_cbranch_vccnz .LBB39_38
; %bb.37:
	s_clause 0x3
	buffer_load_dword v87, v85, s[0:3], 0 offen offset:8
	buffer_load_dword v88, v85, s[0:3], 0 offen offset:12
	buffer_load_dword v89, v85, s[0:3], 0 offen
	buffer_load_dword v90, v85, s[0:3], 0 offen offset:4
	s_waitcnt vmcnt(2) lgkmcnt(0)
	v_mul_f64 v[92:93], v[3:4], v[87:88]
	v_mul_f64 v[87:88], v[1:2], v[87:88]
	s_waitcnt vmcnt(0)
	v_fma_f64 v[1:2], v[1:2], v[89:90], -v[92:93]
	v_fma_f64 v[3:4], v[3:4], v[89:90], v[87:88]
.LBB39_38:
	s_and_saveexec_b32 s8, s5
	s_cbranch_execz .LBB39_42
; %bb.39:
	v_subrev_nc_u32_e32 v87, 35, v0
	s_movk_i32 s49, 0x4b0
	s_mov_b32 s5, 0
	s_mov_b32 s50, s12
	.p2align	6
.LBB39_40:                              ; =>This Inner Loop Header: Depth=1
	v_mov_b32_e32 v90, s50
	v_add_nc_u32_e32 v87, -1, v87
	s_add_i32 s50, s50, 16
	s_clause 0x3
	buffer_load_dword v88, v90, s[0:3], 0 offen offset:8
	buffer_load_dword v89, v90, s[0:3], 0 offen offset:12
	buffer_load_dword v96, v90, s[0:3], 0 offen
	buffer_load_dword v97, v90, s[0:3], 0 offen offset:4
	v_mov_b32_e32 v90, s49
	v_cmp_eq_u32_e32 vcc_lo, 0, v87
	s_add_i32 s49, s49, 16
	ds_read_b128 v[92:95], v90
	s_or_b32 s5, vcc_lo, s5
	s_waitcnt vmcnt(2) lgkmcnt(0)
	v_mul_f64 v[98:99], v[94:95], v[88:89]
	v_mul_f64 v[88:89], v[92:93], v[88:89]
	s_waitcnt vmcnt(0)
	v_fma_f64 v[92:93], v[92:93], v[96:97], -v[98:99]
	v_fma_f64 v[88:89], v[94:95], v[96:97], v[88:89]
	v_add_f64 v[1:2], v[1:2], v[92:93]
	v_add_f64 v[3:4], v[3:4], v[88:89]
	s_andn2_b32 exec_lo, exec_lo, s5
	s_cbranch_execnz .LBB39_40
; %bb.41:
	s_or_b32 exec_lo, exec_lo, s5
.LBB39_42:
	s_or_b32 exec_lo, exec_lo, s8
	v_mov_b32_e32 v87, 0
	ds_read_b128 v[87:90], v87 offset:544
	s_waitcnt lgkmcnt(0)
	v_mul_f64 v[92:93], v[3:4], v[89:90]
	v_mul_f64 v[89:90], v[1:2], v[89:90]
	v_fma_f64 v[1:2], v[1:2], v[87:88], -v[92:93]
	v_fma_f64 v[3:4], v[3:4], v[87:88], v[89:90]
	buffer_store_dword v2, off, s[0:3], 0 offset:548
	buffer_store_dword v1, off, s[0:3], 0 offset:544
	;; [unrolled: 1-line block ×4, first 2 shown]
.LBB39_43:
	s_or_b32 exec_lo, exec_lo, s6
	v_mov_b32_e32 v4, s14
	v_cmp_lt_u32_e64 s5, 33, v0
	s_clause 0x3
	buffer_load_dword v1, v4, s[0:3], 0 offen
	buffer_load_dword v2, v4, s[0:3], 0 offen offset:4
	buffer_load_dword v3, v4, s[0:3], 0 offen offset:8
	;; [unrolled: 1-line block ×3, first 2 shown]
	s_waitcnt vmcnt(0)
	ds_write_b128 v86, v[1:4]
	s_waitcnt lgkmcnt(0)
	s_waitcnt_vscnt null, 0x0
	s_barrier
	buffer_gl0_inv
	s_and_saveexec_b32 s6, s5
	s_cbranch_execz .LBB39_51
; %bb.44:
	ds_read_b128 v[1:4], v86
	s_andn2_b32 vcc_lo, exec_lo, s48
	s_cbranch_vccnz .LBB39_46
; %bb.45:
	s_clause 0x3
	buffer_load_dword v87, v85, s[0:3], 0 offen offset:8
	buffer_load_dword v88, v85, s[0:3], 0 offen offset:12
	buffer_load_dword v89, v85, s[0:3], 0 offen
	buffer_load_dword v90, v85, s[0:3], 0 offen offset:4
	s_waitcnt vmcnt(2) lgkmcnt(0)
	v_mul_f64 v[92:93], v[3:4], v[87:88]
	v_mul_f64 v[87:88], v[1:2], v[87:88]
	s_waitcnt vmcnt(0)
	v_fma_f64 v[1:2], v[1:2], v[89:90], -v[92:93]
	v_fma_f64 v[3:4], v[3:4], v[89:90], v[87:88]
.LBB39_46:
	s_and_saveexec_b32 s8, s4
	s_cbranch_execz .LBB39_50
; %bb.47:
	v_subrev_nc_u32_e32 v87, 34, v0
	s_movk_i32 s49, 0x4a0
	s_mov_b32 s4, 0
	s_mov_b32 s50, s13
	.p2align	6
.LBB39_48:                              ; =>This Inner Loop Header: Depth=1
	v_mov_b32_e32 v90, s50
	v_add_nc_u32_e32 v87, -1, v87
	s_add_i32 s50, s50, 16
	s_clause 0x3
	buffer_load_dword v88, v90, s[0:3], 0 offen offset:8
	buffer_load_dword v89, v90, s[0:3], 0 offen offset:12
	buffer_load_dword v96, v90, s[0:3], 0 offen
	buffer_load_dword v97, v90, s[0:3], 0 offen offset:4
	v_mov_b32_e32 v90, s49
	v_cmp_eq_u32_e32 vcc_lo, 0, v87
	s_add_i32 s49, s49, 16
	ds_read_b128 v[92:95], v90
	s_or_b32 s4, vcc_lo, s4
	s_waitcnt vmcnt(2) lgkmcnt(0)
	v_mul_f64 v[98:99], v[94:95], v[88:89]
	v_mul_f64 v[88:89], v[92:93], v[88:89]
	s_waitcnt vmcnt(0)
	v_fma_f64 v[92:93], v[92:93], v[96:97], -v[98:99]
	v_fma_f64 v[88:89], v[94:95], v[96:97], v[88:89]
	v_add_f64 v[1:2], v[1:2], v[92:93]
	v_add_f64 v[3:4], v[3:4], v[88:89]
	s_andn2_b32 exec_lo, exec_lo, s4
	s_cbranch_execnz .LBB39_48
; %bb.49:
	s_or_b32 exec_lo, exec_lo, s4
.LBB39_50:
	s_or_b32 exec_lo, exec_lo, s8
	v_mov_b32_e32 v87, 0
	ds_read_b128 v[87:90], v87 offset:528
	s_waitcnt lgkmcnt(0)
	v_mul_f64 v[92:93], v[3:4], v[89:90]
	v_mul_f64 v[89:90], v[1:2], v[89:90]
	v_fma_f64 v[1:2], v[1:2], v[87:88], -v[92:93]
	v_fma_f64 v[3:4], v[3:4], v[87:88], v[89:90]
	buffer_store_dword v2, off, s[0:3], 0 offset:532
	buffer_store_dword v1, off, s[0:3], 0 offset:528
	;; [unrolled: 1-line block ×4, first 2 shown]
.LBB39_51:
	s_or_b32 exec_lo, exec_lo, s6
	v_mov_b32_e32 v4, s15
	v_cmp_lt_u32_e64 s4, 32, v0
	s_clause 0x3
	buffer_load_dword v1, v4, s[0:3], 0 offen
	buffer_load_dword v2, v4, s[0:3], 0 offen offset:4
	buffer_load_dword v3, v4, s[0:3], 0 offen offset:8
	;; [unrolled: 1-line block ×3, first 2 shown]
	s_waitcnt vmcnt(0)
	ds_write_b128 v86, v[1:4]
	s_waitcnt lgkmcnt(0)
	s_waitcnt_vscnt null, 0x0
	s_barrier
	buffer_gl0_inv
	s_and_saveexec_b32 s6, s4
	s_cbranch_execz .LBB39_59
; %bb.52:
	ds_read_b128 v[1:4], v86
	s_andn2_b32 vcc_lo, exec_lo, s48
	s_cbranch_vccnz .LBB39_54
; %bb.53:
	s_clause 0x3
	buffer_load_dword v87, v85, s[0:3], 0 offen offset:8
	buffer_load_dword v88, v85, s[0:3], 0 offen offset:12
	buffer_load_dword v89, v85, s[0:3], 0 offen
	buffer_load_dword v90, v85, s[0:3], 0 offen offset:4
	s_waitcnt vmcnt(2) lgkmcnt(0)
	v_mul_f64 v[92:93], v[3:4], v[87:88]
	v_mul_f64 v[87:88], v[1:2], v[87:88]
	s_waitcnt vmcnt(0)
	v_fma_f64 v[1:2], v[1:2], v[89:90], -v[92:93]
	v_fma_f64 v[3:4], v[3:4], v[89:90], v[87:88]
.LBB39_54:
	s_and_saveexec_b32 s8, s5
	s_cbranch_execz .LBB39_58
; %bb.55:
	v_subrev_nc_u32_e32 v87, 33, v0
	s_movk_i32 s49, 0x490
	s_mov_b32 s5, 0
	s_mov_b32 s50, s14
	.p2align	6
.LBB39_56:                              ; =>This Inner Loop Header: Depth=1
	v_mov_b32_e32 v90, s50
	v_add_nc_u32_e32 v87, -1, v87
	s_add_i32 s50, s50, 16
	s_clause 0x3
	buffer_load_dword v88, v90, s[0:3], 0 offen offset:8
	buffer_load_dword v89, v90, s[0:3], 0 offen offset:12
	buffer_load_dword v96, v90, s[0:3], 0 offen
	buffer_load_dword v97, v90, s[0:3], 0 offen offset:4
	v_mov_b32_e32 v90, s49
	v_cmp_eq_u32_e32 vcc_lo, 0, v87
	s_add_i32 s49, s49, 16
	ds_read_b128 v[92:95], v90
	s_or_b32 s5, vcc_lo, s5
	s_waitcnt vmcnt(2) lgkmcnt(0)
	v_mul_f64 v[98:99], v[94:95], v[88:89]
	v_mul_f64 v[88:89], v[92:93], v[88:89]
	s_waitcnt vmcnt(0)
	v_fma_f64 v[92:93], v[92:93], v[96:97], -v[98:99]
	v_fma_f64 v[88:89], v[94:95], v[96:97], v[88:89]
	v_add_f64 v[1:2], v[1:2], v[92:93]
	v_add_f64 v[3:4], v[3:4], v[88:89]
	s_andn2_b32 exec_lo, exec_lo, s5
	s_cbranch_execnz .LBB39_56
; %bb.57:
	s_or_b32 exec_lo, exec_lo, s5
.LBB39_58:
	s_or_b32 exec_lo, exec_lo, s8
	v_mov_b32_e32 v87, 0
	ds_read_b128 v[87:90], v87 offset:512
	s_waitcnt lgkmcnt(0)
	v_mul_f64 v[92:93], v[3:4], v[89:90]
	v_mul_f64 v[89:90], v[1:2], v[89:90]
	v_fma_f64 v[1:2], v[1:2], v[87:88], -v[92:93]
	v_fma_f64 v[3:4], v[3:4], v[87:88], v[89:90]
	buffer_store_dword v2, off, s[0:3], 0 offset:516
	buffer_store_dword v1, off, s[0:3], 0 offset:512
	buffer_store_dword v4, off, s[0:3], 0 offset:524
	buffer_store_dword v3, off, s[0:3], 0 offset:520
.LBB39_59:
	s_or_b32 exec_lo, exec_lo, s6
	v_mov_b32_e32 v4, s16
	v_cmp_lt_u32_e64 s5, 31, v0
	s_clause 0x3
	buffer_load_dword v1, v4, s[0:3], 0 offen
	buffer_load_dword v2, v4, s[0:3], 0 offen offset:4
	buffer_load_dword v3, v4, s[0:3], 0 offen offset:8
	;; [unrolled: 1-line block ×3, first 2 shown]
	s_waitcnt vmcnt(0)
	ds_write_b128 v86, v[1:4]
	s_waitcnt lgkmcnt(0)
	s_waitcnt_vscnt null, 0x0
	s_barrier
	buffer_gl0_inv
	s_and_saveexec_b32 s6, s5
	s_cbranch_execz .LBB39_67
; %bb.60:
	ds_read_b128 v[1:4], v86
	s_andn2_b32 vcc_lo, exec_lo, s48
	s_cbranch_vccnz .LBB39_62
; %bb.61:
	s_clause 0x3
	buffer_load_dword v87, v85, s[0:3], 0 offen offset:8
	buffer_load_dword v88, v85, s[0:3], 0 offen offset:12
	buffer_load_dword v89, v85, s[0:3], 0 offen
	buffer_load_dword v90, v85, s[0:3], 0 offen offset:4
	s_waitcnt vmcnt(2) lgkmcnt(0)
	v_mul_f64 v[92:93], v[3:4], v[87:88]
	v_mul_f64 v[87:88], v[1:2], v[87:88]
	s_waitcnt vmcnt(0)
	v_fma_f64 v[1:2], v[1:2], v[89:90], -v[92:93]
	v_fma_f64 v[3:4], v[3:4], v[89:90], v[87:88]
.LBB39_62:
	s_and_saveexec_b32 s8, s4
	s_cbranch_execz .LBB39_66
; %bb.63:
	v_subrev_nc_u32_e32 v87, 32, v0
	s_movk_i32 s49, 0x480
	s_mov_b32 s4, 0
	s_mov_b32 s50, s15
	.p2align	6
.LBB39_64:                              ; =>This Inner Loop Header: Depth=1
	v_mov_b32_e32 v90, s50
	v_add_nc_u32_e32 v87, -1, v87
	s_add_i32 s50, s50, 16
	s_clause 0x3
	buffer_load_dword v88, v90, s[0:3], 0 offen offset:8
	buffer_load_dword v89, v90, s[0:3], 0 offen offset:12
	buffer_load_dword v96, v90, s[0:3], 0 offen
	buffer_load_dword v97, v90, s[0:3], 0 offen offset:4
	v_mov_b32_e32 v90, s49
	v_cmp_eq_u32_e32 vcc_lo, 0, v87
	s_add_i32 s49, s49, 16
	ds_read_b128 v[92:95], v90
	s_or_b32 s4, vcc_lo, s4
	s_waitcnt vmcnt(2) lgkmcnt(0)
	v_mul_f64 v[98:99], v[94:95], v[88:89]
	v_mul_f64 v[88:89], v[92:93], v[88:89]
	s_waitcnt vmcnt(0)
	v_fma_f64 v[92:93], v[92:93], v[96:97], -v[98:99]
	v_fma_f64 v[88:89], v[94:95], v[96:97], v[88:89]
	v_add_f64 v[1:2], v[1:2], v[92:93]
	v_add_f64 v[3:4], v[3:4], v[88:89]
	s_andn2_b32 exec_lo, exec_lo, s4
	s_cbranch_execnz .LBB39_64
; %bb.65:
	s_or_b32 exec_lo, exec_lo, s4
.LBB39_66:
	s_or_b32 exec_lo, exec_lo, s8
	v_mov_b32_e32 v87, 0
	ds_read_b128 v[87:90], v87 offset:496
	s_waitcnt lgkmcnt(0)
	v_mul_f64 v[92:93], v[3:4], v[89:90]
	v_mul_f64 v[89:90], v[1:2], v[89:90]
	v_fma_f64 v[1:2], v[1:2], v[87:88], -v[92:93]
	v_fma_f64 v[3:4], v[3:4], v[87:88], v[89:90]
	buffer_store_dword v2, off, s[0:3], 0 offset:500
	buffer_store_dword v1, off, s[0:3], 0 offset:496
	;; [unrolled: 1-line block ×4, first 2 shown]
.LBB39_67:
	s_or_b32 exec_lo, exec_lo, s6
	v_mov_b32_e32 v4, s17
	v_cmp_lt_u32_e64 s4, 30, v0
	s_clause 0x3
	buffer_load_dword v1, v4, s[0:3], 0 offen
	buffer_load_dword v2, v4, s[0:3], 0 offen offset:4
	buffer_load_dword v3, v4, s[0:3], 0 offen offset:8
	;; [unrolled: 1-line block ×3, first 2 shown]
	s_waitcnt vmcnt(0)
	ds_write_b128 v86, v[1:4]
	s_waitcnt lgkmcnt(0)
	s_waitcnt_vscnt null, 0x0
	s_barrier
	buffer_gl0_inv
	s_and_saveexec_b32 s6, s4
	s_cbranch_execz .LBB39_75
; %bb.68:
	ds_read_b128 v[1:4], v86
	s_andn2_b32 vcc_lo, exec_lo, s48
	s_cbranch_vccnz .LBB39_70
; %bb.69:
	s_clause 0x3
	buffer_load_dword v87, v85, s[0:3], 0 offen offset:8
	buffer_load_dword v88, v85, s[0:3], 0 offen offset:12
	buffer_load_dword v89, v85, s[0:3], 0 offen
	buffer_load_dword v90, v85, s[0:3], 0 offen offset:4
	s_waitcnt vmcnt(2) lgkmcnt(0)
	v_mul_f64 v[92:93], v[3:4], v[87:88]
	v_mul_f64 v[87:88], v[1:2], v[87:88]
	s_waitcnt vmcnt(0)
	v_fma_f64 v[1:2], v[1:2], v[89:90], -v[92:93]
	v_fma_f64 v[3:4], v[3:4], v[89:90], v[87:88]
.LBB39_70:
	s_and_saveexec_b32 s8, s5
	s_cbranch_execz .LBB39_74
; %bb.71:
	v_subrev_nc_u32_e32 v87, 31, v0
	s_movk_i32 s49, 0x470
	s_mov_b32 s5, 0
	s_mov_b32 s50, s16
	.p2align	6
.LBB39_72:                              ; =>This Inner Loop Header: Depth=1
	v_mov_b32_e32 v90, s50
	v_add_nc_u32_e32 v87, -1, v87
	s_add_i32 s50, s50, 16
	s_clause 0x3
	buffer_load_dword v88, v90, s[0:3], 0 offen offset:8
	buffer_load_dword v89, v90, s[0:3], 0 offen offset:12
	buffer_load_dword v96, v90, s[0:3], 0 offen
	buffer_load_dword v97, v90, s[0:3], 0 offen offset:4
	v_mov_b32_e32 v90, s49
	v_cmp_eq_u32_e32 vcc_lo, 0, v87
	s_add_i32 s49, s49, 16
	ds_read_b128 v[92:95], v90
	s_or_b32 s5, vcc_lo, s5
	s_waitcnt vmcnt(2) lgkmcnt(0)
	v_mul_f64 v[98:99], v[94:95], v[88:89]
	v_mul_f64 v[88:89], v[92:93], v[88:89]
	s_waitcnt vmcnt(0)
	v_fma_f64 v[92:93], v[92:93], v[96:97], -v[98:99]
	v_fma_f64 v[88:89], v[94:95], v[96:97], v[88:89]
	v_add_f64 v[1:2], v[1:2], v[92:93]
	v_add_f64 v[3:4], v[3:4], v[88:89]
	s_andn2_b32 exec_lo, exec_lo, s5
	s_cbranch_execnz .LBB39_72
; %bb.73:
	s_or_b32 exec_lo, exec_lo, s5
.LBB39_74:
	s_or_b32 exec_lo, exec_lo, s8
	v_mov_b32_e32 v87, 0
	ds_read_b128 v[87:90], v87 offset:480
	s_waitcnt lgkmcnt(0)
	v_mul_f64 v[92:93], v[3:4], v[89:90]
	v_mul_f64 v[89:90], v[1:2], v[89:90]
	v_fma_f64 v[1:2], v[1:2], v[87:88], -v[92:93]
	v_fma_f64 v[3:4], v[3:4], v[87:88], v[89:90]
	buffer_store_dword v2, off, s[0:3], 0 offset:484
	buffer_store_dword v1, off, s[0:3], 0 offset:480
	;; [unrolled: 1-line block ×4, first 2 shown]
.LBB39_75:
	s_or_b32 exec_lo, exec_lo, s6
	v_mov_b32_e32 v4, s18
	v_cmp_lt_u32_e64 s5, 29, v0
	s_clause 0x3
	buffer_load_dword v1, v4, s[0:3], 0 offen
	buffer_load_dword v2, v4, s[0:3], 0 offen offset:4
	buffer_load_dword v3, v4, s[0:3], 0 offen offset:8
	;; [unrolled: 1-line block ×3, first 2 shown]
	s_waitcnt vmcnt(0)
	ds_write_b128 v86, v[1:4]
	s_waitcnt lgkmcnt(0)
	s_waitcnt_vscnt null, 0x0
	s_barrier
	buffer_gl0_inv
	s_and_saveexec_b32 s6, s5
	s_cbranch_execz .LBB39_83
; %bb.76:
	ds_read_b128 v[1:4], v86
	s_andn2_b32 vcc_lo, exec_lo, s48
	s_cbranch_vccnz .LBB39_78
; %bb.77:
	s_clause 0x3
	buffer_load_dword v87, v85, s[0:3], 0 offen offset:8
	buffer_load_dword v88, v85, s[0:3], 0 offen offset:12
	buffer_load_dword v89, v85, s[0:3], 0 offen
	buffer_load_dword v90, v85, s[0:3], 0 offen offset:4
	s_waitcnt vmcnt(2) lgkmcnt(0)
	v_mul_f64 v[92:93], v[3:4], v[87:88]
	v_mul_f64 v[87:88], v[1:2], v[87:88]
	s_waitcnt vmcnt(0)
	v_fma_f64 v[1:2], v[1:2], v[89:90], -v[92:93]
	v_fma_f64 v[3:4], v[3:4], v[89:90], v[87:88]
.LBB39_78:
	s_and_saveexec_b32 s8, s4
	s_cbranch_execz .LBB39_82
; %bb.79:
	v_subrev_nc_u32_e32 v87, 30, v0
	s_movk_i32 s49, 0x460
	s_mov_b32 s4, 0
	s_mov_b32 s50, s17
	.p2align	6
.LBB39_80:                              ; =>This Inner Loop Header: Depth=1
	v_mov_b32_e32 v90, s50
	v_add_nc_u32_e32 v87, -1, v87
	s_add_i32 s50, s50, 16
	s_clause 0x3
	buffer_load_dword v88, v90, s[0:3], 0 offen offset:8
	buffer_load_dword v89, v90, s[0:3], 0 offen offset:12
	buffer_load_dword v96, v90, s[0:3], 0 offen
	buffer_load_dword v97, v90, s[0:3], 0 offen offset:4
	v_mov_b32_e32 v90, s49
	v_cmp_eq_u32_e32 vcc_lo, 0, v87
	s_add_i32 s49, s49, 16
	ds_read_b128 v[92:95], v90
	s_or_b32 s4, vcc_lo, s4
	s_waitcnt vmcnt(2) lgkmcnt(0)
	v_mul_f64 v[98:99], v[94:95], v[88:89]
	v_mul_f64 v[88:89], v[92:93], v[88:89]
	s_waitcnt vmcnt(0)
	v_fma_f64 v[92:93], v[92:93], v[96:97], -v[98:99]
	v_fma_f64 v[88:89], v[94:95], v[96:97], v[88:89]
	v_add_f64 v[1:2], v[1:2], v[92:93]
	v_add_f64 v[3:4], v[3:4], v[88:89]
	s_andn2_b32 exec_lo, exec_lo, s4
	s_cbranch_execnz .LBB39_80
; %bb.81:
	s_or_b32 exec_lo, exec_lo, s4
.LBB39_82:
	s_or_b32 exec_lo, exec_lo, s8
	v_mov_b32_e32 v87, 0
	ds_read_b128 v[87:90], v87 offset:464
	s_waitcnt lgkmcnt(0)
	v_mul_f64 v[92:93], v[3:4], v[89:90]
	v_mul_f64 v[89:90], v[1:2], v[89:90]
	v_fma_f64 v[1:2], v[1:2], v[87:88], -v[92:93]
	v_fma_f64 v[3:4], v[3:4], v[87:88], v[89:90]
	buffer_store_dword v2, off, s[0:3], 0 offset:468
	buffer_store_dword v1, off, s[0:3], 0 offset:464
	;; [unrolled: 1-line block ×4, first 2 shown]
.LBB39_83:
	s_or_b32 exec_lo, exec_lo, s6
	v_mov_b32_e32 v4, s19
	v_cmp_lt_u32_e64 s4, 28, v0
	s_clause 0x3
	buffer_load_dword v1, v4, s[0:3], 0 offen
	buffer_load_dword v2, v4, s[0:3], 0 offen offset:4
	buffer_load_dword v3, v4, s[0:3], 0 offen offset:8
	;; [unrolled: 1-line block ×3, first 2 shown]
	s_waitcnt vmcnt(0)
	ds_write_b128 v86, v[1:4]
	s_waitcnt lgkmcnt(0)
	s_waitcnt_vscnt null, 0x0
	s_barrier
	buffer_gl0_inv
	s_and_saveexec_b32 s6, s4
	s_cbranch_execz .LBB39_91
; %bb.84:
	ds_read_b128 v[1:4], v86
	s_andn2_b32 vcc_lo, exec_lo, s48
	s_cbranch_vccnz .LBB39_86
; %bb.85:
	s_clause 0x3
	buffer_load_dword v87, v85, s[0:3], 0 offen offset:8
	buffer_load_dword v88, v85, s[0:3], 0 offen offset:12
	buffer_load_dword v89, v85, s[0:3], 0 offen
	buffer_load_dword v90, v85, s[0:3], 0 offen offset:4
	s_waitcnt vmcnt(2) lgkmcnt(0)
	v_mul_f64 v[92:93], v[3:4], v[87:88]
	v_mul_f64 v[87:88], v[1:2], v[87:88]
	s_waitcnt vmcnt(0)
	v_fma_f64 v[1:2], v[1:2], v[89:90], -v[92:93]
	v_fma_f64 v[3:4], v[3:4], v[89:90], v[87:88]
.LBB39_86:
	s_and_saveexec_b32 s8, s5
	s_cbranch_execz .LBB39_90
; %bb.87:
	v_subrev_nc_u32_e32 v87, 29, v0
	s_movk_i32 s49, 0x450
	s_mov_b32 s5, 0
	s_mov_b32 s50, s18
	.p2align	6
.LBB39_88:                              ; =>This Inner Loop Header: Depth=1
	v_mov_b32_e32 v90, s50
	v_add_nc_u32_e32 v87, -1, v87
	s_add_i32 s50, s50, 16
	s_clause 0x3
	buffer_load_dword v88, v90, s[0:3], 0 offen offset:8
	buffer_load_dword v89, v90, s[0:3], 0 offen offset:12
	buffer_load_dword v96, v90, s[0:3], 0 offen
	buffer_load_dword v97, v90, s[0:3], 0 offen offset:4
	v_mov_b32_e32 v90, s49
	v_cmp_eq_u32_e32 vcc_lo, 0, v87
	s_add_i32 s49, s49, 16
	ds_read_b128 v[92:95], v90
	s_or_b32 s5, vcc_lo, s5
	s_waitcnt vmcnt(2) lgkmcnt(0)
	v_mul_f64 v[98:99], v[94:95], v[88:89]
	v_mul_f64 v[88:89], v[92:93], v[88:89]
	s_waitcnt vmcnt(0)
	v_fma_f64 v[92:93], v[92:93], v[96:97], -v[98:99]
	v_fma_f64 v[88:89], v[94:95], v[96:97], v[88:89]
	v_add_f64 v[1:2], v[1:2], v[92:93]
	v_add_f64 v[3:4], v[3:4], v[88:89]
	s_andn2_b32 exec_lo, exec_lo, s5
	s_cbranch_execnz .LBB39_88
; %bb.89:
	s_or_b32 exec_lo, exec_lo, s5
.LBB39_90:
	s_or_b32 exec_lo, exec_lo, s8
	v_mov_b32_e32 v87, 0
	ds_read_b128 v[87:90], v87 offset:448
	s_waitcnt lgkmcnt(0)
	v_mul_f64 v[92:93], v[3:4], v[89:90]
	v_mul_f64 v[89:90], v[1:2], v[89:90]
	v_fma_f64 v[1:2], v[1:2], v[87:88], -v[92:93]
	v_fma_f64 v[3:4], v[3:4], v[87:88], v[89:90]
	buffer_store_dword v2, off, s[0:3], 0 offset:452
	buffer_store_dword v1, off, s[0:3], 0 offset:448
	;; [unrolled: 1-line block ×4, first 2 shown]
.LBB39_91:
	s_or_b32 exec_lo, exec_lo, s6
	v_mov_b32_e32 v4, s20
	v_cmp_lt_u32_e64 s5, 27, v0
	s_clause 0x3
	buffer_load_dword v1, v4, s[0:3], 0 offen
	buffer_load_dword v2, v4, s[0:3], 0 offen offset:4
	buffer_load_dword v3, v4, s[0:3], 0 offen offset:8
	;; [unrolled: 1-line block ×3, first 2 shown]
	s_waitcnt vmcnt(0)
	ds_write_b128 v86, v[1:4]
	s_waitcnt lgkmcnt(0)
	s_waitcnt_vscnt null, 0x0
	s_barrier
	buffer_gl0_inv
	s_and_saveexec_b32 s6, s5
	s_cbranch_execz .LBB39_99
; %bb.92:
	ds_read_b128 v[1:4], v86
	s_andn2_b32 vcc_lo, exec_lo, s48
	s_cbranch_vccnz .LBB39_94
; %bb.93:
	s_clause 0x3
	buffer_load_dword v87, v85, s[0:3], 0 offen offset:8
	buffer_load_dword v88, v85, s[0:3], 0 offen offset:12
	buffer_load_dword v89, v85, s[0:3], 0 offen
	buffer_load_dword v90, v85, s[0:3], 0 offen offset:4
	s_waitcnt vmcnt(2) lgkmcnt(0)
	v_mul_f64 v[92:93], v[3:4], v[87:88]
	v_mul_f64 v[87:88], v[1:2], v[87:88]
	s_waitcnt vmcnt(0)
	v_fma_f64 v[1:2], v[1:2], v[89:90], -v[92:93]
	v_fma_f64 v[3:4], v[3:4], v[89:90], v[87:88]
.LBB39_94:
	s_and_saveexec_b32 s8, s4
	s_cbranch_execz .LBB39_98
; %bb.95:
	v_subrev_nc_u32_e32 v87, 28, v0
	s_movk_i32 s49, 0x440
	s_mov_b32 s4, 0
	s_mov_b32 s50, s19
	.p2align	6
.LBB39_96:                              ; =>This Inner Loop Header: Depth=1
	v_mov_b32_e32 v90, s50
	v_add_nc_u32_e32 v87, -1, v87
	s_add_i32 s50, s50, 16
	s_clause 0x3
	buffer_load_dword v88, v90, s[0:3], 0 offen offset:8
	buffer_load_dword v89, v90, s[0:3], 0 offen offset:12
	buffer_load_dword v96, v90, s[0:3], 0 offen
	buffer_load_dword v97, v90, s[0:3], 0 offen offset:4
	v_mov_b32_e32 v90, s49
	v_cmp_eq_u32_e32 vcc_lo, 0, v87
	s_add_i32 s49, s49, 16
	ds_read_b128 v[92:95], v90
	s_or_b32 s4, vcc_lo, s4
	s_waitcnt vmcnt(2) lgkmcnt(0)
	v_mul_f64 v[98:99], v[94:95], v[88:89]
	v_mul_f64 v[88:89], v[92:93], v[88:89]
	s_waitcnt vmcnt(0)
	v_fma_f64 v[92:93], v[92:93], v[96:97], -v[98:99]
	v_fma_f64 v[88:89], v[94:95], v[96:97], v[88:89]
	v_add_f64 v[1:2], v[1:2], v[92:93]
	v_add_f64 v[3:4], v[3:4], v[88:89]
	s_andn2_b32 exec_lo, exec_lo, s4
	s_cbranch_execnz .LBB39_96
; %bb.97:
	s_or_b32 exec_lo, exec_lo, s4
.LBB39_98:
	s_or_b32 exec_lo, exec_lo, s8
	v_mov_b32_e32 v87, 0
	ds_read_b128 v[87:90], v87 offset:432
	s_waitcnt lgkmcnt(0)
	v_mul_f64 v[92:93], v[3:4], v[89:90]
	v_mul_f64 v[89:90], v[1:2], v[89:90]
	v_fma_f64 v[1:2], v[1:2], v[87:88], -v[92:93]
	v_fma_f64 v[3:4], v[3:4], v[87:88], v[89:90]
	buffer_store_dword v2, off, s[0:3], 0 offset:436
	buffer_store_dword v1, off, s[0:3], 0 offset:432
	;; [unrolled: 1-line block ×4, first 2 shown]
.LBB39_99:
	s_or_b32 exec_lo, exec_lo, s6
	v_mov_b32_e32 v4, s21
	v_cmp_lt_u32_e64 s4, 26, v0
	s_clause 0x3
	buffer_load_dword v1, v4, s[0:3], 0 offen
	buffer_load_dword v2, v4, s[0:3], 0 offen offset:4
	buffer_load_dword v3, v4, s[0:3], 0 offen offset:8
	buffer_load_dword v4, v4, s[0:3], 0 offen offset:12
	s_waitcnt vmcnt(0)
	ds_write_b128 v86, v[1:4]
	s_waitcnt lgkmcnt(0)
	s_waitcnt_vscnt null, 0x0
	s_barrier
	buffer_gl0_inv
	s_and_saveexec_b32 s6, s4
	s_cbranch_execz .LBB39_107
; %bb.100:
	ds_read_b128 v[1:4], v86
	s_andn2_b32 vcc_lo, exec_lo, s48
	s_cbranch_vccnz .LBB39_102
; %bb.101:
	s_clause 0x3
	buffer_load_dword v87, v85, s[0:3], 0 offen offset:8
	buffer_load_dword v88, v85, s[0:3], 0 offen offset:12
	buffer_load_dword v89, v85, s[0:3], 0 offen
	buffer_load_dword v90, v85, s[0:3], 0 offen offset:4
	s_waitcnt vmcnt(2) lgkmcnt(0)
	v_mul_f64 v[92:93], v[3:4], v[87:88]
	v_mul_f64 v[87:88], v[1:2], v[87:88]
	s_waitcnt vmcnt(0)
	v_fma_f64 v[1:2], v[1:2], v[89:90], -v[92:93]
	v_fma_f64 v[3:4], v[3:4], v[89:90], v[87:88]
.LBB39_102:
	s_and_saveexec_b32 s8, s5
	s_cbranch_execz .LBB39_106
; %bb.103:
	v_subrev_nc_u32_e32 v87, 27, v0
	s_movk_i32 s49, 0x430
	s_mov_b32 s5, 0
	s_mov_b32 s50, s20
	.p2align	6
.LBB39_104:                             ; =>This Inner Loop Header: Depth=1
	v_mov_b32_e32 v90, s50
	v_add_nc_u32_e32 v87, -1, v87
	s_add_i32 s50, s50, 16
	s_clause 0x3
	buffer_load_dword v88, v90, s[0:3], 0 offen offset:8
	buffer_load_dword v89, v90, s[0:3], 0 offen offset:12
	buffer_load_dword v96, v90, s[0:3], 0 offen
	buffer_load_dword v97, v90, s[0:3], 0 offen offset:4
	v_mov_b32_e32 v90, s49
	v_cmp_eq_u32_e32 vcc_lo, 0, v87
	s_add_i32 s49, s49, 16
	ds_read_b128 v[92:95], v90
	s_or_b32 s5, vcc_lo, s5
	s_waitcnt vmcnt(2) lgkmcnt(0)
	v_mul_f64 v[98:99], v[94:95], v[88:89]
	v_mul_f64 v[88:89], v[92:93], v[88:89]
	s_waitcnt vmcnt(0)
	v_fma_f64 v[92:93], v[92:93], v[96:97], -v[98:99]
	v_fma_f64 v[88:89], v[94:95], v[96:97], v[88:89]
	v_add_f64 v[1:2], v[1:2], v[92:93]
	v_add_f64 v[3:4], v[3:4], v[88:89]
	s_andn2_b32 exec_lo, exec_lo, s5
	s_cbranch_execnz .LBB39_104
; %bb.105:
	s_or_b32 exec_lo, exec_lo, s5
.LBB39_106:
	s_or_b32 exec_lo, exec_lo, s8
	v_mov_b32_e32 v87, 0
	ds_read_b128 v[87:90], v87 offset:416
	s_waitcnt lgkmcnt(0)
	v_mul_f64 v[92:93], v[3:4], v[89:90]
	v_mul_f64 v[89:90], v[1:2], v[89:90]
	v_fma_f64 v[1:2], v[1:2], v[87:88], -v[92:93]
	v_fma_f64 v[3:4], v[3:4], v[87:88], v[89:90]
	buffer_store_dword v2, off, s[0:3], 0 offset:420
	buffer_store_dword v1, off, s[0:3], 0 offset:416
	;; [unrolled: 1-line block ×4, first 2 shown]
.LBB39_107:
	s_or_b32 exec_lo, exec_lo, s6
	v_mov_b32_e32 v4, s22
	v_cmp_lt_u32_e64 s5, 25, v0
	s_clause 0x3
	buffer_load_dword v1, v4, s[0:3], 0 offen
	buffer_load_dword v2, v4, s[0:3], 0 offen offset:4
	buffer_load_dword v3, v4, s[0:3], 0 offen offset:8
	buffer_load_dword v4, v4, s[0:3], 0 offen offset:12
	s_waitcnt vmcnt(0)
	ds_write_b128 v86, v[1:4]
	s_waitcnt lgkmcnt(0)
	s_waitcnt_vscnt null, 0x0
	s_barrier
	buffer_gl0_inv
	s_and_saveexec_b32 s6, s5
	s_cbranch_execz .LBB39_115
; %bb.108:
	ds_read_b128 v[1:4], v86
	s_andn2_b32 vcc_lo, exec_lo, s48
	s_cbranch_vccnz .LBB39_110
; %bb.109:
	s_clause 0x3
	buffer_load_dword v87, v85, s[0:3], 0 offen offset:8
	buffer_load_dword v88, v85, s[0:3], 0 offen offset:12
	buffer_load_dword v89, v85, s[0:3], 0 offen
	buffer_load_dword v90, v85, s[0:3], 0 offen offset:4
	s_waitcnt vmcnt(2) lgkmcnt(0)
	v_mul_f64 v[92:93], v[3:4], v[87:88]
	v_mul_f64 v[87:88], v[1:2], v[87:88]
	s_waitcnt vmcnt(0)
	v_fma_f64 v[1:2], v[1:2], v[89:90], -v[92:93]
	v_fma_f64 v[3:4], v[3:4], v[89:90], v[87:88]
.LBB39_110:
	s_and_saveexec_b32 s8, s4
	s_cbranch_execz .LBB39_114
; %bb.111:
	v_subrev_nc_u32_e32 v87, 26, v0
	s_movk_i32 s49, 0x420
	s_mov_b32 s4, 0
	s_mov_b32 s50, s21
	.p2align	6
.LBB39_112:                             ; =>This Inner Loop Header: Depth=1
	v_mov_b32_e32 v90, s50
	v_add_nc_u32_e32 v87, -1, v87
	s_add_i32 s50, s50, 16
	s_clause 0x3
	buffer_load_dword v88, v90, s[0:3], 0 offen offset:8
	buffer_load_dword v89, v90, s[0:3], 0 offen offset:12
	buffer_load_dword v96, v90, s[0:3], 0 offen
	buffer_load_dword v97, v90, s[0:3], 0 offen offset:4
	v_mov_b32_e32 v90, s49
	v_cmp_eq_u32_e32 vcc_lo, 0, v87
	s_add_i32 s49, s49, 16
	ds_read_b128 v[92:95], v90
	s_or_b32 s4, vcc_lo, s4
	s_waitcnt vmcnt(2) lgkmcnt(0)
	v_mul_f64 v[98:99], v[94:95], v[88:89]
	v_mul_f64 v[88:89], v[92:93], v[88:89]
	s_waitcnt vmcnt(0)
	v_fma_f64 v[92:93], v[92:93], v[96:97], -v[98:99]
	v_fma_f64 v[88:89], v[94:95], v[96:97], v[88:89]
	v_add_f64 v[1:2], v[1:2], v[92:93]
	v_add_f64 v[3:4], v[3:4], v[88:89]
	s_andn2_b32 exec_lo, exec_lo, s4
	s_cbranch_execnz .LBB39_112
; %bb.113:
	s_or_b32 exec_lo, exec_lo, s4
.LBB39_114:
	s_or_b32 exec_lo, exec_lo, s8
	v_mov_b32_e32 v87, 0
	ds_read_b128 v[87:90], v87 offset:400
	s_waitcnt lgkmcnt(0)
	v_mul_f64 v[92:93], v[3:4], v[89:90]
	v_mul_f64 v[89:90], v[1:2], v[89:90]
	v_fma_f64 v[1:2], v[1:2], v[87:88], -v[92:93]
	v_fma_f64 v[3:4], v[3:4], v[87:88], v[89:90]
	buffer_store_dword v2, off, s[0:3], 0 offset:404
	buffer_store_dword v1, off, s[0:3], 0 offset:400
	;; [unrolled: 1-line block ×4, first 2 shown]
.LBB39_115:
	s_or_b32 exec_lo, exec_lo, s6
	v_mov_b32_e32 v4, s23
	v_cmp_lt_u32_e64 s4, 24, v0
	s_clause 0x3
	buffer_load_dword v1, v4, s[0:3], 0 offen
	buffer_load_dword v2, v4, s[0:3], 0 offen offset:4
	buffer_load_dword v3, v4, s[0:3], 0 offen offset:8
	;; [unrolled: 1-line block ×3, first 2 shown]
	s_waitcnt vmcnt(0)
	ds_write_b128 v86, v[1:4]
	s_waitcnt lgkmcnt(0)
	s_waitcnt_vscnt null, 0x0
	s_barrier
	buffer_gl0_inv
	s_and_saveexec_b32 s6, s4
	s_cbranch_execz .LBB39_123
; %bb.116:
	ds_read_b128 v[1:4], v86
	s_andn2_b32 vcc_lo, exec_lo, s48
	s_cbranch_vccnz .LBB39_118
; %bb.117:
	s_clause 0x3
	buffer_load_dword v87, v85, s[0:3], 0 offen offset:8
	buffer_load_dword v88, v85, s[0:3], 0 offen offset:12
	buffer_load_dword v89, v85, s[0:3], 0 offen
	buffer_load_dword v90, v85, s[0:3], 0 offen offset:4
	s_waitcnt vmcnt(2) lgkmcnt(0)
	v_mul_f64 v[92:93], v[3:4], v[87:88]
	v_mul_f64 v[87:88], v[1:2], v[87:88]
	s_waitcnt vmcnt(0)
	v_fma_f64 v[1:2], v[1:2], v[89:90], -v[92:93]
	v_fma_f64 v[3:4], v[3:4], v[89:90], v[87:88]
.LBB39_118:
	s_and_saveexec_b32 s8, s5
	s_cbranch_execz .LBB39_122
; %bb.119:
	v_subrev_nc_u32_e32 v87, 25, v0
	s_movk_i32 s49, 0x410
	s_mov_b32 s5, 0
	s_mov_b32 s50, s22
	.p2align	6
.LBB39_120:                             ; =>This Inner Loop Header: Depth=1
	v_mov_b32_e32 v90, s50
	v_add_nc_u32_e32 v87, -1, v87
	s_add_i32 s50, s50, 16
	s_clause 0x3
	buffer_load_dword v88, v90, s[0:3], 0 offen offset:8
	buffer_load_dword v89, v90, s[0:3], 0 offen offset:12
	buffer_load_dword v96, v90, s[0:3], 0 offen
	buffer_load_dword v97, v90, s[0:3], 0 offen offset:4
	v_mov_b32_e32 v90, s49
	v_cmp_eq_u32_e32 vcc_lo, 0, v87
	s_add_i32 s49, s49, 16
	ds_read_b128 v[92:95], v90
	s_or_b32 s5, vcc_lo, s5
	s_waitcnt vmcnt(2) lgkmcnt(0)
	v_mul_f64 v[98:99], v[94:95], v[88:89]
	v_mul_f64 v[88:89], v[92:93], v[88:89]
	s_waitcnt vmcnt(0)
	v_fma_f64 v[92:93], v[92:93], v[96:97], -v[98:99]
	v_fma_f64 v[88:89], v[94:95], v[96:97], v[88:89]
	v_add_f64 v[1:2], v[1:2], v[92:93]
	v_add_f64 v[3:4], v[3:4], v[88:89]
	s_andn2_b32 exec_lo, exec_lo, s5
	s_cbranch_execnz .LBB39_120
; %bb.121:
	s_or_b32 exec_lo, exec_lo, s5
.LBB39_122:
	s_or_b32 exec_lo, exec_lo, s8
	v_mov_b32_e32 v87, 0
	ds_read_b128 v[87:90], v87 offset:384
	s_waitcnt lgkmcnt(0)
	v_mul_f64 v[92:93], v[3:4], v[89:90]
	v_mul_f64 v[89:90], v[1:2], v[89:90]
	v_fma_f64 v[1:2], v[1:2], v[87:88], -v[92:93]
	v_fma_f64 v[3:4], v[3:4], v[87:88], v[89:90]
	buffer_store_dword v2, off, s[0:3], 0 offset:388
	buffer_store_dword v1, off, s[0:3], 0 offset:384
	;; [unrolled: 1-line block ×4, first 2 shown]
.LBB39_123:
	s_or_b32 exec_lo, exec_lo, s6
	v_mov_b32_e32 v4, s24
	v_cmp_lt_u32_e64 s5, 23, v0
	s_clause 0x3
	buffer_load_dword v1, v4, s[0:3], 0 offen
	buffer_load_dword v2, v4, s[0:3], 0 offen offset:4
	buffer_load_dword v3, v4, s[0:3], 0 offen offset:8
	;; [unrolled: 1-line block ×3, first 2 shown]
	s_waitcnt vmcnt(0)
	ds_write_b128 v86, v[1:4]
	s_waitcnt lgkmcnt(0)
	s_waitcnt_vscnt null, 0x0
	s_barrier
	buffer_gl0_inv
	s_and_saveexec_b32 s6, s5
	s_cbranch_execz .LBB39_131
; %bb.124:
	ds_read_b128 v[1:4], v86
	s_andn2_b32 vcc_lo, exec_lo, s48
	s_cbranch_vccnz .LBB39_126
; %bb.125:
	s_clause 0x3
	buffer_load_dword v87, v85, s[0:3], 0 offen offset:8
	buffer_load_dword v88, v85, s[0:3], 0 offen offset:12
	buffer_load_dword v89, v85, s[0:3], 0 offen
	buffer_load_dword v90, v85, s[0:3], 0 offen offset:4
	s_waitcnt vmcnt(2) lgkmcnt(0)
	v_mul_f64 v[92:93], v[3:4], v[87:88]
	v_mul_f64 v[87:88], v[1:2], v[87:88]
	s_waitcnt vmcnt(0)
	v_fma_f64 v[1:2], v[1:2], v[89:90], -v[92:93]
	v_fma_f64 v[3:4], v[3:4], v[89:90], v[87:88]
.LBB39_126:
	s_and_saveexec_b32 s8, s4
	s_cbranch_execz .LBB39_130
; %bb.127:
	v_subrev_nc_u32_e32 v87, 24, v0
	s_movk_i32 s49, 0x400
	s_mov_b32 s4, 0
	s_mov_b32 s50, s23
	.p2align	6
.LBB39_128:                             ; =>This Inner Loop Header: Depth=1
	v_mov_b32_e32 v90, s50
	v_add_nc_u32_e32 v87, -1, v87
	s_add_i32 s50, s50, 16
	s_clause 0x3
	buffer_load_dword v88, v90, s[0:3], 0 offen offset:8
	buffer_load_dword v89, v90, s[0:3], 0 offen offset:12
	buffer_load_dword v96, v90, s[0:3], 0 offen
	buffer_load_dword v97, v90, s[0:3], 0 offen offset:4
	v_mov_b32_e32 v90, s49
	v_cmp_eq_u32_e32 vcc_lo, 0, v87
	s_add_i32 s49, s49, 16
	ds_read_b128 v[92:95], v90
	s_or_b32 s4, vcc_lo, s4
	s_waitcnt vmcnt(2) lgkmcnt(0)
	v_mul_f64 v[98:99], v[94:95], v[88:89]
	v_mul_f64 v[88:89], v[92:93], v[88:89]
	s_waitcnt vmcnt(0)
	v_fma_f64 v[92:93], v[92:93], v[96:97], -v[98:99]
	v_fma_f64 v[88:89], v[94:95], v[96:97], v[88:89]
	v_add_f64 v[1:2], v[1:2], v[92:93]
	v_add_f64 v[3:4], v[3:4], v[88:89]
	s_andn2_b32 exec_lo, exec_lo, s4
	s_cbranch_execnz .LBB39_128
; %bb.129:
	s_or_b32 exec_lo, exec_lo, s4
.LBB39_130:
	s_or_b32 exec_lo, exec_lo, s8
	v_mov_b32_e32 v87, 0
	ds_read_b128 v[87:90], v87 offset:368
	s_waitcnt lgkmcnt(0)
	v_mul_f64 v[92:93], v[3:4], v[89:90]
	v_mul_f64 v[89:90], v[1:2], v[89:90]
	v_fma_f64 v[1:2], v[1:2], v[87:88], -v[92:93]
	v_fma_f64 v[3:4], v[3:4], v[87:88], v[89:90]
	buffer_store_dword v2, off, s[0:3], 0 offset:372
	buffer_store_dword v1, off, s[0:3], 0 offset:368
	;; [unrolled: 1-line block ×4, first 2 shown]
.LBB39_131:
	s_or_b32 exec_lo, exec_lo, s6
	v_mov_b32_e32 v4, s25
	v_cmp_lt_u32_e64 s4, 22, v0
	s_clause 0x3
	buffer_load_dword v1, v4, s[0:3], 0 offen
	buffer_load_dword v2, v4, s[0:3], 0 offen offset:4
	buffer_load_dword v3, v4, s[0:3], 0 offen offset:8
	;; [unrolled: 1-line block ×3, first 2 shown]
	s_waitcnt vmcnt(0)
	ds_write_b128 v86, v[1:4]
	s_waitcnt lgkmcnt(0)
	s_waitcnt_vscnt null, 0x0
	s_barrier
	buffer_gl0_inv
	s_and_saveexec_b32 s6, s4
	s_cbranch_execz .LBB39_139
; %bb.132:
	ds_read_b128 v[1:4], v86
	s_andn2_b32 vcc_lo, exec_lo, s48
	s_cbranch_vccnz .LBB39_134
; %bb.133:
	s_clause 0x3
	buffer_load_dword v87, v85, s[0:3], 0 offen offset:8
	buffer_load_dword v88, v85, s[0:3], 0 offen offset:12
	buffer_load_dword v89, v85, s[0:3], 0 offen
	buffer_load_dword v90, v85, s[0:3], 0 offen offset:4
	s_waitcnt vmcnt(2) lgkmcnt(0)
	v_mul_f64 v[92:93], v[3:4], v[87:88]
	v_mul_f64 v[87:88], v[1:2], v[87:88]
	s_waitcnt vmcnt(0)
	v_fma_f64 v[1:2], v[1:2], v[89:90], -v[92:93]
	v_fma_f64 v[3:4], v[3:4], v[89:90], v[87:88]
.LBB39_134:
	s_and_saveexec_b32 s8, s5
	s_cbranch_execz .LBB39_138
; %bb.135:
	v_subrev_nc_u32_e32 v87, 23, v0
	s_movk_i32 s49, 0x3f0
	s_mov_b32 s5, 0
	s_mov_b32 s50, s24
	.p2align	6
.LBB39_136:                             ; =>This Inner Loop Header: Depth=1
	v_mov_b32_e32 v90, s50
	v_add_nc_u32_e32 v87, -1, v87
	s_add_i32 s50, s50, 16
	s_clause 0x3
	buffer_load_dword v88, v90, s[0:3], 0 offen offset:8
	buffer_load_dword v89, v90, s[0:3], 0 offen offset:12
	buffer_load_dword v96, v90, s[0:3], 0 offen
	buffer_load_dword v97, v90, s[0:3], 0 offen offset:4
	v_mov_b32_e32 v90, s49
	v_cmp_eq_u32_e32 vcc_lo, 0, v87
	s_add_i32 s49, s49, 16
	ds_read_b128 v[92:95], v90
	s_or_b32 s5, vcc_lo, s5
	s_waitcnt vmcnt(2) lgkmcnt(0)
	v_mul_f64 v[98:99], v[94:95], v[88:89]
	v_mul_f64 v[88:89], v[92:93], v[88:89]
	s_waitcnt vmcnt(0)
	v_fma_f64 v[92:93], v[92:93], v[96:97], -v[98:99]
	v_fma_f64 v[88:89], v[94:95], v[96:97], v[88:89]
	v_add_f64 v[1:2], v[1:2], v[92:93]
	v_add_f64 v[3:4], v[3:4], v[88:89]
	s_andn2_b32 exec_lo, exec_lo, s5
	s_cbranch_execnz .LBB39_136
; %bb.137:
	s_or_b32 exec_lo, exec_lo, s5
.LBB39_138:
	s_or_b32 exec_lo, exec_lo, s8
	v_mov_b32_e32 v87, 0
	ds_read_b128 v[87:90], v87 offset:352
	s_waitcnt lgkmcnt(0)
	v_mul_f64 v[92:93], v[3:4], v[89:90]
	v_mul_f64 v[89:90], v[1:2], v[89:90]
	v_fma_f64 v[1:2], v[1:2], v[87:88], -v[92:93]
	v_fma_f64 v[3:4], v[3:4], v[87:88], v[89:90]
	buffer_store_dword v2, off, s[0:3], 0 offset:356
	buffer_store_dword v1, off, s[0:3], 0 offset:352
	;; [unrolled: 1-line block ×4, first 2 shown]
.LBB39_139:
	s_or_b32 exec_lo, exec_lo, s6
	v_mov_b32_e32 v4, s26
	v_cmp_lt_u32_e64 s5, 21, v0
	s_clause 0x3
	buffer_load_dword v1, v4, s[0:3], 0 offen
	buffer_load_dword v2, v4, s[0:3], 0 offen offset:4
	buffer_load_dword v3, v4, s[0:3], 0 offen offset:8
	;; [unrolled: 1-line block ×3, first 2 shown]
	s_waitcnt vmcnt(0)
	ds_write_b128 v86, v[1:4]
	s_waitcnt lgkmcnt(0)
	s_waitcnt_vscnt null, 0x0
	s_barrier
	buffer_gl0_inv
	s_and_saveexec_b32 s6, s5
	s_cbranch_execz .LBB39_147
; %bb.140:
	ds_read_b128 v[1:4], v86
	s_andn2_b32 vcc_lo, exec_lo, s48
	s_cbranch_vccnz .LBB39_142
; %bb.141:
	s_clause 0x3
	buffer_load_dword v87, v85, s[0:3], 0 offen offset:8
	buffer_load_dword v88, v85, s[0:3], 0 offen offset:12
	buffer_load_dword v89, v85, s[0:3], 0 offen
	buffer_load_dword v90, v85, s[0:3], 0 offen offset:4
	s_waitcnt vmcnt(2) lgkmcnt(0)
	v_mul_f64 v[92:93], v[3:4], v[87:88]
	v_mul_f64 v[87:88], v[1:2], v[87:88]
	s_waitcnt vmcnt(0)
	v_fma_f64 v[1:2], v[1:2], v[89:90], -v[92:93]
	v_fma_f64 v[3:4], v[3:4], v[89:90], v[87:88]
.LBB39_142:
	s_and_saveexec_b32 s8, s4
	s_cbranch_execz .LBB39_146
; %bb.143:
	v_subrev_nc_u32_e32 v87, 22, v0
	s_movk_i32 s49, 0x3e0
	s_mov_b32 s4, 0
	s_mov_b32 s50, s25
	.p2align	6
.LBB39_144:                             ; =>This Inner Loop Header: Depth=1
	v_mov_b32_e32 v90, s50
	v_add_nc_u32_e32 v87, -1, v87
	s_add_i32 s50, s50, 16
	s_clause 0x3
	buffer_load_dword v88, v90, s[0:3], 0 offen offset:8
	buffer_load_dword v89, v90, s[0:3], 0 offen offset:12
	buffer_load_dword v96, v90, s[0:3], 0 offen
	buffer_load_dword v97, v90, s[0:3], 0 offen offset:4
	v_mov_b32_e32 v90, s49
	v_cmp_eq_u32_e32 vcc_lo, 0, v87
	s_add_i32 s49, s49, 16
	ds_read_b128 v[92:95], v90
	s_or_b32 s4, vcc_lo, s4
	s_waitcnt vmcnt(2) lgkmcnt(0)
	v_mul_f64 v[98:99], v[94:95], v[88:89]
	v_mul_f64 v[88:89], v[92:93], v[88:89]
	s_waitcnt vmcnt(0)
	v_fma_f64 v[92:93], v[92:93], v[96:97], -v[98:99]
	v_fma_f64 v[88:89], v[94:95], v[96:97], v[88:89]
	v_add_f64 v[1:2], v[1:2], v[92:93]
	v_add_f64 v[3:4], v[3:4], v[88:89]
	s_andn2_b32 exec_lo, exec_lo, s4
	s_cbranch_execnz .LBB39_144
; %bb.145:
	s_or_b32 exec_lo, exec_lo, s4
.LBB39_146:
	s_or_b32 exec_lo, exec_lo, s8
	v_mov_b32_e32 v87, 0
	ds_read_b128 v[87:90], v87 offset:336
	s_waitcnt lgkmcnt(0)
	v_mul_f64 v[92:93], v[3:4], v[89:90]
	v_mul_f64 v[89:90], v[1:2], v[89:90]
	v_fma_f64 v[1:2], v[1:2], v[87:88], -v[92:93]
	v_fma_f64 v[3:4], v[3:4], v[87:88], v[89:90]
	buffer_store_dword v2, off, s[0:3], 0 offset:340
	buffer_store_dword v1, off, s[0:3], 0 offset:336
	;; [unrolled: 1-line block ×4, first 2 shown]
.LBB39_147:
	s_or_b32 exec_lo, exec_lo, s6
	v_mov_b32_e32 v4, s27
	v_cmp_lt_u32_e64 s4, 20, v0
	s_clause 0x3
	buffer_load_dword v1, v4, s[0:3], 0 offen
	buffer_load_dword v2, v4, s[0:3], 0 offen offset:4
	buffer_load_dword v3, v4, s[0:3], 0 offen offset:8
	;; [unrolled: 1-line block ×3, first 2 shown]
	s_waitcnt vmcnt(0)
	ds_write_b128 v86, v[1:4]
	s_waitcnt lgkmcnt(0)
	s_waitcnt_vscnt null, 0x0
	s_barrier
	buffer_gl0_inv
	s_and_saveexec_b32 s6, s4
	s_cbranch_execz .LBB39_155
; %bb.148:
	ds_read_b128 v[1:4], v86
	s_andn2_b32 vcc_lo, exec_lo, s48
	s_cbranch_vccnz .LBB39_150
; %bb.149:
	s_clause 0x3
	buffer_load_dword v87, v85, s[0:3], 0 offen offset:8
	buffer_load_dword v88, v85, s[0:3], 0 offen offset:12
	buffer_load_dword v89, v85, s[0:3], 0 offen
	buffer_load_dword v90, v85, s[0:3], 0 offen offset:4
	s_waitcnt vmcnt(2) lgkmcnt(0)
	v_mul_f64 v[92:93], v[3:4], v[87:88]
	v_mul_f64 v[87:88], v[1:2], v[87:88]
	s_waitcnt vmcnt(0)
	v_fma_f64 v[1:2], v[1:2], v[89:90], -v[92:93]
	v_fma_f64 v[3:4], v[3:4], v[89:90], v[87:88]
.LBB39_150:
	s_and_saveexec_b32 s8, s5
	s_cbranch_execz .LBB39_154
; %bb.151:
	v_subrev_nc_u32_e32 v87, 21, v0
	s_movk_i32 s49, 0x3d0
	s_mov_b32 s5, 0
	s_mov_b32 s50, s26
	.p2align	6
.LBB39_152:                             ; =>This Inner Loop Header: Depth=1
	v_mov_b32_e32 v90, s50
	v_add_nc_u32_e32 v87, -1, v87
	s_add_i32 s50, s50, 16
	s_clause 0x3
	buffer_load_dword v88, v90, s[0:3], 0 offen offset:8
	buffer_load_dword v89, v90, s[0:3], 0 offen offset:12
	buffer_load_dword v96, v90, s[0:3], 0 offen
	buffer_load_dword v97, v90, s[0:3], 0 offen offset:4
	v_mov_b32_e32 v90, s49
	v_cmp_eq_u32_e32 vcc_lo, 0, v87
	s_add_i32 s49, s49, 16
	ds_read_b128 v[92:95], v90
	s_or_b32 s5, vcc_lo, s5
	s_waitcnt vmcnt(2) lgkmcnt(0)
	v_mul_f64 v[98:99], v[94:95], v[88:89]
	v_mul_f64 v[88:89], v[92:93], v[88:89]
	s_waitcnt vmcnt(0)
	v_fma_f64 v[92:93], v[92:93], v[96:97], -v[98:99]
	v_fma_f64 v[88:89], v[94:95], v[96:97], v[88:89]
	v_add_f64 v[1:2], v[1:2], v[92:93]
	v_add_f64 v[3:4], v[3:4], v[88:89]
	s_andn2_b32 exec_lo, exec_lo, s5
	s_cbranch_execnz .LBB39_152
; %bb.153:
	s_or_b32 exec_lo, exec_lo, s5
.LBB39_154:
	s_or_b32 exec_lo, exec_lo, s8
	v_mov_b32_e32 v87, 0
	ds_read_b128 v[87:90], v87 offset:320
	s_waitcnt lgkmcnt(0)
	v_mul_f64 v[92:93], v[3:4], v[89:90]
	v_mul_f64 v[89:90], v[1:2], v[89:90]
	v_fma_f64 v[1:2], v[1:2], v[87:88], -v[92:93]
	v_fma_f64 v[3:4], v[3:4], v[87:88], v[89:90]
	buffer_store_dword v2, off, s[0:3], 0 offset:324
	buffer_store_dword v1, off, s[0:3], 0 offset:320
	;; [unrolled: 1-line block ×4, first 2 shown]
.LBB39_155:
	s_or_b32 exec_lo, exec_lo, s6
	v_mov_b32_e32 v4, s28
	v_cmp_lt_u32_e64 s5, 19, v0
	s_clause 0x3
	buffer_load_dword v1, v4, s[0:3], 0 offen
	buffer_load_dword v2, v4, s[0:3], 0 offen offset:4
	buffer_load_dword v3, v4, s[0:3], 0 offen offset:8
	;; [unrolled: 1-line block ×3, first 2 shown]
	s_waitcnt vmcnt(0)
	ds_write_b128 v86, v[1:4]
	s_waitcnt lgkmcnt(0)
	s_waitcnt_vscnt null, 0x0
	s_barrier
	buffer_gl0_inv
	s_and_saveexec_b32 s6, s5
	s_cbranch_execz .LBB39_163
; %bb.156:
	ds_read_b128 v[1:4], v86
	s_andn2_b32 vcc_lo, exec_lo, s48
	s_cbranch_vccnz .LBB39_158
; %bb.157:
	s_clause 0x3
	buffer_load_dword v87, v85, s[0:3], 0 offen offset:8
	buffer_load_dword v88, v85, s[0:3], 0 offen offset:12
	buffer_load_dword v89, v85, s[0:3], 0 offen
	buffer_load_dword v90, v85, s[0:3], 0 offen offset:4
	s_waitcnt vmcnt(2) lgkmcnt(0)
	v_mul_f64 v[92:93], v[3:4], v[87:88]
	v_mul_f64 v[87:88], v[1:2], v[87:88]
	s_waitcnt vmcnt(0)
	v_fma_f64 v[1:2], v[1:2], v[89:90], -v[92:93]
	v_fma_f64 v[3:4], v[3:4], v[89:90], v[87:88]
.LBB39_158:
	s_and_saveexec_b32 s8, s4
	s_cbranch_execz .LBB39_162
; %bb.159:
	v_subrev_nc_u32_e32 v87, 20, v0
	s_movk_i32 s49, 0x3c0
	s_mov_b32 s4, 0
	s_mov_b32 s50, s27
	.p2align	6
.LBB39_160:                             ; =>This Inner Loop Header: Depth=1
	v_mov_b32_e32 v90, s50
	v_add_nc_u32_e32 v87, -1, v87
	s_add_i32 s50, s50, 16
	s_clause 0x3
	buffer_load_dword v88, v90, s[0:3], 0 offen offset:8
	buffer_load_dword v89, v90, s[0:3], 0 offen offset:12
	buffer_load_dword v96, v90, s[0:3], 0 offen
	buffer_load_dword v97, v90, s[0:3], 0 offen offset:4
	v_mov_b32_e32 v90, s49
	v_cmp_eq_u32_e32 vcc_lo, 0, v87
	s_add_i32 s49, s49, 16
	ds_read_b128 v[92:95], v90
	s_or_b32 s4, vcc_lo, s4
	s_waitcnt vmcnt(2) lgkmcnt(0)
	v_mul_f64 v[98:99], v[94:95], v[88:89]
	v_mul_f64 v[88:89], v[92:93], v[88:89]
	s_waitcnt vmcnt(0)
	v_fma_f64 v[92:93], v[92:93], v[96:97], -v[98:99]
	v_fma_f64 v[88:89], v[94:95], v[96:97], v[88:89]
	v_add_f64 v[1:2], v[1:2], v[92:93]
	v_add_f64 v[3:4], v[3:4], v[88:89]
	s_andn2_b32 exec_lo, exec_lo, s4
	s_cbranch_execnz .LBB39_160
; %bb.161:
	s_or_b32 exec_lo, exec_lo, s4
.LBB39_162:
	s_or_b32 exec_lo, exec_lo, s8
	v_mov_b32_e32 v87, 0
	ds_read_b128 v[87:90], v87 offset:304
	s_waitcnt lgkmcnt(0)
	v_mul_f64 v[92:93], v[3:4], v[89:90]
	v_mul_f64 v[89:90], v[1:2], v[89:90]
	v_fma_f64 v[1:2], v[1:2], v[87:88], -v[92:93]
	v_fma_f64 v[3:4], v[3:4], v[87:88], v[89:90]
	buffer_store_dword v2, off, s[0:3], 0 offset:308
	buffer_store_dword v1, off, s[0:3], 0 offset:304
	;; [unrolled: 1-line block ×4, first 2 shown]
.LBB39_163:
	s_or_b32 exec_lo, exec_lo, s6
	v_mov_b32_e32 v4, s29
	v_cmp_lt_u32_e64 s4, 18, v0
	s_clause 0x3
	buffer_load_dword v1, v4, s[0:3], 0 offen
	buffer_load_dword v2, v4, s[0:3], 0 offen offset:4
	buffer_load_dword v3, v4, s[0:3], 0 offen offset:8
	;; [unrolled: 1-line block ×3, first 2 shown]
	s_waitcnt vmcnt(0)
	ds_write_b128 v86, v[1:4]
	s_waitcnt lgkmcnt(0)
	s_waitcnt_vscnt null, 0x0
	s_barrier
	buffer_gl0_inv
	s_and_saveexec_b32 s6, s4
	s_cbranch_execz .LBB39_171
; %bb.164:
	ds_read_b128 v[1:4], v86
	s_andn2_b32 vcc_lo, exec_lo, s48
	s_cbranch_vccnz .LBB39_166
; %bb.165:
	s_clause 0x3
	buffer_load_dword v87, v85, s[0:3], 0 offen offset:8
	buffer_load_dword v88, v85, s[0:3], 0 offen offset:12
	buffer_load_dword v89, v85, s[0:3], 0 offen
	buffer_load_dword v90, v85, s[0:3], 0 offen offset:4
	s_waitcnt vmcnt(2) lgkmcnt(0)
	v_mul_f64 v[92:93], v[3:4], v[87:88]
	v_mul_f64 v[87:88], v[1:2], v[87:88]
	s_waitcnt vmcnt(0)
	v_fma_f64 v[1:2], v[1:2], v[89:90], -v[92:93]
	v_fma_f64 v[3:4], v[3:4], v[89:90], v[87:88]
.LBB39_166:
	s_and_saveexec_b32 s8, s5
	s_cbranch_execz .LBB39_170
; %bb.167:
	v_subrev_nc_u32_e32 v87, 19, v0
	s_movk_i32 s49, 0x3b0
	s_mov_b32 s5, 0
	s_mov_b32 s50, s28
	.p2align	6
.LBB39_168:                             ; =>This Inner Loop Header: Depth=1
	v_mov_b32_e32 v90, s50
	v_add_nc_u32_e32 v87, -1, v87
	s_add_i32 s50, s50, 16
	s_clause 0x3
	buffer_load_dword v88, v90, s[0:3], 0 offen offset:8
	buffer_load_dword v89, v90, s[0:3], 0 offen offset:12
	buffer_load_dword v96, v90, s[0:3], 0 offen
	buffer_load_dword v97, v90, s[0:3], 0 offen offset:4
	v_mov_b32_e32 v90, s49
	v_cmp_eq_u32_e32 vcc_lo, 0, v87
	s_add_i32 s49, s49, 16
	ds_read_b128 v[92:95], v90
	s_or_b32 s5, vcc_lo, s5
	s_waitcnt vmcnt(2) lgkmcnt(0)
	v_mul_f64 v[98:99], v[94:95], v[88:89]
	v_mul_f64 v[88:89], v[92:93], v[88:89]
	s_waitcnt vmcnt(0)
	v_fma_f64 v[92:93], v[92:93], v[96:97], -v[98:99]
	v_fma_f64 v[88:89], v[94:95], v[96:97], v[88:89]
	v_add_f64 v[1:2], v[1:2], v[92:93]
	v_add_f64 v[3:4], v[3:4], v[88:89]
	s_andn2_b32 exec_lo, exec_lo, s5
	s_cbranch_execnz .LBB39_168
; %bb.169:
	s_or_b32 exec_lo, exec_lo, s5
.LBB39_170:
	s_or_b32 exec_lo, exec_lo, s8
	v_mov_b32_e32 v87, 0
	ds_read_b128 v[87:90], v87 offset:288
	s_waitcnt lgkmcnt(0)
	v_mul_f64 v[92:93], v[3:4], v[89:90]
	v_mul_f64 v[89:90], v[1:2], v[89:90]
	v_fma_f64 v[1:2], v[1:2], v[87:88], -v[92:93]
	v_fma_f64 v[3:4], v[3:4], v[87:88], v[89:90]
	buffer_store_dword v2, off, s[0:3], 0 offset:292
	buffer_store_dword v1, off, s[0:3], 0 offset:288
	;; [unrolled: 1-line block ×4, first 2 shown]
.LBB39_171:
	s_or_b32 exec_lo, exec_lo, s6
	v_mov_b32_e32 v4, s30
	v_cmp_lt_u32_e64 s5, 17, v0
	s_clause 0x3
	buffer_load_dword v1, v4, s[0:3], 0 offen
	buffer_load_dword v2, v4, s[0:3], 0 offen offset:4
	buffer_load_dword v3, v4, s[0:3], 0 offen offset:8
	;; [unrolled: 1-line block ×3, first 2 shown]
	s_waitcnt vmcnt(0)
	ds_write_b128 v86, v[1:4]
	s_waitcnt lgkmcnt(0)
	s_waitcnt_vscnt null, 0x0
	s_barrier
	buffer_gl0_inv
	s_and_saveexec_b32 s6, s5
	s_cbranch_execz .LBB39_179
; %bb.172:
	ds_read_b128 v[1:4], v86
	s_andn2_b32 vcc_lo, exec_lo, s48
	s_cbranch_vccnz .LBB39_174
; %bb.173:
	s_clause 0x3
	buffer_load_dword v87, v85, s[0:3], 0 offen offset:8
	buffer_load_dword v88, v85, s[0:3], 0 offen offset:12
	buffer_load_dword v89, v85, s[0:3], 0 offen
	buffer_load_dword v90, v85, s[0:3], 0 offen offset:4
	s_waitcnt vmcnt(2) lgkmcnt(0)
	v_mul_f64 v[92:93], v[3:4], v[87:88]
	v_mul_f64 v[87:88], v[1:2], v[87:88]
	s_waitcnt vmcnt(0)
	v_fma_f64 v[1:2], v[1:2], v[89:90], -v[92:93]
	v_fma_f64 v[3:4], v[3:4], v[89:90], v[87:88]
.LBB39_174:
	s_and_saveexec_b32 s8, s4
	s_cbranch_execz .LBB39_178
; %bb.175:
	v_subrev_nc_u32_e32 v87, 18, v0
	s_movk_i32 s49, 0x3a0
	s_mov_b32 s4, 0
	s_mov_b32 s50, s29
	.p2align	6
.LBB39_176:                             ; =>This Inner Loop Header: Depth=1
	v_mov_b32_e32 v90, s50
	v_add_nc_u32_e32 v87, -1, v87
	s_add_i32 s50, s50, 16
	s_clause 0x3
	buffer_load_dword v88, v90, s[0:3], 0 offen offset:8
	buffer_load_dword v89, v90, s[0:3], 0 offen offset:12
	buffer_load_dword v96, v90, s[0:3], 0 offen
	buffer_load_dword v97, v90, s[0:3], 0 offen offset:4
	v_mov_b32_e32 v90, s49
	v_cmp_eq_u32_e32 vcc_lo, 0, v87
	s_add_i32 s49, s49, 16
	ds_read_b128 v[92:95], v90
	s_or_b32 s4, vcc_lo, s4
	s_waitcnt vmcnt(2) lgkmcnt(0)
	v_mul_f64 v[98:99], v[94:95], v[88:89]
	v_mul_f64 v[88:89], v[92:93], v[88:89]
	s_waitcnt vmcnt(0)
	v_fma_f64 v[92:93], v[92:93], v[96:97], -v[98:99]
	v_fma_f64 v[88:89], v[94:95], v[96:97], v[88:89]
	v_add_f64 v[1:2], v[1:2], v[92:93]
	v_add_f64 v[3:4], v[3:4], v[88:89]
	s_andn2_b32 exec_lo, exec_lo, s4
	s_cbranch_execnz .LBB39_176
; %bb.177:
	s_or_b32 exec_lo, exec_lo, s4
.LBB39_178:
	s_or_b32 exec_lo, exec_lo, s8
	v_mov_b32_e32 v87, 0
	ds_read_b128 v[87:90], v87 offset:272
	s_waitcnt lgkmcnt(0)
	v_mul_f64 v[92:93], v[3:4], v[89:90]
	v_mul_f64 v[89:90], v[1:2], v[89:90]
	v_fma_f64 v[1:2], v[1:2], v[87:88], -v[92:93]
	v_fma_f64 v[3:4], v[3:4], v[87:88], v[89:90]
	buffer_store_dword v2, off, s[0:3], 0 offset:276
	buffer_store_dword v1, off, s[0:3], 0 offset:272
	;; [unrolled: 1-line block ×4, first 2 shown]
.LBB39_179:
	s_or_b32 exec_lo, exec_lo, s6
	v_mov_b32_e32 v4, s31
	v_cmp_lt_u32_e64 s4, 16, v0
	s_clause 0x3
	buffer_load_dword v1, v4, s[0:3], 0 offen
	buffer_load_dword v2, v4, s[0:3], 0 offen offset:4
	buffer_load_dword v3, v4, s[0:3], 0 offen offset:8
	;; [unrolled: 1-line block ×3, first 2 shown]
	s_waitcnt vmcnt(0)
	ds_write_b128 v86, v[1:4]
	s_waitcnt lgkmcnt(0)
	s_waitcnt_vscnt null, 0x0
	s_barrier
	buffer_gl0_inv
	s_and_saveexec_b32 s6, s4
	s_cbranch_execz .LBB39_187
; %bb.180:
	ds_read_b128 v[1:4], v86
	s_andn2_b32 vcc_lo, exec_lo, s48
	s_cbranch_vccnz .LBB39_182
; %bb.181:
	s_clause 0x3
	buffer_load_dword v87, v85, s[0:3], 0 offen offset:8
	buffer_load_dword v88, v85, s[0:3], 0 offen offset:12
	buffer_load_dword v89, v85, s[0:3], 0 offen
	buffer_load_dword v90, v85, s[0:3], 0 offen offset:4
	s_waitcnt vmcnt(2) lgkmcnt(0)
	v_mul_f64 v[92:93], v[3:4], v[87:88]
	v_mul_f64 v[87:88], v[1:2], v[87:88]
	s_waitcnt vmcnt(0)
	v_fma_f64 v[1:2], v[1:2], v[89:90], -v[92:93]
	v_fma_f64 v[3:4], v[3:4], v[89:90], v[87:88]
.LBB39_182:
	s_and_saveexec_b32 s8, s5
	s_cbranch_execz .LBB39_186
; %bb.183:
	v_subrev_nc_u32_e32 v87, 17, v0
	s_movk_i32 s49, 0x390
	s_mov_b32 s5, 0
	s_mov_b32 s50, s30
	.p2align	6
.LBB39_184:                             ; =>This Inner Loop Header: Depth=1
	v_mov_b32_e32 v90, s50
	v_add_nc_u32_e32 v87, -1, v87
	s_add_i32 s50, s50, 16
	s_clause 0x3
	buffer_load_dword v88, v90, s[0:3], 0 offen offset:8
	buffer_load_dword v89, v90, s[0:3], 0 offen offset:12
	buffer_load_dword v96, v90, s[0:3], 0 offen
	buffer_load_dword v97, v90, s[0:3], 0 offen offset:4
	v_mov_b32_e32 v90, s49
	v_cmp_eq_u32_e32 vcc_lo, 0, v87
	s_add_i32 s49, s49, 16
	ds_read_b128 v[92:95], v90
	s_or_b32 s5, vcc_lo, s5
	s_waitcnt vmcnt(2) lgkmcnt(0)
	v_mul_f64 v[98:99], v[94:95], v[88:89]
	v_mul_f64 v[88:89], v[92:93], v[88:89]
	s_waitcnt vmcnt(0)
	v_fma_f64 v[92:93], v[92:93], v[96:97], -v[98:99]
	v_fma_f64 v[88:89], v[94:95], v[96:97], v[88:89]
	v_add_f64 v[1:2], v[1:2], v[92:93]
	v_add_f64 v[3:4], v[3:4], v[88:89]
	s_andn2_b32 exec_lo, exec_lo, s5
	s_cbranch_execnz .LBB39_184
; %bb.185:
	s_or_b32 exec_lo, exec_lo, s5
.LBB39_186:
	s_or_b32 exec_lo, exec_lo, s8
	v_mov_b32_e32 v87, 0
	ds_read_b128 v[87:90], v87 offset:256
	s_waitcnt lgkmcnt(0)
	v_mul_f64 v[92:93], v[3:4], v[89:90]
	v_mul_f64 v[89:90], v[1:2], v[89:90]
	v_fma_f64 v[1:2], v[1:2], v[87:88], -v[92:93]
	v_fma_f64 v[3:4], v[3:4], v[87:88], v[89:90]
	buffer_store_dword v2, off, s[0:3], 0 offset:260
	buffer_store_dword v1, off, s[0:3], 0 offset:256
	;; [unrolled: 1-line block ×4, first 2 shown]
.LBB39_187:
	s_or_b32 exec_lo, exec_lo, s6
	v_mov_b32_e32 v4, s33
	v_cmp_lt_u32_e64 s5, 15, v0
	s_clause 0x3
	buffer_load_dword v1, v4, s[0:3], 0 offen
	buffer_load_dword v2, v4, s[0:3], 0 offen offset:4
	buffer_load_dword v3, v4, s[0:3], 0 offen offset:8
	buffer_load_dword v4, v4, s[0:3], 0 offen offset:12
	s_waitcnt vmcnt(0)
	ds_write_b128 v86, v[1:4]
	s_waitcnt lgkmcnt(0)
	s_waitcnt_vscnt null, 0x0
	s_barrier
	buffer_gl0_inv
	s_and_saveexec_b32 s6, s5
	s_cbranch_execz .LBB39_195
; %bb.188:
	ds_read_b128 v[1:4], v86
	s_andn2_b32 vcc_lo, exec_lo, s48
	s_cbranch_vccnz .LBB39_190
; %bb.189:
	s_clause 0x3
	buffer_load_dword v87, v85, s[0:3], 0 offen offset:8
	buffer_load_dword v88, v85, s[0:3], 0 offen offset:12
	buffer_load_dword v89, v85, s[0:3], 0 offen
	buffer_load_dword v90, v85, s[0:3], 0 offen offset:4
	s_waitcnt vmcnt(2) lgkmcnt(0)
	v_mul_f64 v[92:93], v[3:4], v[87:88]
	v_mul_f64 v[87:88], v[1:2], v[87:88]
	s_waitcnt vmcnt(0)
	v_fma_f64 v[1:2], v[1:2], v[89:90], -v[92:93]
	v_fma_f64 v[3:4], v[3:4], v[89:90], v[87:88]
.LBB39_190:
	s_and_saveexec_b32 s8, s4
	s_cbranch_execz .LBB39_194
; %bb.191:
	v_add_nc_u32_e32 v87, -16, v0
	s_movk_i32 s49, 0x380
	s_mov_b32 s4, 0
	s_mov_b32 s50, s31
	.p2align	6
.LBB39_192:                             ; =>This Inner Loop Header: Depth=1
	v_mov_b32_e32 v90, s50
	v_add_nc_u32_e32 v87, -1, v87
	s_add_i32 s50, s50, 16
	s_clause 0x3
	buffer_load_dword v88, v90, s[0:3], 0 offen offset:8
	buffer_load_dword v89, v90, s[0:3], 0 offen offset:12
	buffer_load_dword v96, v90, s[0:3], 0 offen
	buffer_load_dword v97, v90, s[0:3], 0 offen offset:4
	v_mov_b32_e32 v90, s49
	v_cmp_eq_u32_e32 vcc_lo, 0, v87
	s_add_i32 s49, s49, 16
	ds_read_b128 v[92:95], v90
	s_or_b32 s4, vcc_lo, s4
	s_waitcnt vmcnt(2) lgkmcnt(0)
	v_mul_f64 v[98:99], v[94:95], v[88:89]
	v_mul_f64 v[88:89], v[92:93], v[88:89]
	s_waitcnt vmcnt(0)
	v_fma_f64 v[92:93], v[92:93], v[96:97], -v[98:99]
	v_fma_f64 v[88:89], v[94:95], v[96:97], v[88:89]
	v_add_f64 v[1:2], v[1:2], v[92:93]
	v_add_f64 v[3:4], v[3:4], v[88:89]
	s_andn2_b32 exec_lo, exec_lo, s4
	s_cbranch_execnz .LBB39_192
; %bb.193:
	s_or_b32 exec_lo, exec_lo, s4
.LBB39_194:
	s_or_b32 exec_lo, exec_lo, s8
	v_mov_b32_e32 v87, 0
	ds_read_b128 v[87:90], v87 offset:240
	s_waitcnt lgkmcnt(0)
	v_mul_f64 v[92:93], v[3:4], v[89:90]
	v_mul_f64 v[89:90], v[1:2], v[89:90]
	v_fma_f64 v[1:2], v[1:2], v[87:88], -v[92:93]
	v_fma_f64 v[3:4], v[3:4], v[87:88], v[89:90]
	buffer_store_dword v2, off, s[0:3], 0 offset:244
	buffer_store_dword v1, off, s[0:3], 0 offset:240
	;; [unrolled: 1-line block ×4, first 2 shown]
.LBB39_195:
	s_or_b32 exec_lo, exec_lo, s6
	v_mov_b32_e32 v4, s34
	v_cmp_lt_u32_e64 s4, 14, v0
	s_clause 0x3
	buffer_load_dword v1, v4, s[0:3], 0 offen
	buffer_load_dword v2, v4, s[0:3], 0 offen offset:4
	buffer_load_dword v3, v4, s[0:3], 0 offen offset:8
	;; [unrolled: 1-line block ×3, first 2 shown]
	s_waitcnt vmcnt(0)
	ds_write_b128 v86, v[1:4]
	s_waitcnt lgkmcnt(0)
	s_waitcnt_vscnt null, 0x0
	s_barrier
	buffer_gl0_inv
	s_and_saveexec_b32 s6, s4
	s_cbranch_execz .LBB39_203
; %bb.196:
	ds_read_b128 v[1:4], v86
	s_andn2_b32 vcc_lo, exec_lo, s48
	s_cbranch_vccnz .LBB39_198
; %bb.197:
	s_clause 0x3
	buffer_load_dword v87, v85, s[0:3], 0 offen offset:8
	buffer_load_dword v88, v85, s[0:3], 0 offen offset:12
	buffer_load_dword v89, v85, s[0:3], 0 offen
	buffer_load_dword v90, v85, s[0:3], 0 offen offset:4
	s_waitcnt vmcnt(2) lgkmcnt(0)
	v_mul_f64 v[92:93], v[3:4], v[87:88]
	v_mul_f64 v[87:88], v[1:2], v[87:88]
	s_waitcnt vmcnt(0)
	v_fma_f64 v[1:2], v[1:2], v[89:90], -v[92:93]
	v_fma_f64 v[3:4], v[3:4], v[89:90], v[87:88]
.LBB39_198:
	s_and_saveexec_b32 s8, s5
	s_cbranch_execz .LBB39_202
; %bb.199:
	v_add_nc_u32_e32 v87, -15, v0
	s_movk_i32 s49, 0x370
	s_mov_b32 s5, 0
	s_mov_b32 s50, s33
	.p2align	6
.LBB39_200:                             ; =>This Inner Loop Header: Depth=1
	v_mov_b32_e32 v90, s50
	v_add_nc_u32_e32 v87, -1, v87
	s_add_i32 s50, s50, 16
	s_clause 0x3
	buffer_load_dword v88, v90, s[0:3], 0 offen offset:8
	buffer_load_dword v89, v90, s[0:3], 0 offen offset:12
	buffer_load_dword v96, v90, s[0:3], 0 offen
	buffer_load_dword v97, v90, s[0:3], 0 offen offset:4
	v_mov_b32_e32 v90, s49
	v_cmp_eq_u32_e32 vcc_lo, 0, v87
	s_add_i32 s49, s49, 16
	ds_read_b128 v[92:95], v90
	s_or_b32 s5, vcc_lo, s5
	s_waitcnt vmcnt(2) lgkmcnt(0)
	v_mul_f64 v[98:99], v[94:95], v[88:89]
	v_mul_f64 v[88:89], v[92:93], v[88:89]
	s_waitcnt vmcnt(0)
	v_fma_f64 v[92:93], v[92:93], v[96:97], -v[98:99]
	v_fma_f64 v[88:89], v[94:95], v[96:97], v[88:89]
	v_add_f64 v[1:2], v[1:2], v[92:93]
	v_add_f64 v[3:4], v[3:4], v[88:89]
	s_andn2_b32 exec_lo, exec_lo, s5
	s_cbranch_execnz .LBB39_200
; %bb.201:
	s_or_b32 exec_lo, exec_lo, s5
.LBB39_202:
	s_or_b32 exec_lo, exec_lo, s8
	v_mov_b32_e32 v87, 0
	ds_read_b128 v[87:90], v87 offset:224
	s_waitcnt lgkmcnt(0)
	v_mul_f64 v[92:93], v[3:4], v[89:90]
	v_mul_f64 v[89:90], v[1:2], v[89:90]
	v_fma_f64 v[1:2], v[1:2], v[87:88], -v[92:93]
	v_fma_f64 v[3:4], v[3:4], v[87:88], v[89:90]
	buffer_store_dword v2, off, s[0:3], 0 offset:228
	buffer_store_dword v1, off, s[0:3], 0 offset:224
	;; [unrolled: 1-line block ×4, first 2 shown]
.LBB39_203:
	s_or_b32 exec_lo, exec_lo, s6
	v_mov_b32_e32 v4, s35
	v_cmp_lt_u32_e64 s5, 13, v0
	s_clause 0x3
	buffer_load_dword v1, v4, s[0:3], 0 offen
	buffer_load_dword v2, v4, s[0:3], 0 offen offset:4
	buffer_load_dword v3, v4, s[0:3], 0 offen offset:8
	;; [unrolled: 1-line block ×3, first 2 shown]
	s_waitcnt vmcnt(0)
	ds_write_b128 v86, v[1:4]
	s_waitcnt lgkmcnt(0)
	s_waitcnt_vscnt null, 0x0
	s_barrier
	buffer_gl0_inv
	s_and_saveexec_b32 s6, s5
	s_cbranch_execz .LBB39_211
; %bb.204:
	ds_read_b128 v[1:4], v86
	s_andn2_b32 vcc_lo, exec_lo, s48
	s_cbranch_vccnz .LBB39_206
; %bb.205:
	s_clause 0x3
	buffer_load_dword v87, v85, s[0:3], 0 offen offset:8
	buffer_load_dword v88, v85, s[0:3], 0 offen offset:12
	buffer_load_dword v89, v85, s[0:3], 0 offen
	buffer_load_dword v90, v85, s[0:3], 0 offen offset:4
	s_waitcnt vmcnt(2) lgkmcnt(0)
	v_mul_f64 v[92:93], v[3:4], v[87:88]
	v_mul_f64 v[87:88], v[1:2], v[87:88]
	s_waitcnt vmcnt(0)
	v_fma_f64 v[1:2], v[1:2], v[89:90], -v[92:93]
	v_fma_f64 v[3:4], v[3:4], v[89:90], v[87:88]
.LBB39_206:
	s_and_saveexec_b32 s8, s4
	s_cbranch_execz .LBB39_210
; %bb.207:
	v_add_nc_u32_e32 v87, -14, v0
	s_movk_i32 s49, 0x360
	s_mov_b32 s4, 0
	s_mov_b32 s50, s34
	.p2align	6
.LBB39_208:                             ; =>This Inner Loop Header: Depth=1
	v_mov_b32_e32 v90, s50
	v_add_nc_u32_e32 v87, -1, v87
	s_add_i32 s50, s50, 16
	s_clause 0x3
	buffer_load_dword v88, v90, s[0:3], 0 offen offset:8
	buffer_load_dword v89, v90, s[0:3], 0 offen offset:12
	buffer_load_dword v96, v90, s[0:3], 0 offen
	buffer_load_dword v97, v90, s[0:3], 0 offen offset:4
	v_mov_b32_e32 v90, s49
	v_cmp_eq_u32_e32 vcc_lo, 0, v87
	s_add_i32 s49, s49, 16
	ds_read_b128 v[92:95], v90
	s_or_b32 s4, vcc_lo, s4
	s_waitcnt vmcnt(2) lgkmcnt(0)
	v_mul_f64 v[98:99], v[94:95], v[88:89]
	v_mul_f64 v[88:89], v[92:93], v[88:89]
	s_waitcnt vmcnt(0)
	v_fma_f64 v[92:93], v[92:93], v[96:97], -v[98:99]
	v_fma_f64 v[88:89], v[94:95], v[96:97], v[88:89]
	v_add_f64 v[1:2], v[1:2], v[92:93]
	v_add_f64 v[3:4], v[3:4], v[88:89]
	s_andn2_b32 exec_lo, exec_lo, s4
	s_cbranch_execnz .LBB39_208
; %bb.209:
	s_or_b32 exec_lo, exec_lo, s4
.LBB39_210:
	s_or_b32 exec_lo, exec_lo, s8
	v_mov_b32_e32 v87, 0
	ds_read_b128 v[87:90], v87 offset:208
	s_waitcnt lgkmcnt(0)
	v_mul_f64 v[92:93], v[3:4], v[89:90]
	v_mul_f64 v[89:90], v[1:2], v[89:90]
	v_fma_f64 v[1:2], v[1:2], v[87:88], -v[92:93]
	v_fma_f64 v[3:4], v[3:4], v[87:88], v[89:90]
	buffer_store_dword v2, off, s[0:3], 0 offset:212
	buffer_store_dword v1, off, s[0:3], 0 offset:208
	;; [unrolled: 1-line block ×4, first 2 shown]
.LBB39_211:
	s_or_b32 exec_lo, exec_lo, s6
	v_mov_b32_e32 v4, s36
	v_cmp_lt_u32_e64 s4, 12, v0
	s_clause 0x3
	buffer_load_dword v1, v4, s[0:3], 0 offen
	buffer_load_dword v2, v4, s[0:3], 0 offen offset:4
	buffer_load_dword v3, v4, s[0:3], 0 offen offset:8
	;; [unrolled: 1-line block ×3, first 2 shown]
	s_waitcnt vmcnt(0)
	ds_write_b128 v86, v[1:4]
	s_waitcnt lgkmcnt(0)
	s_waitcnt_vscnt null, 0x0
	s_barrier
	buffer_gl0_inv
	s_and_saveexec_b32 s6, s4
	s_cbranch_execz .LBB39_219
; %bb.212:
	ds_read_b128 v[1:4], v86
	s_andn2_b32 vcc_lo, exec_lo, s48
	s_cbranch_vccnz .LBB39_214
; %bb.213:
	s_clause 0x3
	buffer_load_dword v87, v85, s[0:3], 0 offen offset:8
	buffer_load_dword v88, v85, s[0:3], 0 offen offset:12
	buffer_load_dword v89, v85, s[0:3], 0 offen
	buffer_load_dword v90, v85, s[0:3], 0 offen offset:4
	s_waitcnt vmcnt(2) lgkmcnt(0)
	v_mul_f64 v[92:93], v[3:4], v[87:88]
	v_mul_f64 v[87:88], v[1:2], v[87:88]
	s_waitcnt vmcnt(0)
	v_fma_f64 v[1:2], v[1:2], v[89:90], -v[92:93]
	v_fma_f64 v[3:4], v[3:4], v[89:90], v[87:88]
.LBB39_214:
	s_and_saveexec_b32 s8, s5
	s_cbranch_execz .LBB39_218
; %bb.215:
	v_add_nc_u32_e32 v87, -13, v0
	s_movk_i32 s49, 0x350
	s_mov_b32 s5, 0
	s_mov_b32 s50, s35
	.p2align	6
.LBB39_216:                             ; =>This Inner Loop Header: Depth=1
	v_mov_b32_e32 v90, s50
	v_add_nc_u32_e32 v87, -1, v87
	s_add_i32 s50, s50, 16
	s_clause 0x3
	buffer_load_dword v88, v90, s[0:3], 0 offen offset:8
	buffer_load_dword v89, v90, s[0:3], 0 offen offset:12
	buffer_load_dword v96, v90, s[0:3], 0 offen
	buffer_load_dword v97, v90, s[0:3], 0 offen offset:4
	v_mov_b32_e32 v90, s49
	v_cmp_eq_u32_e32 vcc_lo, 0, v87
	s_add_i32 s49, s49, 16
	ds_read_b128 v[92:95], v90
	s_or_b32 s5, vcc_lo, s5
	s_waitcnt vmcnt(2) lgkmcnt(0)
	v_mul_f64 v[98:99], v[94:95], v[88:89]
	v_mul_f64 v[88:89], v[92:93], v[88:89]
	s_waitcnt vmcnt(0)
	v_fma_f64 v[92:93], v[92:93], v[96:97], -v[98:99]
	v_fma_f64 v[88:89], v[94:95], v[96:97], v[88:89]
	v_add_f64 v[1:2], v[1:2], v[92:93]
	v_add_f64 v[3:4], v[3:4], v[88:89]
	s_andn2_b32 exec_lo, exec_lo, s5
	s_cbranch_execnz .LBB39_216
; %bb.217:
	s_or_b32 exec_lo, exec_lo, s5
.LBB39_218:
	s_or_b32 exec_lo, exec_lo, s8
	v_mov_b32_e32 v87, 0
	ds_read_b128 v[87:90], v87 offset:192
	s_waitcnt lgkmcnt(0)
	v_mul_f64 v[92:93], v[3:4], v[89:90]
	v_mul_f64 v[89:90], v[1:2], v[89:90]
	v_fma_f64 v[1:2], v[1:2], v[87:88], -v[92:93]
	v_fma_f64 v[3:4], v[3:4], v[87:88], v[89:90]
	buffer_store_dword v2, off, s[0:3], 0 offset:196
	buffer_store_dword v1, off, s[0:3], 0 offset:192
	;; [unrolled: 1-line block ×4, first 2 shown]
.LBB39_219:
	s_or_b32 exec_lo, exec_lo, s6
	v_mov_b32_e32 v4, s37
	v_cmp_lt_u32_e64 s5, 11, v0
	s_clause 0x3
	buffer_load_dword v1, v4, s[0:3], 0 offen
	buffer_load_dword v2, v4, s[0:3], 0 offen offset:4
	buffer_load_dword v3, v4, s[0:3], 0 offen offset:8
	;; [unrolled: 1-line block ×3, first 2 shown]
	s_waitcnt vmcnt(0)
	ds_write_b128 v86, v[1:4]
	s_waitcnt lgkmcnt(0)
	s_waitcnt_vscnt null, 0x0
	s_barrier
	buffer_gl0_inv
	s_and_saveexec_b32 s6, s5
	s_cbranch_execz .LBB39_227
; %bb.220:
	ds_read_b128 v[1:4], v86
	s_andn2_b32 vcc_lo, exec_lo, s48
	s_cbranch_vccnz .LBB39_222
; %bb.221:
	s_clause 0x3
	buffer_load_dword v87, v85, s[0:3], 0 offen offset:8
	buffer_load_dword v88, v85, s[0:3], 0 offen offset:12
	buffer_load_dword v89, v85, s[0:3], 0 offen
	buffer_load_dword v90, v85, s[0:3], 0 offen offset:4
	s_waitcnt vmcnt(2) lgkmcnt(0)
	v_mul_f64 v[92:93], v[3:4], v[87:88]
	v_mul_f64 v[87:88], v[1:2], v[87:88]
	s_waitcnt vmcnt(0)
	v_fma_f64 v[1:2], v[1:2], v[89:90], -v[92:93]
	v_fma_f64 v[3:4], v[3:4], v[89:90], v[87:88]
.LBB39_222:
	s_and_saveexec_b32 s8, s4
	s_cbranch_execz .LBB39_226
; %bb.223:
	v_add_nc_u32_e32 v87, -12, v0
	s_movk_i32 s49, 0x340
	s_mov_b32 s4, 0
	s_mov_b32 s50, s36
	.p2align	6
.LBB39_224:                             ; =>This Inner Loop Header: Depth=1
	v_mov_b32_e32 v90, s50
	v_add_nc_u32_e32 v87, -1, v87
	s_add_i32 s50, s50, 16
	s_clause 0x3
	buffer_load_dword v88, v90, s[0:3], 0 offen offset:8
	buffer_load_dword v89, v90, s[0:3], 0 offen offset:12
	buffer_load_dword v96, v90, s[0:3], 0 offen
	buffer_load_dword v97, v90, s[0:3], 0 offen offset:4
	v_mov_b32_e32 v90, s49
	v_cmp_eq_u32_e32 vcc_lo, 0, v87
	s_add_i32 s49, s49, 16
	ds_read_b128 v[92:95], v90
	s_or_b32 s4, vcc_lo, s4
	s_waitcnt vmcnt(2) lgkmcnt(0)
	v_mul_f64 v[98:99], v[94:95], v[88:89]
	v_mul_f64 v[88:89], v[92:93], v[88:89]
	s_waitcnt vmcnt(0)
	v_fma_f64 v[92:93], v[92:93], v[96:97], -v[98:99]
	v_fma_f64 v[88:89], v[94:95], v[96:97], v[88:89]
	v_add_f64 v[1:2], v[1:2], v[92:93]
	v_add_f64 v[3:4], v[3:4], v[88:89]
	s_andn2_b32 exec_lo, exec_lo, s4
	s_cbranch_execnz .LBB39_224
; %bb.225:
	s_or_b32 exec_lo, exec_lo, s4
.LBB39_226:
	s_or_b32 exec_lo, exec_lo, s8
	v_mov_b32_e32 v87, 0
	ds_read_b128 v[87:90], v87 offset:176
	s_waitcnt lgkmcnt(0)
	v_mul_f64 v[92:93], v[3:4], v[89:90]
	v_mul_f64 v[89:90], v[1:2], v[89:90]
	v_fma_f64 v[1:2], v[1:2], v[87:88], -v[92:93]
	v_fma_f64 v[3:4], v[3:4], v[87:88], v[89:90]
	buffer_store_dword v2, off, s[0:3], 0 offset:180
	buffer_store_dword v1, off, s[0:3], 0 offset:176
	;; [unrolled: 1-line block ×4, first 2 shown]
.LBB39_227:
	s_or_b32 exec_lo, exec_lo, s6
	v_mov_b32_e32 v4, s38
	v_cmp_lt_u32_e64 s4, 10, v0
	s_clause 0x3
	buffer_load_dword v1, v4, s[0:3], 0 offen
	buffer_load_dword v2, v4, s[0:3], 0 offen offset:4
	buffer_load_dword v3, v4, s[0:3], 0 offen offset:8
	;; [unrolled: 1-line block ×3, first 2 shown]
	s_waitcnt vmcnt(0)
	ds_write_b128 v86, v[1:4]
	s_waitcnt lgkmcnt(0)
	s_waitcnt_vscnt null, 0x0
	s_barrier
	buffer_gl0_inv
	s_and_saveexec_b32 s6, s4
	s_cbranch_execz .LBB39_235
; %bb.228:
	ds_read_b128 v[1:4], v86
	s_andn2_b32 vcc_lo, exec_lo, s48
	s_cbranch_vccnz .LBB39_230
; %bb.229:
	s_clause 0x3
	buffer_load_dword v87, v85, s[0:3], 0 offen offset:8
	buffer_load_dword v88, v85, s[0:3], 0 offen offset:12
	buffer_load_dword v89, v85, s[0:3], 0 offen
	buffer_load_dword v90, v85, s[0:3], 0 offen offset:4
	s_waitcnt vmcnt(2) lgkmcnt(0)
	v_mul_f64 v[92:93], v[3:4], v[87:88]
	v_mul_f64 v[87:88], v[1:2], v[87:88]
	s_waitcnt vmcnt(0)
	v_fma_f64 v[1:2], v[1:2], v[89:90], -v[92:93]
	v_fma_f64 v[3:4], v[3:4], v[89:90], v[87:88]
.LBB39_230:
	s_and_saveexec_b32 s8, s5
	s_cbranch_execz .LBB39_234
; %bb.231:
	v_add_nc_u32_e32 v87, -11, v0
	s_movk_i32 s49, 0x330
	s_mov_b32 s5, 0
	s_mov_b32 s50, s37
	.p2align	6
.LBB39_232:                             ; =>This Inner Loop Header: Depth=1
	v_mov_b32_e32 v90, s50
	v_add_nc_u32_e32 v87, -1, v87
	s_add_i32 s50, s50, 16
	s_clause 0x3
	buffer_load_dword v88, v90, s[0:3], 0 offen offset:8
	buffer_load_dword v89, v90, s[0:3], 0 offen offset:12
	buffer_load_dword v96, v90, s[0:3], 0 offen
	buffer_load_dword v97, v90, s[0:3], 0 offen offset:4
	v_mov_b32_e32 v90, s49
	v_cmp_eq_u32_e32 vcc_lo, 0, v87
	s_add_i32 s49, s49, 16
	ds_read_b128 v[92:95], v90
	s_or_b32 s5, vcc_lo, s5
	s_waitcnt vmcnt(2) lgkmcnt(0)
	v_mul_f64 v[98:99], v[94:95], v[88:89]
	v_mul_f64 v[88:89], v[92:93], v[88:89]
	s_waitcnt vmcnt(0)
	v_fma_f64 v[92:93], v[92:93], v[96:97], -v[98:99]
	v_fma_f64 v[88:89], v[94:95], v[96:97], v[88:89]
	v_add_f64 v[1:2], v[1:2], v[92:93]
	v_add_f64 v[3:4], v[3:4], v[88:89]
	s_andn2_b32 exec_lo, exec_lo, s5
	s_cbranch_execnz .LBB39_232
; %bb.233:
	s_or_b32 exec_lo, exec_lo, s5
.LBB39_234:
	s_or_b32 exec_lo, exec_lo, s8
	v_mov_b32_e32 v87, 0
	ds_read_b128 v[87:90], v87 offset:160
	s_waitcnt lgkmcnt(0)
	v_mul_f64 v[92:93], v[3:4], v[89:90]
	v_mul_f64 v[89:90], v[1:2], v[89:90]
	v_fma_f64 v[1:2], v[1:2], v[87:88], -v[92:93]
	v_fma_f64 v[3:4], v[3:4], v[87:88], v[89:90]
	buffer_store_dword v2, off, s[0:3], 0 offset:164
	buffer_store_dword v1, off, s[0:3], 0 offset:160
	;; [unrolled: 1-line block ×4, first 2 shown]
.LBB39_235:
	s_or_b32 exec_lo, exec_lo, s6
	v_mov_b32_e32 v4, s39
	v_cmp_lt_u32_e64 s5, 9, v0
	s_clause 0x3
	buffer_load_dword v1, v4, s[0:3], 0 offen
	buffer_load_dword v2, v4, s[0:3], 0 offen offset:4
	buffer_load_dword v3, v4, s[0:3], 0 offen offset:8
	;; [unrolled: 1-line block ×3, first 2 shown]
	s_waitcnt vmcnt(0)
	ds_write_b128 v86, v[1:4]
	s_waitcnt lgkmcnt(0)
	s_waitcnt_vscnt null, 0x0
	s_barrier
	buffer_gl0_inv
	s_and_saveexec_b32 s6, s5
	s_cbranch_execz .LBB39_243
; %bb.236:
	ds_read_b128 v[1:4], v86
	s_andn2_b32 vcc_lo, exec_lo, s48
	s_cbranch_vccnz .LBB39_238
; %bb.237:
	s_clause 0x3
	buffer_load_dword v87, v85, s[0:3], 0 offen offset:8
	buffer_load_dword v88, v85, s[0:3], 0 offen offset:12
	buffer_load_dword v89, v85, s[0:3], 0 offen
	buffer_load_dword v90, v85, s[0:3], 0 offen offset:4
	s_waitcnt vmcnt(2) lgkmcnt(0)
	v_mul_f64 v[92:93], v[3:4], v[87:88]
	v_mul_f64 v[87:88], v[1:2], v[87:88]
	s_waitcnt vmcnt(0)
	v_fma_f64 v[1:2], v[1:2], v[89:90], -v[92:93]
	v_fma_f64 v[3:4], v[3:4], v[89:90], v[87:88]
.LBB39_238:
	s_and_saveexec_b32 s8, s4
	s_cbranch_execz .LBB39_242
; %bb.239:
	v_add_nc_u32_e32 v87, -10, v0
	s_movk_i32 s49, 0x320
	s_mov_b32 s4, 0
	s_mov_b32 s50, s38
	.p2align	6
.LBB39_240:                             ; =>This Inner Loop Header: Depth=1
	v_mov_b32_e32 v90, s50
	v_add_nc_u32_e32 v87, -1, v87
	s_add_i32 s50, s50, 16
	s_clause 0x3
	buffer_load_dword v88, v90, s[0:3], 0 offen offset:8
	buffer_load_dword v89, v90, s[0:3], 0 offen offset:12
	buffer_load_dword v96, v90, s[0:3], 0 offen
	buffer_load_dword v97, v90, s[0:3], 0 offen offset:4
	v_mov_b32_e32 v90, s49
	v_cmp_eq_u32_e32 vcc_lo, 0, v87
	s_add_i32 s49, s49, 16
	ds_read_b128 v[92:95], v90
	s_or_b32 s4, vcc_lo, s4
	s_waitcnt vmcnt(2) lgkmcnt(0)
	v_mul_f64 v[98:99], v[94:95], v[88:89]
	v_mul_f64 v[88:89], v[92:93], v[88:89]
	s_waitcnt vmcnt(0)
	v_fma_f64 v[92:93], v[92:93], v[96:97], -v[98:99]
	v_fma_f64 v[88:89], v[94:95], v[96:97], v[88:89]
	v_add_f64 v[1:2], v[1:2], v[92:93]
	v_add_f64 v[3:4], v[3:4], v[88:89]
	s_andn2_b32 exec_lo, exec_lo, s4
	s_cbranch_execnz .LBB39_240
; %bb.241:
	s_or_b32 exec_lo, exec_lo, s4
.LBB39_242:
	s_or_b32 exec_lo, exec_lo, s8
	v_mov_b32_e32 v87, 0
	ds_read_b128 v[87:90], v87 offset:144
	s_waitcnt lgkmcnt(0)
	v_mul_f64 v[92:93], v[3:4], v[89:90]
	v_mul_f64 v[89:90], v[1:2], v[89:90]
	v_fma_f64 v[1:2], v[1:2], v[87:88], -v[92:93]
	v_fma_f64 v[3:4], v[3:4], v[87:88], v[89:90]
	buffer_store_dword v2, off, s[0:3], 0 offset:148
	buffer_store_dword v1, off, s[0:3], 0 offset:144
	;; [unrolled: 1-line block ×4, first 2 shown]
.LBB39_243:
	s_or_b32 exec_lo, exec_lo, s6
	v_mov_b32_e32 v4, s40
	v_cmp_lt_u32_e64 s4, 8, v0
	s_clause 0x3
	buffer_load_dword v1, v4, s[0:3], 0 offen
	buffer_load_dword v2, v4, s[0:3], 0 offen offset:4
	buffer_load_dword v3, v4, s[0:3], 0 offen offset:8
	;; [unrolled: 1-line block ×3, first 2 shown]
	s_waitcnt vmcnt(0)
	ds_write_b128 v86, v[1:4]
	s_waitcnt lgkmcnt(0)
	s_waitcnt_vscnt null, 0x0
	s_barrier
	buffer_gl0_inv
	s_and_saveexec_b32 s6, s4
	s_cbranch_execz .LBB39_251
; %bb.244:
	ds_read_b128 v[1:4], v86
	s_andn2_b32 vcc_lo, exec_lo, s48
	s_cbranch_vccnz .LBB39_246
; %bb.245:
	s_clause 0x3
	buffer_load_dword v87, v85, s[0:3], 0 offen offset:8
	buffer_load_dword v88, v85, s[0:3], 0 offen offset:12
	buffer_load_dword v89, v85, s[0:3], 0 offen
	buffer_load_dword v90, v85, s[0:3], 0 offen offset:4
	s_waitcnt vmcnt(2) lgkmcnt(0)
	v_mul_f64 v[92:93], v[3:4], v[87:88]
	v_mul_f64 v[87:88], v[1:2], v[87:88]
	s_waitcnt vmcnt(0)
	v_fma_f64 v[1:2], v[1:2], v[89:90], -v[92:93]
	v_fma_f64 v[3:4], v[3:4], v[89:90], v[87:88]
.LBB39_246:
	s_and_saveexec_b32 s8, s5
	s_cbranch_execz .LBB39_250
; %bb.247:
	v_add_nc_u32_e32 v87, -9, v0
	s_movk_i32 s49, 0x310
	s_mov_b32 s5, 0
	s_mov_b32 s50, s39
	.p2align	6
.LBB39_248:                             ; =>This Inner Loop Header: Depth=1
	v_mov_b32_e32 v90, s50
	v_add_nc_u32_e32 v87, -1, v87
	s_add_i32 s50, s50, 16
	s_clause 0x3
	buffer_load_dword v88, v90, s[0:3], 0 offen offset:8
	buffer_load_dword v89, v90, s[0:3], 0 offen offset:12
	buffer_load_dword v96, v90, s[0:3], 0 offen
	buffer_load_dword v97, v90, s[0:3], 0 offen offset:4
	v_mov_b32_e32 v90, s49
	v_cmp_eq_u32_e32 vcc_lo, 0, v87
	s_add_i32 s49, s49, 16
	ds_read_b128 v[92:95], v90
	s_or_b32 s5, vcc_lo, s5
	s_waitcnt vmcnt(2) lgkmcnt(0)
	v_mul_f64 v[98:99], v[94:95], v[88:89]
	v_mul_f64 v[88:89], v[92:93], v[88:89]
	s_waitcnt vmcnt(0)
	v_fma_f64 v[92:93], v[92:93], v[96:97], -v[98:99]
	v_fma_f64 v[88:89], v[94:95], v[96:97], v[88:89]
	v_add_f64 v[1:2], v[1:2], v[92:93]
	v_add_f64 v[3:4], v[3:4], v[88:89]
	s_andn2_b32 exec_lo, exec_lo, s5
	s_cbranch_execnz .LBB39_248
; %bb.249:
	s_or_b32 exec_lo, exec_lo, s5
.LBB39_250:
	s_or_b32 exec_lo, exec_lo, s8
	v_mov_b32_e32 v87, 0
	ds_read_b128 v[87:90], v87 offset:128
	s_waitcnt lgkmcnt(0)
	v_mul_f64 v[92:93], v[3:4], v[89:90]
	v_mul_f64 v[89:90], v[1:2], v[89:90]
	v_fma_f64 v[1:2], v[1:2], v[87:88], -v[92:93]
	v_fma_f64 v[3:4], v[3:4], v[87:88], v[89:90]
	buffer_store_dword v2, off, s[0:3], 0 offset:132
	buffer_store_dword v1, off, s[0:3], 0 offset:128
	;; [unrolled: 1-line block ×4, first 2 shown]
.LBB39_251:
	s_or_b32 exec_lo, exec_lo, s6
	v_mov_b32_e32 v4, s41
	v_cmp_lt_u32_e64 s5, 7, v0
	s_clause 0x3
	buffer_load_dword v1, v4, s[0:3], 0 offen
	buffer_load_dword v2, v4, s[0:3], 0 offen offset:4
	buffer_load_dword v3, v4, s[0:3], 0 offen offset:8
	;; [unrolled: 1-line block ×3, first 2 shown]
	s_waitcnt vmcnt(0)
	ds_write_b128 v86, v[1:4]
	s_waitcnt lgkmcnt(0)
	s_waitcnt_vscnt null, 0x0
	s_barrier
	buffer_gl0_inv
	s_and_saveexec_b32 s6, s5
	s_cbranch_execz .LBB39_259
; %bb.252:
	ds_read_b128 v[1:4], v86
	s_andn2_b32 vcc_lo, exec_lo, s48
	s_cbranch_vccnz .LBB39_254
; %bb.253:
	s_clause 0x3
	buffer_load_dword v87, v85, s[0:3], 0 offen offset:8
	buffer_load_dword v88, v85, s[0:3], 0 offen offset:12
	buffer_load_dword v89, v85, s[0:3], 0 offen
	buffer_load_dword v90, v85, s[0:3], 0 offen offset:4
	s_waitcnt vmcnt(2) lgkmcnt(0)
	v_mul_f64 v[92:93], v[3:4], v[87:88]
	v_mul_f64 v[87:88], v[1:2], v[87:88]
	s_waitcnt vmcnt(0)
	v_fma_f64 v[1:2], v[1:2], v[89:90], -v[92:93]
	v_fma_f64 v[3:4], v[3:4], v[89:90], v[87:88]
.LBB39_254:
	s_and_saveexec_b32 s8, s4
	s_cbranch_execz .LBB39_258
; %bb.255:
	v_add_nc_u32_e32 v87, -8, v0
	s_movk_i32 s49, 0x300
	s_mov_b32 s4, 0
	s_mov_b32 s50, s40
	.p2align	6
.LBB39_256:                             ; =>This Inner Loop Header: Depth=1
	v_mov_b32_e32 v90, s50
	v_add_nc_u32_e32 v87, -1, v87
	s_add_i32 s50, s50, 16
	s_clause 0x3
	buffer_load_dword v88, v90, s[0:3], 0 offen offset:8
	buffer_load_dword v89, v90, s[0:3], 0 offen offset:12
	buffer_load_dword v96, v90, s[0:3], 0 offen
	buffer_load_dword v97, v90, s[0:3], 0 offen offset:4
	v_mov_b32_e32 v90, s49
	v_cmp_eq_u32_e32 vcc_lo, 0, v87
	s_add_i32 s49, s49, 16
	ds_read_b128 v[92:95], v90
	s_or_b32 s4, vcc_lo, s4
	s_waitcnt vmcnt(2) lgkmcnt(0)
	v_mul_f64 v[98:99], v[94:95], v[88:89]
	v_mul_f64 v[88:89], v[92:93], v[88:89]
	s_waitcnt vmcnt(0)
	v_fma_f64 v[92:93], v[92:93], v[96:97], -v[98:99]
	v_fma_f64 v[88:89], v[94:95], v[96:97], v[88:89]
	v_add_f64 v[1:2], v[1:2], v[92:93]
	v_add_f64 v[3:4], v[3:4], v[88:89]
	s_andn2_b32 exec_lo, exec_lo, s4
	s_cbranch_execnz .LBB39_256
; %bb.257:
	s_or_b32 exec_lo, exec_lo, s4
.LBB39_258:
	s_or_b32 exec_lo, exec_lo, s8
	v_mov_b32_e32 v87, 0
	ds_read_b128 v[87:90], v87 offset:112
	s_waitcnt lgkmcnt(0)
	v_mul_f64 v[92:93], v[3:4], v[89:90]
	v_mul_f64 v[89:90], v[1:2], v[89:90]
	v_fma_f64 v[1:2], v[1:2], v[87:88], -v[92:93]
	v_fma_f64 v[3:4], v[3:4], v[87:88], v[89:90]
	buffer_store_dword v2, off, s[0:3], 0 offset:116
	buffer_store_dword v1, off, s[0:3], 0 offset:112
	;; [unrolled: 1-line block ×4, first 2 shown]
.LBB39_259:
	s_or_b32 exec_lo, exec_lo, s6
	v_mov_b32_e32 v4, s42
	v_cmp_lt_u32_e64 s4, 6, v0
	s_clause 0x3
	buffer_load_dword v1, v4, s[0:3], 0 offen
	buffer_load_dword v2, v4, s[0:3], 0 offen offset:4
	buffer_load_dword v3, v4, s[0:3], 0 offen offset:8
	;; [unrolled: 1-line block ×3, first 2 shown]
	s_waitcnt vmcnt(0)
	ds_write_b128 v86, v[1:4]
	s_waitcnt lgkmcnt(0)
	s_waitcnt_vscnt null, 0x0
	s_barrier
	buffer_gl0_inv
	s_and_saveexec_b32 s6, s4
	s_cbranch_execz .LBB39_267
; %bb.260:
	ds_read_b128 v[1:4], v86
	s_andn2_b32 vcc_lo, exec_lo, s48
	s_cbranch_vccnz .LBB39_262
; %bb.261:
	s_clause 0x3
	buffer_load_dword v87, v85, s[0:3], 0 offen offset:8
	buffer_load_dword v88, v85, s[0:3], 0 offen offset:12
	buffer_load_dword v89, v85, s[0:3], 0 offen
	buffer_load_dword v90, v85, s[0:3], 0 offen offset:4
	s_waitcnt vmcnt(2) lgkmcnt(0)
	v_mul_f64 v[92:93], v[3:4], v[87:88]
	v_mul_f64 v[87:88], v[1:2], v[87:88]
	s_waitcnt vmcnt(0)
	v_fma_f64 v[1:2], v[1:2], v[89:90], -v[92:93]
	v_fma_f64 v[3:4], v[3:4], v[89:90], v[87:88]
.LBB39_262:
	s_and_saveexec_b32 s8, s5
	s_cbranch_execz .LBB39_266
; %bb.263:
	v_add_nc_u32_e32 v87, -7, v0
	s_movk_i32 s49, 0x2f0
	s_mov_b32 s5, 0
	s_mov_b32 s50, s41
	.p2align	6
.LBB39_264:                             ; =>This Inner Loop Header: Depth=1
	v_mov_b32_e32 v90, s50
	v_add_nc_u32_e32 v87, -1, v87
	s_add_i32 s50, s50, 16
	s_clause 0x3
	buffer_load_dword v88, v90, s[0:3], 0 offen offset:8
	buffer_load_dword v89, v90, s[0:3], 0 offen offset:12
	buffer_load_dword v96, v90, s[0:3], 0 offen
	buffer_load_dword v97, v90, s[0:3], 0 offen offset:4
	v_mov_b32_e32 v90, s49
	v_cmp_eq_u32_e32 vcc_lo, 0, v87
	s_add_i32 s49, s49, 16
	ds_read_b128 v[92:95], v90
	s_or_b32 s5, vcc_lo, s5
	s_waitcnt vmcnt(2) lgkmcnt(0)
	v_mul_f64 v[98:99], v[94:95], v[88:89]
	v_mul_f64 v[88:89], v[92:93], v[88:89]
	s_waitcnt vmcnt(0)
	v_fma_f64 v[92:93], v[92:93], v[96:97], -v[98:99]
	v_fma_f64 v[88:89], v[94:95], v[96:97], v[88:89]
	v_add_f64 v[1:2], v[1:2], v[92:93]
	v_add_f64 v[3:4], v[3:4], v[88:89]
	s_andn2_b32 exec_lo, exec_lo, s5
	s_cbranch_execnz .LBB39_264
; %bb.265:
	s_or_b32 exec_lo, exec_lo, s5
.LBB39_266:
	s_or_b32 exec_lo, exec_lo, s8
	v_mov_b32_e32 v87, 0
	ds_read_b128 v[87:90], v87 offset:96
	s_waitcnt lgkmcnt(0)
	v_mul_f64 v[92:93], v[3:4], v[89:90]
	v_mul_f64 v[89:90], v[1:2], v[89:90]
	v_fma_f64 v[1:2], v[1:2], v[87:88], -v[92:93]
	v_fma_f64 v[3:4], v[3:4], v[87:88], v[89:90]
	buffer_store_dword v2, off, s[0:3], 0 offset:100
	buffer_store_dword v1, off, s[0:3], 0 offset:96
	;; [unrolled: 1-line block ×4, first 2 shown]
.LBB39_267:
	s_or_b32 exec_lo, exec_lo, s6
	v_mov_b32_e32 v4, s43
	v_cmp_lt_u32_e64 s5, 5, v0
	s_clause 0x3
	buffer_load_dword v1, v4, s[0:3], 0 offen
	buffer_load_dword v2, v4, s[0:3], 0 offen offset:4
	buffer_load_dword v3, v4, s[0:3], 0 offen offset:8
	;; [unrolled: 1-line block ×3, first 2 shown]
	s_waitcnt vmcnt(0)
	ds_write_b128 v86, v[1:4]
	s_waitcnt lgkmcnt(0)
	s_waitcnt_vscnt null, 0x0
	s_barrier
	buffer_gl0_inv
	s_and_saveexec_b32 s6, s5
	s_cbranch_execz .LBB39_275
; %bb.268:
	ds_read_b128 v[1:4], v86
	s_andn2_b32 vcc_lo, exec_lo, s48
	s_cbranch_vccnz .LBB39_270
; %bb.269:
	s_clause 0x3
	buffer_load_dword v87, v85, s[0:3], 0 offen offset:8
	buffer_load_dword v88, v85, s[0:3], 0 offen offset:12
	buffer_load_dword v89, v85, s[0:3], 0 offen
	buffer_load_dword v90, v85, s[0:3], 0 offen offset:4
	s_waitcnt vmcnt(2) lgkmcnt(0)
	v_mul_f64 v[92:93], v[3:4], v[87:88]
	v_mul_f64 v[87:88], v[1:2], v[87:88]
	s_waitcnt vmcnt(0)
	v_fma_f64 v[1:2], v[1:2], v[89:90], -v[92:93]
	v_fma_f64 v[3:4], v[3:4], v[89:90], v[87:88]
.LBB39_270:
	s_and_saveexec_b32 s8, s4
	s_cbranch_execz .LBB39_274
; %bb.271:
	v_add_nc_u32_e32 v87, -6, v0
	s_movk_i32 s49, 0x2e0
	s_mov_b32 s4, 0
	s_mov_b32 s50, s42
	.p2align	6
.LBB39_272:                             ; =>This Inner Loop Header: Depth=1
	v_mov_b32_e32 v90, s50
	v_add_nc_u32_e32 v87, -1, v87
	s_add_i32 s50, s50, 16
	s_clause 0x3
	buffer_load_dword v88, v90, s[0:3], 0 offen offset:8
	buffer_load_dword v89, v90, s[0:3], 0 offen offset:12
	buffer_load_dword v96, v90, s[0:3], 0 offen
	buffer_load_dword v97, v90, s[0:3], 0 offen offset:4
	v_mov_b32_e32 v90, s49
	v_cmp_eq_u32_e32 vcc_lo, 0, v87
	s_add_i32 s49, s49, 16
	ds_read_b128 v[92:95], v90
	s_or_b32 s4, vcc_lo, s4
	s_waitcnt vmcnt(2) lgkmcnt(0)
	v_mul_f64 v[98:99], v[94:95], v[88:89]
	v_mul_f64 v[88:89], v[92:93], v[88:89]
	s_waitcnt vmcnt(0)
	v_fma_f64 v[92:93], v[92:93], v[96:97], -v[98:99]
	v_fma_f64 v[88:89], v[94:95], v[96:97], v[88:89]
	v_add_f64 v[1:2], v[1:2], v[92:93]
	v_add_f64 v[3:4], v[3:4], v[88:89]
	s_andn2_b32 exec_lo, exec_lo, s4
	s_cbranch_execnz .LBB39_272
; %bb.273:
	s_or_b32 exec_lo, exec_lo, s4
.LBB39_274:
	s_or_b32 exec_lo, exec_lo, s8
	v_mov_b32_e32 v87, 0
	ds_read_b128 v[87:90], v87 offset:80
	s_waitcnt lgkmcnt(0)
	v_mul_f64 v[92:93], v[3:4], v[89:90]
	v_mul_f64 v[89:90], v[1:2], v[89:90]
	v_fma_f64 v[1:2], v[1:2], v[87:88], -v[92:93]
	v_fma_f64 v[3:4], v[3:4], v[87:88], v[89:90]
	buffer_store_dword v2, off, s[0:3], 0 offset:84
	buffer_store_dword v1, off, s[0:3], 0 offset:80
	;; [unrolled: 1-line block ×4, first 2 shown]
.LBB39_275:
	s_or_b32 exec_lo, exec_lo, s6
	v_mov_b32_e32 v4, s44
	v_cmp_lt_u32_e64 s4, 4, v0
	s_clause 0x3
	buffer_load_dword v1, v4, s[0:3], 0 offen
	buffer_load_dword v2, v4, s[0:3], 0 offen offset:4
	buffer_load_dword v3, v4, s[0:3], 0 offen offset:8
	;; [unrolled: 1-line block ×3, first 2 shown]
	s_waitcnt vmcnt(0)
	ds_write_b128 v86, v[1:4]
	s_waitcnt lgkmcnt(0)
	s_waitcnt_vscnt null, 0x0
	s_barrier
	buffer_gl0_inv
	s_and_saveexec_b32 s6, s4
	s_cbranch_execz .LBB39_283
; %bb.276:
	ds_read_b128 v[1:4], v86
	s_andn2_b32 vcc_lo, exec_lo, s48
	s_cbranch_vccnz .LBB39_278
; %bb.277:
	s_clause 0x3
	buffer_load_dword v87, v85, s[0:3], 0 offen offset:8
	buffer_load_dword v88, v85, s[0:3], 0 offen offset:12
	buffer_load_dword v89, v85, s[0:3], 0 offen
	buffer_load_dword v90, v85, s[0:3], 0 offen offset:4
	s_waitcnt vmcnt(2) lgkmcnt(0)
	v_mul_f64 v[92:93], v[3:4], v[87:88]
	v_mul_f64 v[87:88], v[1:2], v[87:88]
	s_waitcnt vmcnt(0)
	v_fma_f64 v[1:2], v[1:2], v[89:90], -v[92:93]
	v_fma_f64 v[3:4], v[3:4], v[89:90], v[87:88]
.LBB39_278:
	s_and_saveexec_b32 s8, s5
	s_cbranch_execz .LBB39_282
; %bb.279:
	v_add_nc_u32_e32 v87, -5, v0
	s_movk_i32 s49, 0x2d0
	s_mov_b32 s5, 0
	s_mov_b32 s50, s43
	.p2align	6
.LBB39_280:                             ; =>This Inner Loop Header: Depth=1
	v_mov_b32_e32 v90, s50
	v_add_nc_u32_e32 v87, -1, v87
	s_add_i32 s50, s50, 16
	s_clause 0x3
	buffer_load_dword v88, v90, s[0:3], 0 offen offset:8
	buffer_load_dword v89, v90, s[0:3], 0 offen offset:12
	buffer_load_dword v96, v90, s[0:3], 0 offen
	buffer_load_dword v97, v90, s[0:3], 0 offen offset:4
	v_mov_b32_e32 v90, s49
	v_cmp_eq_u32_e32 vcc_lo, 0, v87
	s_add_i32 s49, s49, 16
	ds_read_b128 v[92:95], v90
	s_or_b32 s5, vcc_lo, s5
	s_waitcnt vmcnt(2) lgkmcnt(0)
	v_mul_f64 v[98:99], v[94:95], v[88:89]
	v_mul_f64 v[88:89], v[92:93], v[88:89]
	s_waitcnt vmcnt(0)
	v_fma_f64 v[92:93], v[92:93], v[96:97], -v[98:99]
	v_fma_f64 v[88:89], v[94:95], v[96:97], v[88:89]
	v_add_f64 v[1:2], v[1:2], v[92:93]
	v_add_f64 v[3:4], v[3:4], v[88:89]
	s_andn2_b32 exec_lo, exec_lo, s5
	s_cbranch_execnz .LBB39_280
; %bb.281:
	s_or_b32 exec_lo, exec_lo, s5
.LBB39_282:
	s_or_b32 exec_lo, exec_lo, s8
	v_mov_b32_e32 v87, 0
	ds_read_b128 v[87:90], v87 offset:64
	s_waitcnt lgkmcnt(0)
	v_mul_f64 v[92:93], v[3:4], v[89:90]
	v_mul_f64 v[89:90], v[1:2], v[89:90]
	v_fma_f64 v[1:2], v[1:2], v[87:88], -v[92:93]
	v_fma_f64 v[3:4], v[3:4], v[87:88], v[89:90]
	buffer_store_dword v2, off, s[0:3], 0 offset:68
	buffer_store_dword v1, off, s[0:3], 0 offset:64
	;; [unrolled: 1-line block ×4, first 2 shown]
.LBB39_283:
	s_or_b32 exec_lo, exec_lo, s6
	v_mov_b32_e32 v4, s45
	v_cmp_lt_u32_e64 s5, 3, v0
	s_clause 0x3
	buffer_load_dword v1, v4, s[0:3], 0 offen
	buffer_load_dword v2, v4, s[0:3], 0 offen offset:4
	buffer_load_dword v3, v4, s[0:3], 0 offen offset:8
	;; [unrolled: 1-line block ×3, first 2 shown]
	s_waitcnt vmcnt(0)
	ds_write_b128 v86, v[1:4]
	s_waitcnt lgkmcnt(0)
	s_waitcnt_vscnt null, 0x0
	s_barrier
	buffer_gl0_inv
	s_and_saveexec_b32 s6, s5
	s_cbranch_execz .LBB39_291
; %bb.284:
	ds_read_b128 v[1:4], v86
	s_andn2_b32 vcc_lo, exec_lo, s48
	s_cbranch_vccnz .LBB39_286
; %bb.285:
	s_clause 0x3
	buffer_load_dword v87, v85, s[0:3], 0 offen offset:8
	buffer_load_dword v88, v85, s[0:3], 0 offen offset:12
	buffer_load_dword v89, v85, s[0:3], 0 offen
	buffer_load_dword v90, v85, s[0:3], 0 offen offset:4
	s_waitcnt vmcnt(2) lgkmcnt(0)
	v_mul_f64 v[92:93], v[3:4], v[87:88]
	v_mul_f64 v[87:88], v[1:2], v[87:88]
	s_waitcnt vmcnt(0)
	v_fma_f64 v[1:2], v[1:2], v[89:90], -v[92:93]
	v_fma_f64 v[3:4], v[3:4], v[89:90], v[87:88]
.LBB39_286:
	s_and_saveexec_b32 s8, s4
	s_cbranch_execz .LBB39_290
; %bb.287:
	v_add_nc_u32_e32 v87, -4, v0
	s_movk_i32 s49, 0x2c0
	s_mov_b32 s4, 0
	s_mov_b32 s50, s44
	.p2align	6
.LBB39_288:                             ; =>This Inner Loop Header: Depth=1
	v_mov_b32_e32 v90, s50
	v_add_nc_u32_e32 v87, -1, v87
	s_add_i32 s50, s50, 16
	s_clause 0x3
	buffer_load_dword v88, v90, s[0:3], 0 offen offset:8
	buffer_load_dword v89, v90, s[0:3], 0 offen offset:12
	buffer_load_dword v96, v90, s[0:3], 0 offen
	buffer_load_dword v97, v90, s[0:3], 0 offen offset:4
	v_mov_b32_e32 v90, s49
	v_cmp_eq_u32_e32 vcc_lo, 0, v87
	s_add_i32 s49, s49, 16
	ds_read_b128 v[92:95], v90
	s_or_b32 s4, vcc_lo, s4
	s_waitcnt vmcnt(2) lgkmcnt(0)
	v_mul_f64 v[98:99], v[94:95], v[88:89]
	v_mul_f64 v[88:89], v[92:93], v[88:89]
	s_waitcnt vmcnt(0)
	v_fma_f64 v[92:93], v[92:93], v[96:97], -v[98:99]
	v_fma_f64 v[88:89], v[94:95], v[96:97], v[88:89]
	v_add_f64 v[1:2], v[1:2], v[92:93]
	v_add_f64 v[3:4], v[3:4], v[88:89]
	s_andn2_b32 exec_lo, exec_lo, s4
	s_cbranch_execnz .LBB39_288
; %bb.289:
	s_or_b32 exec_lo, exec_lo, s4
.LBB39_290:
	s_or_b32 exec_lo, exec_lo, s8
	v_mov_b32_e32 v87, 0
	ds_read_b128 v[87:90], v87 offset:48
	s_waitcnt lgkmcnt(0)
	v_mul_f64 v[92:93], v[3:4], v[89:90]
	v_mul_f64 v[89:90], v[1:2], v[89:90]
	v_fma_f64 v[1:2], v[1:2], v[87:88], -v[92:93]
	v_fma_f64 v[3:4], v[3:4], v[87:88], v[89:90]
	buffer_store_dword v2, off, s[0:3], 0 offset:52
	buffer_store_dword v1, off, s[0:3], 0 offset:48
	;; [unrolled: 1-line block ×4, first 2 shown]
.LBB39_291:
	s_or_b32 exec_lo, exec_lo, s6
	v_mov_b32_e32 v4, s47
	v_cmp_lt_u32_e64 s6, 2, v0
	s_clause 0x3
	buffer_load_dword v1, v4, s[0:3], 0 offen
	buffer_load_dword v2, v4, s[0:3], 0 offen offset:4
	buffer_load_dword v3, v4, s[0:3], 0 offen offset:8
	;; [unrolled: 1-line block ×3, first 2 shown]
	s_waitcnt vmcnt(0)
	ds_write_b128 v86, v[1:4]
	s_waitcnt lgkmcnt(0)
	s_waitcnt_vscnt null, 0x0
	s_barrier
	buffer_gl0_inv
	s_and_saveexec_b32 s4, s6
	s_cbranch_execz .LBB39_299
; %bb.292:
	ds_read_b128 v[1:4], v86
	s_andn2_b32 vcc_lo, exec_lo, s48
	s_cbranch_vccnz .LBB39_294
; %bb.293:
	s_clause 0x3
	buffer_load_dword v87, v85, s[0:3], 0 offen offset:8
	buffer_load_dword v88, v85, s[0:3], 0 offen offset:12
	buffer_load_dword v89, v85, s[0:3], 0 offen
	buffer_load_dword v90, v85, s[0:3], 0 offen offset:4
	s_waitcnt vmcnt(2) lgkmcnt(0)
	v_mul_f64 v[92:93], v[3:4], v[87:88]
	v_mul_f64 v[87:88], v[1:2], v[87:88]
	s_waitcnt vmcnt(0)
	v_fma_f64 v[1:2], v[1:2], v[89:90], -v[92:93]
	v_fma_f64 v[3:4], v[3:4], v[89:90], v[87:88]
.LBB39_294:
	s_and_saveexec_b32 s8, s5
	s_cbranch_execz .LBB39_298
; %bb.295:
	v_add_nc_u32_e32 v87, -3, v0
	s_movk_i32 s49, 0x2b0
	s_mov_b32 s5, 0
	s_mov_b32 s50, s45
	.p2align	6
.LBB39_296:                             ; =>This Inner Loop Header: Depth=1
	v_mov_b32_e32 v90, s50
	v_add_nc_u32_e32 v87, -1, v87
	s_add_i32 s50, s50, 16
	s_clause 0x3
	buffer_load_dword v88, v90, s[0:3], 0 offen offset:8
	buffer_load_dword v89, v90, s[0:3], 0 offen offset:12
	buffer_load_dword v96, v90, s[0:3], 0 offen
	buffer_load_dword v97, v90, s[0:3], 0 offen offset:4
	v_mov_b32_e32 v90, s49
	v_cmp_eq_u32_e32 vcc_lo, 0, v87
	s_add_i32 s49, s49, 16
	ds_read_b128 v[92:95], v90
	s_or_b32 s5, vcc_lo, s5
	s_waitcnt vmcnt(2) lgkmcnt(0)
	v_mul_f64 v[98:99], v[94:95], v[88:89]
	v_mul_f64 v[88:89], v[92:93], v[88:89]
	s_waitcnt vmcnt(0)
	v_fma_f64 v[92:93], v[92:93], v[96:97], -v[98:99]
	v_fma_f64 v[88:89], v[94:95], v[96:97], v[88:89]
	v_add_f64 v[1:2], v[1:2], v[92:93]
	v_add_f64 v[3:4], v[3:4], v[88:89]
	s_andn2_b32 exec_lo, exec_lo, s5
	s_cbranch_execnz .LBB39_296
; %bb.297:
	s_or_b32 exec_lo, exec_lo, s5
.LBB39_298:
	s_or_b32 exec_lo, exec_lo, s8
	v_mov_b32_e32 v87, 0
	ds_read_b128 v[87:90], v87 offset:32
	s_waitcnt lgkmcnt(0)
	v_mul_f64 v[92:93], v[3:4], v[89:90]
	v_mul_f64 v[89:90], v[1:2], v[89:90]
	v_fma_f64 v[1:2], v[1:2], v[87:88], -v[92:93]
	v_fma_f64 v[3:4], v[3:4], v[87:88], v[89:90]
	buffer_store_dword v2, off, s[0:3], 0 offset:36
	buffer_store_dword v1, off, s[0:3], 0 offset:32
	;; [unrolled: 1-line block ×4, first 2 shown]
.LBB39_299:
	s_or_b32 exec_lo, exec_lo, s4
	v_mov_b32_e32 v4, s46
	v_cmp_lt_u32_e64 s4, 1, v0
	s_clause 0x3
	buffer_load_dword v1, v4, s[0:3], 0 offen
	buffer_load_dword v2, v4, s[0:3], 0 offen offset:4
	buffer_load_dword v3, v4, s[0:3], 0 offen offset:8
	;; [unrolled: 1-line block ×3, first 2 shown]
	s_waitcnt vmcnt(0)
	ds_write_b128 v86, v[1:4]
	s_waitcnt lgkmcnt(0)
	s_waitcnt_vscnt null, 0x0
	s_barrier
	buffer_gl0_inv
	s_and_saveexec_b32 s5, s4
	s_cbranch_execz .LBB39_307
; %bb.300:
	ds_read_b128 v[1:4], v86
	s_andn2_b32 vcc_lo, exec_lo, s48
	s_cbranch_vccnz .LBB39_302
; %bb.301:
	s_clause 0x3
	buffer_load_dword v87, v85, s[0:3], 0 offen offset:8
	buffer_load_dword v88, v85, s[0:3], 0 offen offset:12
	buffer_load_dword v89, v85, s[0:3], 0 offen
	buffer_load_dword v90, v85, s[0:3], 0 offen offset:4
	s_waitcnt vmcnt(2) lgkmcnt(0)
	v_mul_f64 v[92:93], v[3:4], v[87:88]
	v_mul_f64 v[87:88], v[1:2], v[87:88]
	s_waitcnt vmcnt(0)
	v_fma_f64 v[1:2], v[1:2], v[89:90], -v[92:93]
	v_fma_f64 v[3:4], v[3:4], v[89:90], v[87:88]
.LBB39_302:
	s_and_saveexec_b32 s8, s6
	s_cbranch_execz .LBB39_306
; %bb.303:
	v_add_nc_u32_e32 v87, -2, v0
	s_movk_i32 s49, 0x2a0
	s_mov_b32 s6, 0
	s_mov_b32 s50, s47
	.p2align	6
.LBB39_304:                             ; =>This Inner Loop Header: Depth=1
	v_mov_b32_e32 v90, s50
	v_add_nc_u32_e32 v87, -1, v87
	s_add_i32 s50, s50, 16
	s_clause 0x3
	buffer_load_dword v88, v90, s[0:3], 0 offen offset:8
	buffer_load_dword v89, v90, s[0:3], 0 offen offset:12
	buffer_load_dword v96, v90, s[0:3], 0 offen
	buffer_load_dword v97, v90, s[0:3], 0 offen offset:4
	v_mov_b32_e32 v90, s49
	v_cmp_eq_u32_e32 vcc_lo, 0, v87
	s_add_i32 s49, s49, 16
	ds_read_b128 v[92:95], v90
	s_or_b32 s6, vcc_lo, s6
	s_waitcnt vmcnt(2) lgkmcnt(0)
	v_mul_f64 v[98:99], v[94:95], v[88:89]
	v_mul_f64 v[88:89], v[92:93], v[88:89]
	s_waitcnt vmcnt(0)
	v_fma_f64 v[92:93], v[92:93], v[96:97], -v[98:99]
	v_fma_f64 v[88:89], v[94:95], v[96:97], v[88:89]
	v_add_f64 v[1:2], v[1:2], v[92:93]
	v_add_f64 v[3:4], v[3:4], v[88:89]
	s_andn2_b32 exec_lo, exec_lo, s6
	s_cbranch_execnz .LBB39_304
; %bb.305:
	s_or_b32 exec_lo, exec_lo, s6
.LBB39_306:
	s_or_b32 exec_lo, exec_lo, s8
	v_mov_b32_e32 v87, 0
	ds_read_b128 v[87:90], v87 offset:16
	s_waitcnt lgkmcnt(0)
	v_mul_f64 v[92:93], v[3:4], v[89:90]
	v_mul_f64 v[89:90], v[1:2], v[89:90]
	v_fma_f64 v[1:2], v[1:2], v[87:88], -v[92:93]
	v_fma_f64 v[3:4], v[3:4], v[87:88], v[89:90]
	buffer_store_dword v2, off, s[0:3], 0 offset:20
	buffer_store_dword v1, off, s[0:3], 0 offset:16
	;; [unrolled: 1-line block ×4, first 2 shown]
.LBB39_307:
	s_or_b32 exec_lo, exec_lo, s5
	s_clause 0x3
	buffer_load_dword v1, off, s[0:3], 0
	buffer_load_dword v2, off, s[0:3], 0 offset:4
	buffer_load_dword v3, off, s[0:3], 0 offset:8
	;; [unrolled: 1-line block ×3, first 2 shown]
	s_mov_b32 s6, 0
	s_mov_b32 s5, 0
	s_mov_b32 s8, exec_lo
                                        ; implicit-def: $sgpr49
	s_waitcnt vmcnt(0)
	ds_write_b128 v86, v[1:4]
	s_waitcnt lgkmcnt(0)
	s_waitcnt_vscnt null, 0x0
	s_barrier
	buffer_gl0_inv
                                        ; implicit-def: $vgpr1_vgpr2
	v_cmpx_ne_u32_e32 0, v0
	s_cbranch_execz .LBB39_315
; %bb.308:
	ds_read_b128 v[1:4], v86
	s_andn2_b32 vcc_lo, exec_lo, s48
	s_cbranch_vccnz .LBB39_310
; %bb.309:
	s_clause 0x3
	buffer_load_dword v87, v85, s[0:3], 0 offen offset:8
	buffer_load_dword v88, v85, s[0:3], 0 offen offset:12
	buffer_load_dword v89, v85, s[0:3], 0 offen
	buffer_load_dword v90, v85, s[0:3], 0 offen offset:4
	s_waitcnt vmcnt(2) lgkmcnt(0)
	v_mul_f64 v[92:93], v[3:4], v[87:88]
	v_mul_f64 v[87:88], v[1:2], v[87:88]
	s_waitcnt vmcnt(0)
	v_fma_f64 v[1:2], v[1:2], v[89:90], -v[92:93]
	v_fma_f64 v[3:4], v[3:4], v[89:90], v[87:88]
.LBB39_310:
	s_and_saveexec_b32 s5, s4
	s_cbranch_execz .LBB39_314
; %bb.311:
	v_add_nc_u32_e32 v87, -1, v0
	s_movk_i32 s49, 0x290
	s_mov_b32 s4, 0
	s_mov_b32 s50, s46
	.p2align	6
.LBB39_312:                             ; =>This Inner Loop Header: Depth=1
	v_mov_b32_e32 v90, s50
	v_add_nc_u32_e32 v87, -1, v87
	s_add_i32 s50, s50, 16
	s_clause 0x3
	buffer_load_dword v88, v90, s[0:3], 0 offen offset:8
	buffer_load_dword v89, v90, s[0:3], 0 offen offset:12
	buffer_load_dword v96, v90, s[0:3], 0 offen
	buffer_load_dword v97, v90, s[0:3], 0 offen offset:4
	v_mov_b32_e32 v90, s49
	v_cmp_eq_u32_e32 vcc_lo, 0, v87
	s_add_i32 s49, s49, 16
	ds_read_b128 v[92:95], v90
	s_or_b32 s4, vcc_lo, s4
	s_waitcnt vmcnt(2) lgkmcnt(0)
	v_mul_f64 v[98:99], v[94:95], v[88:89]
	v_mul_f64 v[88:89], v[92:93], v[88:89]
	s_waitcnt vmcnt(0)
	v_fma_f64 v[92:93], v[92:93], v[96:97], -v[98:99]
	v_fma_f64 v[88:89], v[94:95], v[96:97], v[88:89]
	v_add_f64 v[1:2], v[1:2], v[92:93]
	v_add_f64 v[3:4], v[3:4], v[88:89]
	s_andn2_b32 exec_lo, exec_lo, s4
	s_cbranch_execnz .LBB39_312
; %bb.313:
	s_or_b32 exec_lo, exec_lo, s4
.LBB39_314:
	s_or_b32 exec_lo, exec_lo, s5
	v_mov_b32_e32 v87, 0
	s_mov_b32 s5, exec_lo
	s_or_b32 s49, 0, 8
	ds_read_b128 v[87:90], v87
	s_waitcnt lgkmcnt(0)
	v_mul_f64 v[92:93], v[3:4], v[89:90]
	v_mul_f64 v[89:90], v[1:2], v[89:90]
	v_fma_f64 v[92:93], v[1:2], v[87:88], -v[92:93]
	v_fma_f64 v[1:2], v[3:4], v[87:88], v[89:90]
	buffer_store_dword v93, off, s[0:3], 0 offset:4
	buffer_store_dword v92, off, s[0:3], 0
.LBB39_315:
	s_or_b32 exec_lo, exec_lo, s8
	s_and_b32 vcc_lo, exec_lo, s6
	s_cbranch_vccnz .LBB39_317
	s_branch .LBB39_624
.LBB39_316:
	s_mov_b32 s5, 0
                                        ; implicit-def: $vgpr1_vgpr2
                                        ; implicit-def: $sgpr49
	s_cbranch_execz .LBB39_624
.LBB39_317:
	v_mov_b32_e32 v4, s46
	v_cmp_eq_u32_e64 s4, 0, v0
	v_cndmask_b32_e64 v87, 0, 1, s48
	s_clause 0x3
	buffer_load_dword v1, v4, s[0:3], 0 offen
	buffer_load_dword v2, v4, s[0:3], 0 offen offset:4
	buffer_load_dword v3, v4, s[0:3], 0 offen offset:8
	;; [unrolled: 1-line block ×3, first 2 shown]
	s_waitcnt vmcnt(0)
	ds_write_b128 v86, v[1:4]
	s_waitcnt lgkmcnt(0)
	s_waitcnt_vscnt null, 0x0
	s_barrier
	buffer_gl0_inv
	s_and_saveexec_b32 s6, s4
	s_cbranch_execz .LBB39_321
; %bb.318:
	ds_read_b128 v[1:4], v86
	s_andn2_b32 vcc_lo, exec_lo, s48
	s_cbranch_vccnz .LBB39_320
; %bb.319:
	s_clause 0x3
	buffer_load_dword v88, v85, s[0:3], 0 offen offset:8
	buffer_load_dword v89, v85, s[0:3], 0 offen offset:12
	buffer_load_dword v92, v85, s[0:3], 0 offen
	buffer_load_dword v93, v85, s[0:3], 0 offen offset:4
	s_waitcnt vmcnt(2) lgkmcnt(0)
	v_mul_f64 v[94:95], v[3:4], v[88:89]
	v_mul_f64 v[88:89], v[1:2], v[88:89]
	s_waitcnt vmcnt(0)
	v_fma_f64 v[1:2], v[1:2], v[92:93], -v[94:95]
	v_fma_f64 v[3:4], v[3:4], v[92:93], v[88:89]
.LBB39_320:
	v_mov_b32_e32 v88, 0
	ds_read_b128 v[92:95], v88 offset:16
	s_waitcnt lgkmcnt(0)
	v_mul_f64 v[88:89], v[3:4], v[94:95]
	v_mul_f64 v[94:95], v[1:2], v[94:95]
	v_fma_f64 v[1:2], v[1:2], v[92:93], -v[88:89]
	v_fma_f64 v[3:4], v[3:4], v[92:93], v[94:95]
	buffer_store_dword v2, off, s[0:3], 0 offset:20
	buffer_store_dword v1, off, s[0:3], 0 offset:16
	buffer_store_dword v4, off, s[0:3], 0 offset:28
	buffer_store_dword v3, off, s[0:3], 0 offset:24
.LBB39_321:
	s_or_b32 exec_lo, exec_lo, s6
	v_mov_b32_e32 v4, s47
	s_mov_b32 s6, exec_lo
	s_clause 0x3
	buffer_load_dword v1, v4, s[0:3], 0 offen
	buffer_load_dword v2, v4, s[0:3], 0 offen offset:4
	buffer_load_dword v3, v4, s[0:3], 0 offen offset:8
	;; [unrolled: 1-line block ×3, first 2 shown]
	s_waitcnt vmcnt(0)
	ds_write_b128 v86, v[1:4]
	s_waitcnt lgkmcnt(0)
	s_waitcnt_vscnt null, 0x0
	s_barrier
	buffer_gl0_inv
	v_cmpx_gt_u32_e32 2, v0
	s_cbranch_execz .LBB39_327
; %bb.322:
	ds_read_b128 v[1:4], v86
	v_cmp_ne_u32_e32 vcc_lo, 1, v87
	s_cbranch_vccnz .LBB39_324
; %bb.323:
	s_clause 0x3
	buffer_load_dword v88, v85, s[0:3], 0 offen offset:8
	buffer_load_dword v89, v85, s[0:3], 0 offen offset:12
	buffer_load_dword v92, v85, s[0:3], 0 offen
	buffer_load_dword v93, v85, s[0:3], 0 offen offset:4
	s_waitcnt vmcnt(2) lgkmcnt(0)
	v_mul_f64 v[94:95], v[3:4], v[88:89]
	v_mul_f64 v[88:89], v[1:2], v[88:89]
	s_waitcnt vmcnt(0)
	v_fma_f64 v[1:2], v[1:2], v[92:93], -v[94:95]
	v_fma_f64 v[3:4], v[3:4], v[92:93], v[88:89]
.LBB39_324:
	s_and_saveexec_b32 s8, s4
	s_cbranch_execz .LBB39_326
; %bb.325:
	s_clause 0x3
	buffer_load_dword v88, off, s[0:3], 0 offset:24
	buffer_load_dword v89, off, s[0:3], 0 offset:28
	;; [unrolled: 1-line block ×4, first 2 shown]
	v_mov_b32_e32 v90, 0
	ds_read_b128 v[92:95], v90 offset:656
	s_waitcnt vmcnt(2) lgkmcnt(0)
	v_mul_f64 v[98:99], v[94:95], v[88:89]
	v_mul_f64 v[88:89], v[92:93], v[88:89]
	s_waitcnt vmcnt(0)
	v_fma_f64 v[92:93], v[92:93], v[96:97], -v[98:99]
	v_fma_f64 v[88:89], v[94:95], v[96:97], v[88:89]
	v_add_f64 v[1:2], v[1:2], v[92:93]
	v_add_f64 v[3:4], v[3:4], v[88:89]
.LBB39_326:
	s_or_b32 exec_lo, exec_lo, s8
	v_mov_b32_e32 v88, 0
	ds_read_b128 v[92:95], v88 offset:32
	s_waitcnt lgkmcnt(0)
	v_mul_f64 v[88:89], v[3:4], v[94:95]
	v_mul_f64 v[94:95], v[1:2], v[94:95]
	v_fma_f64 v[1:2], v[1:2], v[92:93], -v[88:89]
	v_fma_f64 v[3:4], v[3:4], v[92:93], v[94:95]
	buffer_store_dword v2, off, s[0:3], 0 offset:36
	buffer_store_dword v1, off, s[0:3], 0 offset:32
	;; [unrolled: 1-line block ×4, first 2 shown]
.LBB39_327:
	s_or_b32 exec_lo, exec_lo, s6
	v_mov_b32_e32 v4, s45
	s_mov_b32 s6, exec_lo
	s_clause 0x3
	buffer_load_dword v1, v4, s[0:3], 0 offen
	buffer_load_dword v2, v4, s[0:3], 0 offen offset:4
	buffer_load_dword v3, v4, s[0:3], 0 offen offset:8
	;; [unrolled: 1-line block ×3, first 2 shown]
	s_waitcnt vmcnt(0)
	ds_write_b128 v86, v[1:4]
	s_waitcnt lgkmcnt(0)
	s_waitcnt_vscnt null, 0x0
	s_barrier
	buffer_gl0_inv
	v_cmpx_gt_u32_e32 3, v0
	s_cbranch_execz .LBB39_335
; %bb.328:
	ds_read_b128 v[1:4], v86
	v_cmp_ne_u32_e32 vcc_lo, 1, v87
	s_cbranch_vccnz .LBB39_330
; %bb.329:
	s_clause 0x3
	buffer_load_dword v88, v85, s[0:3], 0 offen offset:8
	buffer_load_dword v89, v85, s[0:3], 0 offen offset:12
	buffer_load_dword v92, v85, s[0:3], 0 offen
	buffer_load_dword v93, v85, s[0:3], 0 offen offset:4
	s_waitcnt vmcnt(2) lgkmcnt(0)
	v_mul_f64 v[94:95], v[3:4], v[88:89]
	v_mul_f64 v[88:89], v[1:2], v[88:89]
	s_waitcnt vmcnt(0)
	v_fma_f64 v[1:2], v[1:2], v[92:93], -v[94:95]
	v_fma_f64 v[3:4], v[3:4], v[92:93], v[88:89]
.LBB39_330:
	s_mov_b32 s8, exec_lo
	v_cmpx_ne_u32_e32 2, v0
	s_cbranch_execz .LBB39_334
; %bb.331:
	s_clause 0x3
	buffer_load_dword v88, v85, s[0:3], 0 offen offset:24
	buffer_load_dword v89, v85, s[0:3], 0 offen offset:28
	buffer_load_dword v96, v85, s[0:3], 0 offen offset:16
	buffer_load_dword v97, v85, s[0:3], 0 offen offset:20
	ds_read_b128 v[92:95], v86 offset:16
	s_waitcnt vmcnt(2) lgkmcnt(0)
	v_mul_f64 v[98:99], v[94:95], v[88:89]
	v_mul_f64 v[88:89], v[92:93], v[88:89]
	s_waitcnt vmcnt(0)
	v_fma_f64 v[92:93], v[92:93], v[96:97], -v[98:99]
	v_fma_f64 v[88:89], v[94:95], v[96:97], v[88:89]
	v_add_f64 v[1:2], v[1:2], v[92:93]
	v_add_f64 v[3:4], v[3:4], v[88:89]
	s_and_saveexec_b32 s48, s4
	s_cbranch_execz .LBB39_333
; %bb.332:
	s_clause 0x3
	buffer_load_dword v88, off, s[0:3], 0 offset:40
	buffer_load_dword v89, off, s[0:3], 0 offset:44
	;; [unrolled: 1-line block ×4, first 2 shown]
	v_mov_b32_e32 v90, 0
	ds_read_b128 v[92:95], v90 offset:672
	s_waitcnt vmcnt(2) lgkmcnt(0)
	v_mul_f64 v[98:99], v[92:93], v[88:89]
	v_mul_f64 v[88:89], v[94:95], v[88:89]
	s_waitcnt vmcnt(0)
	v_fma_f64 v[94:95], v[94:95], v[96:97], v[98:99]
	v_fma_f64 v[88:89], v[92:93], v[96:97], -v[88:89]
	v_add_f64 v[3:4], v[3:4], v[94:95]
	v_add_f64 v[1:2], v[1:2], v[88:89]
.LBB39_333:
	s_or_b32 exec_lo, exec_lo, s48
.LBB39_334:
	s_or_b32 exec_lo, exec_lo, s8
	v_mov_b32_e32 v88, 0
	ds_read_b128 v[92:95], v88 offset:48
	s_waitcnt lgkmcnt(0)
	v_mul_f64 v[88:89], v[3:4], v[94:95]
	v_mul_f64 v[94:95], v[1:2], v[94:95]
	v_fma_f64 v[1:2], v[1:2], v[92:93], -v[88:89]
	v_fma_f64 v[3:4], v[3:4], v[92:93], v[94:95]
	buffer_store_dword v2, off, s[0:3], 0 offset:52
	buffer_store_dword v1, off, s[0:3], 0 offset:48
	;; [unrolled: 1-line block ×4, first 2 shown]
.LBB39_335:
	s_or_b32 exec_lo, exec_lo, s6
	v_mov_b32_e32 v4, s44
	s_mov_b32 s4, exec_lo
	s_clause 0x3
	buffer_load_dword v1, v4, s[0:3], 0 offen
	buffer_load_dword v2, v4, s[0:3], 0 offen offset:4
	buffer_load_dword v3, v4, s[0:3], 0 offen offset:8
	;; [unrolled: 1-line block ×3, first 2 shown]
	s_waitcnt vmcnt(0)
	ds_write_b128 v86, v[1:4]
	s_waitcnt lgkmcnt(0)
	s_waitcnt_vscnt null, 0x0
	s_barrier
	buffer_gl0_inv
	v_cmpx_gt_u32_e32 4, v0
	s_cbranch_execz .LBB39_343
; %bb.336:
	ds_read_b128 v[1:4], v86
	v_cmp_ne_u32_e32 vcc_lo, 1, v87
	s_cbranch_vccnz .LBB39_338
; %bb.337:
	s_clause 0x3
	buffer_load_dword v88, v85, s[0:3], 0 offen offset:8
	buffer_load_dword v89, v85, s[0:3], 0 offen offset:12
	buffer_load_dword v92, v85, s[0:3], 0 offen
	buffer_load_dword v93, v85, s[0:3], 0 offen offset:4
	s_waitcnt vmcnt(2) lgkmcnt(0)
	v_mul_f64 v[94:95], v[3:4], v[88:89]
	v_mul_f64 v[88:89], v[1:2], v[88:89]
	s_waitcnt vmcnt(0)
	v_fma_f64 v[1:2], v[1:2], v[92:93], -v[94:95]
	v_fma_f64 v[3:4], v[3:4], v[92:93], v[88:89]
.LBB39_338:
	s_mov_b32 s6, exec_lo
	v_cmpx_ne_u32_e32 3, v0
	s_cbranch_execz .LBB39_342
; %bb.339:
	v_add_nc_u32_e32 v88, 0x290, v91
	v_add3_u32 v89, 0, v91, 16
	v_mov_b32_e32 v90, v0
	s_mov_b32 s8, 0
	.p2align	6
.LBB39_340:                             ; =>This Inner Loop Header: Depth=1
	s_clause 0x3
	buffer_load_dword v96, v89, s[0:3], 0 offen offset:8
	buffer_load_dword v97, v89, s[0:3], 0 offen offset:12
	buffer_load_dword v98, v89, s[0:3], 0 offen
	buffer_load_dword v99, v89, s[0:3], 0 offen offset:4
	ds_read_b128 v[92:95], v88
	v_add_nc_u32_e32 v90, 1, v90
	v_add_nc_u32_e32 v88, 16, v88
	;; [unrolled: 1-line block ×3, first 2 shown]
	v_cmp_lt_u32_e32 vcc_lo, 2, v90
	s_or_b32 s8, vcc_lo, s8
	s_waitcnt vmcnt(2) lgkmcnt(0)
	v_mul_f64 v[100:101], v[94:95], v[96:97]
	v_mul_f64 v[96:97], v[92:93], v[96:97]
	s_waitcnt vmcnt(0)
	v_fma_f64 v[92:93], v[92:93], v[98:99], -v[100:101]
	v_fma_f64 v[94:95], v[94:95], v[98:99], v[96:97]
	v_add_f64 v[1:2], v[1:2], v[92:93]
	v_add_f64 v[3:4], v[3:4], v[94:95]
	s_andn2_b32 exec_lo, exec_lo, s8
	s_cbranch_execnz .LBB39_340
; %bb.341:
	s_or_b32 exec_lo, exec_lo, s8
.LBB39_342:
	s_or_b32 exec_lo, exec_lo, s6
	v_mov_b32_e32 v88, 0
	ds_read_b128 v[92:95], v88 offset:64
	s_waitcnt lgkmcnt(0)
	v_mul_f64 v[88:89], v[3:4], v[94:95]
	v_mul_f64 v[94:95], v[1:2], v[94:95]
	v_fma_f64 v[1:2], v[1:2], v[92:93], -v[88:89]
	v_fma_f64 v[3:4], v[3:4], v[92:93], v[94:95]
	buffer_store_dword v2, off, s[0:3], 0 offset:68
	buffer_store_dword v1, off, s[0:3], 0 offset:64
	;; [unrolled: 1-line block ×4, first 2 shown]
.LBB39_343:
	s_or_b32 exec_lo, exec_lo, s4
	v_mov_b32_e32 v4, s43
	s_mov_b32 s4, exec_lo
	s_clause 0x3
	buffer_load_dword v1, v4, s[0:3], 0 offen
	buffer_load_dword v2, v4, s[0:3], 0 offen offset:4
	buffer_load_dword v3, v4, s[0:3], 0 offen offset:8
	;; [unrolled: 1-line block ×3, first 2 shown]
	s_waitcnt vmcnt(0)
	ds_write_b128 v86, v[1:4]
	s_waitcnt lgkmcnt(0)
	s_waitcnt_vscnt null, 0x0
	s_barrier
	buffer_gl0_inv
	v_cmpx_gt_u32_e32 5, v0
	s_cbranch_execz .LBB39_351
; %bb.344:
	ds_read_b128 v[1:4], v86
	v_cmp_ne_u32_e32 vcc_lo, 1, v87
	s_cbranch_vccnz .LBB39_346
; %bb.345:
	s_clause 0x3
	buffer_load_dword v88, v85, s[0:3], 0 offen offset:8
	buffer_load_dword v89, v85, s[0:3], 0 offen offset:12
	buffer_load_dword v92, v85, s[0:3], 0 offen
	buffer_load_dword v93, v85, s[0:3], 0 offen offset:4
	s_waitcnt vmcnt(2) lgkmcnt(0)
	v_mul_f64 v[94:95], v[3:4], v[88:89]
	v_mul_f64 v[88:89], v[1:2], v[88:89]
	s_waitcnt vmcnt(0)
	v_fma_f64 v[1:2], v[1:2], v[92:93], -v[94:95]
	v_fma_f64 v[3:4], v[3:4], v[92:93], v[88:89]
.LBB39_346:
	s_mov_b32 s6, exec_lo
	v_cmpx_ne_u32_e32 4, v0
	s_cbranch_execz .LBB39_350
; %bb.347:
	v_add_nc_u32_e32 v88, 0x290, v91
	v_add3_u32 v89, 0, v91, 16
	v_mov_b32_e32 v90, v0
	s_mov_b32 s8, 0
	.p2align	6
.LBB39_348:                             ; =>This Inner Loop Header: Depth=1
	s_clause 0x3
	buffer_load_dword v96, v89, s[0:3], 0 offen offset:8
	buffer_load_dword v97, v89, s[0:3], 0 offen offset:12
	buffer_load_dword v98, v89, s[0:3], 0 offen
	buffer_load_dword v99, v89, s[0:3], 0 offen offset:4
	ds_read_b128 v[92:95], v88
	v_add_nc_u32_e32 v90, 1, v90
	v_add_nc_u32_e32 v88, 16, v88
	;; [unrolled: 1-line block ×3, first 2 shown]
	v_cmp_lt_u32_e32 vcc_lo, 3, v90
	s_or_b32 s8, vcc_lo, s8
	s_waitcnt vmcnt(2) lgkmcnt(0)
	v_mul_f64 v[100:101], v[94:95], v[96:97]
	v_mul_f64 v[96:97], v[92:93], v[96:97]
	s_waitcnt vmcnt(0)
	v_fma_f64 v[92:93], v[92:93], v[98:99], -v[100:101]
	v_fma_f64 v[94:95], v[94:95], v[98:99], v[96:97]
	v_add_f64 v[1:2], v[1:2], v[92:93]
	v_add_f64 v[3:4], v[3:4], v[94:95]
	s_andn2_b32 exec_lo, exec_lo, s8
	s_cbranch_execnz .LBB39_348
; %bb.349:
	s_or_b32 exec_lo, exec_lo, s8
.LBB39_350:
	s_or_b32 exec_lo, exec_lo, s6
	v_mov_b32_e32 v88, 0
	ds_read_b128 v[92:95], v88 offset:80
	s_waitcnt lgkmcnt(0)
	v_mul_f64 v[88:89], v[3:4], v[94:95]
	v_mul_f64 v[94:95], v[1:2], v[94:95]
	v_fma_f64 v[1:2], v[1:2], v[92:93], -v[88:89]
	v_fma_f64 v[3:4], v[3:4], v[92:93], v[94:95]
	buffer_store_dword v2, off, s[0:3], 0 offset:84
	buffer_store_dword v1, off, s[0:3], 0 offset:80
	;; [unrolled: 1-line block ×4, first 2 shown]
.LBB39_351:
	s_or_b32 exec_lo, exec_lo, s4
	v_mov_b32_e32 v4, s42
	s_mov_b32 s4, exec_lo
	s_clause 0x3
	buffer_load_dword v1, v4, s[0:3], 0 offen
	buffer_load_dword v2, v4, s[0:3], 0 offen offset:4
	buffer_load_dword v3, v4, s[0:3], 0 offen offset:8
	;; [unrolled: 1-line block ×3, first 2 shown]
	s_waitcnt vmcnt(0)
	ds_write_b128 v86, v[1:4]
	s_waitcnt lgkmcnt(0)
	s_waitcnt_vscnt null, 0x0
	s_barrier
	buffer_gl0_inv
	v_cmpx_gt_u32_e32 6, v0
	s_cbranch_execz .LBB39_359
; %bb.352:
	ds_read_b128 v[1:4], v86
	v_cmp_ne_u32_e32 vcc_lo, 1, v87
	s_cbranch_vccnz .LBB39_354
; %bb.353:
	s_clause 0x3
	buffer_load_dword v88, v85, s[0:3], 0 offen offset:8
	buffer_load_dword v89, v85, s[0:3], 0 offen offset:12
	buffer_load_dword v92, v85, s[0:3], 0 offen
	buffer_load_dword v93, v85, s[0:3], 0 offen offset:4
	s_waitcnt vmcnt(2) lgkmcnt(0)
	v_mul_f64 v[94:95], v[3:4], v[88:89]
	v_mul_f64 v[88:89], v[1:2], v[88:89]
	s_waitcnt vmcnt(0)
	v_fma_f64 v[1:2], v[1:2], v[92:93], -v[94:95]
	v_fma_f64 v[3:4], v[3:4], v[92:93], v[88:89]
.LBB39_354:
	s_mov_b32 s6, exec_lo
	v_cmpx_ne_u32_e32 5, v0
	s_cbranch_execz .LBB39_358
; %bb.355:
	v_add_nc_u32_e32 v88, 0x290, v91
	v_add3_u32 v89, 0, v91, 16
	v_mov_b32_e32 v90, v0
	s_mov_b32 s8, 0
	.p2align	6
.LBB39_356:                             ; =>This Inner Loop Header: Depth=1
	s_clause 0x3
	buffer_load_dword v96, v89, s[0:3], 0 offen offset:8
	buffer_load_dword v97, v89, s[0:3], 0 offen offset:12
	buffer_load_dword v98, v89, s[0:3], 0 offen
	buffer_load_dword v99, v89, s[0:3], 0 offen offset:4
	ds_read_b128 v[92:95], v88
	v_add_nc_u32_e32 v90, 1, v90
	v_add_nc_u32_e32 v88, 16, v88
	v_add_nc_u32_e32 v89, 16, v89
	v_cmp_lt_u32_e32 vcc_lo, 4, v90
	s_or_b32 s8, vcc_lo, s8
	s_waitcnt vmcnt(2) lgkmcnt(0)
	v_mul_f64 v[100:101], v[94:95], v[96:97]
	v_mul_f64 v[96:97], v[92:93], v[96:97]
	s_waitcnt vmcnt(0)
	v_fma_f64 v[92:93], v[92:93], v[98:99], -v[100:101]
	v_fma_f64 v[94:95], v[94:95], v[98:99], v[96:97]
	v_add_f64 v[1:2], v[1:2], v[92:93]
	v_add_f64 v[3:4], v[3:4], v[94:95]
	s_andn2_b32 exec_lo, exec_lo, s8
	s_cbranch_execnz .LBB39_356
; %bb.357:
	s_or_b32 exec_lo, exec_lo, s8
.LBB39_358:
	s_or_b32 exec_lo, exec_lo, s6
	v_mov_b32_e32 v88, 0
	ds_read_b128 v[92:95], v88 offset:96
	s_waitcnt lgkmcnt(0)
	v_mul_f64 v[88:89], v[3:4], v[94:95]
	v_mul_f64 v[94:95], v[1:2], v[94:95]
	v_fma_f64 v[1:2], v[1:2], v[92:93], -v[88:89]
	v_fma_f64 v[3:4], v[3:4], v[92:93], v[94:95]
	buffer_store_dword v2, off, s[0:3], 0 offset:100
	buffer_store_dword v1, off, s[0:3], 0 offset:96
	;; [unrolled: 1-line block ×4, first 2 shown]
.LBB39_359:
	s_or_b32 exec_lo, exec_lo, s4
	v_mov_b32_e32 v4, s41
	s_mov_b32 s4, exec_lo
	s_clause 0x3
	buffer_load_dword v1, v4, s[0:3], 0 offen
	buffer_load_dword v2, v4, s[0:3], 0 offen offset:4
	buffer_load_dword v3, v4, s[0:3], 0 offen offset:8
	;; [unrolled: 1-line block ×3, first 2 shown]
	s_waitcnt vmcnt(0)
	ds_write_b128 v86, v[1:4]
	s_waitcnt lgkmcnt(0)
	s_waitcnt_vscnt null, 0x0
	s_barrier
	buffer_gl0_inv
	v_cmpx_gt_u32_e32 7, v0
	s_cbranch_execz .LBB39_367
; %bb.360:
	ds_read_b128 v[1:4], v86
	v_cmp_ne_u32_e32 vcc_lo, 1, v87
	s_cbranch_vccnz .LBB39_362
; %bb.361:
	s_clause 0x3
	buffer_load_dword v88, v85, s[0:3], 0 offen offset:8
	buffer_load_dword v89, v85, s[0:3], 0 offen offset:12
	buffer_load_dword v92, v85, s[0:3], 0 offen
	buffer_load_dword v93, v85, s[0:3], 0 offen offset:4
	s_waitcnt vmcnt(2) lgkmcnt(0)
	v_mul_f64 v[94:95], v[3:4], v[88:89]
	v_mul_f64 v[88:89], v[1:2], v[88:89]
	s_waitcnt vmcnt(0)
	v_fma_f64 v[1:2], v[1:2], v[92:93], -v[94:95]
	v_fma_f64 v[3:4], v[3:4], v[92:93], v[88:89]
.LBB39_362:
	s_mov_b32 s6, exec_lo
	v_cmpx_ne_u32_e32 6, v0
	s_cbranch_execz .LBB39_366
; %bb.363:
	v_add_nc_u32_e32 v88, 0x290, v91
	v_add3_u32 v89, 0, v91, 16
	v_mov_b32_e32 v90, v0
	s_mov_b32 s8, 0
	.p2align	6
.LBB39_364:                             ; =>This Inner Loop Header: Depth=1
	s_clause 0x3
	buffer_load_dword v96, v89, s[0:3], 0 offen offset:8
	buffer_load_dword v97, v89, s[0:3], 0 offen offset:12
	buffer_load_dword v98, v89, s[0:3], 0 offen
	buffer_load_dword v99, v89, s[0:3], 0 offen offset:4
	ds_read_b128 v[92:95], v88
	v_add_nc_u32_e32 v90, 1, v90
	v_add_nc_u32_e32 v88, 16, v88
	;; [unrolled: 1-line block ×3, first 2 shown]
	v_cmp_lt_u32_e32 vcc_lo, 5, v90
	s_or_b32 s8, vcc_lo, s8
	s_waitcnt vmcnt(2) lgkmcnt(0)
	v_mul_f64 v[100:101], v[94:95], v[96:97]
	v_mul_f64 v[96:97], v[92:93], v[96:97]
	s_waitcnt vmcnt(0)
	v_fma_f64 v[92:93], v[92:93], v[98:99], -v[100:101]
	v_fma_f64 v[94:95], v[94:95], v[98:99], v[96:97]
	v_add_f64 v[1:2], v[1:2], v[92:93]
	v_add_f64 v[3:4], v[3:4], v[94:95]
	s_andn2_b32 exec_lo, exec_lo, s8
	s_cbranch_execnz .LBB39_364
; %bb.365:
	s_or_b32 exec_lo, exec_lo, s8
.LBB39_366:
	s_or_b32 exec_lo, exec_lo, s6
	v_mov_b32_e32 v88, 0
	ds_read_b128 v[92:95], v88 offset:112
	s_waitcnt lgkmcnt(0)
	v_mul_f64 v[88:89], v[3:4], v[94:95]
	v_mul_f64 v[94:95], v[1:2], v[94:95]
	v_fma_f64 v[1:2], v[1:2], v[92:93], -v[88:89]
	v_fma_f64 v[3:4], v[3:4], v[92:93], v[94:95]
	buffer_store_dword v2, off, s[0:3], 0 offset:116
	buffer_store_dword v1, off, s[0:3], 0 offset:112
	;; [unrolled: 1-line block ×4, first 2 shown]
.LBB39_367:
	s_or_b32 exec_lo, exec_lo, s4
	v_mov_b32_e32 v4, s40
	s_mov_b32 s4, exec_lo
	s_clause 0x3
	buffer_load_dword v1, v4, s[0:3], 0 offen
	buffer_load_dword v2, v4, s[0:3], 0 offen offset:4
	buffer_load_dword v3, v4, s[0:3], 0 offen offset:8
	;; [unrolled: 1-line block ×3, first 2 shown]
	s_waitcnt vmcnt(0)
	ds_write_b128 v86, v[1:4]
	s_waitcnt lgkmcnt(0)
	s_waitcnt_vscnt null, 0x0
	s_barrier
	buffer_gl0_inv
	v_cmpx_gt_u32_e32 8, v0
	s_cbranch_execz .LBB39_375
; %bb.368:
	ds_read_b128 v[1:4], v86
	v_cmp_ne_u32_e32 vcc_lo, 1, v87
	s_cbranch_vccnz .LBB39_370
; %bb.369:
	s_clause 0x3
	buffer_load_dword v88, v85, s[0:3], 0 offen offset:8
	buffer_load_dword v89, v85, s[0:3], 0 offen offset:12
	buffer_load_dword v92, v85, s[0:3], 0 offen
	buffer_load_dword v93, v85, s[0:3], 0 offen offset:4
	s_waitcnt vmcnt(2) lgkmcnt(0)
	v_mul_f64 v[94:95], v[3:4], v[88:89]
	v_mul_f64 v[88:89], v[1:2], v[88:89]
	s_waitcnt vmcnt(0)
	v_fma_f64 v[1:2], v[1:2], v[92:93], -v[94:95]
	v_fma_f64 v[3:4], v[3:4], v[92:93], v[88:89]
.LBB39_370:
	s_mov_b32 s6, exec_lo
	v_cmpx_ne_u32_e32 7, v0
	s_cbranch_execz .LBB39_374
; %bb.371:
	v_add_nc_u32_e32 v88, 0x290, v91
	v_add3_u32 v89, 0, v91, 16
	v_mov_b32_e32 v90, v0
	s_mov_b32 s8, 0
	.p2align	6
.LBB39_372:                             ; =>This Inner Loop Header: Depth=1
	s_clause 0x3
	buffer_load_dword v96, v89, s[0:3], 0 offen offset:8
	buffer_load_dword v97, v89, s[0:3], 0 offen offset:12
	buffer_load_dword v98, v89, s[0:3], 0 offen
	buffer_load_dword v99, v89, s[0:3], 0 offen offset:4
	ds_read_b128 v[92:95], v88
	v_add_nc_u32_e32 v90, 1, v90
	v_add_nc_u32_e32 v88, 16, v88
	;; [unrolled: 1-line block ×3, first 2 shown]
	v_cmp_lt_u32_e32 vcc_lo, 6, v90
	s_or_b32 s8, vcc_lo, s8
	s_waitcnt vmcnt(2) lgkmcnt(0)
	v_mul_f64 v[100:101], v[94:95], v[96:97]
	v_mul_f64 v[96:97], v[92:93], v[96:97]
	s_waitcnt vmcnt(0)
	v_fma_f64 v[92:93], v[92:93], v[98:99], -v[100:101]
	v_fma_f64 v[94:95], v[94:95], v[98:99], v[96:97]
	v_add_f64 v[1:2], v[1:2], v[92:93]
	v_add_f64 v[3:4], v[3:4], v[94:95]
	s_andn2_b32 exec_lo, exec_lo, s8
	s_cbranch_execnz .LBB39_372
; %bb.373:
	s_or_b32 exec_lo, exec_lo, s8
.LBB39_374:
	s_or_b32 exec_lo, exec_lo, s6
	v_mov_b32_e32 v88, 0
	ds_read_b128 v[92:95], v88 offset:128
	s_waitcnt lgkmcnt(0)
	v_mul_f64 v[88:89], v[3:4], v[94:95]
	v_mul_f64 v[94:95], v[1:2], v[94:95]
	v_fma_f64 v[1:2], v[1:2], v[92:93], -v[88:89]
	v_fma_f64 v[3:4], v[3:4], v[92:93], v[94:95]
	buffer_store_dword v2, off, s[0:3], 0 offset:132
	buffer_store_dword v1, off, s[0:3], 0 offset:128
	;; [unrolled: 1-line block ×4, first 2 shown]
.LBB39_375:
	s_or_b32 exec_lo, exec_lo, s4
	v_mov_b32_e32 v4, s39
	s_mov_b32 s4, exec_lo
	s_clause 0x3
	buffer_load_dword v1, v4, s[0:3], 0 offen
	buffer_load_dword v2, v4, s[0:3], 0 offen offset:4
	buffer_load_dword v3, v4, s[0:3], 0 offen offset:8
	;; [unrolled: 1-line block ×3, first 2 shown]
	s_waitcnt vmcnt(0)
	ds_write_b128 v86, v[1:4]
	s_waitcnt lgkmcnt(0)
	s_waitcnt_vscnt null, 0x0
	s_barrier
	buffer_gl0_inv
	v_cmpx_gt_u32_e32 9, v0
	s_cbranch_execz .LBB39_383
; %bb.376:
	ds_read_b128 v[1:4], v86
	v_cmp_ne_u32_e32 vcc_lo, 1, v87
	s_cbranch_vccnz .LBB39_378
; %bb.377:
	s_clause 0x3
	buffer_load_dword v88, v85, s[0:3], 0 offen offset:8
	buffer_load_dword v89, v85, s[0:3], 0 offen offset:12
	buffer_load_dword v92, v85, s[0:3], 0 offen
	buffer_load_dword v93, v85, s[0:3], 0 offen offset:4
	s_waitcnt vmcnt(2) lgkmcnt(0)
	v_mul_f64 v[94:95], v[3:4], v[88:89]
	v_mul_f64 v[88:89], v[1:2], v[88:89]
	s_waitcnt vmcnt(0)
	v_fma_f64 v[1:2], v[1:2], v[92:93], -v[94:95]
	v_fma_f64 v[3:4], v[3:4], v[92:93], v[88:89]
.LBB39_378:
	s_mov_b32 s6, exec_lo
	v_cmpx_ne_u32_e32 8, v0
	s_cbranch_execz .LBB39_382
; %bb.379:
	v_add_nc_u32_e32 v88, 0x290, v91
	v_add3_u32 v89, 0, v91, 16
	v_mov_b32_e32 v90, v0
	s_mov_b32 s8, 0
	.p2align	6
.LBB39_380:                             ; =>This Inner Loop Header: Depth=1
	s_clause 0x3
	buffer_load_dword v96, v89, s[0:3], 0 offen offset:8
	buffer_load_dword v97, v89, s[0:3], 0 offen offset:12
	buffer_load_dword v98, v89, s[0:3], 0 offen
	buffer_load_dword v99, v89, s[0:3], 0 offen offset:4
	ds_read_b128 v[92:95], v88
	v_add_nc_u32_e32 v90, 1, v90
	v_add_nc_u32_e32 v88, 16, v88
	;; [unrolled: 1-line block ×3, first 2 shown]
	v_cmp_lt_u32_e32 vcc_lo, 7, v90
	s_or_b32 s8, vcc_lo, s8
	s_waitcnt vmcnt(2) lgkmcnt(0)
	v_mul_f64 v[100:101], v[94:95], v[96:97]
	v_mul_f64 v[96:97], v[92:93], v[96:97]
	s_waitcnt vmcnt(0)
	v_fma_f64 v[92:93], v[92:93], v[98:99], -v[100:101]
	v_fma_f64 v[94:95], v[94:95], v[98:99], v[96:97]
	v_add_f64 v[1:2], v[1:2], v[92:93]
	v_add_f64 v[3:4], v[3:4], v[94:95]
	s_andn2_b32 exec_lo, exec_lo, s8
	s_cbranch_execnz .LBB39_380
; %bb.381:
	s_or_b32 exec_lo, exec_lo, s8
.LBB39_382:
	s_or_b32 exec_lo, exec_lo, s6
	v_mov_b32_e32 v88, 0
	ds_read_b128 v[92:95], v88 offset:144
	s_waitcnt lgkmcnt(0)
	v_mul_f64 v[88:89], v[3:4], v[94:95]
	v_mul_f64 v[94:95], v[1:2], v[94:95]
	v_fma_f64 v[1:2], v[1:2], v[92:93], -v[88:89]
	v_fma_f64 v[3:4], v[3:4], v[92:93], v[94:95]
	buffer_store_dword v2, off, s[0:3], 0 offset:148
	buffer_store_dword v1, off, s[0:3], 0 offset:144
	;; [unrolled: 1-line block ×4, first 2 shown]
.LBB39_383:
	s_or_b32 exec_lo, exec_lo, s4
	v_mov_b32_e32 v4, s38
	s_mov_b32 s4, exec_lo
	s_clause 0x3
	buffer_load_dword v1, v4, s[0:3], 0 offen
	buffer_load_dword v2, v4, s[0:3], 0 offen offset:4
	buffer_load_dword v3, v4, s[0:3], 0 offen offset:8
	buffer_load_dword v4, v4, s[0:3], 0 offen offset:12
	s_waitcnt vmcnt(0)
	ds_write_b128 v86, v[1:4]
	s_waitcnt lgkmcnt(0)
	s_waitcnt_vscnt null, 0x0
	s_barrier
	buffer_gl0_inv
	v_cmpx_gt_u32_e32 10, v0
	s_cbranch_execz .LBB39_391
; %bb.384:
	ds_read_b128 v[1:4], v86
	v_cmp_ne_u32_e32 vcc_lo, 1, v87
	s_cbranch_vccnz .LBB39_386
; %bb.385:
	s_clause 0x3
	buffer_load_dword v88, v85, s[0:3], 0 offen offset:8
	buffer_load_dword v89, v85, s[0:3], 0 offen offset:12
	buffer_load_dword v92, v85, s[0:3], 0 offen
	buffer_load_dword v93, v85, s[0:3], 0 offen offset:4
	s_waitcnt vmcnt(2) lgkmcnt(0)
	v_mul_f64 v[94:95], v[3:4], v[88:89]
	v_mul_f64 v[88:89], v[1:2], v[88:89]
	s_waitcnt vmcnt(0)
	v_fma_f64 v[1:2], v[1:2], v[92:93], -v[94:95]
	v_fma_f64 v[3:4], v[3:4], v[92:93], v[88:89]
.LBB39_386:
	s_mov_b32 s6, exec_lo
	v_cmpx_ne_u32_e32 9, v0
	s_cbranch_execz .LBB39_390
; %bb.387:
	v_add_nc_u32_e32 v88, 0x290, v91
	v_add3_u32 v89, 0, v91, 16
	v_mov_b32_e32 v90, v0
	s_mov_b32 s8, 0
	.p2align	6
.LBB39_388:                             ; =>This Inner Loop Header: Depth=1
	s_clause 0x3
	buffer_load_dword v96, v89, s[0:3], 0 offen offset:8
	buffer_load_dword v97, v89, s[0:3], 0 offen offset:12
	buffer_load_dword v98, v89, s[0:3], 0 offen
	buffer_load_dword v99, v89, s[0:3], 0 offen offset:4
	ds_read_b128 v[92:95], v88
	v_add_nc_u32_e32 v90, 1, v90
	v_add_nc_u32_e32 v88, 16, v88
	v_add_nc_u32_e32 v89, 16, v89
	v_cmp_lt_u32_e32 vcc_lo, 8, v90
	s_or_b32 s8, vcc_lo, s8
	s_waitcnt vmcnt(2) lgkmcnt(0)
	v_mul_f64 v[100:101], v[94:95], v[96:97]
	v_mul_f64 v[96:97], v[92:93], v[96:97]
	s_waitcnt vmcnt(0)
	v_fma_f64 v[92:93], v[92:93], v[98:99], -v[100:101]
	v_fma_f64 v[94:95], v[94:95], v[98:99], v[96:97]
	v_add_f64 v[1:2], v[1:2], v[92:93]
	v_add_f64 v[3:4], v[3:4], v[94:95]
	s_andn2_b32 exec_lo, exec_lo, s8
	s_cbranch_execnz .LBB39_388
; %bb.389:
	s_or_b32 exec_lo, exec_lo, s8
.LBB39_390:
	s_or_b32 exec_lo, exec_lo, s6
	v_mov_b32_e32 v88, 0
	ds_read_b128 v[92:95], v88 offset:160
	s_waitcnt lgkmcnt(0)
	v_mul_f64 v[88:89], v[3:4], v[94:95]
	v_mul_f64 v[94:95], v[1:2], v[94:95]
	v_fma_f64 v[1:2], v[1:2], v[92:93], -v[88:89]
	v_fma_f64 v[3:4], v[3:4], v[92:93], v[94:95]
	buffer_store_dword v2, off, s[0:3], 0 offset:164
	buffer_store_dword v1, off, s[0:3], 0 offset:160
	;; [unrolled: 1-line block ×4, first 2 shown]
.LBB39_391:
	s_or_b32 exec_lo, exec_lo, s4
	v_mov_b32_e32 v4, s37
	s_mov_b32 s4, exec_lo
	s_clause 0x3
	buffer_load_dword v1, v4, s[0:3], 0 offen
	buffer_load_dword v2, v4, s[0:3], 0 offen offset:4
	buffer_load_dword v3, v4, s[0:3], 0 offen offset:8
	;; [unrolled: 1-line block ×3, first 2 shown]
	s_waitcnt vmcnt(0)
	ds_write_b128 v86, v[1:4]
	s_waitcnt lgkmcnt(0)
	s_waitcnt_vscnt null, 0x0
	s_barrier
	buffer_gl0_inv
	v_cmpx_gt_u32_e32 11, v0
	s_cbranch_execz .LBB39_399
; %bb.392:
	ds_read_b128 v[1:4], v86
	v_cmp_ne_u32_e32 vcc_lo, 1, v87
	s_cbranch_vccnz .LBB39_394
; %bb.393:
	s_clause 0x3
	buffer_load_dword v88, v85, s[0:3], 0 offen offset:8
	buffer_load_dword v89, v85, s[0:3], 0 offen offset:12
	buffer_load_dword v92, v85, s[0:3], 0 offen
	buffer_load_dword v93, v85, s[0:3], 0 offen offset:4
	s_waitcnt vmcnt(2) lgkmcnt(0)
	v_mul_f64 v[94:95], v[3:4], v[88:89]
	v_mul_f64 v[88:89], v[1:2], v[88:89]
	s_waitcnt vmcnt(0)
	v_fma_f64 v[1:2], v[1:2], v[92:93], -v[94:95]
	v_fma_f64 v[3:4], v[3:4], v[92:93], v[88:89]
.LBB39_394:
	s_mov_b32 s6, exec_lo
	v_cmpx_ne_u32_e32 10, v0
	s_cbranch_execz .LBB39_398
; %bb.395:
	v_add_nc_u32_e32 v88, 0x290, v91
	v_add3_u32 v89, 0, v91, 16
	v_mov_b32_e32 v90, v0
	s_mov_b32 s8, 0
	.p2align	6
.LBB39_396:                             ; =>This Inner Loop Header: Depth=1
	s_clause 0x3
	buffer_load_dword v96, v89, s[0:3], 0 offen offset:8
	buffer_load_dword v97, v89, s[0:3], 0 offen offset:12
	buffer_load_dword v98, v89, s[0:3], 0 offen
	buffer_load_dword v99, v89, s[0:3], 0 offen offset:4
	ds_read_b128 v[92:95], v88
	v_add_nc_u32_e32 v90, 1, v90
	v_add_nc_u32_e32 v88, 16, v88
	;; [unrolled: 1-line block ×3, first 2 shown]
	v_cmp_lt_u32_e32 vcc_lo, 9, v90
	s_or_b32 s8, vcc_lo, s8
	s_waitcnt vmcnt(2) lgkmcnt(0)
	v_mul_f64 v[100:101], v[94:95], v[96:97]
	v_mul_f64 v[96:97], v[92:93], v[96:97]
	s_waitcnt vmcnt(0)
	v_fma_f64 v[92:93], v[92:93], v[98:99], -v[100:101]
	v_fma_f64 v[94:95], v[94:95], v[98:99], v[96:97]
	v_add_f64 v[1:2], v[1:2], v[92:93]
	v_add_f64 v[3:4], v[3:4], v[94:95]
	s_andn2_b32 exec_lo, exec_lo, s8
	s_cbranch_execnz .LBB39_396
; %bb.397:
	s_or_b32 exec_lo, exec_lo, s8
.LBB39_398:
	s_or_b32 exec_lo, exec_lo, s6
	v_mov_b32_e32 v88, 0
	ds_read_b128 v[92:95], v88 offset:176
	s_waitcnt lgkmcnt(0)
	v_mul_f64 v[88:89], v[3:4], v[94:95]
	v_mul_f64 v[94:95], v[1:2], v[94:95]
	v_fma_f64 v[1:2], v[1:2], v[92:93], -v[88:89]
	v_fma_f64 v[3:4], v[3:4], v[92:93], v[94:95]
	buffer_store_dword v2, off, s[0:3], 0 offset:180
	buffer_store_dword v1, off, s[0:3], 0 offset:176
	;; [unrolled: 1-line block ×4, first 2 shown]
.LBB39_399:
	s_or_b32 exec_lo, exec_lo, s4
	v_mov_b32_e32 v4, s36
	s_mov_b32 s4, exec_lo
	s_clause 0x3
	buffer_load_dword v1, v4, s[0:3], 0 offen
	buffer_load_dword v2, v4, s[0:3], 0 offen offset:4
	buffer_load_dword v3, v4, s[0:3], 0 offen offset:8
	;; [unrolled: 1-line block ×3, first 2 shown]
	s_waitcnt vmcnt(0)
	ds_write_b128 v86, v[1:4]
	s_waitcnt lgkmcnt(0)
	s_waitcnt_vscnt null, 0x0
	s_barrier
	buffer_gl0_inv
	v_cmpx_gt_u32_e32 12, v0
	s_cbranch_execz .LBB39_407
; %bb.400:
	ds_read_b128 v[1:4], v86
	v_cmp_ne_u32_e32 vcc_lo, 1, v87
	s_cbranch_vccnz .LBB39_402
; %bb.401:
	s_clause 0x3
	buffer_load_dword v88, v85, s[0:3], 0 offen offset:8
	buffer_load_dword v89, v85, s[0:3], 0 offen offset:12
	buffer_load_dword v92, v85, s[0:3], 0 offen
	buffer_load_dword v93, v85, s[0:3], 0 offen offset:4
	s_waitcnt vmcnt(2) lgkmcnt(0)
	v_mul_f64 v[94:95], v[3:4], v[88:89]
	v_mul_f64 v[88:89], v[1:2], v[88:89]
	s_waitcnt vmcnt(0)
	v_fma_f64 v[1:2], v[1:2], v[92:93], -v[94:95]
	v_fma_f64 v[3:4], v[3:4], v[92:93], v[88:89]
.LBB39_402:
	s_mov_b32 s6, exec_lo
	v_cmpx_ne_u32_e32 11, v0
	s_cbranch_execz .LBB39_406
; %bb.403:
	v_add_nc_u32_e32 v88, 0x290, v91
	v_add3_u32 v89, 0, v91, 16
	v_mov_b32_e32 v90, v0
	s_mov_b32 s8, 0
	.p2align	6
.LBB39_404:                             ; =>This Inner Loop Header: Depth=1
	s_clause 0x3
	buffer_load_dword v96, v89, s[0:3], 0 offen offset:8
	buffer_load_dword v97, v89, s[0:3], 0 offen offset:12
	buffer_load_dword v98, v89, s[0:3], 0 offen
	buffer_load_dword v99, v89, s[0:3], 0 offen offset:4
	ds_read_b128 v[92:95], v88
	v_add_nc_u32_e32 v90, 1, v90
	v_add_nc_u32_e32 v88, 16, v88
	;; [unrolled: 1-line block ×3, first 2 shown]
	v_cmp_lt_u32_e32 vcc_lo, 10, v90
	s_or_b32 s8, vcc_lo, s8
	s_waitcnt vmcnt(2) lgkmcnt(0)
	v_mul_f64 v[100:101], v[94:95], v[96:97]
	v_mul_f64 v[96:97], v[92:93], v[96:97]
	s_waitcnt vmcnt(0)
	v_fma_f64 v[92:93], v[92:93], v[98:99], -v[100:101]
	v_fma_f64 v[94:95], v[94:95], v[98:99], v[96:97]
	v_add_f64 v[1:2], v[1:2], v[92:93]
	v_add_f64 v[3:4], v[3:4], v[94:95]
	s_andn2_b32 exec_lo, exec_lo, s8
	s_cbranch_execnz .LBB39_404
; %bb.405:
	s_or_b32 exec_lo, exec_lo, s8
.LBB39_406:
	s_or_b32 exec_lo, exec_lo, s6
	v_mov_b32_e32 v88, 0
	ds_read_b128 v[92:95], v88 offset:192
	s_waitcnt lgkmcnt(0)
	v_mul_f64 v[88:89], v[3:4], v[94:95]
	v_mul_f64 v[94:95], v[1:2], v[94:95]
	v_fma_f64 v[1:2], v[1:2], v[92:93], -v[88:89]
	v_fma_f64 v[3:4], v[3:4], v[92:93], v[94:95]
	buffer_store_dword v2, off, s[0:3], 0 offset:196
	buffer_store_dword v1, off, s[0:3], 0 offset:192
	;; [unrolled: 1-line block ×4, first 2 shown]
.LBB39_407:
	s_or_b32 exec_lo, exec_lo, s4
	v_mov_b32_e32 v4, s35
	s_mov_b32 s4, exec_lo
	s_clause 0x3
	buffer_load_dword v1, v4, s[0:3], 0 offen
	buffer_load_dword v2, v4, s[0:3], 0 offen offset:4
	buffer_load_dword v3, v4, s[0:3], 0 offen offset:8
	;; [unrolled: 1-line block ×3, first 2 shown]
	s_waitcnt vmcnt(0)
	ds_write_b128 v86, v[1:4]
	s_waitcnt lgkmcnt(0)
	s_waitcnt_vscnt null, 0x0
	s_barrier
	buffer_gl0_inv
	v_cmpx_gt_u32_e32 13, v0
	s_cbranch_execz .LBB39_415
; %bb.408:
	ds_read_b128 v[1:4], v86
	v_cmp_ne_u32_e32 vcc_lo, 1, v87
	s_cbranch_vccnz .LBB39_410
; %bb.409:
	s_clause 0x3
	buffer_load_dword v88, v85, s[0:3], 0 offen offset:8
	buffer_load_dword v89, v85, s[0:3], 0 offen offset:12
	buffer_load_dword v92, v85, s[0:3], 0 offen
	buffer_load_dword v93, v85, s[0:3], 0 offen offset:4
	s_waitcnt vmcnt(2) lgkmcnt(0)
	v_mul_f64 v[94:95], v[3:4], v[88:89]
	v_mul_f64 v[88:89], v[1:2], v[88:89]
	s_waitcnt vmcnt(0)
	v_fma_f64 v[1:2], v[1:2], v[92:93], -v[94:95]
	v_fma_f64 v[3:4], v[3:4], v[92:93], v[88:89]
.LBB39_410:
	s_mov_b32 s6, exec_lo
	v_cmpx_ne_u32_e32 12, v0
	s_cbranch_execz .LBB39_414
; %bb.411:
	v_add_nc_u32_e32 v88, 0x290, v91
	v_add3_u32 v89, 0, v91, 16
	v_mov_b32_e32 v90, v0
	s_mov_b32 s8, 0
	.p2align	6
.LBB39_412:                             ; =>This Inner Loop Header: Depth=1
	s_clause 0x3
	buffer_load_dword v96, v89, s[0:3], 0 offen offset:8
	buffer_load_dword v97, v89, s[0:3], 0 offen offset:12
	buffer_load_dword v98, v89, s[0:3], 0 offen
	buffer_load_dword v99, v89, s[0:3], 0 offen offset:4
	ds_read_b128 v[92:95], v88
	v_add_nc_u32_e32 v90, 1, v90
	v_add_nc_u32_e32 v88, 16, v88
	;; [unrolled: 1-line block ×3, first 2 shown]
	v_cmp_lt_u32_e32 vcc_lo, 11, v90
	s_or_b32 s8, vcc_lo, s8
	s_waitcnt vmcnt(2) lgkmcnt(0)
	v_mul_f64 v[100:101], v[94:95], v[96:97]
	v_mul_f64 v[96:97], v[92:93], v[96:97]
	s_waitcnt vmcnt(0)
	v_fma_f64 v[92:93], v[92:93], v[98:99], -v[100:101]
	v_fma_f64 v[94:95], v[94:95], v[98:99], v[96:97]
	v_add_f64 v[1:2], v[1:2], v[92:93]
	v_add_f64 v[3:4], v[3:4], v[94:95]
	s_andn2_b32 exec_lo, exec_lo, s8
	s_cbranch_execnz .LBB39_412
; %bb.413:
	s_or_b32 exec_lo, exec_lo, s8
.LBB39_414:
	s_or_b32 exec_lo, exec_lo, s6
	v_mov_b32_e32 v88, 0
	ds_read_b128 v[92:95], v88 offset:208
	s_waitcnt lgkmcnt(0)
	v_mul_f64 v[88:89], v[3:4], v[94:95]
	v_mul_f64 v[94:95], v[1:2], v[94:95]
	v_fma_f64 v[1:2], v[1:2], v[92:93], -v[88:89]
	v_fma_f64 v[3:4], v[3:4], v[92:93], v[94:95]
	buffer_store_dword v2, off, s[0:3], 0 offset:212
	buffer_store_dword v1, off, s[0:3], 0 offset:208
	;; [unrolled: 1-line block ×4, first 2 shown]
.LBB39_415:
	s_or_b32 exec_lo, exec_lo, s4
	v_mov_b32_e32 v4, s34
	s_mov_b32 s4, exec_lo
	s_clause 0x3
	buffer_load_dword v1, v4, s[0:3], 0 offen
	buffer_load_dword v2, v4, s[0:3], 0 offen offset:4
	buffer_load_dword v3, v4, s[0:3], 0 offen offset:8
	;; [unrolled: 1-line block ×3, first 2 shown]
	s_waitcnt vmcnt(0)
	ds_write_b128 v86, v[1:4]
	s_waitcnt lgkmcnt(0)
	s_waitcnt_vscnt null, 0x0
	s_barrier
	buffer_gl0_inv
	v_cmpx_gt_u32_e32 14, v0
	s_cbranch_execz .LBB39_423
; %bb.416:
	ds_read_b128 v[1:4], v86
	v_cmp_ne_u32_e32 vcc_lo, 1, v87
	s_cbranch_vccnz .LBB39_418
; %bb.417:
	s_clause 0x3
	buffer_load_dword v88, v85, s[0:3], 0 offen offset:8
	buffer_load_dword v89, v85, s[0:3], 0 offen offset:12
	buffer_load_dword v92, v85, s[0:3], 0 offen
	buffer_load_dword v93, v85, s[0:3], 0 offen offset:4
	s_waitcnt vmcnt(2) lgkmcnt(0)
	v_mul_f64 v[94:95], v[3:4], v[88:89]
	v_mul_f64 v[88:89], v[1:2], v[88:89]
	s_waitcnt vmcnt(0)
	v_fma_f64 v[1:2], v[1:2], v[92:93], -v[94:95]
	v_fma_f64 v[3:4], v[3:4], v[92:93], v[88:89]
.LBB39_418:
	s_mov_b32 s6, exec_lo
	v_cmpx_ne_u32_e32 13, v0
	s_cbranch_execz .LBB39_422
; %bb.419:
	v_add_nc_u32_e32 v88, 0x290, v91
	v_add3_u32 v89, 0, v91, 16
	v_mov_b32_e32 v90, v0
	s_mov_b32 s8, 0
	.p2align	6
.LBB39_420:                             ; =>This Inner Loop Header: Depth=1
	s_clause 0x3
	buffer_load_dword v96, v89, s[0:3], 0 offen offset:8
	buffer_load_dword v97, v89, s[0:3], 0 offen offset:12
	buffer_load_dword v98, v89, s[0:3], 0 offen
	buffer_load_dword v99, v89, s[0:3], 0 offen offset:4
	ds_read_b128 v[92:95], v88
	v_add_nc_u32_e32 v90, 1, v90
	v_add_nc_u32_e32 v88, 16, v88
	;; [unrolled: 1-line block ×3, first 2 shown]
	v_cmp_lt_u32_e32 vcc_lo, 12, v90
	s_or_b32 s8, vcc_lo, s8
	s_waitcnt vmcnt(2) lgkmcnt(0)
	v_mul_f64 v[100:101], v[94:95], v[96:97]
	v_mul_f64 v[96:97], v[92:93], v[96:97]
	s_waitcnt vmcnt(0)
	v_fma_f64 v[92:93], v[92:93], v[98:99], -v[100:101]
	v_fma_f64 v[94:95], v[94:95], v[98:99], v[96:97]
	v_add_f64 v[1:2], v[1:2], v[92:93]
	v_add_f64 v[3:4], v[3:4], v[94:95]
	s_andn2_b32 exec_lo, exec_lo, s8
	s_cbranch_execnz .LBB39_420
; %bb.421:
	s_or_b32 exec_lo, exec_lo, s8
.LBB39_422:
	s_or_b32 exec_lo, exec_lo, s6
	v_mov_b32_e32 v88, 0
	ds_read_b128 v[92:95], v88 offset:224
	s_waitcnt lgkmcnt(0)
	v_mul_f64 v[88:89], v[3:4], v[94:95]
	v_mul_f64 v[94:95], v[1:2], v[94:95]
	v_fma_f64 v[1:2], v[1:2], v[92:93], -v[88:89]
	v_fma_f64 v[3:4], v[3:4], v[92:93], v[94:95]
	buffer_store_dword v2, off, s[0:3], 0 offset:228
	buffer_store_dword v1, off, s[0:3], 0 offset:224
	buffer_store_dword v4, off, s[0:3], 0 offset:236
	buffer_store_dword v3, off, s[0:3], 0 offset:232
.LBB39_423:
	s_or_b32 exec_lo, exec_lo, s4
	v_mov_b32_e32 v4, s33
	s_mov_b32 s4, exec_lo
	s_clause 0x3
	buffer_load_dword v1, v4, s[0:3], 0 offen
	buffer_load_dword v2, v4, s[0:3], 0 offen offset:4
	buffer_load_dword v3, v4, s[0:3], 0 offen offset:8
	;; [unrolled: 1-line block ×3, first 2 shown]
	s_waitcnt vmcnt(0)
	ds_write_b128 v86, v[1:4]
	s_waitcnt lgkmcnt(0)
	s_waitcnt_vscnt null, 0x0
	s_barrier
	buffer_gl0_inv
	v_cmpx_gt_u32_e32 15, v0
	s_cbranch_execz .LBB39_431
; %bb.424:
	ds_read_b128 v[1:4], v86
	v_cmp_ne_u32_e32 vcc_lo, 1, v87
	s_cbranch_vccnz .LBB39_426
; %bb.425:
	s_clause 0x3
	buffer_load_dword v88, v85, s[0:3], 0 offen offset:8
	buffer_load_dword v89, v85, s[0:3], 0 offen offset:12
	buffer_load_dword v92, v85, s[0:3], 0 offen
	buffer_load_dword v93, v85, s[0:3], 0 offen offset:4
	s_waitcnt vmcnt(2) lgkmcnt(0)
	v_mul_f64 v[94:95], v[3:4], v[88:89]
	v_mul_f64 v[88:89], v[1:2], v[88:89]
	s_waitcnt vmcnt(0)
	v_fma_f64 v[1:2], v[1:2], v[92:93], -v[94:95]
	v_fma_f64 v[3:4], v[3:4], v[92:93], v[88:89]
.LBB39_426:
	s_mov_b32 s6, exec_lo
	v_cmpx_ne_u32_e32 14, v0
	s_cbranch_execz .LBB39_430
; %bb.427:
	v_add_nc_u32_e32 v88, 0x290, v91
	v_add3_u32 v89, 0, v91, 16
	v_mov_b32_e32 v90, v0
	s_mov_b32 s8, 0
	.p2align	6
.LBB39_428:                             ; =>This Inner Loop Header: Depth=1
	s_clause 0x3
	buffer_load_dword v96, v89, s[0:3], 0 offen offset:8
	buffer_load_dword v97, v89, s[0:3], 0 offen offset:12
	buffer_load_dword v98, v89, s[0:3], 0 offen
	buffer_load_dword v99, v89, s[0:3], 0 offen offset:4
	ds_read_b128 v[92:95], v88
	v_add_nc_u32_e32 v90, 1, v90
	v_add_nc_u32_e32 v88, 16, v88
	;; [unrolled: 1-line block ×3, first 2 shown]
	v_cmp_lt_u32_e32 vcc_lo, 13, v90
	s_or_b32 s8, vcc_lo, s8
	s_waitcnt vmcnt(2) lgkmcnt(0)
	v_mul_f64 v[100:101], v[94:95], v[96:97]
	v_mul_f64 v[96:97], v[92:93], v[96:97]
	s_waitcnt vmcnt(0)
	v_fma_f64 v[92:93], v[92:93], v[98:99], -v[100:101]
	v_fma_f64 v[94:95], v[94:95], v[98:99], v[96:97]
	v_add_f64 v[1:2], v[1:2], v[92:93]
	v_add_f64 v[3:4], v[3:4], v[94:95]
	s_andn2_b32 exec_lo, exec_lo, s8
	s_cbranch_execnz .LBB39_428
; %bb.429:
	s_or_b32 exec_lo, exec_lo, s8
.LBB39_430:
	s_or_b32 exec_lo, exec_lo, s6
	v_mov_b32_e32 v88, 0
	ds_read_b128 v[92:95], v88 offset:240
	s_waitcnt lgkmcnt(0)
	v_mul_f64 v[88:89], v[3:4], v[94:95]
	v_mul_f64 v[94:95], v[1:2], v[94:95]
	v_fma_f64 v[1:2], v[1:2], v[92:93], -v[88:89]
	v_fma_f64 v[3:4], v[3:4], v[92:93], v[94:95]
	buffer_store_dword v2, off, s[0:3], 0 offset:244
	buffer_store_dword v1, off, s[0:3], 0 offset:240
	;; [unrolled: 1-line block ×4, first 2 shown]
.LBB39_431:
	s_or_b32 exec_lo, exec_lo, s4
	v_mov_b32_e32 v4, s31
	s_mov_b32 s4, exec_lo
	s_clause 0x3
	buffer_load_dword v1, v4, s[0:3], 0 offen
	buffer_load_dword v2, v4, s[0:3], 0 offen offset:4
	buffer_load_dword v3, v4, s[0:3], 0 offen offset:8
	buffer_load_dword v4, v4, s[0:3], 0 offen offset:12
	s_waitcnt vmcnt(0)
	ds_write_b128 v86, v[1:4]
	s_waitcnt lgkmcnt(0)
	s_waitcnt_vscnt null, 0x0
	s_barrier
	buffer_gl0_inv
	v_cmpx_gt_u32_e32 16, v0
	s_cbranch_execz .LBB39_439
; %bb.432:
	ds_read_b128 v[1:4], v86
	v_cmp_ne_u32_e32 vcc_lo, 1, v87
	s_cbranch_vccnz .LBB39_434
; %bb.433:
	s_clause 0x3
	buffer_load_dword v88, v85, s[0:3], 0 offen offset:8
	buffer_load_dword v89, v85, s[0:3], 0 offen offset:12
	buffer_load_dword v92, v85, s[0:3], 0 offen
	buffer_load_dword v93, v85, s[0:3], 0 offen offset:4
	s_waitcnt vmcnt(2) lgkmcnt(0)
	v_mul_f64 v[94:95], v[3:4], v[88:89]
	v_mul_f64 v[88:89], v[1:2], v[88:89]
	s_waitcnt vmcnt(0)
	v_fma_f64 v[1:2], v[1:2], v[92:93], -v[94:95]
	v_fma_f64 v[3:4], v[3:4], v[92:93], v[88:89]
.LBB39_434:
	s_mov_b32 s6, exec_lo
	v_cmpx_ne_u32_e32 15, v0
	s_cbranch_execz .LBB39_438
; %bb.435:
	v_add_nc_u32_e32 v88, 0x290, v91
	v_add3_u32 v89, 0, v91, 16
	v_mov_b32_e32 v90, v0
	s_mov_b32 s8, 0
	.p2align	6
.LBB39_436:                             ; =>This Inner Loop Header: Depth=1
	s_clause 0x3
	buffer_load_dword v96, v89, s[0:3], 0 offen offset:8
	buffer_load_dword v97, v89, s[0:3], 0 offen offset:12
	buffer_load_dword v98, v89, s[0:3], 0 offen
	buffer_load_dword v99, v89, s[0:3], 0 offen offset:4
	ds_read_b128 v[92:95], v88
	v_add_nc_u32_e32 v90, 1, v90
	v_add_nc_u32_e32 v88, 16, v88
	;; [unrolled: 1-line block ×3, first 2 shown]
	v_cmp_lt_u32_e32 vcc_lo, 14, v90
	s_or_b32 s8, vcc_lo, s8
	s_waitcnt vmcnt(2) lgkmcnt(0)
	v_mul_f64 v[100:101], v[94:95], v[96:97]
	v_mul_f64 v[96:97], v[92:93], v[96:97]
	s_waitcnt vmcnt(0)
	v_fma_f64 v[92:93], v[92:93], v[98:99], -v[100:101]
	v_fma_f64 v[94:95], v[94:95], v[98:99], v[96:97]
	v_add_f64 v[1:2], v[1:2], v[92:93]
	v_add_f64 v[3:4], v[3:4], v[94:95]
	s_andn2_b32 exec_lo, exec_lo, s8
	s_cbranch_execnz .LBB39_436
; %bb.437:
	s_or_b32 exec_lo, exec_lo, s8
.LBB39_438:
	s_or_b32 exec_lo, exec_lo, s6
	v_mov_b32_e32 v88, 0
	ds_read_b128 v[92:95], v88 offset:256
	s_waitcnt lgkmcnt(0)
	v_mul_f64 v[88:89], v[3:4], v[94:95]
	v_mul_f64 v[94:95], v[1:2], v[94:95]
	v_fma_f64 v[1:2], v[1:2], v[92:93], -v[88:89]
	v_fma_f64 v[3:4], v[3:4], v[92:93], v[94:95]
	buffer_store_dword v2, off, s[0:3], 0 offset:260
	buffer_store_dword v1, off, s[0:3], 0 offset:256
	;; [unrolled: 1-line block ×4, first 2 shown]
.LBB39_439:
	s_or_b32 exec_lo, exec_lo, s4
	v_mov_b32_e32 v4, s30
	s_mov_b32 s4, exec_lo
	s_clause 0x3
	buffer_load_dword v1, v4, s[0:3], 0 offen
	buffer_load_dword v2, v4, s[0:3], 0 offen offset:4
	buffer_load_dword v3, v4, s[0:3], 0 offen offset:8
	;; [unrolled: 1-line block ×3, first 2 shown]
	s_waitcnt vmcnt(0)
	ds_write_b128 v86, v[1:4]
	s_waitcnt lgkmcnt(0)
	s_waitcnt_vscnt null, 0x0
	s_barrier
	buffer_gl0_inv
	v_cmpx_gt_u32_e32 17, v0
	s_cbranch_execz .LBB39_447
; %bb.440:
	ds_read_b128 v[1:4], v86
	v_cmp_ne_u32_e32 vcc_lo, 1, v87
	s_cbranch_vccnz .LBB39_442
; %bb.441:
	s_clause 0x3
	buffer_load_dword v88, v85, s[0:3], 0 offen offset:8
	buffer_load_dword v89, v85, s[0:3], 0 offen offset:12
	buffer_load_dword v92, v85, s[0:3], 0 offen
	buffer_load_dword v93, v85, s[0:3], 0 offen offset:4
	s_waitcnt vmcnt(2) lgkmcnt(0)
	v_mul_f64 v[94:95], v[3:4], v[88:89]
	v_mul_f64 v[88:89], v[1:2], v[88:89]
	s_waitcnt vmcnt(0)
	v_fma_f64 v[1:2], v[1:2], v[92:93], -v[94:95]
	v_fma_f64 v[3:4], v[3:4], v[92:93], v[88:89]
.LBB39_442:
	s_mov_b32 s6, exec_lo
	v_cmpx_ne_u32_e32 16, v0
	s_cbranch_execz .LBB39_446
; %bb.443:
	v_add_nc_u32_e32 v88, 0x290, v91
	v_add3_u32 v89, 0, v91, 16
	v_mov_b32_e32 v90, v0
	s_mov_b32 s8, 0
	.p2align	6
.LBB39_444:                             ; =>This Inner Loop Header: Depth=1
	s_clause 0x3
	buffer_load_dword v96, v89, s[0:3], 0 offen offset:8
	buffer_load_dword v97, v89, s[0:3], 0 offen offset:12
	buffer_load_dword v98, v89, s[0:3], 0 offen
	buffer_load_dword v99, v89, s[0:3], 0 offen offset:4
	ds_read_b128 v[92:95], v88
	v_add_nc_u32_e32 v90, 1, v90
	v_add_nc_u32_e32 v88, 16, v88
	;; [unrolled: 1-line block ×3, first 2 shown]
	v_cmp_lt_u32_e32 vcc_lo, 15, v90
	s_or_b32 s8, vcc_lo, s8
	s_waitcnt vmcnt(2) lgkmcnt(0)
	v_mul_f64 v[100:101], v[94:95], v[96:97]
	v_mul_f64 v[96:97], v[92:93], v[96:97]
	s_waitcnt vmcnt(0)
	v_fma_f64 v[92:93], v[92:93], v[98:99], -v[100:101]
	v_fma_f64 v[94:95], v[94:95], v[98:99], v[96:97]
	v_add_f64 v[1:2], v[1:2], v[92:93]
	v_add_f64 v[3:4], v[3:4], v[94:95]
	s_andn2_b32 exec_lo, exec_lo, s8
	s_cbranch_execnz .LBB39_444
; %bb.445:
	s_or_b32 exec_lo, exec_lo, s8
.LBB39_446:
	s_or_b32 exec_lo, exec_lo, s6
	v_mov_b32_e32 v88, 0
	ds_read_b128 v[92:95], v88 offset:272
	s_waitcnt lgkmcnt(0)
	v_mul_f64 v[88:89], v[3:4], v[94:95]
	v_mul_f64 v[94:95], v[1:2], v[94:95]
	v_fma_f64 v[1:2], v[1:2], v[92:93], -v[88:89]
	v_fma_f64 v[3:4], v[3:4], v[92:93], v[94:95]
	buffer_store_dword v2, off, s[0:3], 0 offset:276
	buffer_store_dword v1, off, s[0:3], 0 offset:272
	;; [unrolled: 1-line block ×4, first 2 shown]
.LBB39_447:
	s_or_b32 exec_lo, exec_lo, s4
	v_mov_b32_e32 v4, s29
	s_mov_b32 s4, exec_lo
	s_clause 0x3
	buffer_load_dword v1, v4, s[0:3], 0 offen
	buffer_load_dword v2, v4, s[0:3], 0 offen offset:4
	buffer_load_dword v3, v4, s[0:3], 0 offen offset:8
	;; [unrolled: 1-line block ×3, first 2 shown]
	s_waitcnt vmcnt(0)
	ds_write_b128 v86, v[1:4]
	s_waitcnt lgkmcnt(0)
	s_waitcnt_vscnt null, 0x0
	s_barrier
	buffer_gl0_inv
	v_cmpx_gt_u32_e32 18, v0
	s_cbranch_execz .LBB39_455
; %bb.448:
	ds_read_b128 v[1:4], v86
	v_cmp_ne_u32_e32 vcc_lo, 1, v87
	s_cbranch_vccnz .LBB39_450
; %bb.449:
	s_clause 0x3
	buffer_load_dword v88, v85, s[0:3], 0 offen offset:8
	buffer_load_dword v89, v85, s[0:3], 0 offen offset:12
	buffer_load_dword v92, v85, s[0:3], 0 offen
	buffer_load_dword v93, v85, s[0:3], 0 offen offset:4
	s_waitcnt vmcnt(2) lgkmcnt(0)
	v_mul_f64 v[94:95], v[3:4], v[88:89]
	v_mul_f64 v[88:89], v[1:2], v[88:89]
	s_waitcnt vmcnt(0)
	v_fma_f64 v[1:2], v[1:2], v[92:93], -v[94:95]
	v_fma_f64 v[3:4], v[3:4], v[92:93], v[88:89]
.LBB39_450:
	s_mov_b32 s6, exec_lo
	v_cmpx_ne_u32_e32 17, v0
	s_cbranch_execz .LBB39_454
; %bb.451:
	v_add_nc_u32_e32 v88, 0x290, v91
	v_add3_u32 v89, 0, v91, 16
	v_mov_b32_e32 v90, v0
	s_mov_b32 s8, 0
	.p2align	6
.LBB39_452:                             ; =>This Inner Loop Header: Depth=1
	s_clause 0x3
	buffer_load_dword v96, v89, s[0:3], 0 offen offset:8
	buffer_load_dword v97, v89, s[0:3], 0 offen offset:12
	buffer_load_dword v98, v89, s[0:3], 0 offen
	buffer_load_dword v99, v89, s[0:3], 0 offen offset:4
	ds_read_b128 v[92:95], v88
	v_add_nc_u32_e32 v90, 1, v90
	v_add_nc_u32_e32 v88, 16, v88
	;; [unrolled: 1-line block ×3, first 2 shown]
	v_cmp_lt_u32_e32 vcc_lo, 16, v90
	s_or_b32 s8, vcc_lo, s8
	s_waitcnt vmcnt(2) lgkmcnt(0)
	v_mul_f64 v[100:101], v[94:95], v[96:97]
	v_mul_f64 v[96:97], v[92:93], v[96:97]
	s_waitcnt vmcnt(0)
	v_fma_f64 v[92:93], v[92:93], v[98:99], -v[100:101]
	v_fma_f64 v[94:95], v[94:95], v[98:99], v[96:97]
	v_add_f64 v[1:2], v[1:2], v[92:93]
	v_add_f64 v[3:4], v[3:4], v[94:95]
	s_andn2_b32 exec_lo, exec_lo, s8
	s_cbranch_execnz .LBB39_452
; %bb.453:
	s_or_b32 exec_lo, exec_lo, s8
.LBB39_454:
	s_or_b32 exec_lo, exec_lo, s6
	v_mov_b32_e32 v88, 0
	ds_read_b128 v[92:95], v88 offset:288
	s_waitcnt lgkmcnt(0)
	v_mul_f64 v[88:89], v[3:4], v[94:95]
	v_mul_f64 v[94:95], v[1:2], v[94:95]
	v_fma_f64 v[1:2], v[1:2], v[92:93], -v[88:89]
	v_fma_f64 v[3:4], v[3:4], v[92:93], v[94:95]
	buffer_store_dword v2, off, s[0:3], 0 offset:292
	buffer_store_dword v1, off, s[0:3], 0 offset:288
	;; [unrolled: 1-line block ×4, first 2 shown]
.LBB39_455:
	s_or_b32 exec_lo, exec_lo, s4
	v_mov_b32_e32 v4, s28
	s_mov_b32 s4, exec_lo
	s_clause 0x3
	buffer_load_dword v1, v4, s[0:3], 0 offen
	buffer_load_dword v2, v4, s[0:3], 0 offen offset:4
	buffer_load_dword v3, v4, s[0:3], 0 offen offset:8
	buffer_load_dword v4, v4, s[0:3], 0 offen offset:12
	s_waitcnt vmcnt(0)
	ds_write_b128 v86, v[1:4]
	s_waitcnt lgkmcnt(0)
	s_waitcnt_vscnt null, 0x0
	s_barrier
	buffer_gl0_inv
	v_cmpx_gt_u32_e32 19, v0
	s_cbranch_execz .LBB39_463
; %bb.456:
	ds_read_b128 v[1:4], v86
	v_cmp_ne_u32_e32 vcc_lo, 1, v87
	s_cbranch_vccnz .LBB39_458
; %bb.457:
	s_clause 0x3
	buffer_load_dword v88, v85, s[0:3], 0 offen offset:8
	buffer_load_dword v89, v85, s[0:3], 0 offen offset:12
	buffer_load_dword v92, v85, s[0:3], 0 offen
	buffer_load_dword v93, v85, s[0:3], 0 offen offset:4
	s_waitcnt vmcnt(2) lgkmcnt(0)
	v_mul_f64 v[94:95], v[3:4], v[88:89]
	v_mul_f64 v[88:89], v[1:2], v[88:89]
	s_waitcnt vmcnt(0)
	v_fma_f64 v[1:2], v[1:2], v[92:93], -v[94:95]
	v_fma_f64 v[3:4], v[3:4], v[92:93], v[88:89]
.LBB39_458:
	s_mov_b32 s6, exec_lo
	v_cmpx_ne_u32_e32 18, v0
	s_cbranch_execz .LBB39_462
; %bb.459:
	v_add_nc_u32_e32 v88, 0x290, v91
	v_add3_u32 v89, 0, v91, 16
	v_mov_b32_e32 v90, v0
	s_mov_b32 s8, 0
	.p2align	6
.LBB39_460:                             ; =>This Inner Loop Header: Depth=1
	s_clause 0x3
	buffer_load_dword v96, v89, s[0:3], 0 offen offset:8
	buffer_load_dword v97, v89, s[0:3], 0 offen offset:12
	buffer_load_dword v98, v89, s[0:3], 0 offen
	buffer_load_dword v99, v89, s[0:3], 0 offen offset:4
	ds_read_b128 v[92:95], v88
	v_add_nc_u32_e32 v90, 1, v90
	v_add_nc_u32_e32 v88, 16, v88
	;; [unrolled: 1-line block ×3, first 2 shown]
	v_cmp_lt_u32_e32 vcc_lo, 17, v90
	s_or_b32 s8, vcc_lo, s8
	s_waitcnt vmcnt(2) lgkmcnt(0)
	v_mul_f64 v[100:101], v[94:95], v[96:97]
	v_mul_f64 v[96:97], v[92:93], v[96:97]
	s_waitcnt vmcnt(0)
	v_fma_f64 v[92:93], v[92:93], v[98:99], -v[100:101]
	v_fma_f64 v[94:95], v[94:95], v[98:99], v[96:97]
	v_add_f64 v[1:2], v[1:2], v[92:93]
	v_add_f64 v[3:4], v[3:4], v[94:95]
	s_andn2_b32 exec_lo, exec_lo, s8
	s_cbranch_execnz .LBB39_460
; %bb.461:
	s_or_b32 exec_lo, exec_lo, s8
.LBB39_462:
	s_or_b32 exec_lo, exec_lo, s6
	v_mov_b32_e32 v88, 0
	ds_read_b128 v[92:95], v88 offset:304
	s_waitcnt lgkmcnt(0)
	v_mul_f64 v[88:89], v[3:4], v[94:95]
	v_mul_f64 v[94:95], v[1:2], v[94:95]
	v_fma_f64 v[1:2], v[1:2], v[92:93], -v[88:89]
	v_fma_f64 v[3:4], v[3:4], v[92:93], v[94:95]
	buffer_store_dword v2, off, s[0:3], 0 offset:308
	buffer_store_dword v1, off, s[0:3], 0 offset:304
	;; [unrolled: 1-line block ×4, first 2 shown]
.LBB39_463:
	s_or_b32 exec_lo, exec_lo, s4
	v_mov_b32_e32 v4, s27
	s_mov_b32 s4, exec_lo
	s_clause 0x3
	buffer_load_dword v1, v4, s[0:3], 0 offen
	buffer_load_dword v2, v4, s[0:3], 0 offen offset:4
	buffer_load_dword v3, v4, s[0:3], 0 offen offset:8
	;; [unrolled: 1-line block ×3, first 2 shown]
	s_waitcnt vmcnt(0)
	ds_write_b128 v86, v[1:4]
	s_waitcnt lgkmcnt(0)
	s_waitcnt_vscnt null, 0x0
	s_barrier
	buffer_gl0_inv
	v_cmpx_gt_u32_e32 20, v0
	s_cbranch_execz .LBB39_471
; %bb.464:
	ds_read_b128 v[1:4], v86
	v_cmp_ne_u32_e32 vcc_lo, 1, v87
	s_cbranch_vccnz .LBB39_466
; %bb.465:
	s_clause 0x3
	buffer_load_dword v88, v85, s[0:3], 0 offen offset:8
	buffer_load_dword v89, v85, s[0:3], 0 offen offset:12
	buffer_load_dword v92, v85, s[0:3], 0 offen
	buffer_load_dword v93, v85, s[0:3], 0 offen offset:4
	s_waitcnt vmcnt(2) lgkmcnt(0)
	v_mul_f64 v[94:95], v[3:4], v[88:89]
	v_mul_f64 v[88:89], v[1:2], v[88:89]
	s_waitcnt vmcnt(0)
	v_fma_f64 v[1:2], v[1:2], v[92:93], -v[94:95]
	v_fma_f64 v[3:4], v[3:4], v[92:93], v[88:89]
.LBB39_466:
	s_mov_b32 s6, exec_lo
	v_cmpx_ne_u32_e32 19, v0
	s_cbranch_execz .LBB39_470
; %bb.467:
	v_add_nc_u32_e32 v88, 0x290, v91
	v_add3_u32 v89, 0, v91, 16
	v_mov_b32_e32 v90, v0
	s_mov_b32 s8, 0
	.p2align	6
.LBB39_468:                             ; =>This Inner Loop Header: Depth=1
	s_clause 0x3
	buffer_load_dword v96, v89, s[0:3], 0 offen offset:8
	buffer_load_dword v97, v89, s[0:3], 0 offen offset:12
	buffer_load_dword v98, v89, s[0:3], 0 offen
	buffer_load_dword v99, v89, s[0:3], 0 offen offset:4
	ds_read_b128 v[92:95], v88
	v_add_nc_u32_e32 v90, 1, v90
	v_add_nc_u32_e32 v88, 16, v88
	;; [unrolled: 1-line block ×3, first 2 shown]
	v_cmp_lt_u32_e32 vcc_lo, 18, v90
	s_or_b32 s8, vcc_lo, s8
	s_waitcnt vmcnt(2) lgkmcnt(0)
	v_mul_f64 v[100:101], v[94:95], v[96:97]
	v_mul_f64 v[96:97], v[92:93], v[96:97]
	s_waitcnt vmcnt(0)
	v_fma_f64 v[92:93], v[92:93], v[98:99], -v[100:101]
	v_fma_f64 v[94:95], v[94:95], v[98:99], v[96:97]
	v_add_f64 v[1:2], v[1:2], v[92:93]
	v_add_f64 v[3:4], v[3:4], v[94:95]
	s_andn2_b32 exec_lo, exec_lo, s8
	s_cbranch_execnz .LBB39_468
; %bb.469:
	s_or_b32 exec_lo, exec_lo, s8
.LBB39_470:
	s_or_b32 exec_lo, exec_lo, s6
	v_mov_b32_e32 v88, 0
	ds_read_b128 v[92:95], v88 offset:320
	s_waitcnt lgkmcnt(0)
	v_mul_f64 v[88:89], v[3:4], v[94:95]
	v_mul_f64 v[94:95], v[1:2], v[94:95]
	v_fma_f64 v[1:2], v[1:2], v[92:93], -v[88:89]
	v_fma_f64 v[3:4], v[3:4], v[92:93], v[94:95]
	buffer_store_dword v2, off, s[0:3], 0 offset:324
	buffer_store_dword v1, off, s[0:3], 0 offset:320
	;; [unrolled: 1-line block ×4, first 2 shown]
.LBB39_471:
	s_or_b32 exec_lo, exec_lo, s4
	v_mov_b32_e32 v4, s26
	s_mov_b32 s4, exec_lo
	s_clause 0x3
	buffer_load_dword v1, v4, s[0:3], 0 offen
	buffer_load_dword v2, v4, s[0:3], 0 offen offset:4
	buffer_load_dword v3, v4, s[0:3], 0 offen offset:8
	;; [unrolled: 1-line block ×3, first 2 shown]
	s_waitcnt vmcnt(0)
	ds_write_b128 v86, v[1:4]
	s_waitcnt lgkmcnt(0)
	s_waitcnt_vscnt null, 0x0
	s_barrier
	buffer_gl0_inv
	v_cmpx_gt_u32_e32 21, v0
	s_cbranch_execz .LBB39_479
; %bb.472:
	ds_read_b128 v[1:4], v86
	v_cmp_ne_u32_e32 vcc_lo, 1, v87
	s_cbranch_vccnz .LBB39_474
; %bb.473:
	s_clause 0x3
	buffer_load_dword v88, v85, s[0:3], 0 offen offset:8
	buffer_load_dword v89, v85, s[0:3], 0 offen offset:12
	buffer_load_dword v92, v85, s[0:3], 0 offen
	buffer_load_dword v93, v85, s[0:3], 0 offen offset:4
	s_waitcnt vmcnt(2) lgkmcnt(0)
	v_mul_f64 v[94:95], v[3:4], v[88:89]
	v_mul_f64 v[88:89], v[1:2], v[88:89]
	s_waitcnt vmcnt(0)
	v_fma_f64 v[1:2], v[1:2], v[92:93], -v[94:95]
	v_fma_f64 v[3:4], v[3:4], v[92:93], v[88:89]
.LBB39_474:
	s_mov_b32 s6, exec_lo
	v_cmpx_ne_u32_e32 20, v0
	s_cbranch_execz .LBB39_478
; %bb.475:
	v_add_nc_u32_e32 v88, 0x290, v91
	v_add3_u32 v89, 0, v91, 16
	v_mov_b32_e32 v90, v0
	s_mov_b32 s8, 0
	.p2align	6
.LBB39_476:                             ; =>This Inner Loop Header: Depth=1
	s_clause 0x3
	buffer_load_dword v96, v89, s[0:3], 0 offen offset:8
	buffer_load_dword v97, v89, s[0:3], 0 offen offset:12
	buffer_load_dword v98, v89, s[0:3], 0 offen
	buffer_load_dword v99, v89, s[0:3], 0 offen offset:4
	ds_read_b128 v[92:95], v88
	v_add_nc_u32_e32 v90, 1, v90
	v_add_nc_u32_e32 v88, 16, v88
	;; [unrolled: 1-line block ×3, first 2 shown]
	v_cmp_lt_u32_e32 vcc_lo, 19, v90
	s_or_b32 s8, vcc_lo, s8
	s_waitcnt vmcnt(2) lgkmcnt(0)
	v_mul_f64 v[100:101], v[94:95], v[96:97]
	v_mul_f64 v[96:97], v[92:93], v[96:97]
	s_waitcnt vmcnt(0)
	v_fma_f64 v[92:93], v[92:93], v[98:99], -v[100:101]
	v_fma_f64 v[94:95], v[94:95], v[98:99], v[96:97]
	v_add_f64 v[1:2], v[1:2], v[92:93]
	v_add_f64 v[3:4], v[3:4], v[94:95]
	s_andn2_b32 exec_lo, exec_lo, s8
	s_cbranch_execnz .LBB39_476
; %bb.477:
	s_or_b32 exec_lo, exec_lo, s8
.LBB39_478:
	s_or_b32 exec_lo, exec_lo, s6
	v_mov_b32_e32 v88, 0
	ds_read_b128 v[92:95], v88 offset:336
	s_waitcnt lgkmcnt(0)
	v_mul_f64 v[88:89], v[3:4], v[94:95]
	v_mul_f64 v[94:95], v[1:2], v[94:95]
	v_fma_f64 v[1:2], v[1:2], v[92:93], -v[88:89]
	v_fma_f64 v[3:4], v[3:4], v[92:93], v[94:95]
	buffer_store_dword v2, off, s[0:3], 0 offset:340
	buffer_store_dword v1, off, s[0:3], 0 offset:336
	;; [unrolled: 1-line block ×4, first 2 shown]
.LBB39_479:
	s_or_b32 exec_lo, exec_lo, s4
	v_mov_b32_e32 v4, s25
	s_mov_b32 s4, exec_lo
	s_clause 0x3
	buffer_load_dword v1, v4, s[0:3], 0 offen
	buffer_load_dword v2, v4, s[0:3], 0 offen offset:4
	buffer_load_dword v3, v4, s[0:3], 0 offen offset:8
	;; [unrolled: 1-line block ×3, first 2 shown]
	s_waitcnt vmcnt(0)
	ds_write_b128 v86, v[1:4]
	s_waitcnt lgkmcnt(0)
	s_waitcnt_vscnt null, 0x0
	s_barrier
	buffer_gl0_inv
	v_cmpx_gt_u32_e32 22, v0
	s_cbranch_execz .LBB39_487
; %bb.480:
	ds_read_b128 v[1:4], v86
	v_cmp_ne_u32_e32 vcc_lo, 1, v87
	s_cbranch_vccnz .LBB39_482
; %bb.481:
	s_clause 0x3
	buffer_load_dword v88, v85, s[0:3], 0 offen offset:8
	buffer_load_dword v89, v85, s[0:3], 0 offen offset:12
	buffer_load_dword v92, v85, s[0:3], 0 offen
	buffer_load_dword v93, v85, s[0:3], 0 offen offset:4
	s_waitcnt vmcnt(2) lgkmcnt(0)
	v_mul_f64 v[94:95], v[3:4], v[88:89]
	v_mul_f64 v[88:89], v[1:2], v[88:89]
	s_waitcnt vmcnt(0)
	v_fma_f64 v[1:2], v[1:2], v[92:93], -v[94:95]
	v_fma_f64 v[3:4], v[3:4], v[92:93], v[88:89]
.LBB39_482:
	s_mov_b32 s6, exec_lo
	v_cmpx_ne_u32_e32 21, v0
	s_cbranch_execz .LBB39_486
; %bb.483:
	v_add_nc_u32_e32 v88, 0x290, v91
	v_add3_u32 v89, 0, v91, 16
	v_mov_b32_e32 v90, v0
	s_mov_b32 s8, 0
	.p2align	6
.LBB39_484:                             ; =>This Inner Loop Header: Depth=1
	s_clause 0x3
	buffer_load_dword v96, v89, s[0:3], 0 offen offset:8
	buffer_load_dword v97, v89, s[0:3], 0 offen offset:12
	buffer_load_dword v98, v89, s[0:3], 0 offen
	buffer_load_dword v99, v89, s[0:3], 0 offen offset:4
	ds_read_b128 v[92:95], v88
	v_add_nc_u32_e32 v90, 1, v90
	v_add_nc_u32_e32 v88, 16, v88
	;; [unrolled: 1-line block ×3, first 2 shown]
	v_cmp_lt_u32_e32 vcc_lo, 20, v90
	s_or_b32 s8, vcc_lo, s8
	s_waitcnt vmcnt(2) lgkmcnt(0)
	v_mul_f64 v[100:101], v[94:95], v[96:97]
	v_mul_f64 v[96:97], v[92:93], v[96:97]
	s_waitcnt vmcnt(0)
	v_fma_f64 v[92:93], v[92:93], v[98:99], -v[100:101]
	v_fma_f64 v[94:95], v[94:95], v[98:99], v[96:97]
	v_add_f64 v[1:2], v[1:2], v[92:93]
	v_add_f64 v[3:4], v[3:4], v[94:95]
	s_andn2_b32 exec_lo, exec_lo, s8
	s_cbranch_execnz .LBB39_484
; %bb.485:
	s_or_b32 exec_lo, exec_lo, s8
.LBB39_486:
	s_or_b32 exec_lo, exec_lo, s6
	v_mov_b32_e32 v88, 0
	ds_read_b128 v[92:95], v88 offset:352
	s_waitcnt lgkmcnt(0)
	v_mul_f64 v[88:89], v[3:4], v[94:95]
	v_mul_f64 v[94:95], v[1:2], v[94:95]
	v_fma_f64 v[1:2], v[1:2], v[92:93], -v[88:89]
	v_fma_f64 v[3:4], v[3:4], v[92:93], v[94:95]
	buffer_store_dword v2, off, s[0:3], 0 offset:356
	buffer_store_dword v1, off, s[0:3], 0 offset:352
	;; [unrolled: 1-line block ×4, first 2 shown]
.LBB39_487:
	s_or_b32 exec_lo, exec_lo, s4
	v_mov_b32_e32 v4, s24
	s_mov_b32 s4, exec_lo
	s_clause 0x3
	buffer_load_dword v1, v4, s[0:3], 0 offen
	buffer_load_dword v2, v4, s[0:3], 0 offen offset:4
	buffer_load_dword v3, v4, s[0:3], 0 offen offset:8
	;; [unrolled: 1-line block ×3, first 2 shown]
	s_waitcnt vmcnt(0)
	ds_write_b128 v86, v[1:4]
	s_waitcnt lgkmcnt(0)
	s_waitcnt_vscnt null, 0x0
	s_barrier
	buffer_gl0_inv
	v_cmpx_gt_u32_e32 23, v0
	s_cbranch_execz .LBB39_495
; %bb.488:
	ds_read_b128 v[1:4], v86
	v_cmp_ne_u32_e32 vcc_lo, 1, v87
	s_cbranch_vccnz .LBB39_490
; %bb.489:
	s_clause 0x3
	buffer_load_dword v88, v85, s[0:3], 0 offen offset:8
	buffer_load_dword v89, v85, s[0:3], 0 offen offset:12
	buffer_load_dword v92, v85, s[0:3], 0 offen
	buffer_load_dword v93, v85, s[0:3], 0 offen offset:4
	s_waitcnt vmcnt(2) lgkmcnt(0)
	v_mul_f64 v[94:95], v[3:4], v[88:89]
	v_mul_f64 v[88:89], v[1:2], v[88:89]
	s_waitcnt vmcnt(0)
	v_fma_f64 v[1:2], v[1:2], v[92:93], -v[94:95]
	v_fma_f64 v[3:4], v[3:4], v[92:93], v[88:89]
.LBB39_490:
	s_mov_b32 s6, exec_lo
	v_cmpx_ne_u32_e32 22, v0
	s_cbranch_execz .LBB39_494
; %bb.491:
	v_add_nc_u32_e32 v88, 0x290, v91
	v_add3_u32 v89, 0, v91, 16
	v_mov_b32_e32 v90, v0
	s_mov_b32 s8, 0
	.p2align	6
.LBB39_492:                             ; =>This Inner Loop Header: Depth=1
	s_clause 0x3
	buffer_load_dword v96, v89, s[0:3], 0 offen offset:8
	buffer_load_dword v97, v89, s[0:3], 0 offen offset:12
	buffer_load_dword v98, v89, s[0:3], 0 offen
	buffer_load_dword v99, v89, s[0:3], 0 offen offset:4
	ds_read_b128 v[92:95], v88
	v_add_nc_u32_e32 v90, 1, v90
	v_add_nc_u32_e32 v88, 16, v88
	;; [unrolled: 1-line block ×3, first 2 shown]
	v_cmp_lt_u32_e32 vcc_lo, 21, v90
	s_or_b32 s8, vcc_lo, s8
	s_waitcnt vmcnt(2) lgkmcnt(0)
	v_mul_f64 v[100:101], v[94:95], v[96:97]
	v_mul_f64 v[96:97], v[92:93], v[96:97]
	s_waitcnt vmcnt(0)
	v_fma_f64 v[92:93], v[92:93], v[98:99], -v[100:101]
	v_fma_f64 v[94:95], v[94:95], v[98:99], v[96:97]
	v_add_f64 v[1:2], v[1:2], v[92:93]
	v_add_f64 v[3:4], v[3:4], v[94:95]
	s_andn2_b32 exec_lo, exec_lo, s8
	s_cbranch_execnz .LBB39_492
; %bb.493:
	s_or_b32 exec_lo, exec_lo, s8
.LBB39_494:
	s_or_b32 exec_lo, exec_lo, s6
	v_mov_b32_e32 v88, 0
	ds_read_b128 v[92:95], v88 offset:368
	s_waitcnt lgkmcnt(0)
	v_mul_f64 v[88:89], v[3:4], v[94:95]
	v_mul_f64 v[94:95], v[1:2], v[94:95]
	v_fma_f64 v[1:2], v[1:2], v[92:93], -v[88:89]
	v_fma_f64 v[3:4], v[3:4], v[92:93], v[94:95]
	buffer_store_dword v2, off, s[0:3], 0 offset:372
	buffer_store_dword v1, off, s[0:3], 0 offset:368
	;; [unrolled: 1-line block ×4, first 2 shown]
.LBB39_495:
	s_or_b32 exec_lo, exec_lo, s4
	v_mov_b32_e32 v4, s23
	s_mov_b32 s4, exec_lo
	s_clause 0x3
	buffer_load_dword v1, v4, s[0:3], 0 offen
	buffer_load_dword v2, v4, s[0:3], 0 offen offset:4
	buffer_load_dword v3, v4, s[0:3], 0 offen offset:8
	;; [unrolled: 1-line block ×3, first 2 shown]
	s_waitcnt vmcnt(0)
	ds_write_b128 v86, v[1:4]
	s_waitcnt lgkmcnt(0)
	s_waitcnt_vscnt null, 0x0
	s_barrier
	buffer_gl0_inv
	v_cmpx_gt_u32_e32 24, v0
	s_cbranch_execz .LBB39_503
; %bb.496:
	ds_read_b128 v[1:4], v86
	v_cmp_ne_u32_e32 vcc_lo, 1, v87
	s_cbranch_vccnz .LBB39_498
; %bb.497:
	s_clause 0x3
	buffer_load_dword v88, v85, s[0:3], 0 offen offset:8
	buffer_load_dword v89, v85, s[0:3], 0 offen offset:12
	buffer_load_dword v92, v85, s[0:3], 0 offen
	buffer_load_dword v93, v85, s[0:3], 0 offen offset:4
	s_waitcnt vmcnt(2) lgkmcnt(0)
	v_mul_f64 v[94:95], v[3:4], v[88:89]
	v_mul_f64 v[88:89], v[1:2], v[88:89]
	s_waitcnt vmcnt(0)
	v_fma_f64 v[1:2], v[1:2], v[92:93], -v[94:95]
	v_fma_f64 v[3:4], v[3:4], v[92:93], v[88:89]
.LBB39_498:
	s_mov_b32 s6, exec_lo
	v_cmpx_ne_u32_e32 23, v0
	s_cbranch_execz .LBB39_502
; %bb.499:
	v_add_nc_u32_e32 v88, 0x290, v91
	v_add3_u32 v89, 0, v91, 16
	v_mov_b32_e32 v90, v0
	s_mov_b32 s8, 0
	.p2align	6
.LBB39_500:                             ; =>This Inner Loop Header: Depth=1
	s_clause 0x3
	buffer_load_dword v96, v89, s[0:3], 0 offen offset:8
	buffer_load_dword v97, v89, s[0:3], 0 offen offset:12
	buffer_load_dword v98, v89, s[0:3], 0 offen
	buffer_load_dword v99, v89, s[0:3], 0 offen offset:4
	ds_read_b128 v[92:95], v88
	v_add_nc_u32_e32 v90, 1, v90
	v_add_nc_u32_e32 v88, 16, v88
	;; [unrolled: 1-line block ×3, first 2 shown]
	v_cmp_lt_u32_e32 vcc_lo, 22, v90
	s_or_b32 s8, vcc_lo, s8
	s_waitcnt vmcnt(2) lgkmcnt(0)
	v_mul_f64 v[100:101], v[94:95], v[96:97]
	v_mul_f64 v[96:97], v[92:93], v[96:97]
	s_waitcnt vmcnt(0)
	v_fma_f64 v[92:93], v[92:93], v[98:99], -v[100:101]
	v_fma_f64 v[94:95], v[94:95], v[98:99], v[96:97]
	v_add_f64 v[1:2], v[1:2], v[92:93]
	v_add_f64 v[3:4], v[3:4], v[94:95]
	s_andn2_b32 exec_lo, exec_lo, s8
	s_cbranch_execnz .LBB39_500
; %bb.501:
	s_or_b32 exec_lo, exec_lo, s8
.LBB39_502:
	s_or_b32 exec_lo, exec_lo, s6
	v_mov_b32_e32 v88, 0
	ds_read_b128 v[92:95], v88 offset:384
	s_waitcnt lgkmcnt(0)
	v_mul_f64 v[88:89], v[3:4], v[94:95]
	v_mul_f64 v[94:95], v[1:2], v[94:95]
	v_fma_f64 v[1:2], v[1:2], v[92:93], -v[88:89]
	v_fma_f64 v[3:4], v[3:4], v[92:93], v[94:95]
	buffer_store_dword v2, off, s[0:3], 0 offset:388
	buffer_store_dword v1, off, s[0:3], 0 offset:384
	;; [unrolled: 1-line block ×4, first 2 shown]
.LBB39_503:
	s_or_b32 exec_lo, exec_lo, s4
	v_mov_b32_e32 v4, s22
	s_mov_b32 s4, exec_lo
	s_clause 0x3
	buffer_load_dword v1, v4, s[0:3], 0 offen
	buffer_load_dword v2, v4, s[0:3], 0 offen offset:4
	buffer_load_dword v3, v4, s[0:3], 0 offen offset:8
	;; [unrolled: 1-line block ×3, first 2 shown]
	s_waitcnt vmcnt(0)
	ds_write_b128 v86, v[1:4]
	s_waitcnt lgkmcnt(0)
	s_waitcnt_vscnt null, 0x0
	s_barrier
	buffer_gl0_inv
	v_cmpx_gt_u32_e32 25, v0
	s_cbranch_execz .LBB39_511
; %bb.504:
	ds_read_b128 v[1:4], v86
	v_cmp_ne_u32_e32 vcc_lo, 1, v87
	s_cbranch_vccnz .LBB39_506
; %bb.505:
	s_clause 0x3
	buffer_load_dword v88, v85, s[0:3], 0 offen offset:8
	buffer_load_dword v89, v85, s[0:3], 0 offen offset:12
	buffer_load_dword v92, v85, s[0:3], 0 offen
	buffer_load_dword v93, v85, s[0:3], 0 offen offset:4
	s_waitcnt vmcnt(2) lgkmcnt(0)
	v_mul_f64 v[94:95], v[3:4], v[88:89]
	v_mul_f64 v[88:89], v[1:2], v[88:89]
	s_waitcnt vmcnt(0)
	v_fma_f64 v[1:2], v[1:2], v[92:93], -v[94:95]
	v_fma_f64 v[3:4], v[3:4], v[92:93], v[88:89]
.LBB39_506:
	s_mov_b32 s6, exec_lo
	v_cmpx_ne_u32_e32 24, v0
	s_cbranch_execz .LBB39_510
; %bb.507:
	v_add_nc_u32_e32 v88, 0x290, v91
	v_add3_u32 v89, 0, v91, 16
	v_mov_b32_e32 v90, v0
	s_mov_b32 s8, 0
	.p2align	6
.LBB39_508:                             ; =>This Inner Loop Header: Depth=1
	s_clause 0x3
	buffer_load_dword v96, v89, s[0:3], 0 offen offset:8
	buffer_load_dword v97, v89, s[0:3], 0 offen offset:12
	buffer_load_dword v98, v89, s[0:3], 0 offen
	buffer_load_dword v99, v89, s[0:3], 0 offen offset:4
	ds_read_b128 v[92:95], v88
	v_add_nc_u32_e32 v90, 1, v90
	v_add_nc_u32_e32 v88, 16, v88
	;; [unrolled: 1-line block ×3, first 2 shown]
	v_cmp_lt_u32_e32 vcc_lo, 23, v90
	s_or_b32 s8, vcc_lo, s8
	s_waitcnt vmcnt(2) lgkmcnt(0)
	v_mul_f64 v[100:101], v[94:95], v[96:97]
	v_mul_f64 v[96:97], v[92:93], v[96:97]
	s_waitcnt vmcnt(0)
	v_fma_f64 v[92:93], v[92:93], v[98:99], -v[100:101]
	v_fma_f64 v[94:95], v[94:95], v[98:99], v[96:97]
	v_add_f64 v[1:2], v[1:2], v[92:93]
	v_add_f64 v[3:4], v[3:4], v[94:95]
	s_andn2_b32 exec_lo, exec_lo, s8
	s_cbranch_execnz .LBB39_508
; %bb.509:
	s_or_b32 exec_lo, exec_lo, s8
.LBB39_510:
	s_or_b32 exec_lo, exec_lo, s6
	v_mov_b32_e32 v88, 0
	ds_read_b128 v[92:95], v88 offset:400
	s_waitcnt lgkmcnt(0)
	v_mul_f64 v[88:89], v[3:4], v[94:95]
	v_mul_f64 v[94:95], v[1:2], v[94:95]
	v_fma_f64 v[1:2], v[1:2], v[92:93], -v[88:89]
	v_fma_f64 v[3:4], v[3:4], v[92:93], v[94:95]
	buffer_store_dword v2, off, s[0:3], 0 offset:404
	buffer_store_dword v1, off, s[0:3], 0 offset:400
	;; [unrolled: 1-line block ×4, first 2 shown]
.LBB39_511:
	s_or_b32 exec_lo, exec_lo, s4
	v_mov_b32_e32 v4, s21
	s_mov_b32 s4, exec_lo
	s_clause 0x3
	buffer_load_dword v1, v4, s[0:3], 0 offen
	buffer_load_dword v2, v4, s[0:3], 0 offen offset:4
	buffer_load_dword v3, v4, s[0:3], 0 offen offset:8
	buffer_load_dword v4, v4, s[0:3], 0 offen offset:12
	s_waitcnt vmcnt(0)
	ds_write_b128 v86, v[1:4]
	s_waitcnt lgkmcnt(0)
	s_waitcnt_vscnt null, 0x0
	s_barrier
	buffer_gl0_inv
	v_cmpx_gt_u32_e32 26, v0
	s_cbranch_execz .LBB39_519
; %bb.512:
	ds_read_b128 v[1:4], v86
	v_cmp_ne_u32_e32 vcc_lo, 1, v87
	s_cbranch_vccnz .LBB39_514
; %bb.513:
	s_clause 0x3
	buffer_load_dword v88, v85, s[0:3], 0 offen offset:8
	buffer_load_dword v89, v85, s[0:3], 0 offen offset:12
	buffer_load_dword v92, v85, s[0:3], 0 offen
	buffer_load_dword v93, v85, s[0:3], 0 offen offset:4
	s_waitcnt vmcnt(2) lgkmcnt(0)
	v_mul_f64 v[94:95], v[3:4], v[88:89]
	v_mul_f64 v[88:89], v[1:2], v[88:89]
	s_waitcnt vmcnt(0)
	v_fma_f64 v[1:2], v[1:2], v[92:93], -v[94:95]
	v_fma_f64 v[3:4], v[3:4], v[92:93], v[88:89]
.LBB39_514:
	s_mov_b32 s6, exec_lo
	v_cmpx_ne_u32_e32 25, v0
	s_cbranch_execz .LBB39_518
; %bb.515:
	v_add_nc_u32_e32 v88, 0x290, v91
	v_add3_u32 v89, 0, v91, 16
	v_mov_b32_e32 v90, v0
	s_mov_b32 s8, 0
	.p2align	6
.LBB39_516:                             ; =>This Inner Loop Header: Depth=1
	s_clause 0x3
	buffer_load_dword v96, v89, s[0:3], 0 offen offset:8
	buffer_load_dword v97, v89, s[0:3], 0 offen offset:12
	buffer_load_dword v98, v89, s[0:3], 0 offen
	buffer_load_dword v99, v89, s[0:3], 0 offen offset:4
	ds_read_b128 v[92:95], v88
	v_add_nc_u32_e32 v90, 1, v90
	v_add_nc_u32_e32 v88, 16, v88
	;; [unrolled: 1-line block ×3, first 2 shown]
	v_cmp_lt_u32_e32 vcc_lo, 24, v90
	s_or_b32 s8, vcc_lo, s8
	s_waitcnt vmcnt(2) lgkmcnt(0)
	v_mul_f64 v[100:101], v[94:95], v[96:97]
	v_mul_f64 v[96:97], v[92:93], v[96:97]
	s_waitcnt vmcnt(0)
	v_fma_f64 v[92:93], v[92:93], v[98:99], -v[100:101]
	v_fma_f64 v[94:95], v[94:95], v[98:99], v[96:97]
	v_add_f64 v[1:2], v[1:2], v[92:93]
	v_add_f64 v[3:4], v[3:4], v[94:95]
	s_andn2_b32 exec_lo, exec_lo, s8
	s_cbranch_execnz .LBB39_516
; %bb.517:
	s_or_b32 exec_lo, exec_lo, s8
.LBB39_518:
	s_or_b32 exec_lo, exec_lo, s6
	v_mov_b32_e32 v88, 0
	ds_read_b128 v[92:95], v88 offset:416
	s_waitcnt lgkmcnt(0)
	v_mul_f64 v[88:89], v[3:4], v[94:95]
	v_mul_f64 v[94:95], v[1:2], v[94:95]
	v_fma_f64 v[1:2], v[1:2], v[92:93], -v[88:89]
	v_fma_f64 v[3:4], v[3:4], v[92:93], v[94:95]
	buffer_store_dword v2, off, s[0:3], 0 offset:420
	buffer_store_dword v1, off, s[0:3], 0 offset:416
	;; [unrolled: 1-line block ×4, first 2 shown]
.LBB39_519:
	s_or_b32 exec_lo, exec_lo, s4
	v_mov_b32_e32 v4, s20
	s_mov_b32 s4, exec_lo
	s_clause 0x3
	buffer_load_dword v1, v4, s[0:3], 0 offen
	buffer_load_dword v2, v4, s[0:3], 0 offen offset:4
	buffer_load_dword v3, v4, s[0:3], 0 offen offset:8
	;; [unrolled: 1-line block ×3, first 2 shown]
	s_waitcnt vmcnt(0)
	ds_write_b128 v86, v[1:4]
	s_waitcnt lgkmcnt(0)
	s_waitcnt_vscnt null, 0x0
	s_barrier
	buffer_gl0_inv
	v_cmpx_gt_u32_e32 27, v0
	s_cbranch_execz .LBB39_527
; %bb.520:
	ds_read_b128 v[1:4], v86
	v_cmp_ne_u32_e32 vcc_lo, 1, v87
	s_cbranch_vccnz .LBB39_522
; %bb.521:
	s_clause 0x3
	buffer_load_dword v88, v85, s[0:3], 0 offen offset:8
	buffer_load_dword v89, v85, s[0:3], 0 offen offset:12
	buffer_load_dword v92, v85, s[0:3], 0 offen
	buffer_load_dword v93, v85, s[0:3], 0 offen offset:4
	s_waitcnt vmcnt(2) lgkmcnt(0)
	v_mul_f64 v[94:95], v[3:4], v[88:89]
	v_mul_f64 v[88:89], v[1:2], v[88:89]
	s_waitcnt vmcnt(0)
	v_fma_f64 v[1:2], v[1:2], v[92:93], -v[94:95]
	v_fma_f64 v[3:4], v[3:4], v[92:93], v[88:89]
.LBB39_522:
	s_mov_b32 s6, exec_lo
	v_cmpx_ne_u32_e32 26, v0
	s_cbranch_execz .LBB39_526
; %bb.523:
	v_add_nc_u32_e32 v88, 0x290, v91
	v_add3_u32 v89, 0, v91, 16
	v_mov_b32_e32 v90, v0
	s_mov_b32 s8, 0
	.p2align	6
.LBB39_524:                             ; =>This Inner Loop Header: Depth=1
	s_clause 0x3
	buffer_load_dword v96, v89, s[0:3], 0 offen offset:8
	buffer_load_dword v97, v89, s[0:3], 0 offen offset:12
	buffer_load_dword v98, v89, s[0:3], 0 offen
	buffer_load_dword v99, v89, s[0:3], 0 offen offset:4
	ds_read_b128 v[92:95], v88
	v_add_nc_u32_e32 v90, 1, v90
	v_add_nc_u32_e32 v88, 16, v88
	;; [unrolled: 1-line block ×3, first 2 shown]
	v_cmp_lt_u32_e32 vcc_lo, 25, v90
	s_or_b32 s8, vcc_lo, s8
	s_waitcnt vmcnt(2) lgkmcnt(0)
	v_mul_f64 v[100:101], v[94:95], v[96:97]
	v_mul_f64 v[96:97], v[92:93], v[96:97]
	s_waitcnt vmcnt(0)
	v_fma_f64 v[92:93], v[92:93], v[98:99], -v[100:101]
	v_fma_f64 v[94:95], v[94:95], v[98:99], v[96:97]
	v_add_f64 v[1:2], v[1:2], v[92:93]
	v_add_f64 v[3:4], v[3:4], v[94:95]
	s_andn2_b32 exec_lo, exec_lo, s8
	s_cbranch_execnz .LBB39_524
; %bb.525:
	s_or_b32 exec_lo, exec_lo, s8
.LBB39_526:
	s_or_b32 exec_lo, exec_lo, s6
	v_mov_b32_e32 v88, 0
	ds_read_b128 v[92:95], v88 offset:432
	s_waitcnt lgkmcnt(0)
	v_mul_f64 v[88:89], v[3:4], v[94:95]
	v_mul_f64 v[94:95], v[1:2], v[94:95]
	v_fma_f64 v[1:2], v[1:2], v[92:93], -v[88:89]
	v_fma_f64 v[3:4], v[3:4], v[92:93], v[94:95]
	buffer_store_dword v2, off, s[0:3], 0 offset:436
	buffer_store_dword v1, off, s[0:3], 0 offset:432
	;; [unrolled: 1-line block ×4, first 2 shown]
.LBB39_527:
	s_or_b32 exec_lo, exec_lo, s4
	v_mov_b32_e32 v4, s19
	s_mov_b32 s4, exec_lo
	s_clause 0x3
	buffer_load_dword v1, v4, s[0:3], 0 offen
	buffer_load_dword v2, v4, s[0:3], 0 offen offset:4
	buffer_load_dword v3, v4, s[0:3], 0 offen offset:8
	;; [unrolled: 1-line block ×3, first 2 shown]
	s_waitcnt vmcnt(0)
	ds_write_b128 v86, v[1:4]
	s_waitcnt lgkmcnt(0)
	s_waitcnt_vscnt null, 0x0
	s_barrier
	buffer_gl0_inv
	v_cmpx_gt_u32_e32 28, v0
	s_cbranch_execz .LBB39_535
; %bb.528:
	ds_read_b128 v[1:4], v86
	v_cmp_ne_u32_e32 vcc_lo, 1, v87
	s_cbranch_vccnz .LBB39_530
; %bb.529:
	s_clause 0x3
	buffer_load_dword v88, v85, s[0:3], 0 offen offset:8
	buffer_load_dword v89, v85, s[0:3], 0 offen offset:12
	buffer_load_dword v92, v85, s[0:3], 0 offen
	buffer_load_dword v93, v85, s[0:3], 0 offen offset:4
	s_waitcnt vmcnt(2) lgkmcnt(0)
	v_mul_f64 v[94:95], v[3:4], v[88:89]
	v_mul_f64 v[88:89], v[1:2], v[88:89]
	s_waitcnt vmcnt(0)
	v_fma_f64 v[1:2], v[1:2], v[92:93], -v[94:95]
	v_fma_f64 v[3:4], v[3:4], v[92:93], v[88:89]
.LBB39_530:
	s_mov_b32 s6, exec_lo
	v_cmpx_ne_u32_e32 27, v0
	s_cbranch_execz .LBB39_534
; %bb.531:
	v_add_nc_u32_e32 v88, 0x290, v91
	v_add3_u32 v89, 0, v91, 16
	v_mov_b32_e32 v90, v0
	s_mov_b32 s8, 0
	.p2align	6
.LBB39_532:                             ; =>This Inner Loop Header: Depth=1
	s_clause 0x3
	buffer_load_dword v96, v89, s[0:3], 0 offen offset:8
	buffer_load_dword v97, v89, s[0:3], 0 offen offset:12
	buffer_load_dword v98, v89, s[0:3], 0 offen
	buffer_load_dword v99, v89, s[0:3], 0 offen offset:4
	ds_read_b128 v[92:95], v88
	v_add_nc_u32_e32 v90, 1, v90
	v_add_nc_u32_e32 v88, 16, v88
	;; [unrolled: 1-line block ×3, first 2 shown]
	v_cmp_lt_u32_e32 vcc_lo, 26, v90
	s_or_b32 s8, vcc_lo, s8
	s_waitcnt vmcnt(2) lgkmcnt(0)
	v_mul_f64 v[100:101], v[94:95], v[96:97]
	v_mul_f64 v[96:97], v[92:93], v[96:97]
	s_waitcnt vmcnt(0)
	v_fma_f64 v[92:93], v[92:93], v[98:99], -v[100:101]
	v_fma_f64 v[94:95], v[94:95], v[98:99], v[96:97]
	v_add_f64 v[1:2], v[1:2], v[92:93]
	v_add_f64 v[3:4], v[3:4], v[94:95]
	s_andn2_b32 exec_lo, exec_lo, s8
	s_cbranch_execnz .LBB39_532
; %bb.533:
	s_or_b32 exec_lo, exec_lo, s8
.LBB39_534:
	s_or_b32 exec_lo, exec_lo, s6
	v_mov_b32_e32 v88, 0
	ds_read_b128 v[92:95], v88 offset:448
	s_waitcnt lgkmcnt(0)
	v_mul_f64 v[88:89], v[3:4], v[94:95]
	v_mul_f64 v[94:95], v[1:2], v[94:95]
	v_fma_f64 v[1:2], v[1:2], v[92:93], -v[88:89]
	v_fma_f64 v[3:4], v[3:4], v[92:93], v[94:95]
	buffer_store_dword v2, off, s[0:3], 0 offset:452
	buffer_store_dword v1, off, s[0:3], 0 offset:448
	;; [unrolled: 1-line block ×4, first 2 shown]
.LBB39_535:
	s_or_b32 exec_lo, exec_lo, s4
	v_mov_b32_e32 v4, s18
	s_mov_b32 s4, exec_lo
	s_clause 0x3
	buffer_load_dword v1, v4, s[0:3], 0 offen
	buffer_load_dword v2, v4, s[0:3], 0 offen offset:4
	buffer_load_dword v3, v4, s[0:3], 0 offen offset:8
	;; [unrolled: 1-line block ×3, first 2 shown]
	s_waitcnt vmcnt(0)
	ds_write_b128 v86, v[1:4]
	s_waitcnt lgkmcnt(0)
	s_waitcnt_vscnt null, 0x0
	s_barrier
	buffer_gl0_inv
	v_cmpx_gt_u32_e32 29, v0
	s_cbranch_execz .LBB39_543
; %bb.536:
	ds_read_b128 v[1:4], v86
	v_cmp_ne_u32_e32 vcc_lo, 1, v87
	s_cbranch_vccnz .LBB39_538
; %bb.537:
	s_clause 0x3
	buffer_load_dword v88, v85, s[0:3], 0 offen offset:8
	buffer_load_dword v89, v85, s[0:3], 0 offen offset:12
	buffer_load_dword v92, v85, s[0:3], 0 offen
	buffer_load_dword v93, v85, s[0:3], 0 offen offset:4
	s_waitcnt vmcnt(2) lgkmcnt(0)
	v_mul_f64 v[94:95], v[3:4], v[88:89]
	v_mul_f64 v[88:89], v[1:2], v[88:89]
	s_waitcnt vmcnt(0)
	v_fma_f64 v[1:2], v[1:2], v[92:93], -v[94:95]
	v_fma_f64 v[3:4], v[3:4], v[92:93], v[88:89]
.LBB39_538:
	s_mov_b32 s6, exec_lo
	v_cmpx_ne_u32_e32 28, v0
	s_cbranch_execz .LBB39_542
; %bb.539:
	v_add_nc_u32_e32 v88, 0x290, v91
	v_add3_u32 v89, 0, v91, 16
	v_mov_b32_e32 v90, v0
	s_mov_b32 s8, 0
	.p2align	6
.LBB39_540:                             ; =>This Inner Loop Header: Depth=1
	s_clause 0x3
	buffer_load_dword v96, v89, s[0:3], 0 offen offset:8
	buffer_load_dword v97, v89, s[0:3], 0 offen offset:12
	buffer_load_dword v98, v89, s[0:3], 0 offen
	buffer_load_dword v99, v89, s[0:3], 0 offen offset:4
	ds_read_b128 v[92:95], v88
	v_add_nc_u32_e32 v90, 1, v90
	v_add_nc_u32_e32 v88, 16, v88
	;; [unrolled: 1-line block ×3, first 2 shown]
	v_cmp_lt_u32_e32 vcc_lo, 27, v90
	s_or_b32 s8, vcc_lo, s8
	s_waitcnt vmcnt(2) lgkmcnt(0)
	v_mul_f64 v[100:101], v[94:95], v[96:97]
	v_mul_f64 v[96:97], v[92:93], v[96:97]
	s_waitcnt vmcnt(0)
	v_fma_f64 v[92:93], v[92:93], v[98:99], -v[100:101]
	v_fma_f64 v[94:95], v[94:95], v[98:99], v[96:97]
	v_add_f64 v[1:2], v[1:2], v[92:93]
	v_add_f64 v[3:4], v[3:4], v[94:95]
	s_andn2_b32 exec_lo, exec_lo, s8
	s_cbranch_execnz .LBB39_540
; %bb.541:
	s_or_b32 exec_lo, exec_lo, s8
.LBB39_542:
	s_or_b32 exec_lo, exec_lo, s6
	v_mov_b32_e32 v88, 0
	ds_read_b128 v[92:95], v88 offset:464
	s_waitcnt lgkmcnt(0)
	v_mul_f64 v[88:89], v[3:4], v[94:95]
	v_mul_f64 v[94:95], v[1:2], v[94:95]
	v_fma_f64 v[1:2], v[1:2], v[92:93], -v[88:89]
	v_fma_f64 v[3:4], v[3:4], v[92:93], v[94:95]
	buffer_store_dword v2, off, s[0:3], 0 offset:468
	buffer_store_dword v1, off, s[0:3], 0 offset:464
	;; [unrolled: 1-line block ×4, first 2 shown]
.LBB39_543:
	s_or_b32 exec_lo, exec_lo, s4
	v_mov_b32_e32 v4, s17
	s_mov_b32 s4, exec_lo
	s_clause 0x3
	buffer_load_dword v1, v4, s[0:3], 0 offen
	buffer_load_dword v2, v4, s[0:3], 0 offen offset:4
	buffer_load_dword v3, v4, s[0:3], 0 offen offset:8
	;; [unrolled: 1-line block ×3, first 2 shown]
	s_waitcnt vmcnt(0)
	ds_write_b128 v86, v[1:4]
	s_waitcnt lgkmcnt(0)
	s_waitcnt_vscnt null, 0x0
	s_barrier
	buffer_gl0_inv
	v_cmpx_gt_u32_e32 30, v0
	s_cbranch_execz .LBB39_551
; %bb.544:
	ds_read_b128 v[1:4], v86
	v_cmp_ne_u32_e32 vcc_lo, 1, v87
	s_cbranch_vccnz .LBB39_546
; %bb.545:
	s_clause 0x3
	buffer_load_dword v88, v85, s[0:3], 0 offen offset:8
	buffer_load_dword v89, v85, s[0:3], 0 offen offset:12
	buffer_load_dword v92, v85, s[0:3], 0 offen
	buffer_load_dword v93, v85, s[0:3], 0 offen offset:4
	s_waitcnt vmcnt(2) lgkmcnt(0)
	v_mul_f64 v[94:95], v[3:4], v[88:89]
	v_mul_f64 v[88:89], v[1:2], v[88:89]
	s_waitcnt vmcnt(0)
	v_fma_f64 v[1:2], v[1:2], v[92:93], -v[94:95]
	v_fma_f64 v[3:4], v[3:4], v[92:93], v[88:89]
.LBB39_546:
	s_mov_b32 s6, exec_lo
	v_cmpx_ne_u32_e32 29, v0
	s_cbranch_execz .LBB39_550
; %bb.547:
	v_add_nc_u32_e32 v88, 0x290, v91
	v_add3_u32 v89, 0, v91, 16
	v_mov_b32_e32 v90, v0
	s_mov_b32 s8, 0
	.p2align	6
.LBB39_548:                             ; =>This Inner Loop Header: Depth=1
	s_clause 0x3
	buffer_load_dword v96, v89, s[0:3], 0 offen offset:8
	buffer_load_dword v97, v89, s[0:3], 0 offen offset:12
	buffer_load_dword v98, v89, s[0:3], 0 offen
	buffer_load_dword v99, v89, s[0:3], 0 offen offset:4
	ds_read_b128 v[92:95], v88
	v_add_nc_u32_e32 v90, 1, v90
	v_add_nc_u32_e32 v88, 16, v88
	;; [unrolled: 1-line block ×3, first 2 shown]
	v_cmp_lt_u32_e32 vcc_lo, 28, v90
	s_or_b32 s8, vcc_lo, s8
	s_waitcnt vmcnt(2) lgkmcnt(0)
	v_mul_f64 v[100:101], v[94:95], v[96:97]
	v_mul_f64 v[96:97], v[92:93], v[96:97]
	s_waitcnt vmcnt(0)
	v_fma_f64 v[92:93], v[92:93], v[98:99], -v[100:101]
	v_fma_f64 v[94:95], v[94:95], v[98:99], v[96:97]
	v_add_f64 v[1:2], v[1:2], v[92:93]
	v_add_f64 v[3:4], v[3:4], v[94:95]
	s_andn2_b32 exec_lo, exec_lo, s8
	s_cbranch_execnz .LBB39_548
; %bb.549:
	s_or_b32 exec_lo, exec_lo, s8
.LBB39_550:
	s_or_b32 exec_lo, exec_lo, s6
	v_mov_b32_e32 v88, 0
	ds_read_b128 v[92:95], v88 offset:480
	s_waitcnt lgkmcnt(0)
	v_mul_f64 v[88:89], v[3:4], v[94:95]
	v_mul_f64 v[94:95], v[1:2], v[94:95]
	v_fma_f64 v[1:2], v[1:2], v[92:93], -v[88:89]
	v_fma_f64 v[3:4], v[3:4], v[92:93], v[94:95]
	buffer_store_dword v2, off, s[0:3], 0 offset:484
	buffer_store_dword v1, off, s[0:3], 0 offset:480
	;; [unrolled: 1-line block ×4, first 2 shown]
.LBB39_551:
	s_or_b32 exec_lo, exec_lo, s4
	v_mov_b32_e32 v4, s16
	s_mov_b32 s4, exec_lo
	s_clause 0x3
	buffer_load_dword v1, v4, s[0:3], 0 offen
	buffer_load_dword v2, v4, s[0:3], 0 offen offset:4
	buffer_load_dword v3, v4, s[0:3], 0 offen offset:8
	;; [unrolled: 1-line block ×3, first 2 shown]
	s_waitcnt vmcnt(0)
	ds_write_b128 v86, v[1:4]
	s_waitcnt lgkmcnt(0)
	s_waitcnt_vscnt null, 0x0
	s_barrier
	buffer_gl0_inv
	v_cmpx_gt_u32_e32 31, v0
	s_cbranch_execz .LBB39_559
; %bb.552:
	ds_read_b128 v[1:4], v86
	v_cmp_ne_u32_e32 vcc_lo, 1, v87
	s_cbranch_vccnz .LBB39_554
; %bb.553:
	s_clause 0x3
	buffer_load_dword v88, v85, s[0:3], 0 offen offset:8
	buffer_load_dword v89, v85, s[0:3], 0 offen offset:12
	buffer_load_dword v92, v85, s[0:3], 0 offen
	buffer_load_dword v93, v85, s[0:3], 0 offen offset:4
	s_waitcnt vmcnt(2) lgkmcnt(0)
	v_mul_f64 v[94:95], v[3:4], v[88:89]
	v_mul_f64 v[88:89], v[1:2], v[88:89]
	s_waitcnt vmcnt(0)
	v_fma_f64 v[1:2], v[1:2], v[92:93], -v[94:95]
	v_fma_f64 v[3:4], v[3:4], v[92:93], v[88:89]
.LBB39_554:
	s_mov_b32 s6, exec_lo
	v_cmpx_ne_u32_e32 30, v0
	s_cbranch_execz .LBB39_558
; %bb.555:
	v_add_nc_u32_e32 v88, 0x290, v91
	v_add3_u32 v89, 0, v91, 16
	v_mov_b32_e32 v90, v0
	s_mov_b32 s8, 0
	.p2align	6
.LBB39_556:                             ; =>This Inner Loop Header: Depth=1
	s_clause 0x3
	buffer_load_dword v96, v89, s[0:3], 0 offen offset:8
	buffer_load_dword v97, v89, s[0:3], 0 offen offset:12
	buffer_load_dword v98, v89, s[0:3], 0 offen
	buffer_load_dword v99, v89, s[0:3], 0 offen offset:4
	ds_read_b128 v[92:95], v88
	v_add_nc_u32_e32 v90, 1, v90
	v_add_nc_u32_e32 v88, 16, v88
	;; [unrolled: 1-line block ×3, first 2 shown]
	v_cmp_lt_u32_e32 vcc_lo, 29, v90
	s_or_b32 s8, vcc_lo, s8
	s_waitcnt vmcnt(2) lgkmcnt(0)
	v_mul_f64 v[100:101], v[94:95], v[96:97]
	v_mul_f64 v[96:97], v[92:93], v[96:97]
	s_waitcnt vmcnt(0)
	v_fma_f64 v[92:93], v[92:93], v[98:99], -v[100:101]
	v_fma_f64 v[94:95], v[94:95], v[98:99], v[96:97]
	v_add_f64 v[1:2], v[1:2], v[92:93]
	v_add_f64 v[3:4], v[3:4], v[94:95]
	s_andn2_b32 exec_lo, exec_lo, s8
	s_cbranch_execnz .LBB39_556
; %bb.557:
	s_or_b32 exec_lo, exec_lo, s8
.LBB39_558:
	s_or_b32 exec_lo, exec_lo, s6
	v_mov_b32_e32 v88, 0
	ds_read_b128 v[92:95], v88 offset:496
	s_waitcnt lgkmcnt(0)
	v_mul_f64 v[88:89], v[3:4], v[94:95]
	v_mul_f64 v[94:95], v[1:2], v[94:95]
	v_fma_f64 v[1:2], v[1:2], v[92:93], -v[88:89]
	v_fma_f64 v[3:4], v[3:4], v[92:93], v[94:95]
	buffer_store_dword v2, off, s[0:3], 0 offset:500
	buffer_store_dword v1, off, s[0:3], 0 offset:496
	;; [unrolled: 1-line block ×4, first 2 shown]
.LBB39_559:
	s_or_b32 exec_lo, exec_lo, s4
	v_mov_b32_e32 v4, s15
	s_mov_b32 s4, exec_lo
	s_clause 0x3
	buffer_load_dword v1, v4, s[0:3], 0 offen
	buffer_load_dword v2, v4, s[0:3], 0 offen offset:4
	buffer_load_dword v3, v4, s[0:3], 0 offen offset:8
	;; [unrolled: 1-line block ×3, first 2 shown]
	s_waitcnt vmcnt(0)
	ds_write_b128 v86, v[1:4]
	s_waitcnt lgkmcnt(0)
	s_waitcnt_vscnt null, 0x0
	s_barrier
	buffer_gl0_inv
	v_cmpx_gt_u32_e32 32, v0
	s_cbranch_execz .LBB39_567
; %bb.560:
	ds_read_b128 v[1:4], v86
	v_cmp_ne_u32_e32 vcc_lo, 1, v87
	s_cbranch_vccnz .LBB39_562
; %bb.561:
	s_clause 0x3
	buffer_load_dword v88, v85, s[0:3], 0 offen offset:8
	buffer_load_dword v89, v85, s[0:3], 0 offen offset:12
	buffer_load_dword v92, v85, s[0:3], 0 offen
	buffer_load_dword v93, v85, s[0:3], 0 offen offset:4
	s_waitcnt vmcnt(2) lgkmcnt(0)
	v_mul_f64 v[94:95], v[3:4], v[88:89]
	v_mul_f64 v[88:89], v[1:2], v[88:89]
	s_waitcnt vmcnt(0)
	v_fma_f64 v[1:2], v[1:2], v[92:93], -v[94:95]
	v_fma_f64 v[3:4], v[3:4], v[92:93], v[88:89]
.LBB39_562:
	s_mov_b32 s6, exec_lo
	v_cmpx_ne_u32_e32 31, v0
	s_cbranch_execz .LBB39_566
; %bb.563:
	v_add_nc_u32_e32 v88, 0x290, v91
	v_add3_u32 v89, 0, v91, 16
	v_mov_b32_e32 v90, v0
	s_mov_b32 s8, 0
	.p2align	6
.LBB39_564:                             ; =>This Inner Loop Header: Depth=1
	s_clause 0x3
	buffer_load_dword v96, v89, s[0:3], 0 offen offset:8
	buffer_load_dword v97, v89, s[0:3], 0 offen offset:12
	buffer_load_dword v98, v89, s[0:3], 0 offen
	buffer_load_dword v99, v89, s[0:3], 0 offen offset:4
	ds_read_b128 v[92:95], v88
	v_add_nc_u32_e32 v90, 1, v90
	v_add_nc_u32_e32 v88, 16, v88
	;; [unrolled: 1-line block ×3, first 2 shown]
	v_cmp_lt_u32_e32 vcc_lo, 30, v90
	s_or_b32 s8, vcc_lo, s8
	s_waitcnt vmcnt(2) lgkmcnt(0)
	v_mul_f64 v[100:101], v[94:95], v[96:97]
	v_mul_f64 v[96:97], v[92:93], v[96:97]
	s_waitcnt vmcnt(0)
	v_fma_f64 v[92:93], v[92:93], v[98:99], -v[100:101]
	v_fma_f64 v[94:95], v[94:95], v[98:99], v[96:97]
	v_add_f64 v[1:2], v[1:2], v[92:93]
	v_add_f64 v[3:4], v[3:4], v[94:95]
	s_andn2_b32 exec_lo, exec_lo, s8
	s_cbranch_execnz .LBB39_564
; %bb.565:
	s_or_b32 exec_lo, exec_lo, s8
.LBB39_566:
	s_or_b32 exec_lo, exec_lo, s6
	v_mov_b32_e32 v88, 0
	ds_read_b128 v[92:95], v88 offset:512
	s_waitcnt lgkmcnt(0)
	v_mul_f64 v[88:89], v[3:4], v[94:95]
	v_mul_f64 v[94:95], v[1:2], v[94:95]
	v_fma_f64 v[1:2], v[1:2], v[92:93], -v[88:89]
	v_fma_f64 v[3:4], v[3:4], v[92:93], v[94:95]
	buffer_store_dword v2, off, s[0:3], 0 offset:516
	buffer_store_dword v1, off, s[0:3], 0 offset:512
	;; [unrolled: 1-line block ×4, first 2 shown]
.LBB39_567:
	s_or_b32 exec_lo, exec_lo, s4
	v_mov_b32_e32 v4, s14
	s_mov_b32 s4, exec_lo
	s_clause 0x3
	buffer_load_dword v1, v4, s[0:3], 0 offen
	buffer_load_dword v2, v4, s[0:3], 0 offen offset:4
	buffer_load_dword v3, v4, s[0:3], 0 offen offset:8
	;; [unrolled: 1-line block ×3, first 2 shown]
	s_waitcnt vmcnt(0)
	ds_write_b128 v86, v[1:4]
	s_waitcnt lgkmcnt(0)
	s_waitcnt_vscnt null, 0x0
	s_barrier
	buffer_gl0_inv
	v_cmpx_gt_u32_e32 33, v0
	s_cbranch_execz .LBB39_575
; %bb.568:
	ds_read_b128 v[1:4], v86
	v_cmp_ne_u32_e32 vcc_lo, 1, v87
	s_cbranch_vccnz .LBB39_570
; %bb.569:
	s_clause 0x3
	buffer_load_dword v88, v85, s[0:3], 0 offen offset:8
	buffer_load_dword v89, v85, s[0:3], 0 offen offset:12
	buffer_load_dword v92, v85, s[0:3], 0 offen
	buffer_load_dword v93, v85, s[0:3], 0 offen offset:4
	s_waitcnt vmcnt(2) lgkmcnt(0)
	v_mul_f64 v[94:95], v[3:4], v[88:89]
	v_mul_f64 v[88:89], v[1:2], v[88:89]
	s_waitcnt vmcnt(0)
	v_fma_f64 v[1:2], v[1:2], v[92:93], -v[94:95]
	v_fma_f64 v[3:4], v[3:4], v[92:93], v[88:89]
.LBB39_570:
	s_mov_b32 s6, exec_lo
	v_cmpx_ne_u32_e32 32, v0
	s_cbranch_execz .LBB39_574
; %bb.571:
	v_add_nc_u32_e32 v88, 0x290, v91
	v_add3_u32 v89, 0, v91, 16
	v_mov_b32_e32 v90, v0
	s_mov_b32 s8, 0
	.p2align	6
.LBB39_572:                             ; =>This Inner Loop Header: Depth=1
	s_clause 0x3
	buffer_load_dword v96, v89, s[0:3], 0 offen offset:8
	buffer_load_dword v97, v89, s[0:3], 0 offen offset:12
	buffer_load_dword v98, v89, s[0:3], 0 offen
	buffer_load_dword v99, v89, s[0:3], 0 offen offset:4
	ds_read_b128 v[92:95], v88
	v_add_nc_u32_e32 v90, 1, v90
	v_add_nc_u32_e32 v88, 16, v88
	;; [unrolled: 1-line block ×3, first 2 shown]
	v_cmp_lt_u32_e32 vcc_lo, 31, v90
	s_or_b32 s8, vcc_lo, s8
	s_waitcnt vmcnt(2) lgkmcnt(0)
	v_mul_f64 v[100:101], v[94:95], v[96:97]
	v_mul_f64 v[96:97], v[92:93], v[96:97]
	s_waitcnt vmcnt(0)
	v_fma_f64 v[92:93], v[92:93], v[98:99], -v[100:101]
	v_fma_f64 v[94:95], v[94:95], v[98:99], v[96:97]
	v_add_f64 v[1:2], v[1:2], v[92:93]
	v_add_f64 v[3:4], v[3:4], v[94:95]
	s_andn2_b32 exec_lo, exec_lo, s8
	s_cbranch_execnz .LBB39_572
; %bb.573:
	s_or_b32 exec_lo, exec_lo, s8
.LBB39_574:
	s_or_b32 exec_lo, exec_lo, s6
	v_mov_b32_e32 v88, 0
	ds_read_b128 v[92:95], v88 offset:528
	s_waitcnt lgkmcnt(0)
	v_mul_f64 v[88:89], v[3:4], v[94:95]
	v_mul_f64 v[94:95], v[1:2], v[94:95]
	v_fma_f64 v[1:2], v[1:2], v[92:93], -v[88:89]
	v_fma_f64 v[3:4], v[3:4], v[92:93], v[94:95]
	buffer_store_dword v2, off, s[0:3], 0 offset:532
	buffer_store_dword v1, off, s[0:3], 0 offset:528
	buffer_store_dword v4, off, s[0:3], 0 offset:540
	buffer_store_dword v3, off, s[0:3], 0 offset:536
.LBB39_575:
	s_or_b32 exec_lo, exec_lo, s4
	v_mov_b32_e32 v4, s13
	s_mov_b32 s4, exec_lo
	s_clause 0x3
	buffer_load_dword v1, v4, s[0:3], 0 offen
	buffer_load_dword v2, v4, s[0:3], 0 offen offset:4
	buffer_load_dword v3, v4, s[0:3], 0 offen offset:8
	;; [unrolled: 1-line block ×3, first 2 shown]
	s_waitcnt vmcnt(0)
	ds_write_b128 v86, v[1:4]
	s_waitcnt lgkmcnt(0)
	s_waitcnt_vscnt null, 0x0
	s_barrier
	buffer_gl0_inv
	v_cmpx_gt_u32_e32 34, v0
	s_cbranch_execz .LBB39_583
; %bb.576:
	ds_read_b128 v[1:4], v86
	v_cmp_ne_u32_e32 vcc_lo, 1, v87
	s_cbranch_vccnz .LBB39_578
; %bb.577:
	s_clause 0x3
	buffer_load_dword v88, v85, s[0:3], 0 offen offset:8
	buffer_load_dword v89, v85, s[0:3], 0 offen offset:12
	buffer_load_dword v92, v85, s[0:3], 0 offen
	buffer_load_dword v93, v85, s[0:3], 0 offen offset:4
	s_waitcnt vmcnt(2) lgkmcnt(0)
	v_mul_f64 v[94:95], v[3:4], v[88:89]
	v_mul_f64 v[88:89], v[1:2], v[88:89]
	s_waitcnt vmcnt(0)
	v_fma_f64 v[1:2], v[1:2], v[92:93], -v[94:95]
	v_fma_f64 v[3:4], v[3:4], v[92:93], v[88:89]
.LBB39_578:
	s_mov_b32 s6, exec_lo
	v_cmpx_ne_u32_e32 33, v0
	s_cbranch_execz .LBB39_582
; %bb.579:
	v_add_nc_u32_e32 v88, 0x290, v91
	v_add3_u32 v89, 0, v91, 16
	v_mov_b32_e32 v90, v0
	s_mov_b32 s8, 0
	.p2align	6
.LBB39_580:                             ; =>This Inner Loop Header: Depth=1
	s_clause 0x3
	buffer_load_dword v96, v89, s[0:3], 0 offen offset:8
	buffer_load_dword v97, v89, s[0:3], 0 offen offset:12
	buffer_load_dword v98, v89, s[0:3], 0 offen
	buffer_load_dword v99, v89, s[0:3], 0 offen offset:4
	ds_read_b128 v[92:95], v88
	v_add_nc_u32_e32 v90, 1, v90
	v_add_nc_u32_e32 v88, 16, v88
	;; [unrolled: 1-line block ×3, first 2 shown]
	v_cmp_lt_u32_e32 vcc_lo, 32, v90
	s_or_b32 s8, vcc_lo, s8
	s_waitcnt vmcnt(2) lgkmcnt(0)
	v_mul_f64 v[100:101], v[94:95], v[96:97]
	v_mul_f64 v[96:97], v[92:93], v[96:97]
	s_waitcnt vmcnt(0)
	v_fma_f64 v[92:93], v[92:93], v[98:99], -v[100:101]
	v_fma_f64 v[94:95], v[94:95], v[98:99], v[96:97]
	v_add_f64 v[1:2], v[1:2], v[92:93]
	v_add_f64 v[3:4], v[3:4], v[94:95]
	s_andn2_b32 exec_lo, exec_lo, s8
	s_cbranch_execnz .LBB39_580
; %bb.581:
	s_or_b32 exec_lo, exec_lo, s8
.LBB39_582:
	s_or_b32 exec_lo, exec_lo, s6
	v_mov_b32_e32 v88, 0
	ds_read_b128 v[92:95], v88 offset:544
	s_waitcnt lgkmcnt(0)
	v_mul_f64 v[88:89], v[3:4], v[94:95]
	v_mul_f64 v[94:95], v[1:2], v[94:95]
	v_fma_f64 v[1:2], v[1:2], v[92:93], -v[88:89]
	v_fma_f64 v[3:4], v[3:4], v[92:93], v[94:95]
	buffer_store_dword v2, off, s[0:3], 0 offset:548
	buffer_store_dword v1, off, s[0:3], 0 offset:544
	;; [unrolled: 1-line block ×4, first 2 shown]
.LBB39_583:
	s_or_b32 exec_lo, exec_lo, s4
	v_mov_b32_e32 v4, s12
	s_mov_b32 s4, exec_lo
	s_clause 0x3
	buffer_load_dword v1, v4, s[0:3], 0 offen
	buffer_load_dword v2, v4, s[0:3], 0 offen offset:4
	buffer_load_dword v3, v4, s[0:3], 0 offen offset:8
	;; [unrolled: 1-line block ×3, first 2 shown]
	s_waitcnt vmcnt(0)
	ds_write_b128 v86, v[1:4]
	s_waitcnt lgkmcnt(0)
	s_waitcnt_vscnt null, 0x0
	s_barrier
	buffer_gl0_inv
	v_cmpx_gt_u32_e32 35, v0
	s_cbranch_execz .LBB39_591
; %bb.584:
	ds_read_b128 v[1:4], v86
	v_cmp_ne_u32_e32 vcc_lo, 1, v87
	s_cbranch_vccnz .LBB39_586
; %bb.585:
	s_clause 0x3
	buffer_load_dword v88, v85, s[0:3], 0 offen offset:8
	buffer_load_dword v89, v85, s[0:3], 0 offen offset:12
	buffer_load_dword v92, v85, s[0:3], 0 offen
	buffer_load_dword v93, v85, s[0:3], 0 offen offset:4
	s_waitcnt vmcnt(2) lgkmcnt(0)
	v_mul_f64 v[94:95], v[3:4], v[88:89]
	v_mul_f64 v[88:89], v[1:2], v[88:89]
	s_waitcnt vmcnt(0)
	v_fma_f64 v[1:2], v[1:2], v[92:93], -v[94:95]
	v_fma_f64 v[3:4], v[3:4], v[92:93], v[88:89]
.LBB39_586:
	s_mov_b32 s6, exec_lo
	v_cmpx_ne_u32_e32 34, v0
	s_cbranch_execz .LBB39_590
; %bb.587:
	v_add_nc_u32_e32 v88, 0x290, v91
	v_add3_u32 v89, 0, v91, 16
	v_mov_b32_e32 v90, v0
	s_mov_b32 s8, 0
	.p2align	6
.LBB39_588:                             ; =>This Inner Loop Header: Depth=1
	s_clause 0x3
	buffer_load_dword v96, v89, s[0:3], 0 offen offset:8
	buffer_load_dword v97, v89, s[0:3], 0 offen offset:12
	buffer_load_dword v98, v89, s[0:3], 0 offen
	buffer_load_dword v99, v89, s[0:3], 0 offen offset:4
	ds_read_b128 v[92:95], v88
	v_add_nc_u32_e32 v90, 1, v90
	v_add_nc_u32_e32 v88, 16, v88
	v_add_nc_u32_e32 v89, 16, v89
	v_cmp_lt_u32_e32 vcc_lo, 33, v90
	s_or_b32 s8, vcc_lo, s8
	s_waitcnt vmcnt(2) lgkmcnt(0)
	v_mul_f64 v[100:101], v[94:95], v[96:97]
	v_mul_f64 v[96:97], v[92:93], v[96:97]
	s_waitcnt vmcnt(0)
	v_fma_f64 v[92:93], v[92:93], v[98:99], -v[100:101]
	v_fma_f64 v[94:95], v[94:95], v[98:99], v[96:97]
	v_add_f64 v[1:2], v[1:2], v[92:93]
	v_add_f64 v[3:4], v[3:4], v[94:95]
	s_andn2_b32 exec_lo, exec_lo, s8
	s_cbranch_execnz .LBB39_588
; %bb.589:
	s_or_b32 exec_lo, exec_lo, s8
.LBB39_590:
	s_or_b32 exec_lo, exec_lo, s6
	v_mov_b32_e32 v88, 0
	ds_read_b128 v[92:95], v88 offset:560
	s_waitcnt lgkmcnt(0)
	v_mul_f64 v[88:89], v[3:4], v[94:95]
	v_mul_f64 v[94:95], v[1:2], v[94:95]
	v_fma_f64 v[1:2], v[1:2], v[92:93], -v[88:89]
	v_fma_f64 v[3:4], v[3:4], v[92:93], v[94:95]
	buffer_store_dword v2, off, s[0:3], 0 offset:564
	buffer_store_dword v1, off, s[0:3], 0 offset:560
	;; [unrolled: 1-line block ×4, first 2 shown]
.LBB39_591:
	s_or_b32 exec_lo, exec_lo, s4
	v_mov_b32_e32 v4, s11
	s_mov_b32 s4, exec_lo
	s_clause 0x3
	buffer_load_dword v1, v4, s[0:3], 0 offen
	buffer_load_dword v2, v4, s[0:3], 0 offen offset:4
	buffer_load_dword v3, v4, s[0:3], 0 offen offset:8
	;; [unrolled: 1-line block ×3, first 2 shown]
	s_waitcnt vmcnt(0)
	ds_write_b128 v86, v[1:4]
	s_waitcnt lgkmcnt(0)
	s_waitcnt_vscnt null, 0x0
	s_barrier
	buffer_gl0_inv
	v_cmpx_gt_u32_e32 36, v0
	s_cbranch_execz .LBB39_599
; %bb.592:
	ds_read_b128 v[1:4], v86
	v_cmp_ne_u32_e32 vcc_lo, 1, v87
	s_cbranch_vccnz .LBB39_594
; %bb.593:
	s_clause 0x3
	buffer_load_dword v88, v85, s[0:3], 0 offen offset:8
	buffer_load_dword v89, v85, s[0:3], 0 offen offset:12
	buffer_load_dword v92, v85, s[0:3], 0 offen
	buffer_load_dword v93, v85, s[0:3], 0 offen offset:4
	s_waitcnt vmcnt(2) lgkmcnt(0)
	v_mul_f64 v[94:95], v[3:4], v[88:89]
	v_mul_f64 v[88:89], v[1:2], v[88:89]
	s_waitcnt vmcnt(0)
	v_fma_f64 v[1:2], v[1:2], v[92:93], -v[94:95]
	v_fma_f64 v[3:4], v[3:4], v[92:93], v[88:89]
.LBB39_594:
	s_mov_b32 s6, exec_lo
	v_cmpx_ne_u32_e32 35, v0
	s_cbranch_execz .LBB39_598
; %bb.595:
	v_add_nc_u32_e32 v88, 0x290, v91
	v_add3_u32 v89, 0, v91, 16
	v_mov_b32_e32 v90, v0
	s_mov_b32 s8, 0
	.p2align	6
.LBB39_596:                             ; =>This Inner Loop Header: Depth=1
	s_clause 0x3
	buffer_load_dword v96, v89, s[0:3], 0 offen offset:8
	buffer_load_dword v97, v89, s[0:3], 0 offen offset:12
	buffer_load_dword v98, v89, s[0:3], 0 offen
	buffer_load_dword v99, v89, s[0:3], 0 offen offset:4
	ds_read_b128 v[92:95], v88
	v_add_nc_u32_e32 v90, 1, v90
	v_add_nc_u32_e32 v88, 16, v88
	;; [unrolled: 1-line block ×3, first 2 shown]
	v_cmp_lt_u32_e32 vcc_lo, 34, v90
	s_or_b32 s8, vcc_lo, s8
	s_waitcnt vmcnt(2) lgkmcnt(0)
	v_mul_f64 v[100:101], v[94:95], v[96:97]
	v_mul_f64 v[96:97], v[92:93], v[96:97]
	s_waitcnt vmcnt(0)
	v_fma_f64 v[92:93], v[92:93], v[98:99], -v[100:101]
	v_fma_f64 v[94:95], v[94:95], v[98:99], v[96:97]
	v_add_f64 v[1:2], v[1:2], v[92:93]
	v_add_f64 v[3:4], v[3:4], v[94:95]
	s_andn2_b32 exec_lo, exec_lo, s8
	s_cbranch_execnz .LBB39_596
; %bb.597:
	s_or_b32 exec_lo, exec_lo, s8
.LBB39_598:
	s_or_b32 exec_lo, exec_lo, s6
	v_mov_b32_e32 v88, 0
	ds_read_b128 v[92:95], v88 offset:576
	s_waitcnt lgkmcnt(0)
	v_mul_f64 v[88:89], v[3:4], v[94:95]
	v_mul_f64 v[94:95], v[1:2], v[94:95]
	v_fma_f64 v[1:2], v[1:2], v[92:93], -v[88:89]
	v_fma_f64 v[3:4], v[3:4], v[92:93], v[94:95]
	buffer_store_dword v2, off, s[0:3], 0 offset:580
	buffer_store_dword v1, off, s[0:3], 0 offset:576
	;; [unrolled: 1-line block ×4, first 2 shown]
.LBB39_599:
	s_or_b32 exec_lo, exec_lo, s4
	v_mov_b32_e32 v4, s10
	s_mov_b32 s4, exec_lo
	s_clause 0x3
	buffer_load_dword v1, v4, s[0:3], 0 offen
	buffer_load_dword v2, v4, s[0:3], 0 offen offset:4
	buffer_load_dword v3, v4, s[0:3], 0 offen offset:8
	;; [unrolled: 1-line block ×3, first 2 shown]
	s_waitcnt vmcnt(0)
	ds_write_b128 v86, v[1:4]
	s_waitcnt lgkmcnt(0)
	s_waitcnt_vscnt null, 0x0
	s_barrier
	buffer_gl0_inv
	v_cmpx_gt_u32_e32 37, v0
	s_cbranch_execz .LBB39_607
; %bb.600:
	ds_read_b128 v[1:4], v86
	v_cmp_ne_u32_e32 vcc_lo, 1, v87
	s_cbranch_vccnz .LBB39_602
; %bb.601:
	s_clause 0x3
	buffer_load_dword v88, v85, s[0:3], 0 offen offset:8
	buffer_load_dword v89, v85, s[0:3], 0 offen offset:12
	buffer_load_dword v92, v85, s[0:3], 0 offen
	buffer_load_dword v93, v85, s[0:3], 0 offen offset:4
	s_waitcnt vmcnt(2) lgkmcnt(0)
	v_mul_f64 v[94:95], v[3:4], v[88:89]
	v_mul_f64 v[88:89], v[1:2], v[88:89]
	s_waitcnt vmcnt(0)
	v_fma_f64 v[1:2], v[1:2], v[92:93], -v[94:95]
	v_fma_f64 v[3:4], v[3:4], v[92:93], v[88:89]
.LBB39_602:
	s_mov_b32 s6, exec_lo
	v_cmpx_ne_u32_e32 36, v0
	s_cbranch_execz .LBB39_606
; %bb.603:
	v_add_nc_u32_e32 v88, 0x290, v91
	v_add3_u32 v89, 0, v91, 16
	v_mov_b32_e32 v90, v0
	s_mov_b32 s8, 0
	.p2align	6
.LBB39_604:                             ; =>This Inner Loop Header: Depth=1
	s_clause 0x3
	buffer_load_dword v96, v89, s[0:3], 0 offen offset:8
	buffer_load_dword v97, v89, s[0:3], 0 offen offset:12
	buffer_load_dword v98, v89, s[0:3], 0 offen
	buffer_load_dword v99, v89, s[0:3], 0 offen offset:4
	ds_read_b128 v[92:95], v88
	v_add_nc_u32_e32 v90, 1, v90
	v_add_nc_u32_e32 v88, 16, v88
	;; [unrolled: 1-line block ×3, first 2 shown]
	v_cmp_lt_u32_e32 vcc_lo, 35, v90
	s_or_b32 s8, vcc_lo, s8
	s_waitcnt vmcnt(2) lgkmcnt(0)
	v_mul_f64 v[100:101], v[94:95], v[96:97]
	v_mul_f64 v[96:97], v[92:93], v[96:97]
	s_waitcnt vmcnt(0)
	v_fma_f64 v[92:93], v[92:93], v[98:99], -v[100:101]
	v_fma_f64 v[94:95], v[94:95], v[98:99], v[96:97]
	v_add_f64 v[1:2], v[1:2], v[92:93]
	v_add_f64 v[3:4], v[3:4], v[94:95]
	s_andn2_b32 exec_lo, exec_lo, s8
	s_cbranch_execnz .LBB39_604
; %bb.605:
	s_or_b32 exec_lo, exec_lo, s8
.LBB39_606:
	s_or_b32 exec_lo, exec_lo, s6
	v_mov_b32_e32 v88, 0
	ds_read_b128 v[92:95], v88 offset:592
	s_waitcnt lgkmcnt(0)
	v_mul_f64 v[88:89], v[3:4], v[94:95]
	v_mul_f64 v[94:95], v[1:2], v[94:95]
	v_fma_f64 v[1:2], v[1:2], v[92:93], -v[88:89]
	v_fma_f64 v[3:4], v[3:4], v[92:93], v[94:95]
	buffer_store_dword v2, off, s[0:3], 0 offset:596
	buffer_store_dword v1, off, s[0:3], 0 offset:592
	;; [unrolled: 1-line block ×4, first 2 shown]
.LBB39_607:
	s_or_b32 exec_lo, exec_lo, s4
	v_mov_b32_e32 v4, s9
	v_cmp_gt_u32_e64 s4, 38, v0
	s_clause 0x3
	buffer_load_dword v1, v4, s[0:3], 0 offen
	buffer_load_dword v2, v4, s[0:3], 0 offen offset:4
	buffer_load_dword v3, v4, s[0:3], 0 offen offset:8
	;; [unrolled: 1-line block ×3, first 2 shown]
	s_waitcnt vmcnt(0)
	ds_write_b128 v86, v[1:4]
	s_waitcnt lgkmcnt(0)
	s_waitcnt_vscnt null, 0x0
	s_barrier
	buffer_gl0_inv
	s_and_saveexec_b32 s6, s4
	s_cbranch_execz .LBB39_615
; %bb.608:
	ds_read_b128 v[1:4], v86
	v_cmp_ne_u32_e32 vcc_lo, 1, v87
	s_cbranch_vccnz .LBB39_610
; %bb.609:
	s_clause 0x3
	buffer_load_dword v88, v85, s[0:3], 0 offen offset:8
	buffer_load_dword v89, v85, s[0:3], 0 offen offset:12
	buffer_load_dword v92, v85, s[0:3], 0 offen
	buffer_load_dword v93, v85, s[0:3], 0 offen offset:4
	s_waitcnt vmcnt(2) lgkmcnt(0)
	v_mul_f64 v[94:95], v[3:4], v[88:89]
	v_mul_f64 v[88:89], v[1:2], v[88:89]
	s_waitcnt vmcnt(0)
	v_fma_f64 v[1:2], v[1:2], v[92:93], -v[94:95]
	v_fma_f64 v[3:4], v[3:4], v[92:93], v[88:89]
.LBB39_610:
	s_mov_b32 s8, exec_lo
	v_cmpx_ne_u32_e32 37, v0
	s_cbranch_execz .LBB39_614
; %bb.611:
	v_add_nc_u32_e32 v88, 0x290, v91
	v_add3_u32 v89, 0, v91, 16
	v_mov_b32_e32 v90, v0
	s_mov_b32 s48, 0
	.p2align	6
.LBB39_612:                             ; =>This Inner Loop Header: Depth=1
	s_clause 0x3
	buffer_load_dword v96, v89, s[0:3], 0 offen offset:8
	buffer_load_dword v97, v89, s[0:3], 0 offen offset:12
	buffer_load_dword v98, v89, s[0:3], 0 offen
	buffer_load_dword v99, v89, s[0:3], 0 offen offset:4
	ds_read_b128 v[92:95], v88
	v_add_nc_u32_e32 v90, 1, v90
	v_add_nc_u32_e32 v88, 16, v88
	;; [unrolled: 1-line block ×3, first 2 shown]
	v_cmp_lt_u32_e32 vcc_lo, 36, v90
	s_or_b32 s48, vcc_lo, s48
	s_waitcnt vmcnt(2) lgkmcnt(0)
	v_mul_f64 v[100:101], v[94:95], v[96:97]
	v_mul_f64 v[96:97], v[92:93], v[96:97]
	s_waitcnt vmcnt(0)
	v_fma_f64 v[92:93], v[92:93], v[98:99], -v[100:101]
	v_fma_f64 v[94:95], v[94:95], v[98:99], v[96:97]
	v_add_f64 v[1:2], v[1:2], v[92:93]
	v_add_f64 v[3:4], v[3:4], v[94:95]
	s_andn2_b32 exec_lo, exec_lo, s48
	s_cbranch_execnz .LBB39_612
; %bb.613:
	s_or_b32 exec_lo, exec_lo, s48
.LBB39_614:
	s_or_b32 exec_lo, exec_lo, s8
	v_mov_b32_e32 v88, 0
	ds_read_b128 v[92:95], v88 offset:608
	s_waitcnt lgkmcnt(0)
	v_mul_f64 v[88:89], v[3:4], v[94:95]
	v_mul_f64 v[94:95], v[1:2], v[94:95]
	v_fma_f64 v[1:2], v[1:2], v[92:93], -v[88:89]
	v_fma_f64 v[3:4], v[3:4], v[92:93], v[94:95]
	buffer_store_dword v2, off, s[0:3], 0 offset:612
	buffer_store_dword v1, off, s[0:3], 0 offset:608
	;; [unrolled: 1-line block ×4, first 2 shown]
.LBB39_615:
	s_or_b32 exec_lo, exec_lo, s6
	v_mov_b32_e32 v4, s7
	s_mov_b32 s6, exec_lo
                                        ; implicit-def: $sgpr49
	s_clause 0x3
	buffer_load_dword v1, v4, s[0:3], 0 offen
	buffer_load_dword v2, v4, s[0:3], 0 offen offset:4
	buffer_load_dword v3, v4, s[0:3], 0 offen offset:8
	;; [unrolled: 1-line block ×3, first 2 shown]
	s_waitcnt vmcnt(0)
	ds_write_b128 v86, v[1:4]
	s_waitcnt lgkmcnt(0)
	s_waitcnt_vscnt null, 0x0
	s_barrier
	buffer_gl0_inv
                                        ; implicit-def: $vgpr1_vgpr2
	v_cmpx_ne_u32_e32 39, v0
	s_cbranch_execz .LBB39_623
; %bb.616:
	ds_read_b128 v[1:4], v86
	v_cmp_ne_u32_e32 vcc_lo, 1, v87
	s_cbranch_vccnz .LBB39_618
; %bb.617:
	s_clause 0x3
	buffer_load_dword v86, v85, s[0:3], 0 offen offset:8
	buffer_load_dword v87, v85, s[0:3], 0 offen offset:12
	buffer_load_dword v88, v85, s[0:3], 0 offen
	buffer_load_dword v89, v85, s[0:3], 0 offen offset:4
	s_waitcnt vmcnt(2) lgkmcnt(0)
	v_mul_f64 v[92:93], v[3:4], v[86:87]
	v_mul_f64 v[85:86], v[1:2], v[86:87]
	s_waitcnt vmcnt(0)
	v_fma_f64 v[1:2], v[1:2], v[88:89], -v[92:93]
	v_fma_f64 v[3:4], v[3:4], v[88:89], v[85:86]
.LBB39_618:
	s_and_saveexec_b32 s8, s4
	s_cbranch_execz .LBB39_622
; %bb.619:
	v_add_nc_u32_e32 v85, 0x290, v91
	v_add3_u32 v86, 0, v91, 16
	s_mov_b32 s4, 0
	.p2align	6
.LBB39_620:                             ; =>This Inner Loop Header: Depth=1
	s_clause 0x3
	buffer_load_dword v91, v86, s[0:3], 0 offen offset:8
	buffer_load_dword v92, v86, s[0:3], 0 offen offset:12
	buffer_load_dword v93, v86, s[0:3], 0 offen
	buffer_load_dword v94, v86, s[0:3], 0 offen offset:4
	ds_read_b128 v[87:90], v85
	v_add_nc_u32_e32 v0, 1, v0
	v_add_nc_u32_e32 v85, 16, v85
	;; [unrolled: 1-line block ×3, first 2 shown]
	v_cmp_lt_u32_e32 vcc_lo, 37, v0
	s_or_b32 s4, vcc_lo, s4
	s_waitcnt vmcnt(2) lgkmcnt(0)
	v_mul_f64 v[95:96], v[89:90], v[91:92]
	v_mul_f64 v[91:92], v[87:88], v[91:92]
	s_waitcnt vmcnt(0)
	v_fma_f64 v[87:88], v[87:88], v[93:94], -v[95:96]
	v_fma_f64 v[89:90], v[89:90], v[93:94], v[91:92]
	v_add_f64 v[1:2], v[1:2], v[87:88]
	v_add_f64 v[3:4], v[3:4], v[89:90]
	s_andn2_b32 exec_lo, exec_lo, s4
	s_cbranch_execnz .LBB39_620
; %bb.621:
	s_or_b32 exec_lo, exec_lo, s4
.LBB39_622:
	s_or_b32 exec_lo, exec_lo, s8
	v_mov_b32_e32 v0, 0
	s_movk_i32 s49, 0x278
	s_or_b32 s5, s5, exec_lo
	ds_read_b128 v[85:88], v0 offset:624
	s_waitcnt lgkmcnt(0)
	v_mul_f64 v[89:90], v[3:4], v[87:88]
	v_mul_f64 v[87:88], v[1:2], v[87:88]
	v_fma_f64 v[89:90], v[1:2], v[85:86], -v[89:90]
	v_fma_f64 v[1:2], v[3:4], v[85:86], v[87:88]
	buffer_store_dword v90, off, s[0:3], 0 offset:628
	buffer_store_dword v89, off, s[0:3], 0 offset:624
.LBB39_623:
	s_or_b32 exec_lo, exec_lo, s6
.LBB39_624:
	s_and_saveexec_b32 s4, s5
	s_cbranch_execz .LBB39_626
; %bb.625:
	v_mov_b32_e32 v0, s49
	buffer_store_dword v2, v0, s[0:3], 0 offen offset:4
	buffer_store_dword v1, v0, s[0:3], 0 offen
.LBB39_626:
	s_or_b32 exec_lo, exec_lo, s4
	v_mov_b32_e32 v3, s47
	v_mov_b32_e32 v92, s44
	;; [unrolled: 1-line block ×6, first 2 shown]
	s_clause 0x1b
	buffer_load_dword v0, v3, s[0:3], 0 offen
	buffer_load_dword v1, v3, s[0:3], 0 offen offset:4
	buffer_load_dword v2, v3, s[0:3], 0 offen offset:8
	buffer_load_dword v3, v3, s[0:3], 0 offen offset:12
	buffer_load_dword v85, v88, s[0:3], 0 offen
	buffer_load_dword v86, v88, s[0:3], 0 offen offset:4
	buffer_load_dword v87, v88, s[0:3], 0 offen offset:8
	buffer_load_dword v88, v88, s[0:3], 0 offen offset:12
	;; [unrolled: 4-line block ×6, first 2 shown]
	buffer_load_dword v105, off, s[0:3], 0
	buffer_load_dword v106, off, s[0:3], 0 offset:4
	buffer_load_dword v107, off, s[0:3], 0 offset:8
	;; [unrolled: 1-line block ×3, first 2 shown]
	v_mov_b32_e32 v4, s41
	v_mov_b32_e32 v113, s19
	;; [unrolled: 1-line block ×12, first 2 shown]
	s_waitcnt vmcnt(0)
	global_store_dwordx4 v[53:54], v[105:108], off
	s_clause 0x3
	buffer_load_dword v105, v4, s[0:3], 0 offen
	buffer_load_dword v106, v4, s[0:3], 0 offen offset:4
	buffer_load_dword v107, v4, s[0:3], 0 offen offset:8
	;; [unrolled: 1-line block ×3, first 2 shown]
	v_mov_b32_e32 v4, s40
	global_store_dwordx4 v[43:44], v[101:104], off
	s_clause 0x3
	buffer_load_dword v101, v4, s[0:3], 0 offen
	buffer_load_dword v102, v4, s[0:3], 0 offen offset:4
	buffer_load_dword v103, v4, s[0:3], 0 offen offset:8
	;; [unrolled: 1-line block ×3, first 2 shown]
	v_mov_b32_e32 v4, s39
	s_clause 0x3
	buffer_load_dword v109, v4, s[0:3], 0 offen
	buffer_load_dword v110, v4, s[0:3], 0 offen offset:4
	buffer_load_dword v111, v4, s[0:3], 0 offen offset:8
	;; [unrolled: 1-line block ×3, first 2 shown]
	global_store_dwordx4 v[45:46], v[0:3], off
	v_mov_b32_e32 v3, s38
	v_mov_b32_e32 v4, s37
	;; [unrolled: 1-line block ×3, first 2 shown]
	s_clause 0x3
	buffer_load_dword v0, v3, s[0:3], 0 offen
	buffer_load_dword v1, v3, s[0:3], 0 offen offset:4
	buffer_load_dword v2, v3, s[0:3], 0 offen offset:8
	;; [unrolled: 1-line block ×3, first 2 shown]
	global_store_dwordx4 v[33:34], v[85:88], off
	s_clause 0x3
	buffer_load_dword v43, v4, s[0:3], 0 offen
	buffer_load_dword v44, v4, s[0:3], 0 offen offset:4
	buffer_load_dword v45, v4, s[0:3], 0 offen offset:8
	;; [unrolled: 1-line block ×3, first 2 shown]
	v_mov_b32_e32 v4, s35
	global_store_dwordx4 v[63:64], v[89:92], off
	s_clause 0x7
	buffer_load_dword v85, v53, s[0:3], 0 offen
	buffer_load_dword v86, v53, s[0:3], 0 offen offset:4
	buffer_load_dword v87, v53, s[0:3], 0 offen offset:8
	;; [unrolled: 1-line block ×3, first 2 shown]
	buffer_load_dword v89, v4, s[0:3], 0 offen
	buffer_load_dword v90, v4, s[0:3], 0 offen offset:4
	buffer_load_dword v91, v4, s[0:3], 0 offen offset:8
	;; [unrolled: 1-line block ×3, first 2 shown]
	v_mov_b32_e32 v4, s34
	v_mov_b32_e32 v33, s33
	global_store_dwordx4 v[55:56], v[93:96], off
	s_clause 0x7
	buffer_load_dword v53, v4, s[0:3], 0 offen
	buffer_load_dword v54, v4, s[0:3], 0 offen offset:4
	buffer_load_dword v55, v4, s[0:3], 0 offen offset:8
	;; [unrolled: 1-line block ×3, first 2 shown]
	buffer_load_dword v93, v33, s[0:3], 0 offen
	buffer_load_dword v94, v33, s[0:3], 0 offen offset:4
	buffer_load_dword v95, v33, s[0:3], 0 offen offset:8
	;; [unrolled: 1-line block ×3, first 2 shown]
	v_mov_b32_e32 v4, s31
	global_store_dwordx4 v[61:62], v[97:100], off
	s_clause 0x3
	buffer_load_dword v61, v4, s[0:3], 0 offen
	buffer_load_dword v62, v4, s[0:3], 0 offen offset:4
	buffer_load_dword v63, v4, s[0:3], 0 offen offset:8
	;; [unrolled: 1-line block ×3, first 2 shown]
	v_mov_b32_e32 v4, s30
	v_mov_b32_e32 v33, s29
	s_waitcnt vmcnt(36)
	global_store_dwordx4 v[39:40], v[105:108], off
	s_clause 0x7
	buffer_load_dword v97, v4, s[0:3], 0 offen
	buffer_load_dword v98, v4, s[0:3], 0 offen offset:4
	buffer_load_dword v99, v4, s[0:3], 0 offen offset:8
	buffer_load_dword v100, v4, s[0:3], 0 offen offset:12
	buffer_load_dword v105, v33, s[0:3], 0 offen
	buffer_load_dword v106, v33, s[0:3], 0 offen offset:4
	buffer_load_dword v107, v33, s[0:3], 0 offen offset:8
	;; [unrolled: 1-line block ×3, first 2 shown]
	v_mov_b32_e32 v4, s28
	s_waitcnt vmcnt(40)
	global_store_dwordx4 v[41:42], v[101:104], off
	s_clause 0x3
	buffer_load_dword v39, v4, s[0:3], 0 offen
	buffer_load_dword v40, v4, s[0:3], 0 offen offset:4
	buffer_load_dword v41, v4, s[0:3], 0 offen offset:8
	;; [unrolled: 1-line block ×3, first 2 shown]
	v_mov_b32_e32 v4, s27
	s_waitcnt vmcnt(40)
	global_store_dwordx4 v[57:58], v[109:112], off
	s_clause 0x3
	buffer_load_dword v101, v4, s[0:3], 0 offen
	buffer_load_dword v102, v4, s[0:3], 0 offen offset:4
	buffer_load_dword v103, v4, s[0:3], 0 offen offset:8
	;; [unrolled: 1-line block ×3, first 2 shown]
	v_mov_b32_e32 v4, s26
	s_clause 0x3
	buffer_load_dword v109, v4, s[0:3], 0 offen
	buffer_load_dword v110, v4, s[0:3], 0 offen offset:4
	buffer_load_dword v111, v4, s[0:3], 0 offen offset:8
	;; [unrolled: 1-line block ×3, first 2 shown]
	s_waitcnt vmcnt(44)
	global_store_dwordx4 v[51:52], v[0:3], off
	v_mov_b32_e32 v3, s25
	v_mov_b32_e32 v51, s23
	;; [unrolled: 1-line block ×4, first 2 shown]
	s_waitcnt vmcnt(40)
	global_store_dwordx4 v[35:36], v[43:46], off
	s_waitcnt vmcnt(36)
	global_store_dwordx4 v[19:20], v[85:88], off
	;; [unrolled: 2-line block ×3, first 2 shown]
	v_mov_b32_e32 v52, s22
	s_clause 0x7
	buffer_load_dword v0, v3, s[0:3], 0 offen
	buffer_load_dword v1, v3, s[0:3], 0 offen offset:4
	buffer_load_dword v2, v3, s[0:3], 0 offen offset:8
	;; [unrolled: 1-line block ×3, first 2 shown]
	buffer_load_dword v33, v4, s[0:3], 0 offen
	buffer_load_dword v34, v4, s[0:3], 0 offen offset:4
	buffer_load_dword v35, v4, s[0:3], 0 offen offset:8
	;; [unrolled: 1-line block ×3, first 2 shown]
	s_waitcnt vmcnt(36)
	global_store_dwordx4 v[9:10], v[53:56], off
	v_mov_b32_e32 v58, s20
	s_clause 0x7
	buffer_load_dword v7, v51, s[0:3], 0 offen
	buffer_load_dword v8, v51, s[0:3], 0 offen offset:4
	buffer_load_dword v9, v51, s[0:3], 0 offen offset:8
	;; [unrolled: 1-line block ×3, first 2 shown]
	buffer_load_dword v43, v52, s[0:3], 0 offen
	buffer_load_dword v44, v52, s[0:3], 0 offen offset:4
	buffer_load_dword v45, v52, s[0:3], 0 offen offset:8
	;; [unrolled: 1-line block ×3, first 2 shown]
	s_waitcnt vmcnt(40)
	global_store_dwordx4 v[11:12], v[93:96], off
	s_clause 0x7
	buffer_load_dword v51, v57, s[0:3], 0 offen
	buffer_load_dword v52, v57, s[0:3], 0 offen offset:4
	buffer_load_dword v53, v57, s[0:3], 0 offen offset:8
	;; [unrolled: 1-line block ×3, first 2 shown]
	buffer_load_dword v55, v58, s[0:3], 0 offen
	buffer_load_dword v56, v58, s[0:3], 0 offen offset:4
	buffer_load_dword v57, v58, s[0:3], 0 offen offset:8
	;; [unrolled: 1-line block ×3, first 2 shown]
	v_mov_b32_e32 v4, s7
	s_waitcnt vmcnt(44)
	global_store_dwordx4 v[17:18], v[61:64], off
	s_clause 0x7
	buffer_load_dword v17, v113, s[0:3], 0 offen
	buffer_load_dword v18, v113, s[0:3], 0 offen offset:4
	buffer_load_dword v19, v113, s[0:3], 0 offen offset:8
	buffer_load_dword v20, v113, s[0:3], 0 offen offset:12
	buffer_load_dword v61, v114, s[0:3], 0 offen
	buffer_load_dword v62, v114, s[0:3], 0 offen offset:4
	buffer_load_dword v63, v114, s[0:3], 0 offen offset:8
	buffer_load_dword v64, v114, s[0:3], 0 offen offset:12
	s_waitcnt vmcnt(48)
	global_store_dwordx4 v[13:14], v[97:100], off
	s_clause 0x7
	buffer_load_dword v11, v115, s[0:3], 0 offen
	buffer_load_dword v12, v115, s[0:3], 0 offen offset:4
	buffer_load_dword v13, v115, s[0:3], 0 offen offset:8
	buffer_load_dword v14, v115, s[0:3], 0 offen offset:12
	buffer_load_dword v85, v116, s[0:3], 0 offen
	buffer_load_dword v86, v116, s[0:3], 0 offen offset:4
	buffer_load_dword v87, v116, s[0:3], 0 offen offset:8
	buffer_load_dword v88, v116, s[0:3], 0 offen offset:12
	s_waitcnt vmcnt(52)
	global_store_dwordx4 v[15:16], v[105:108], off
	s_clause 0x7
	buffer_load_dword v89, v117, s[0:3], 0 offen
	buffer_load_dword v90, v117, s[0:3], 0 offen offset:4
	buffer_load_dword v91, v117, s[0:3], 0 offen offset:8
	buffer_load_dword v92, v117, s[0:3], 0 offen offset:12
	buffer_load_dword v93, v118, s[0:3], 0 offen
	buffer_load_dword v94, v118, s[0:3], 0 offen offset:4
	buffer_load_dword v95, v118, s[0:3], 0 offen offset:8
	buffer_load_dword v96, v118, s[0:3], 0 offen offset:12
	s_waitcnt vmcnt(56)
	global_store_dwordx4 v[21:22], v[39:42], off
	s_clause 0x7
	buffer_load_dword v39, v119, s[0:3], 0 offen
	buffer_load_dword v40, v119, s[0:3], 0 offen offset:4
	buffer_load_dword v41, v119, s[0:3], 0 offen offset:8
	buffer_load_dword v42, v119, s[0:3], 0 offen offset:12
	buffer_load_dword v97, v120, s[0:3], 0 offen
	buffer_load_dword v98, v120, s[0:3], 0 offen offset:4
	buffer_load_dword v99, v120, s[0:3], 0 offen offset:8
	buffer_load_dword v100, v120, s[0:3], 0 offen offset:12
	s_waitcnt vmcnt(60)
	global_store_dwordx4 v[23:24], v[101:104], off
	s_clause 0x7
	buffer_load_dword v21, v121, s[0:3], 0 offen
	buffer_load_dword v22, v121, s[0:3], 0 offen offset:4
	buffer_load_dword v23, v121, s[0:3], 0 offen offset:8
	buffer_load_dword v24, v121, s[0:3], 0 offen offset:12
	buffer_load_dword v101, v122, s[0:3], 0 offen
	buffer_load_dword v102, v122, s[0:3], 0 offen offset:4
	buffer_load_dword v103, v122, s[0:3], 0 offen offset:8
	buffer_load_dword v104, v122, s[0:3], 0 offen offset:12
	s_waitcnt vmcnt(62)
	global_store_dwordx4 v[27:28], v[109:112], off
	s_clause 0x7
	buffer_load_dword v105, v123, s[0:3], 0 offen
	buffer_load_dword v106, v123, s[0:3], 0 offen offset:4
	buffer_load_dword v107, v123, s[0:3], 0 offen offset:8
	buffer_load_dword v108, v123, s[0:3], 0 offen offset:12
	buffer_load_dword v109, v4, s[0:3], 0 offen
	buffer_load_dword v110, v4, s[0:3], 0 offen offset:4
	buffer_load_dword v111, v4, s[0:3], 0 offen offset:8
	buffer_load_dword v112, v4, s[0:3], 0 offen offset:12
	s_waitcnt vmcnt(62)
	global_store_dwordx4 v[25:26], v[0:3], off
	global_store_dwordx4 v[29:30], v[33:36], off
	s_waitcnt vmcnt(60)
	global_store_dwordx4 v[31:32], v[7:10], off
	s_waitcnt vmcnt(56)
	global_store_dwordx4 v[37:38], v[43:46], off
	s_waitcnt vmcnt(52)
	global_store_dwordx4 v[47:48], v[51:54], off
	s_waitcnt vmcnt(48)
	global_store_dwordx4 v[49:50], v[55:58], off
	s_waitcnt vmcnt(44)
	global_store_dwordx4 v[59:60], v[17:20], off
	s_waitcnt vmcnt(40)
	global_store_dwordx4 v[65:66], v[61:64], off
	s_waitcnt vmcnt(36)
	global_store_dwordx4 v[67:68], v[11:14], off
	s_waitcnt vmcnt(32)
	global_store_dwordx4 v[69:70], v[85:88], off
	s_waitcnt vmcnt(28)
	global_store_dwordx4 v[71:72], v[89:92], off
	s_waitcnt vmcnt(24)
	global_store_dwordx4 v[73:74], v[93:96], off
	s_waitcnt vmcnt(20)
	global_store_dwordx4 v[75:76], v[39:42], off
	s_waitcnt vmcnt(16)
	global_store_dwordx4 v[77:78], v[97:100], off
	s_waitcnt vmcnt(12)
	global_store_dwordx4 v[79:80], v[21:24], off
	s_waitcnt vmcnt(8)
	global_store_dwordx4 v[81:82], v[101:104], off
	s_waitcnt vmcnt(4)
	global_store_dwordx4 v[83:84], v[105:108], off
	s_waitcnt vmcnt(0)
	global_store_dwordx4 v[5:6], v[109:112], off
.LBB39_627:
	s_endpgm
	.section	.rodata,"a",@progbits
	.p2align	6, 0x0
	.amdhsa_kernel _ZN9rocsolver6v33100L18trti2_kernel_smallILi40E19rocblas_complex_numIdEPS3_EEv13rocblas_fill_17rocblas_diagonal_T1_iil
		.amdhsa_group_segment_fixed_size 1280
		.amdhsa_private_segment_fixed_size 656
		.amdhsa_kernarg_size 32
		.amdhsa_user_sgpr_count 6
		.amdhsa_user_sgpr_private_segment_buffer 1
		.amdhsa_user_sgpr_dispatch_ptr 0
		.amdhsa_user_sgpr_queue_ptr 0
		.amdhsa_user_sgpr_kernarg_segment_ptr 1
		.amdhsa_user_sgpr_dispatch_id 0
		.amdhsa_user_sgpr_flat_scratch_init 0
		.amdhsa_user_sgpr_private_segment_size 0
		.amdhsa_wavefront_size32 1
		.amdhsa_uses_dynamic_stack 0
		.amdhsa_system_sgpr_private_segment_wavefront_offset 1
		.amdhsa_system_sgpr_workgroup_id_x 1
		.amdhsa_system_sgpr_workgroup_id_y 0
		.amdhsa_system_sgpr_workgroup_id_z 0
		.amdhsa_system_sgpr_workgroup_info 0
		.amdhsa_system_vgpr_workitem_id 0
		.amdhsa_next_free_vgpr 124
		.amdhsa_next_free_sgpr 65
		.amdhsa_reserve_vcc 1
		.amdhsa_reserve_flat_scratch 0
		.amdhsa_float_round_mode_32 0
		.amdhsa_float_round_mode_16_64 0
		.amdhsa_float_denorm_mode_32 3
		.amdhsa_float_denorm_mode_16_64 3
		.amdhsa_dx10_clamp 1
		.amdhsa_ieee_mode 1
		.amdhsa_fp16_overflow 0
		.amdhsa_workgroup_processor_mode 1
		.amdhsa_memory_ordered 1
		.amdhsa_forward_progress 1
		.amdhsa_shared_vgpr_count 0
		.amdhsa_exception_fp_ieee_invalid_op 0
		.amdhsa_exception_fp_denorm_src 0
		.amdhsa_exception_fp_ieee_div_zero 0
		.amdhsa_exception_fp_ieee_overflow 0
		.amdhsa_exception_fp_ieee_underflow 0
		.amdhsa_exception_fp_ieee_inexact 0
		.amdhsa_exception_int_div_zero 0
	.end_amdhsa_kernel
	.section	.text._ZN9rocsolver6v33100L18trti2_kernel_smallILi40E19rocblas_complex_numIdEPS3_EEv13rocblas_fill_17rocblas_diagonal_T1_iil,"axG",@progbits,_ZN9rocsolver6v33100L18trti2_kernel_smallILi40E19rocblas_complex_numIdEPS3_EEv13rocblas_fill_17rocblas_diagonal_T1_iil,comdat
.Lfunc_end39:
	.size	_ZN9rocsolver6v33100L18trti2_kernel_smallILi40E19rocblas_complex_numIdEPS3_EEv13rocblas_fill_17rocblas_diagonal_T1_iil, .Lfunc_end39-_ZN9rocsolver6v33100L18trti2_kernel_smallILi40E19rocblas_complex_numIdEPS3_EEv13rocblas_fill_17rocblas_diagonal_T1_iil
                                        ; -- End function
	.set _ZN9rocsolver6v33100L18trti2_kernel_smallILi40E19rocblas_complex_numIdEPS3_EEv13rocblas_fill_17rocblas_diagonal_T1_iil.num_vgpr, 124
	.set _ZN9rocsolver6v33100L18trti2_kernel_smallILi40E19rocblas_complex_numIdEPS3_EEv13rocblas_fill_17rocblas_diagonal_T1_iil.num_agpr, 0
	.set _ZN9rocsolver6v33100L18trti2_kernel_smallILi40E19rocblas_complex_numIdEPS3_EEv13rocblas_fill_17rocblas_diagonal_T1_iil.numbered_sgpr, 65
	.set _ZN9rocsolver6v33100L18trti2_kernel_smallILi40E19rocblas_complex_numIdEPS3_EEv13rocblas_fill_17rocblas_diagonal_T1_iil.num_named_barrier, 0
	.set _ZN9rocsolver6v33100L18trti2_kernel_smallILi40E19rocblas_complex_numIdEPS3_EEv13rocblas_fill_17rocblas_diagonal_T1_iil.private_seg_size, 656
	.set _ZN9rocsolver6v33100L18trti2_kernel_smallILi40E19rocblas_complex_numIdEPS3_EEv13rocblas_fill_17rocblas_diagonal_T1_iil.uses_vcc, 1
	.set _ZN9rocsolver6v33100L18trti2_kernel_smallILi40E19rocblas_complex_numIdEPS3_EEv13rocblas_fill_17rocblas_diagonal_T1_iil.uses_flat_scratch, 0
	.set _ZN9rocsolver6v33100L18trti2_kernel_smallILi40E19rocblas_complex_numIdEPS3_EEv13rocblas_fill_17rocblas_diagonal_T1_iil.has_dyn_sized_stack, 0
	.set _ZN9rocsolver6v33100L18trti2_kernel_smallILi40E19rocblas_complex_numIdEPS3_EEv13rocblas_fill_17rocblas_diagonal_T1_iil.has_recursion, 0
	.set _ZN9rocsolver6v33100L18trti2_kernel_smallILi40E19rocblas_complex_numIdEPS3_EEv13rocblas_fill_17rocblas_diagonal_T1_iil.has_indirect_call, 0
	.section	.AMDGPU.csdata,"",@progbits
; Kernel info:
; codeLenInByte = 40496
; TotalNumSgprs: 67
; NumVgprs: 124
; ScratchSize: 656
; MemoryBound: 0
; FloatMode: 240
; IeeeMode: 1
; LDSByteSize: 1280 bytes/workgroup (compile time only)
; SGPRBlocks: 0
; VGPRBlocks: 15
; NumSGPRsForWavesPerEU: 67
; NumVGPRsForWavesPerEU: 124
; Occupancy: 8
; WaveLimiterHint : 0
; COMPUTE_PGM_RSRC2:SCRATCH_EN: 1
; COMPUTE_PGM_RSRC2:USER_SGPR: 6
; COMPUTE_PGM_RSRC2:TRAP_HANDLER: 0
; COMPUTE_PGM_RSRC2:TGID_X_EN: 1
; COMPUTE_PGM_RSRC2:TGID_Y_EN: 0
; COMPUTE_PGM_RSRC2:TGID_Z_EN: 0
; COMPUTE_PGM_RSRC2:TIDIG_COMP_CNT: 0
	.section	.text._ZN9rocsolver6v33100L18trti2_kernel_smallILi41E19rocblas_complex_numIdEPS3_EEv13rocblas_fill_17rocblas_diagonal_T1_iil,"axG",@progbits,_ZN9rocsolver6v33100L18trti2_kernel_smallILi41E19rocblas_complex_numIdEPS3_EEv13rocblas_fill_17rocblas_diagonal_T1_iil,comdat
	.globl	_ZN9rocsolver6v33100L18trti2_kernel_smallILi41E19rocblas_complex_numIdEPS3_EEv13rocblas_fill_17rocblas_diagonal_T1_iil ; -- Begin function _ZN9rocsolver6v33100L18trti2_kernel_smallILi41E19rocblas_complex_numIdEPS3_EEv13rocblas_fill_17rocblas_diagonal_T1_iil
	.p2align	8
	.type	_ZN9rocsolver6v33100L18trti2_kernel_smallILi41E19rocblas_complex_numIdEPS3_EEv13rocblas_fill_17rocblas_diagonal_T1_iil,@function
_ZN9rocsolver6v33100L18trti2_kernel_smallILi41E19rocblas_complex_numIdEPS3_EEv13rocblas_fill_17rocblas_diagonal_T1_iil: ; @_ZN9rocsolver6v33100L18trti2_kernel_smallILi41E19rocblas_complex_numIdEPS3_EEv13rocblas_fill_17rocblas_diagonal_T1_iil
; %bb.0:
	s_add_u32 s0, s0, s7
	s_addc_u32 s1, s1, 0
	s_mov_b32 s7, exec_lo
	v_cmpx_gt_u32_e32 41, v0
	s_cbranch_execz .LBB40_643
; %bb.1:
	s_load_dwordx8 s[8:15], s[4:5], 0x0
	s_ashr_i32 s4, s6, 31
	v_lshlrev_b32_e32 v103, 4, v0
	s_movk_i32 s17, 0x100
	s_movk_i32 s18, 0x110
	s_movk_i32 s19, 0x120
	s_movk_i32 s20, 0x130
	s_movk_i32 s21, 0x140
	s_movk_i32 s22, 0x150
	s_movk_i32 s23, 0x160
	s_movk_i32 s24, 0x170
	s_movk_i32 s49, 0x180
	s_movk_i32 s50, 0x190
	s_movk_i32 s51, 0x1a0
	s_movk_i32 s52, 0x1b0
	s_movk_i32 s53, 0x1c0
	s_movk_i32 s54, 0x1d0
	s_movk_i32 s55, 0x1e0
	s_movk_i32 s56, 0x1f0
	s_movk_i32 s57, 0x200
	s_waitcnt lgkmcnt(0)
	s_mul_hi_u32 s5, s14, s6
	s_mul_i32 s16, s14, s4
	s_mul_i32 s15, s15, s6
	v_add3_u32 v1, s13, s13, v0
	s_add_i32 s5, s5, s16
	s_mul_i32 s4, s14, s6
	s_add_i32 s5, s5, s15
	s_ashr_i32 s7, s12, 31
	s_lshl_b64 s[4:5], s[4:5], 4
	s_mov_b32 s6, s12
	v_add_nc_u32_e32 v5, s13, v1
	s_add_u32 s10, s10, s4
	s_addc_u32 s11, s11, s5
	s_lshl_b64 s[4:5], s[6:7], 4
	v_ashrrev_i32_e32 v2, 31, v1
	s_add_u32 s4, s10, s4
	v_add_nc_u32_e32 v27, s13, v5
	s_addc_u32 s5, s11, s5
	v_add_co_u32 v23, s6, s4, v103
	s_mov_b32 s14, s13
	s_ashr_i32 s15, s13, 31
	v_ashrrev_i32_e32 v6, 31, v5
	v_add_co_ci_u32_e64 v24, null, s5, 0, s6
	v_lshlrev_b64 v[7:8], 4, v[1:2]
	s_lshl_b64 s[6:7], s[14:15], 4
	v_ashrrev_i32_e32 v28, 31, v27
	v_add_co_u32 v25, vcc_lo, v23, s6
	v_lshlrev_b64 v[9:10], 4, v[5:6]
	v_add_co_ci_u32_e64 v26, null, s7, v24, vcc_lo
	global_load_dwordx4 v[1:4], v103, s[4:5]
	v_add_co_u32 v21, vcc_lo, s4, v7
	v_lshlrev_b64 v[13:14], 4, v[27:28]
	v_add_co_ci_u32_e64 v22, null, s5, v8, vcc_lo
	global_load_dwordx4 v[5:8], v[25:26], off
	v_add_co_u32 v81, vcc_lo, s4, v9
	v_add_co_ci_u32_e64 v82, null, s5, v10, vcc_lo
	v_add_co_u32 v75, vcc_lo, s4, v13
	global_load_dwordx4 v[9:12], v[21:22], off
	v_add_co_ci_u32_e64 v76, null, s5, v14, vcc_lo
	s_clause 0x1
	global_load_dwordx4 v[13:16], v[81:82], off
	global_load_dwordx4 v[17:20], v[75:76], off
	v_add_nc_u32_e32 v27, s13, v27
	s_cmpk_lg_i32 s9, 0x84
	s_movk_i32 s6, 0x70
	s_movk_i32 s7, 0x80
	;; [unrolled: 1-line block ×3, first 2 shown]
	v_add_nc_u32_e32 v29, s13, v27
	v_ashrrev_i32_e32 v28, 31, v27
	s_movk_i32 s11, 0xa0
	s_movk_i32 s12, 0xb0
	;; [unrolled: 1-line block ×3, first 2 shown]
	v_add_nc_u32_e32 v31, s13, v29
	v_ashrrev_i32_e32 v30, 31, v29
	v_lshlrev_b64 v[27:28], 4, v[27:28]
	s_movk_i32 s15, 0xe0
	s_movk_i32 s16, 0xf0
	v_ashrrev_i32_e32 v32, 31, v31
	v_add_nc_u32_e32 v33, s13, v31
	v_lshlrev_b64 v[29:30], 4, v[29:30]
	v_add_co_u32 v77, vcc_lo, s4, v27
	v_add_co_ci_u32_e64 v78, null, s5, v28, vcc_lo
	v_lshlrev_b64 v[27:28], 4, v[31:32]
	v_ashrrev_i32_e32 v34, 31, v33
	v_add_nc_u32_e32 v31, s13, v33
	v_add_co_u32 v71, vcc_lo, s4, v29
	v_add_co_ci_u32_e64 v72, null, s5, v30, vcc_lo
	v_lshlrev_b64 v[29:30], 4, v[33:34]
	v_ashrrev_i32_e32 v32, 31, v31
	v_add_nc_u32_e32 v33, s13, v31
	;; [unrolled: 5-line block ×10, first 2 shown]
	v_add_co_u32 v39, vcc_lo, s4, v27
	v_add_co_ci_u32_e64 v40, null, s5, v28, vcc_lo
	v_lshlrev_b64 v[27:28], 4, v[31:32]
	v_add_nc_u32_e32 v31, s13, v33
	v_ashrrev_i32_e32 v34, 31, v33
	v_add_co_u32 v35, vcc_lo, s4, v29
	v_add_co_ci_u32_e64 v36, null, s5, v30, vcc_lo
	v_add_nc_u32_e32 v43, s13, v31
	v_ashrrev_i32_e32 v32, 31, v31
	v_lshlrev_b64 v[29:30], 4, v[33:34]
	v_add_co_u32 v33, vcc_lo, s4, v27
	v_add_nc_u32_e32 v45, s13, v43
	v_ashrrev_i32_e32 v44, 31, v43
	v_add_co_ci_u32_e64 v34, null, s5, v28, vcc_lo
	v_lshlrev_b64 v[27:28], 4, v[31:32]
	v_add_nc_u32_e32 v47, s13, v45
	v_ashrrev_i32_e32 v46, 31, v45
	v_lshlrev_b64 v[43:44], 4, v[43:44]
	v_add_co_u32 v31, vcc_lo, s4, v29
	v_add_nc_u32_e32 v51, s13, v47
	v_ashrrev_i32_e32 v48, 31, v47
	v_lshlrev_b64 v[45:46], 4, v[45:46]
	v_add_co_ci_u32_e64 v32, null, s5, v30, vcc_lo
	v_add_nc_u32_e32 v53, s13, v51
	v_ashrrev_i32_e32 v52, 31, v51
	v_add_co_u32 v29, vcc_lo, s4, v27
	v_lshlrev_b64 v[47:48], 4, v[47:48]
	v_add_nc_u32_e32 v57, s13, v53
	v_ashrrev_i32_e32 v54, 31, v53
	v_add_co_ci_u32_e64 v30, null, s5, v28, vcc_lo
	v_add_co_u32 v27, vcc_lo, s4, v43
	v_add_nc_u32_e32 v61, s13, v57
	v_ashrrev_i32_e32 v58, 31, v57
	v_lshlrev_b64 v[51:52], 4, v[51:52]
	v_add_co_ci_u32_e64 v28, null, s5, v44, vcc_lo
	v_add_nc_u32_e32 v67, s13, v61
	v_ashrrev_i32_e32 v62, 31, v61
	v_add_co_u32 v43, vcc_lo, s4, v45
	v_lshlrev_b64 v[53:54], 4, v[53:54]
	v_add_nc_u32_e32 v73, s13, v67
	v_ashrrev_i32_e32 v68, 31, v67
	v_add_co_ci_u32_e64 v44, null, s5, v46, vcc_lo
	v_add_co_u32 v45, vcc_lo, s4, v47
	v_add_nc_u32_e32 v79, s13, v73
	v_lshlrev_b64 v[57:58], 4, v[57:58]
	v_ashrrev_i32_e32 v74, 31, v73
	v_add_co_ci_u32_e64 v46, null, s5, v48, vcc_lo
	v_add_nc_u32_e32 v83, s13, v79
	v_add_co_u32 v47, vcc_lo, s4, v51
	v_lshlrev_b64 v[61:62], 4, v[61:62]
	v_ashrrev_i32_e32 v80, 31, v79
	v_add_nc_u32_e32 v85, s13, v83
	v_add_co_ci_u32_e64 v48, null, s5, v52, vcc_lo
	v_add_co_u32 v51, vcc_lo, s4, v53
	v_add_nc_u32_e32 v87, s13, v85
	v_lshlrev_b64 v[67:68], 4, v[67:68]
	v_ashrrev_i32_e32 v84, 31, v83
	v_add_co_ci_u32_e64 v52, null, s5, v54, vcc_lo
	v_add_nc_u32_e32 v89, s13, v87
	v_add_co_u32 v53, vcc_lo, s4, v57
	v_lshlrev_b64 v[73:74], 4, v[73:74]
	v_ashrrev_i32_e32 v86, 31, v85
	v_add_nc_u32_e32 v91, s13, v89
	;; [unrolled: 11-line block ×3, first 2 shown]
	v_add_co_ci_u32_e64 v62, null, s5, v68, vcc_lo
	v_add_co_u32 v67, vcc_lo, s4, v73
	v_lshlrev_b64 v[85:86], 4, v[85:86]
	v_ashrrev_i32_e32 v92, 31, v91
	v_add_co_ci_u32_e64 v68, null, s5, v74, vcc_lo
	v_add_co_u32 v73, vcc_lo, s4, v79
	v_lshlrev_b64 v[87:88], 4, v[87:88]
	v_add_nc_u32_e32 v99, s13, v97
	v_ashrrev_i32_e32 v94, 31, v93
	v_add_co_ci_u32_e64 v74, null, s5, v80, vcc_lo
	v_add_co_u32 v79, vcc_lo, s4, v83
	v_lshlrev_b64 v[89:90], 4, v[89:90]
	v_ashrrev_i32_e32 v96, 31, v95
	v_add_co_ci_u32_e64 v80, null, s5, v84, vcc_lo
	v_add_co_u32 v83, vcc_lo, s4, v85
	v_lshlrev_b64 v[91:92], 4, v[91:92]
	v_ashrrev_i32_e32 v98, 31, v97
	v_add_nc_u32_e32 v101, s13, v99
	v_add_co_ci_u32_e64 v84, null, s5, v86, vcc_lo
	v_add_co_u32 v85, vcc_lo, s4, v87
	v_lshlrev_b64 v[93:94], 4, v[93:94]
	v_ashrrev_i32_e32 v100, 31, v99
	v_add_co_ci_u32_e64 v86, null, s5, v88, vcc_lo
	v_add_co_u32 v87, vcc_lo, s4, v89
	v_lshlrev_b64 v[95:96], 4, v[95:96]
	v_add_co_ci_u32_e64 v88, null, s5, v90, vcc_lo
	v_add_co_u32 v89, vcc_lo, s4, v91
	v_lshlrev_b64 v[97:98], 4, v[97:98]
	v_add_nc_u32_e32 v104, s13, v101
	v_add_co_ci_u32_e64 v90, null, s5, v92, vcc_lo
	v_add_co_u32 v91, vcc_lo, s4, v93
	v_lshlrev_b64 v[99:100], 4, v[99:100]
	v_add_co_ci_u32_e64 v92, null, s5, v94, vcc_lo
	v_add_co_u32 v93, vcc_lo, s4, v95
	v_ashrrev_i32_e32 v105, 31, v104
	v_add_co_ci_u32_e64 v94, null, s5, v96, vcc_lo
	v_add_co_u32 v95, vcc_lo, s4, v97
	v_add_co_ci_u32_e64 v96, null, s5, v98, vcc_lo
	v_add_co_u32 v97, vcc_lo, s4, v99
	v_add_co_ci_u32_e64 v98, null, s5, v100, vcc_lo
	v_lshlrev_b64 v[99:100], 4, v[104:105]
	global_load_dwordx4 v[104:107], v[77:78], off
	v_ashrrev_i32_e32 v102, 31, v101
	s_movk_i32 s13, 0xc0
	s_movk_i32 s58, 0x210
	;; [unrolled: 1-line block ×4, first 2 shown]
	v_lshlrev_b64 v[101:102], 4, v[101:102]
	s_movk_i32 s61, 0x240
	s_movk_i32 s62, 0x250
	;; [unrolled: 1-line block ×5, first 2 shown]
	v_add_co_u32 v101, vcc_lo, s4, v101
	v_add_co_ci_u32_e64 v102, null, s5, v102, vcc_lo
	v_add_co_u32 v99, vcc_lo, s4, v99
	v_add_co_ci_u32_e64 v100, null, s5, v100, vcc_lo
	s_movk_i32 s4, 0x50
	s_movk_i32 s5, 0x60
	s_cselect_b32 s48, -1, 0
	s_cmpk_eq_i32 s9, 0x84
	s_waitcnt vmcnt(5)
	buffer_store_dword v4, off, s[0:3], 0 offset:12
	buffer_store_dword v3, off, s[0:3], 0 offset:8
	;; [unrolled: 1-line block ×3, first 2 shown]
	buffer_store_dword v1, off, s[0:3], 0
	global_load_dwordx4 v[1:4], v[71:72], off
	s_waitcnt vmcnt(5)
	buffer_store_dword v8, off, s[0:3], 0 offset:28
	buffer_store_dword v7, off, s[0:3], 0 offset:24
	buffer_store_dword v6, off, s[0:3], 0 offset:20
	buffer_store_dword v5, off, s[0:3], 0 offset:16
	global_load_dwordx4 v[5:8], v[69:70], off
	s_waitcnt vmcnt(5)
	buffer_store_dword v12, off, s[0:3], 0 offset:44
	buffer_store_dword v11, off, s[0:3], 0 offset:40
	buffer_store_dword v10, off, s[0:3], 0 offset:36
	buffer_store_dword v9, off, s[0:3], 0 offset:32
	;; [unrolled: 6-line block ×29, first 2 shown]
	s_waitcnt vmcnt(4)
	buffer_store_dword v4, off, s[0:3], 0 offset:492
	buffer_store_dword v3, off, s[0:3], 0 offset:488
	;; [unrolled: 1-line block ×4, first 2 shown]
	s_clause 0x1
	global_load_dwordx4 v[1:4], v[91:92], off
	global_load_dwordx4 v[104:107], v[93:94], off
	s_waitcnt vmcnt(5)
	buffer_store_dword v8, off, s[0:3], 0 offset:508
	buffer_store_dword v7, off, s[0:3], 0 offset:504
	buffer_store_dword v6, off, s[0:3], 0 offset:500
	buffer_store_dword v5, off, s[0:3], 0 offset:496
	global_load_dwordx4 v[5:8], v[95:96], off
	s_waitcnt vmcnt(5)
	buffer_store_dword v12, off, s[0:3], 0 offset:524
	buffer_store_dword v11, off, s[0:3], 0 offset:520
	buffer_store_dword v10, off, s[0:3], 0 offset:516
	buffer_store_dword v9, off, s[0:3], 0 offset:512
	;; [unrolled: 6-line block ×5, first 2 shown]
	s_waitcnt vmcnt(4)
	buffer_store_dword v107, off, s[0:3], 0 offset:588
	buffer_store_dword v106, off, s[0:3], 0 offset:584
	buffer_store_dword v105, off, s[0:3], 0 offset:580
	buffer_store_dword v104, off, s[0:3], 0 offset:576
	s_waitcnt vmcnt(3)
	buffer_store_dword v8, off, s[0:3], 0 offset:604
	buffer_store_dword v7, off, s[0:3], 0 offset:600
	buffer_store_dword v6, off, s[0:3], 0 offset:596
	buffer_store_dword v5, off, s[0:3], 0 offset:592
	;; [unrolled: 5-line block ×5, first 2 shown]
	s_cbranch_scc1 .LBB40_7
; %bb.2:
	v_lshl_add_u32 v11, v0, 4, 0
                                        ; implicit-def: $vgpr7_vgpr8
                                        ; implicit-def: $vgpr3_vgpr4
	s_clause 0x3
	buffer_load_dword v5, v11, s[0:3], 0 offen
	buffer_load_dword v6, v11, s[0:3], 0 offen offset:4
	buffer_load_dword v9, v11, s[0:3], 0 offen offset:8
	;; [unrolled: 1-line block ×3, first 2 shown]
	s_waitcnt vmcnt(0)
	v_cmp_ngt_f64_e64 s9, |v[5:6]|, |v[9:10]|
	s_and_saveexec_b32 s25, s9
	s_xor_b32 s9, exec_lo, s25
	s_cbranch_execz .LBB40_4
; %bb.3:
	v_div_scale_f64 v[1:2], null, v[9:10], v[9:10], v[5:6]
	v_div_scale_f64 v[12:13], vcc_lo, v[5:6], v[9:10], v[5:6]
	v_rcp_f64_e32 v[3:4], v[1:2]
	v_fma_f64 v[7:8], -v[1:2], v[3:4], 1.0
	v_fma_f64 v[3:4], v[3:4], v[7:8], v[3:4]
	v_fma_f64 v[7:8], -v[1:2], v[3:4], 1.0
	v_fma_f64 v[3:4], v[3:4], v[7:8], v[3:4]
	v_mul_f64 v[7:8], v[12:13], v[3:4]
	v_fma_f64 v[1:2], -v[1:2], v[7:8], v[12:13]
	v_div_fmas_f64 v[1:2], v[1:2], v[3:4], v[7:8]
	v_div_fixup_f64 v[1:2], v[1:2], v[9:10], v[5:6]
	v_fma_f64 v[3:4], v[5:6], v[1:2], v[9:10]
	v_div_scale_f64 v[5:6], null, v[3:4], v[3:4], 1.0
	v_div_scale_f64 v[12:13], vcc_lo, 1.0, v[3:4], 1.0
	v_rcp_f64_e32 v[7:8], v[5:6]
	v_fma_f64 v[9:10], -v[5:6], v[7:8], 1.0
	v_fma_f64 v[7:8], v[7:8], v[9:10], v[7:8]
	v_fma_f64 v[9:10], -v[5:6], v[7:8], 1.0
	v_fma_f64 v[7:8], v[7:8], v[9:10], v[7:8]
	v_mul_f64 v[9:10], v[12:13], v[7:8]
	v_fma_f64 v[5:6], -v[5:6], v[9:10], v[12:13]
	v_div_fmas_f64 v[5:6], v[5:6], v[7:8], v[9:10]
                                        ; implicit-def: $vgpr9_vgpr10
	v_div_fixup_f64 v[3:4], v[5:6], v[3:4], 1.0
                                        ; implicit-def: $vgpr5_vgpr6
	v_mul_f64 v[7:8], v[1:2], v[3:4]
	v_xor_b32_e32 v4, 0x80000000, v4
	v_xor_b32_e32 v2, 0x80000000, v8
	v_mov_b32_e32 v1, v7
.LBB40_4:
	s_andn2_saveexec_b32 s9, s9
	s_cbranch_execz .LBB40_6
; %bb.5:
	v_div_scale_f64 v[1:2], null, v[5:6], v[5:6], v[9:10]
	v_div_scale_f64 v[12:13], vcc_lo, v[9:10], v[5:6], v[9:10]
	v_rcp_f64_e32 v[3:4], v[1:2]
	v_fma_f64 v[7:8], -v[1:2], v[3:4], 1.0
	v_fma_f64 v[3:4], v[3:4], v[7:8], v[3:4]
	v_fma_f64 v[7:8], -v[1:2], v[3:4], 1.0
	v_fma_f64 v[3:4], v[3:4], v[7:8], v[3:4]
	v_mul_f64 v[7:8], v[12:13], v[3:4]
	v_fma_f64 v[1:2], -v[1:2], v[7:8], v[12:13]
	v_div_fmas_f64 v[1:2], v[1:2], v[3:4], v[7:8]
	v_div_fixup_f64 v[1:2], v[1:2], v[5:6], v[9:10]
	v_fma_f64 v[3:4], v[9:10], v[1:2], v[5:6]
	v_div_scale_f64 v[5:6], null, v[3:4], v[3:4], 1.0
	v_rcp_f64_e32 v[7:8], v[5:6]
	v_fma_f64 v[9:10], -v[5:6], v[7:8], 1.0
	v_fma_f64 v[7:8], v[7:8], v[9:10], v[7:8]
	v_fma_f64 v[9:10], -v[5:6], v[7:8], 1.0
	v_fma_f64 v[7:8], v[7:8], v[9:10], v[7:8]
	v_div_scale_f64 v[9:10], vcc_lo, 1.0, v[3:4], 1.0
	v_mul_f64 v[12:13], v[9:10], v[7:8]
	v_fma_f64 v[5:6], -v[5:6], v[12:13], v[9:10]
	v_div_fmas_f64 v[5:6], v[5:6], v[7:8], v[12:13]
	v_div_fixup_f64 v[7:8], v[5:6], v[3:4], 1.0
	v_mul_f64 v[3:4], v[1:2], -v[7:8]
	v_xor_b32_e32 v2, 0x80000000, v8
	v_mov_b32_e32 v1, v7
.LBB40_6:
	s_or_b32 exec_lo, exec_lo, s9
	buffer_store_dword v4, v11, s[0:3], 0 offen offset:12
	v_xor_b32_e32 v4, 0x80000000, v4
	buffer_store_dword v8, v11, s[0:3], 0 offen offset:4
	buffer_store_dword v7, v11, s[0:3], 0 offen
	buffer_store_dword v3, v11, s[0:3], 0 offen offset:8
	s_branch .LBB40_8
.LBB40_7:
	v_mov_b32_e32 v1, 0
	v_mov_b32_e32 v3, 0
	;; [unrolled: 1-line block ×4, first 2 shown]
.LBB40_8:
	v_add_nc_u32_e32 v6, 0x290, v103
	v_mov_b32_e32 v5, v103
	s_mov_b32 s47, 16
	s_mov_b32 s46, 32
	;; [unrolled: 1-line block ×39, first 2 shown]
	s_cmpk_eq_i32 s8, 0x79
	ds_write_b128 v103, v[1:4]
	s_cbranch_scc1 .LBB40_324
; %bb.9:
	v_mov_b32_e32 v4, s7
	v_cmp_eq_u32_e64 s4, 40, v0
	s_clause 0x3
	buffer_load_dword v1, v4, s[0:3], 0 offen
	buffer_load_dword v2, v4, s[0:3], 0 offen offset:4
	buffer_load_dword v3, v4, s[0:3], 0 offen offset:8
	;; [unrolled: 1-line block ×3, first 2 shown]
	s_waitcnt vmcnt(0)
	ds_write_b128 v6, v[1:4]
	s_waitcnt lgkmcnt(0)
	s_waitcnt_vscnt null, 0x0
	s_barrier
	buffer_gl0_inv
	s_and_saveexec_b32 s5, s4
	s_cbranch_execz .LBB40_13
; %bb.10:
	ds_read_b128 v[1:4], v6
	s_andn2_b32 vcc_lo, exec_lo, s48
	s_cbranch_vccnz .LBB40_12
; %bb.11:
	s_clause 0x3
	buffer_load_dword v7, v5, s[0:3], 0 offen offset:8
	buffer_load_dword v8, v5, s[0:3], 0 offen offset:12
	buffer_load_dword v9, v5, s[0:3], 0 offen
	buffer_load_dword v10, v5, s[0:3], 0 offen offset:4
	s_waitcnt vmcnt(2) lgkmcnt(0)
	v_mul_f64 v[11:12], v[3:4], v[7:8]
	v_mul_f64 v[7:8], v[1:2], v[7:8]
	s_waitcnt vmcnt(0)
	v_fma_f64 v[1:2], v[1:2], v[9:10], -v[11:12]
	v_fma_f64 v[3:4], v[3:4], v[9:10], v[7:8]
.LBB40_12:
	v_mov_b32_e32 v7, 0
	ds_read_b128 v[7:10], v7 offset:624
	s_waitcnt lgkmcnt(0)
	v_mul_f64 v[11:12], v[3:4], v[9:10]
	v_mul_f64 v[9:10], v[1:2], v[9:10]
	v_fma_f64 v[1:2], v[1:2], v[7:8], -v[11:12]
	v_fma_f64 v[3:4], v[3:4], v[7:8], v[9:10]
	buffer_store_dword v2, off, s[0:3], 0 offset:628
	buffer_store_dword v1, off, s[0:3], 0 offset:624
	;; [unrolled: 1-line block ×4, first 2 shown]
.LBB40_13:
	s_or_b32 exec_lo, exec_lo, s5
	v_mov_b32_e32 v4, s9
	v_cmp_lt_u32_e64 s5, 38, v0
	s_clause 0x3
	buffer_load_dword v1, v4, s[0:3], 0 offen
	buffer_load_dword v2, v4, s[0:3], 0 offen offset:4
	buffer_load_dword v3, v4, s[0:3], 0 offen offset:8
	;; [unrolled: 1-line block ×3, first 2 shown]
	s_waitcnt vmcnt(0)
	ds_write_b128 v6, v[1:4]
	s_waitcnt lgkmcnt(0)
	s_waitcnt_vscnt null, 0x0
	s_barrier
	buffer_gl0_inv
	s_and_saveexec_b32 s8, s5
	s_cbranch_execz .LBB40_19
; %bb.14:
	ds_read_b128 v[1:4], v6
	s_andn2_b32 vcc_lo, exec_lo, s48
	s_cbranch_vccnz .LBB40_16
; %bb.15:
	s_clause 0x3
	buffer_load_dword v7, v5, s[0:3], 0 offen offset:8
	buffer_load_dword v8, v5, s[0:3], 0 offen offset:12
	buffer_load_dword v9, v5, s[0:3], 0 offen
	buffer_load_dword v10, v5, s[0:3], 0 offen offset:4
	s_waitcnt vmcnt(2) lgkmcnt(0)
	v_mul_f64 v[11:12], v[3:4], v[7:8]
	v_mul_f64 v[7:8], v[1:2], v[7:8]
	s_waitcnt vmcnt(0)
	v_fma_f64 v[1:2], v[1:2], v[9:10], -v[11:12]
	v_fma_f64 v[3:4], v[3:4], v[9:10], v[7:8]
.LBB40_16:
	s_and_saveexec_b32 s49, s4
	s_cbranch_execz .LBB40_18
; %bb.17:
	s_clause 0x3
	buffer_load_dword v11, off, s[0:3], 0 offset:632
	buffer_load_dword v12, off, s[0:3], 0 offset:636
	;; [unrolled: 1-line block ×4, first 2 shown]
	v_mov_b32_e32 v7, 0
	ds_read_b128 v[7:10], v7 offset:1280
	s_waitcnt vmcnt(2) lgkmcnt(0)
	v_mul_f64 v[15:16], v[7:8], v[11:12]
	v_mul_f64 v[11:12], v[9:10], v[11:12]
	s_waitcnt vmcnt(0)
	v_fma_f64 v[9:10], v[9:10], v[13:14], v[15:16]
	v_fma_f64 v[7:8], v[7:8], v[13:14], -v[11:12]
	v_add_f64 v[3:4], v[3:4], v[9:10]
	v_add_f64 v[1:2], v[1:2], v[7:8]
.LBB40_18:
	s_or_b32 exec_lo, exec_lo, s49
	v_mov_b32_e32 v7, 0
	ds_read_b128 v[7:10], v7 offset:608
	s_waitcnt lgkmcnt(0)
	v_mul_f64 v[11:12], v[3:4], v[9:10]
	v_mul_f64 v[9:10], v[1:2], v[9:10]
	v_fma_f64 v[1:2], v[1:2], v[7:8], -v[11:12]
	v_fma_f64 v[3:4], v[3:4], v[7:8], v[9:10]
	buffer_store_dword v2, off, s[0:3], 0 offset:612
	buffer_store_dword v1, off, s[0:3], 0 offset:608
	;; [unrolled: 1-line block ×4, first 2 shown]
.LBB40_19:
	s_or_b32 exec_lo, exec_lo, s8
	v_mov_b32_e32 v4, s10
	v_cmp_lt_u32_e64 s4, 37, v0
	s_clause 0x3
	buffer_load_dword v1, v4, s[0:3], 0 offen
	buffer_load_dword v2, v4, s[0:3], 0 offen offset:4
	buffer_load_dword v3, v4, s[0:3], 0 offen offset:8
	;; [unrolled: 1-line block ×3, first 2 shown]
	s_waitcnt vmcnt(0)
	ds_write_b128 v6, v[1:4]
	s_waitcnt lgkmcnt(0)
	s_waitcnt_vscnt null, 0x0
	s_barrier
	buffer_gl0_inv
	s_and_saveexec_b32 s8, s4
	s_cbranch_execz .LBB40_27
; %bb.20:
	ds_read_b128 v[1:4], v6
	s_andn2_b32 vcc_lo, exec_lo, s48
	s_cbranch_vccnz .LBB40_22
; %bb.21:
	s_clause 0x3
	buffer_load_dword v7, v5, s[0:3], 0 offen offset:8
	buffer_load_dword v8, v5, s[0:3], 0 offen offset:12
	buffer_load_dword v9, v5, s[0:3], 0 offen
	buffer_load_dword v10, v5, s[0:3], 0 offen offset:4
	s_waitcnt vmcnt(2) lgkmcnt(0)
	v_mul_f64 v[11:12], v[3:4], v[7:8]
	v_mul_f64 v[7:8], v[1:2], v[7:8]
	s_waitcnt vmcnt(0)
	v_fma_f64 v[1:2], v[1:2], v[9:10], -v[11:12]
	v_fma_f64 v[3:4], v[3:4], v[9:10], v[7:8]
.LBB40_22:
	s_and_saveexec_b32 s49, s5
	s_cbranch_execz .LBB40_26
; %bb.23:
	v_subrev_nc_u32_e32 v7, 38, v0
	s_movk_i32 s50, 0x4f0
	s_mov_b32 s5, 0
	s_mov_b32 s51, s9
	.p2align	6
.LBB40_24:                              ; =>This Inner Loop Header: Depth=1
	v_mov_b32_e32 v8, s51
	v_add_nc_u32_e32 v7, -1, v7
	s_add_i32 s51, s51, 16
	s_clause 0x3
	buffer_load_dword v12, v8, s[0:3], 0 offen offset:8
	buffer_load_dword v13, v8, s[0:3], 0 offen offset:12
	buffer_load_dword v14, v8, s[0:3], 0 offen
	buffer_load_dword v15, v8, s[0:3], 0 offen offset:4
	v_mov_b32_e32 v8, s50
	v_cmp_eq_u32_e32 vcc_lo, 0, v7
	s_add_i32 s50, s50, 16
	ds_read_b128 v[8:11], v8
	s_or_b32 s5, vcc_lo, s5
	s_waitcnt vmcnt(2) lgkmcnt(0)
	v_mul_f64 v[16:17], v[10:11], v[12:13]
	v_mul_f64 v[12:13], v[8:9], v[12:13]
	s_waitcnt vmcnt(0)
	v_fma_f64 v[8:9], v[8:9], v[14:15], -v[16:17]
	v_fma_f64 v[10:11], v[10:11], v[14:15], v[12:13]
	v_add_f64 v[1:2], v[1:2], v[8:9]
	v_add_f64 v[3:4], v[3:4], v[10:11]
	s_andn2_b32 exec_lo, exec_lo, s5
	s_cbranch_execnz .LBB40_24
; %bb.25:
	s_or_b32 exec_lo, exec_lo, s5
.LBB40_26:
	s_or_b32 exec_lo, exec_lo, s49
	v_mov_b32_e32 v7, 0
	ds_read_b128 v[7:10], v7 offset:592
	s_waitcnt lgkmcnt(0)
	v_mul_f64 v[11:12], v[3:4], v[9:10]
	v_mul_f64 v[9:10], v[1:2], v[9:10]
	v_fma_f64 v[1:2], v[1:2], v[7:8], -v[11:12]
	v_fma_f64 v[3:4], v[3:4], v[7:8], v[9:10]
	buffer_store_dword v2, off, s[0:3], 0 offset:596
	buffer_store_dword v1, off, s[0:3], 0 offset:592
	;; [unrolled: 1-line block ×4, first 2 shown]
.LBB40_27:
	s_or_b32 exec_lo, exec_lo, s8
	v_mov_b32_e32 v4, s11
	v_cmp_lt_u32_e64 s5, 36, v0
	s_clause 0x3
	buffer_load_dword v1, v4, s[0:3], 0 offen
	buffer_load_dword v2, v4, s[0:3], 0 offen offset:4
	buffer_load_dword v3, v4, s[0:3], 0 offen offset:8
	;; [unrolled: 1-line block ×3, first 2 shown]
	s_waitcnt vmcnt(0)
	ds_write_b128 v6, v[1:4]
	s_waitcnt lgkmcnt(0)
	s_waitcnt_vscnt null, 0x0
	s_barrier
	buffer_gl0_inv
	s_and_saveexec_b32 s8, s5
	s_cbranch_execz .LBB40_35
; %bb.28:
	ds_read_b128 v[1:4], v6
	s_andn2_b32 vcc_lo, exec_lo, s48
	s_cbranch_vccnz .LBB40_30
; %bb.29:
	s_clause 0x3
	buffer_load_dword v7, v5, s[0:3], 0 offen offset:8
	buffer_load_dword v8, v5, s[0:3], 0 offen offset:12
	buffer_load_dword v9, v5, s[0:3], 0 offen
	buffer_load_dword v10, v5, s[0:3], 0 offen offset:4
	s_waitcnt vmcnt(2) lgkmcnt(0)
	v_mul_f64 v[11:12], v[3:4], v[7:8]
	v_mul_f64 v[7:8], v[1:2], v[7:8]
	s_waitcnt vmcnt(0)
	v_fma_f64 v[1:2], v[1:2], v[9:10], -v[11:12]
	v_fma_f64 v[3:4], v[3:4], v[9:10], v[7:8]
.LBB40_30:
	s_and_saveexec_b32 s49, s4
	s_cbranch_execz .LBB40_34
; %bb.31:
	v_subrev_nc_u32_e32 v7, 37, v0
	s_movk_i32 s50, 0x4e0
	s_mov_b32 s4, 0
	s_mov_b32 s51, s10
	.p2align	6
.LBB40_32:                              ; =>This Inner Loop Header: Depth=1
	v_mov_b32_e32 v8, s51
	v_add_nc_u32_e32 v7, -1, v7
	s_add_i32 s51, s51, 16
	s_clause 0x3
	buffer_load_dword v12, v8, s[0:3], 0 offen offset:8
	buffer_load_dword v13, v8, s[0:3], 0 offen offset:12
	buffer_load_dword v14, v8, s[0:3], 0 offen
	buffer_load_dword v15, v8, s[0:3], 0 offen offset:4
	v_mov_b32_e32 v8, s50
	v_cmp_eq_u32_e32 vcc_lo, 0, v7
	s_add_i32 s50, s50, 16
	ds_read_b128 v[8:11], v8
	s_or_b32 s4, vcc_lo, s4
	s_waitcnt vmcnt(2) lgkmcnt(0)
	v_mul_f64 v[16:17], v[10:11], v[12:13]
	v_mul_f64 v[12:13], v[8:9], v[12:13]
	s_waitcnt vmcnt(0)
	v_fma_f64 v[8:9], v[8:9], v[14:15], -v[16:17]
	v_fma_f64 v[10:11], v[10:11], v[14:15], v[12:13]
	v_add_f64 v[1:2], v[1:2], v[8:9]
	v_add_f64 v[3:4], v[3:4], v[10:11]
	s_andn2_b32 exec_lo, exec_lo, s4
	s_cbranch_execnz .LBB40_32
; %bb.33:
	s_or_b32 exec_lo, exec_lo, s4
.LBB40_34:
	s_or_b32 exec_lo, exec_lo, s49
	v_mov_b32_e32 v7, 0
	ds_read_b128 v[7:10], v7 offset:576
	s_waitcnt lgkmcnt(0)
	v_mul_f64 v[11:12], v[3:4], v[9:10]
	v_mul_f64 v[9:10], v[1:2], v[9:10]
	v_fma_f64 v[1:2], v[1:2], v[7:8], -v[11:12]
	v_fma_f64 v[3:4], v[3:4], v[7:8], v[9:10]
	buffer_store_dword v2, off, s[0:3], 0 offset:580
	buffer_store_dword v1, off, s[0:3], 0 offset:576
	buffer_store_dword v4, off, s[0:3], 0 offset:588
	buffer_store_dword v3, off, s[0:3], 0 offset:584
.LBB40_35:
	s_or_b32 exec_lo, exec_lo, s8
	v_mov_b32_e32 v4, s12
	v_cmp_lt_u32_e64 s4, 35, v0
	s_clause 0x3
	buffer_load_dword v1, v4, s[0:3], 0 offen
	buffer_load_dword v2, v4, s[0:3], 0 offen offset:4
	buffer_load_dword v3, v4, s[0:3], 0 offen offset:8
	;; [unrolled: 1-line block ×3, first 2 shown]
	s_waitcnt vmcnt(0)
	ds_write_b128 v6, v[1:4]
	s_waitcnt lgkmcnt(0)
	s_waitcnt_vscnt null, 0x0
	s_barrier
	buffer_gl0_inv
	s_and_saveexec_b32 s8, s4
	s_cbranch_execz .LBB40_43
; %bb.36:
	ds_read_b128 v[1:4], v6
	s_andn2_b32 vcc_lo, exec_lo, s48
	s_cbranch_vccnz .LBB40_38
; %bb.37:
	s_clause 0x3
	buffer_load_dword v7, v5, s[0:3], 0 offen offset:8
	buffer_load_dword v8, v5, s[0:3], 0 offen offset:12
	buffer_load_dword v9, v5, s[0:3], 0 offen
	buffer_load_dword v10, v5, s[0:3], 0 offen offset:4
	s_waitcnt vmcnt(2) lgkmcnt(0)
	v_mul_f64 v[11:12], v[3:4], v[7:8]
	v_mul_f64 v[7:8], v[1:2], v[7:8]
	s_waitcnt vmcnt(0)
	v_fma_f64 v[1:2], v[1:2], v[9:10], -v[11:12]
	v_fma_f64 v[3:4], v[3:4], v[9:10], v[7:8]
.LBB40_38:
	s_and_saveexec_b32 s49, s5
	s_cbranch_execz .LBB40_42
; %bb.39:
	v_subrev_nc_u32_e32 v7, 36, v0
	s_movk_i32 s50, 0x4d0
	s_mov_b32 s5, 0
	s_mov_b32 s51, s11
	.p2align	6
.LBB40_40:                              ; =>This Inner Loop Header: Depth=1
	v_mov_b32_e32 v8, s51
	v_add_nc_u32_e32 v7, -1, v7
	s_add_i32 s51, s51, 16
	s_clause 0x3
	buffer_load_dword v12, v8, s[0:3], 0 offen offset:8
	buffer_load_dword v13, v8, s[0:3], 0 offen offset:12
	buffer_load_dword v14, v8, s[0:3], 0 offen
	buffer_load_dword v15, v8, s[0:3], 0 offen offset:4
	v_mov_b32_e32 v8, s50
	v_cmp_eq_u32_e32 vcc_lo, 0, v7
	s_add_i32 s50, s50, 16
	ds_read_b128 v[8:11], v8
	s_or_b32 s5, vcc_lo, s5
	s_waitcnt vmcnt(2) lgkmcnt(0)
	v_mul_f64 v[16:17], v[10:11], v[12:13]
	v_mul_f64 v[12:13], v[8:9], v[12:13]
	s_waitcnt vmcnt(0)
	v_fma_f64 v[8:9], v[8:9], v[14:15], -v[16:17]
	v_fma_f64 v[10:11], v[10:11], v[14:15], v[12:13]
	v_add_f64 v[1:2], v[1:2], v[8:9]
	v_add_f64 v[3:4], v[3:4], v[10:11]
	s_andn2_b32 exec_lo, exec_lo, s5
	s_cbranch_execnz .LBB40_40
; %bb.41:
	s_or_b32 exec_lo, exec_lo, s5
.LBB40_42:
	s_or_b32 exec_lo, exec_lo, s49
	v_mov_b32_e32 v7, 0
	ds_read_b128 v[7:10], v7 offset:560
	s_waitcnt lgkmcnt(0)
	v_mul_f64 v[11:12], v[3:4], v[9:10]
	v_mul_f64 v[9:10], v[1:2], v[9:10]
	v_fma_f64 v[1:2], v[1:2], v[7:8], -v[11:12]
	v_fma_f64 v[3:4], v[3:4], v[7:8], v[9:10]
	buffer_store_dword v2, off, s[0:3], 0 offset:564
	buffer_store_dword v1, off, s[0:3], 0 offset:560
	;; [unrolled: 1-line block ×4, first 2 shown]
.LBB40_43:
	s_or_b32 exec_lo, exec_lo, s8
	v_mov_b32_e32 v4, s13
	v_cmp_lt_u32_e64 s5, 34, v0
	s_clause 0x3
	buffer_load_dword v1, v4, s[0:3], 0 offen
	buffer_load_dword v2, v4, s[0:3], 0 offen offset:4
	buffer_load_dword v3, v4, s[0:3], 0 offen offset:8
	;; [unrolled: 1-line block ×3, first 2 shown]
	s_waitcnt vmcnt(0)
	ds_write_b128 v6, v[1:4]
	s_waitcnt lgkmcnt(0)
	s_waitcnt_vscnt null, 0x0
	s_barrier
	buffer_gl0_inv
	s_and_saveexec_b32 s8, s5
	s_cbranch_execz .LBB40_51
; %bb.44:
	ds_read_b128 v[1:4], v6
	s_andn2_b32 vcc_lo, exec_lo, s48
	s_cbranch_vccnz .LBB40_46
; %bb.45:
	s_clause 0x3
	buffer_load_dword v7, v5, s[0:3], 0 offen offset:8
	buffer_load_dword v8, v5, s[0:3], 0 offen offset:12
	buffer_load_dword v9, v5, s[0:3], 0 offen
	buffer_load_dword v10, v5, s[0:3], 0 offen offset:4
	s_waitcnt vmcnt(2) lgkmcnt(0)
	v_mul_f64 v[11:12], v[3:4], v[7:8]
	v_mul_f64 v[7:8], v[1:2], v[7:8]
	s_waitcnt vmcnt(0)
	v_fma_f64 v[1:2], v[1:2], v[9:10], -v[11:12]
	v_fma_f64 v[3:4], v[3:4], v[9:10], v[7:8]
.LBB40_46:
	s_and_saveexec_b32 s49, s4
	s_cbranch_execz .LBB40_50
; %bb.47:
	v_subrev_nc_u32_e32 v7, 35, v0
	s_movk_i32 s50, 0x4c0
	s_mov_b32 s4, 0
	s_mov_b32 s51, s12
	.p2align	6
.LBB40_48:                              ; =>This Inner Loop Header: Depth=1
	v_mov_b32_e32 v8, s51
	v_add_nc_u32_e32 v7, -1, v7
	s_add_i32 s51, s51, 16
	s_clause 0x3
	buffer_load_dword v12, v8, s[0:3], 0 offen offset:8
	buffer_load_dword v13, v8, s[0:3], 0 offen offset:12
	buffer_load_dword v14, v8, s[0:3], 0 offen
	buffer_load_dword v15, v8, s[0:3], 0 offen offset:4
	v_mov_b32_e32 v8, s50
	v_cmp_eq_u32_e32 vcc_lo, 0, v7
	s_add_i32 s50, s50, 16
	ds_read_b128 v[8:11], v8
	s_or_b32 s4, vcc_lo, s4
	s_waitcnt vmcnt(2) lgkmcnt(0)
	v_mul_f64 v[16:17], v[10:11], v[12:13]
	v_mul_f64 v[12:13], v[8:9], v[12:13]
	s_waitcnt vmcnt(0)
	v_fma_f64 v[8:9], v[8:9], v[14:15], -v[16:17]
	v_fma_f64 v[10:11], v[10:11], v[14:15], v[12:13]
	v_add_f64 v[1:2], v[1:2], v[8:9]
	v_add_f64 v[3:4], v[3:4], v[10:11]
	s_andn2_b32 exec_lo, exec_lo, s4
	s_cbranch_execnz .LBB40_48
; %bb.49:
	s_or_b32 exec_lo, exec_lo, s4
.LBB40_50:
	s_or_b32 exec_lo, exec_lo, s49
	v_mov_b32_e32 v7, 0
	ds_read_b128 v[7:10], v7 offset:544
	s_waitcnt lgkmcnt(0)
	v_mul_f64 v[11:12], v[3:4], v[9:10]
	v_mul_f64 v[9:10], v[1:2], v[9:10]
	v_fma_f64 v[1:2], v[1:2], v[7:8], -v[11:12]
	v_fma_f64 v[3:4], v[3:4], v[7:8], v[9:10]
	buffer_store_dword v2, off, s[0:3], 0 offset:548
	buffer_store_dword v1, off, s[0:3], 0 offset:544
	;; [unrolled: 1-line block ×4, first 2 shown]
.LBB40_51:
	s_or_b32 exec_lo, exec_lo, s8
	v_mov_b32_e32 v4, s14
	v_cmp_lt_u32_e64 s4, 33, v0
	s_clause 0x3
	buffer_load_dword v1, v4, s[0:3], 0 offen
	buffer_load_dword v2, v4, s[0:3], 0 offen offset:4
	buffer_load_dword v3, v4, s[0:3], 0 offen offset:8
	;; [unrolled: 1-line block ×3, first 2 shown]
	s_waitcnt vmcnt(0)
	ds_write_b128 v6, v[1:4]
	s_waitcnt lgkmcnt(0)
	s_waitcnt_vscnt null, 0x0
	s_barrier
	buffer_gl0_inv
	s_and_saveexec_b32 s8, s4
	s_cbranch_execz .LBB40_59
; %bb.52:
	ds_read_b128 v[1:4], v6
	s_andn2_b32 vcc_lo, exec_lo, s48
	s_cbranch_vccnz .LBB40_54
; %bb.53:
	s_clause 0x3
	buffer_load_dword v7, v5, s[0:3], 0 offen offset:8
	buffer_load_dword v8, v5, s[0:3], 0 offen offset:12
	buffer_load_dword v9, v5, s[0:3], 0 offen
	buffer_load_dword v10, v5, s[0:3], 0 offen offset:4
	s_waitcnt vmcnt(2) lgkmcnt(0)
	v_mul_f64 v[11:12], v[3:4], v[7:8]
	v_mul_f64 v[7:8], v[1:2], v[7:8]
	s_waitcnt vmcnt(0)
	v_fma_f64 v[1:2], v[1:2], v[9:10], -v[11:12]
	v_fma_f64 v[3:4], v[3:4], v[9:10], v[7:8]
.LBB40_54:
	s_and_saveexec_b32 s49, s5
	s_cbranch_execz .LBB40_58
; %bb.55:
	v_subrev_nc_u32_e32 v7, 34, v0
	s_movk_i32 s50, 0x4b0
	s_mov_b32 s5, 0
	s_mov_b32 s51, s13
	.p2align	6
.LBB40_56:                              ; =>This Inner Loop Header: Depth=1
	v_mov_b32_e32 v8, s51
	v_add_nc_u32_e32 v7, -1, v7
	s_add_i32 s51, s51, 16
	s_clause 0x3
	buffer_load_dword v12, v8, s[0:3], 0 offen offset:8
	buffer_load_dword v13, v8, s[0:3], 0 offen offset:12
	buffer_load_dword v14, v8, s[0:3], 0 offen
	buffer_load_dword v15, v8, s[0:3], 0 offen offset:4
	v_mov_b32_e32 v8, s50
	v_cmp_eq_u32_e32 vcc_lo, 0, v7
	s_add_i32 s50, s50, 16
	ds_read_b128 v[8:11], v8
	s_or_b32 s5, vcc_lo, s5
	s_waitcnt vmcnt(2) lgkmcnt(0)
	v_mul_f64 v[16:17], v[10:11], v[12:13]
	v_mul_f64 v[12:13], v[8:9], v[12:13]
	s_waitcnt vmcnt(0)
	v_fma_f64 v[8:9], v[8:9], v[14:15], -v[16:17]
	v_fma_f64 v[10:11], v[10:11], v[14:15], v[12:13]
	v_add_f64 v[1:2], v[1:2], v[8:9]
	v_add_f64 v[3:4], v[3:4], v[10:11]
	s_andn2_b32 exec_lo, exec_lo, s5
	s_cbranch_execnz .LBB40_56
; %bb.57:
	s_or_b32 exec_lo, exec_lo, s5
.LBB40_58:
	s_or_b32 exec_lo, exec_lo, s49
	v_mov_b32_e32 v7, 0
	ds_read_b128 v[7:10], v7 offset:528
	s_waitcnt lgkmcnt(0)
	v_mul_f64 v[11:12], v[3:4], v[9:10]
	v_mul_f64 v[9:10], v[1:2], v[9:10]
	v_fma_f64 v[1:2], v[1:2], v[7:8], -v[11:12]
	v_fma_f64 v[3:4], v[3:4], v[7:8], v[9:10]
	buffer_store_dword v2, off, s[0:3], 0 offset:532
	buffer_store_dword v1, off, s[0:3], 0 offset:528
	buffer_store_dword v4, off, s[0:3], 0 offset:540
	buffer_store_dword v3, off, s[0:3], 0 offset:536
.LBB40_59:
	s_or_b32 exec_lo, exec_lo, s8
	v_mov_b32_e32 v4, s15
	v_cmp_lt_u32_e64 s5, 32, v0
	s_clause 0x3
	buffer_load_dword v1, v4, s[0:3], 0 offen
	buffer_load_dword v2, v4, s[0:3], 0 offen offset:4
	buffer_load_dword v3, v4, s[0:3], 0 offen offset:8
	;; [unrolled: 1-line block ×3, first 2 shown]
	s_waitcnt vmcnt(0)
	ds_write_b128 v6, v[1:4]
	s_waitcnt lgkmcnt(0)
	s_waitcnt_vscnt null, 0x0
	s_barrier
	buffer_gl0_inv
	s_and_saveexec_b32 s8, s5
	s_cbranch_execz .LBB40_67
; %bb.60:
	ds_read_b128 v[1:4], v6
	s_andn2_b32 vcc_lo, exec_lo, s48
	s_cbranch_vccnz .LBB40_62
; %bb.61:
	s_clause 0x3
	buffer_load_dword v7, v5, s[0:3], 0 offen offset:8
	buffer_load_dword v8, v5, s[0:3], 0 offen offset:12
	buffer_load_dword v9, v5, s[0:3], 0 offen
	buffer_load_dword v10, v5, s[0:3], 0 offen offset:4
	s_waitcnt vmcnt(2) lgkmcnt(0)
	v_mul_f64 v[11:12], v[3:4], v[7:8]
	v_mul_f64 v[7:8], v[1:2], v[7:8]
	s_waitcnt vmcnt(0)
	v_fma_f64 v[1:2], v[1:2], v[9:10], -v[11:12]
	v_fma_f64 v[3:4], v[3:4], v[9:10], v[7:8]
.LBB40_62:
	s_and_saveexec_b32 s49, s4
	s_cbranch_execz .LBB40_66
; %bb.63:
	v_subrev_nc_u32_e32 v7, 33, v0
	s_movk_i32 s50, 0x4a0
	s_mov_b32 s4, 0
	s_mov_b32 s51, s14
	.p2align	6
.LBB40_64:                              ; =>This Inner Loop Header: Depth=1
	v_mov_b32_e32 v8, s51
	v_add_nc_u32_e32 v7, -1, v7
	s_add_i32 s51, s51, 16
	s_clause 0x3
	buffer_load_dword v12, v8, s[0:3], 0 offen offset:8
	buffer_load_dword v13, v8, s[0:3], 0 offen offset:12
	buffer_load_dword v14, v8, s[0:3], 0 offen
	buffer_load_dword v15, v8, s[0:3], 0 offen offset:4
	v_mov_b32_e32 v8, s50
	v_cmp_eq_u32_e32 vcc_lo, 0, v7
	s_add_i32 s50, s50, 16
	ds_read_b128 v[8:11], v8
	s_or_b32 s4, vcc_lo, s4
	s_waitcnt vmcnt(2) lgkmcnt(0)
	v_mul_f64 v[16:17], v[10:11], v[12:13]
	v_mul_f64 v[12:13], v[8:9], v[12:13]
	s_waitcnt vmcnt(0)
	v_fma_f64 v[8:9], v[8:9], v[14:15], -v[16:17]
	v_fma_f64 v[10:11], v[10:11], v[14:15], v[12:13]
	v_add_f64 v[1:2], v[1:2], v[8:9]
	v_add_f64 v[3:4], v[3:4], v[10:11]
	s_andn2_b32 exec_lo, exec_lo, s4
	s_cbranch_execnz .LBB40_64
; %bb.65:
	s_or_b32 exec_lo, exec_lo, s4
.LBB40_66:
	s_or_b32 exec_lo, exec_lo, s49
	v_mov_b32_e32 v7, 0
	ds_read_b128 v[7:10], v7 offset:512
	s_waitcnt lgkmcnt(0)
	v_mul_f64 v[11:12], v[3:4], v[9:10]
	v_mul_f64 v[9:10], v[1:2], v[9:10]
	v_fma_f64 v[1:2], v[1:2], v[7:8], -v[11:12]
	v_fma_f64 v[3:4], v[3:4], v[7:8], v[9:10]
	buffer_store_dword v2, off, s[0:3], 0 offset:516
	buffer_store_dword v1, off, s[0:3], 0 offset:512
	;; [unrolled: 1-line block ×4, first 2 shown]
.LBB40_67:
	s_or_b32 exec_lo, exec_lo, s8
	v_mov_b32_e32 v4, s16
	v_cmp_lt_u32_e64 s4, 31, v0
	s_clause 0x3
	buffer_load_dword v1, v4, s[0:3], 0 offen
	buffer_load_dword v2, v4, s[0:3], 0 offen offset:4
	buffer_load_dword v3, v4, s[0:3], 0 offen offset:8
	;; [unrolled: 1-line block ×3, first 2 shown]
	s_waitcnt vmcnt(0)
	ds_write_b128 v6, v[1:4]
	s_waitcnt lgkmcnt(0)
	s_waitcnt_vscnt null, 0x0
	s_barrier
	buffer_gl0_inv
	s_and_saveexec_b32 s8, s4
	s_cbranch_execz .LBB40_75
; %bb.68:
	ds_read_b128 v[1:4], v6
	s_andn2_b32 vcc_lo, exec_lo, s48
	s_cbranch_vccnz .LBB40_70
; %bb.69:
	s_clause 0x3
	buffer_load_dword v7, v5, s[0:3], 0 offen offset:8
	buffer_load_dword v8, v5, s[0:3], 0 offen offset:12
	buffer_load_dword v9, v5, s[0:3], 0 offen
	buffer_load_dword v10, v5, s[0:3], 0 offen offset:4
	s_waitcnt vmcnt(2) lgkmcnt(0)
	v_mul_f64 v[11:12], v[3:4], v[7:8]
	v_mul_f64 v[7:8], v[1:2], v[7:8]
	s_waitcnt vmcnt(0)
	v_fma_f64 v[1:2], v[1:2], v[9:10], -v[11:12]
	v_fma_f64 v[3:4], v[3:4], v[9:10], v[7:8]
.LBB40_70:
	s_and_saveexec_b32 s49, s5
	s_cbranch_execz .LBB40_74
; %bb.71:
	v_subrev_nc_u32_e32 v7, 32, v0
	s_movk_i32 s50, 0x490
	s_mov_b32 s5, 0
	s_mov_b32 s51, s15
	.p2align	6
.LBB40_72:                              ; =>This Inner Loop Header: Depth=1
	v_mov_b32_e32 v8, s51
	v_add_nc_u32_e32 v7, -1, v7
	s_add_i32 s51, s51, 16
	s_clause 0x3
	buffer_load_dword v12, v8, s[0:3], 0 offen offset:8
	buffer_load_dword v13, v8, s[0:3], 0 offen offset:12
	buffer_load_dword v14, v8, s[0:3], 0 offen
	buffer_load_dword v15, v8, s[0:3], 0 offen offset:4
	v_mov_b32_e32 v8, s50
	v_cmp_eq_u32_e32 vcc_lo, 0, v7
	s_add_i32 s50, s50, 16
	ds_read_b128 v[8:11], v8
	s_or_b32 s5, vcc_lo, s5
	s_waitcnt vmcnt(2) lgkmcnt(0)
	v_mul_f64 v[16:17], v[10:11], v[12:13]
	v_mul_f64 v[12:13], v[8:9], v[12:13]
	s_waitcnt vmcnt(0)
	v_fma_f64 v[8:9], v[8:9], v[14:15], -v[16:17]
	v_fma_f64 v[10:11], v[10:11], v[14:15], v[12:13]
	v_add_f64 v[1:2], v[1:2], v[8:9]
	v_add_f64 v[3:4], v[3:4], v[10:11]
	s_andn2_b32 exec_lo, exec_lo, s5
	s_cbranch_execnz .LBB40_72
; %bb.73:
	s_or_b32 exec_lo, exec_lo, s5
.LBB40_74:
	s_or_b32 exec_lo, exec_lo, s49
	v_mov_b32_e32 v7, 0
	ds_read_b128 v[7:10], v7 offset:496
	s_waitcnt lgkmcnt(0)
	v_mul_f64 v[11:12], v[3:4], v[9:10]
	v_mul_f64 v[9:10], v[1:2], v[9:10]
	v_fma_f64 v[1:2], v[1:2], v[7:8], -v[11:12]
	v_fma_f64 v[3:4], v[3:4], v[7:8], v[9:10]
	buffer_store_dword v2, off, s[0:3], 0 offset:500
	buffer_store_dword v1, off, s[0:3], 0 offset:496
	;; [unrolled: 1-line block ×4, first 2 shown]
.LBB40_75:
	s_or_b32 exec_lo, exec_lo, s8
	v_mov_b32_e32 v4, s17
	v_cmp_lt_u32_e64 s5, 30, v0
	s_clause 0x3
	buffer_load_dword v1, v4, s[0:3], 0 offen
	buffer_load_dword v2, v4, s[0:3], 0 offen offset:4
	buffer_load_dword v3, v4, s[0:3], 0 offen offset:8
	;; [unrolled: 1-line block ×3, first 2 shown]
	s_waitcnt vmcnt(0)
	ds_write_b128 v6, v[1:4]
	s_waitcnt lgkmcnt(0)
	s_waitcnt_vscnt null, 0x0
	s_barrier
	buffer_gl0_inv
	s_and_saveexec_b32 s8, s5
	s_cbranch_execz .LBB40_83
; %bb.76:
	ds_read_b128 v[1:4], v6
	s_andn2_b32 vcc_lo, exec_lo, s48
	s_cbranch_vccnz .LBB40_78
; %bb.77:
	s_clause 0x3
	buffer_load_dword v7, v5, s[0:3], 0 offen offset:8
	buffer_load_dword v8, v5, s[0:3], 0 offen offset:12
	buffer_load_dword v9, v5, s[0:3], 0 offen
	buffer_load_dword v10, v5, s[0:3], 0 offen offset:4
	s_waitcnt vmcnt(2) lgkmcnt(0)
	v_mul_f64 v[11:12], v[3:4], v[7:8]
	v_mul_f64 v[7:8], v[1:2], v[7:8]
	s_waitcnt vmcnt(0)
	v_fma_f64 v[1:2], v[1:2], v[9:10], -v[11:12]
	v_fma_f64 v[3:4], v[3:4], v[9:10], v[7:8]
.LBB40_78:
	s_and_saveexec_b32 s49, s4
	s_cbranch_execz .LBB40_82
; %bb.79:
	v_subrev_nc_u32_e32 v7, 31, v0
	s_movk_i32 s50, 0x480
	s_mov_b32 s4, 0
	s_mov_b32 s51, s16
	.p2align	6
.LBB40_80:                              ; =>This Inner Loop Header: Depth=1
	v_mov_b32_e32 v8, s51
	v_add_nc_u32_e32 v7, -1, v7
	s_add_i32 s51, s51, 16
	s_clause 0x3
	buffer_load_dword v12, v8, s[0:3], 0 offen offset:8
	buffer_load_dword v13, v8, s[0:3], 0 offen offset:12
	buffer_load_dword v14, v8, s[0:3], 0 offen
	buffer_load_dword v15, v8, s[0:3], 0 offen offset:4
	v_mov_b32_e32 v8, s50
	v_cmp_eq_u32_e32 vcc_lo, 0, v7
	s_add_i32 s50, s50, 16
	ds_read_b128 v[8:11], v8
	s_or_b32 s4, vcc_lo, s4
	s_waitcnt vmcnt(2) lgkmcnt(0)
	v_mul_f64 v[16:17], v[10:11], v[12:13]
	v_mul_f64 v[12:13], v[8:9], v[12:13]
	s_waitcnt vmcnt(0)
	v_fma_f64 v[8:9], v[8:9], v[14:15], -v[16:17]
	v_fma_f64 v[10:11], v[10:11], v[14:15], v[12:13]
	v_add_f64 v[1:2], v[1:2], v[8:9]
	v_add_f64 v[3:4], v[3:4], v[10:11]
	s_andn2_b32 exec_lo, exec_lo, s4
	s_cbranch_execnz .LBB40_80
; %bb.81:
	s_or_b32 exec_lo, exec_lo, s4
.LBB40_82:
	s_or_b32 exec_lo, exec_lo, s49
	v_mov_b32_e32 v7, 0
	ds_read_b128 v[7:10], v7 offset:480
	s_waitcnt lgkmcnt(0)
	v_mul_f64 v[11:12], v[3:4], v[9:10]
	v_mul_f64 v[9:10], v[1:2], v[9:10]
	v_fma_f64 v[1:2], v[1:2], v[7:8], -v[11:12]
	v_fma_f64 v[3:4], v[3:4], v[7:8], v[9:10]
	buffer_store_dword v2, off, s[0:3], 0 offset:484
	buffer_store_dword v1, off, s[0:3], 0 offset:480
	;; [unrolled: 1-line block ×4, first 2 shown]
.LBB40_83:
	s_or_b32 exec_lo, exec_lo, s8
	v_mov_b32_e32 v4, s18
	v_cmp_lt_u32_e64 s4, 29, v0
	s_clause 0x3
	buffer_load_dword v1, v4, s[0:3], 0 offen
	buffer_load_dword v2, v4, s[0:3], 0 offen offset:4
	buffer_load_dword v3, v4, s[0:3], 0 offen offset:8
	;; [unrolled: 1-line block ×3, first 2 shown]
	s_waitcnt vmcnt(0)
	ds_write_b128 v6, v[1:4]
	s_waitcnt lgkmcnt(0)
	s_waitcnt_vscnt null, 0x0
	s_barrier
	buffer_gl0_inv
	s_and_saveexec_b32 s8, s4
	s_cbranch_execz .LBB40_91
; %bb.84:
	ds_read_b128 v[1:4], v6
	s_andn2_b32 vcc_lo, exec_lo, s48
	s_cbranch_vccnz .LBB40_86
; %bb.85:
	s_clause 0x3
	buffer_load_dword v7, v5, s[0:3], 0 offen offset:8
	buffer_load_dword v8, v5, s[0:3], 0 offen offset:12
	buffer_load_dword v9, v5, s[0:3], 0 offen
	buffer_load_dword v10, v5, s[0:3], 0 offen offset:4
	s_waitcnt vmcnt(2) lgkmcnt(0)
	v_mul_f64 v[11:12], v[3:4], v[7:8]
	v_mul_f64 v[7:8], v[1:2], v[7:8]
	s_waitcnt vmcnt(0)
	v_fma_f64 v[1:2], v[1:2], v[9:10], -v[11:12]
	v_fma_f64 v[3:4], v[3:4], v[9:10], v[7:8]
.LBB40_86:
	s_and_saveexec_b32 s49, s5
	s_cbranch_execz .LBB40_90
; %bb.87:
	v_subrev_nc_u32_e32 v7, 30, v0
	s_movk_i32 s50, 0x470
	s_mov_b32 s5, 0
	s_mov_b32 s51, s17
	.p2align	6
.LBB40_88:                              ; =>This Inner Loop Header: Depth=1
	v_mov_b32_e32 v8, s51
	v_add_nc_u32_e32 v7, -1, v7
	s_add_i32 s51, s51, 16
	s_clause 0x3
	buffer_load_dword v12, v8, s[0:3], 0 offen offset:8
	buffer_load_dword v13, v8, s[0:3], 0 offen offset:12
	buffer_load_dword v14, v8, s[0:3], 0 offen
	buffer_load_dword v15, v8, s[0:3], 0 offen offset:4
	v_mov_b32_e32 v8, s50
	v_cmp_eq_u32_e32 vcc_lo, 0, v7
	s_add_i32 s50, s50, 16
	ds_read_b128 v[8:11], v8
	s_or_b32 s5, vcc_lo, s5
	s_waitcnt vmcnt(2) lgkmcnt(0)
	v_mul_f64 v[16:17], v[10:11], v[12:13]
	v_mul_f64 v[12:13], v[8:9], v[12:13]
	s_waitcnt vmcnt(0)
	v_fma_f64 v[8:9], v[8:9], v[14:15], -v[16:17]
	v_fma_f64 v[10:11], v[10:11], v[14:15], v[12:13]
	v_add_f64 v[1:2], v[1:2], v[8:9]
	v_add_f64 v[3:4], v[3:4], v[10:11]
	s_andn2_b32 exec_lo, exec_lo, s5
	s_cbranch_execnz .LBB40_88
; %bb.89:
	s_or_b32 exec_lo, exec_lo, s5
.LBB40_90:
	s_or_b32 exec_lo, exec_lo, s49
	v_mov_b32_e32 v7, 0
	ds_read_b128 v[7:10], v7 offset:464
	s_waitcnt lgkmcnt(0)
	v_mul_f64 v[11:12], v[3:4], v[9:10]
	v_mul_f64 v[9:10], v[1:2], v[9:10]
	v_fma_f64 v[1:2], v[1:2], v[7:8], -v[11:12]
	v_fma_f64 v[3:4], v[3:4], v[7:8], v[9:10]
	buffer_store_dword v2, off, s[0:3], 0 offset:468
	buffer_store_dword v1, off, s[0:3], 0 offset:464
	;; [unrolled: 1-line block ×4, first 2 shown]
.LBB40_91:
	s_or_b32 exec_lo, exec_lo, s8
	v_mov_b32_e32 v4, s19
	v_cmp_lt_u32_e64 s5, 28, v0
	s_clause 0x3
	buffer_load_dword v1, v4, s[0:3], 0 offen
	buffer_load_dword v2, v4, s[0:3], 0 offen offset:4
	buffer_load_dword v3, v4, s[0:3], 0 offen offset:8
	;; [unrolled: 1-line block ×3, first 2 shown]
	s_waitcnt vmcnt(0)
	ds_write_b128 v6, v[1:4]
	s_waitcnt lgkmcnt(0)
	s_waitcnt_vscnt null, 0x0
	s_barrier
	buffer_gl0_inv
	s_and_saveexec_b32 s8, s5
	s_cbranch_execz .LBB40_99
; %bb.92:
	ds_read_b128 v[1:4], v6
	s_andn2_b32 vcc_lo, exec_lo, s48
	s_cbranch_vccnz .LBB40_94
; %bb.93:
	s_clause 0x3
	buffer_load_dword v7, v5, s[0:3], 0 offen offset:8
	buffer_load_dword v8, v5, s[0:3], 0 offen offset:12
	buffer_load_dword v9, v5, s[0:3], 0 offen
	buffer_load_dword v10, v5, s[0:3], 0 offen offset:4
	s_waitcnt vmcnt(2) lgkmcnt(0)
	v_mul_f64 v[11:12], v[3:4], v[7:8]
	v_mul_f64 v[7:8], v[1:2], v[7:8]
	s_waitcnt vmcnt(0)
	v_fma_f64 v[1:2], v[1:2], v[9:10], -v[11:12]
	v_fma_f64 v[3:4], v[3:4], v[9:10], v[7:8]
.LBB40_94:
	s_and_saveexec_b32 s49, s4
	s_cbranch_execz .LBB40_98
; %bb.95:
	v_subrev_nc_u32_e32 v7, 29, v0
	s_movk_i32 s50, 0x460
	s_mov_b32 s4, 0
	s_mov_b32 s51, s18
	.p2align	6
.LBB40_96:                              ; =>This Inner Loop Header: Depth=1
	v_mov_b32_e32 v8, s51
	v_add_nc_u32_e32 v7, -1, v7
	s_add_i32 s51, s51, 16
	s_clause 0x3
	buffer_load_dword v12, v8, s[0:3], 0 offen offset:8
	buffer_load_dword v13, v8, s[0:3], 0 offen offset:12
	buffer_load_dword v14, v8, s[0:3], 0 offen
	buffer_load_dword v15, v8, s[0:3], 0 offen offset:4
	v_mov_b32_e32 v8, s50
	v_cmp_eq_u32_e32 vcc_lo, 0, v7
	s_add_i32 s50, s50, 16
	ds_read_b128 v[8:11], v8
	s_or_b32 s4, vcc_lo, s4
	s_waitcnt vmcnt(2) lgkmcnt(0)
	v_mul_f64 v[16:17], v[10:11], v[12:13]
	v_mul_f64 v[12:13], v[8:9], v[12:13]
	s_waitcnt vmcnt(0)
	v_fma_f64 v[8:9], v[8:9], v[14:15], -v[16:17]
	v_fma_f64 v[10:11], v[10:11], v[14:15], v[12:13]
	v_add_f64 v[1:2], v[1:2], v[8:9]
	v_add_f64 v[3:4], v[3:4], v[10:11]
	s_andn2_b32 exec_lo, exec_lo, s4
	s_cbranch_execnz .LBB40_96
; %bb.97:
	s_or_b32 exec_lo, exec_lo, s4
.LBB40_98:
	s_or_b32 exec_lo, exec_lo, s49
	v_mov_b32_e32 v7, 0
	ds_read_b128 v[7:10], v7 offset:448
	s_waitcnt lgkmcnt(0)
	v_mul_f64 v[11:12], v[3:4], v[9:10]
	v_mul_f64 v[9:10], v[1:2], v[9:10]
	v_fma_f64 v[1:2], v[1:2], v[7:8], -v[11:12]
	v_fma_f64 v[3:4], v[3:4], v[7:8], v[9:10]
	buffer_store_dword v2, off, s[0:3], 0 offset:452
	buffer_store_dword v1, off, s[0:3], 0 offset:448
	;; [unrolled: 1-line block ×4, first 2 shown]
.LBB40_99:
	s_or_b32 exec_lo, exec_lo, s8
	v_mov_b32_e32 v4, s20
	v_cmp_lt_u32_e64 s4, 27, v0
	s_clause 0x3
	buffer_load_dword v1, v4, s[0:3], 0 offen
	buffer_load_dword v2, v4, s[0:3], 0 offen offset:4
	buffer_load_dword v3, v4, s[0:3], 0 offen offset:8
	;; [unrolled: 1-line block ×3, first 2 shown]
	s_waitcnt vmcnt(0)
	ds_write_b128 v6, v[1:4]
	s_waitcnt lgkmcnt(0)
	s_waitcnt_vscnt null, 0x0
	s_barrier
	buffer_gl0_inv
	s_and_saveexec_b32 s8, s4
	s_cbranch_execz .LBB40_107
; %bb.100:
	ds_read_b128 v[1:4], v6
	s_andn2_b32 vcc_lo, exec_lo, s48
	s_cbranch_vccnz .LBB40_102
; %bb.101:
	s_clause 0x3
	buffer_load_dword v7, v5, s[0:3], 0 offen offset:8
	buffer_load_dword v8, v5, s[0:3], 0 offen offset:12
	buffer_load_dword v9, v5, s[0:3], 0 offen
	buffer_load_dword v10, v5, s[0:3], 0 offen offset:4
	s_waitcnt vmcnt(2) lgkmcnt(0)
	v_mul_f64 v[11:12], v[3:4], v[7:8]
	v_mul_f64 v[7:8], v[1:2], v[7:8]
	s_waitcnt vmcnt(0)
	v_fma_f64 v[1:2], v[1:2], v[9:10], -v[11:12]
	v_fma_f64 v[3:4], v[3:4], v[9:10], v[7:8]
.LBB40_102:
	s_and_saveexec_b32 s49, s5
	s_cbranch_execz .LBB40_106
; %bb.103:
	v_subrev_nc_u32_e32 v7, 28, v0
	s_movk_i32 s50, 0x450
	s_mov_b32 s5, 0
	s_mov_b32 s51, s19
	.p2align	6
.LBB40_104:                             ; =>This Inner Loop Header: Depth=1
	v_mov_b32_e32 v8, s51
	v_add_nc_u32_e32 v7, -1, v7
	s_add_i32 s51, s51, 16
	s_clause 0x3
	buffer_load_dword v12, v8, s[0:3], 0 offen offset:8
	buffer_load_dword v13, v8, s[0:3], 0 offen offset:12
	buffer_load_dword v14, v8, s[0:3], 0 offen
	buffer_load_dword v15, v8, s[0:3], 0 offen offset:4
	v_mov_b32_e32 v8, s50
	v_cmp_eq_u32_e32 vcc_lo, 0, v7
	s_add_i32 s50, s50, 16
	ds_read_b128 v[8:11], v8
	s_or_b32 s5, vcc_lo, s5
	s_waitcnt vmcnt(2) lgkmcnt(0)
	v_mul_f64 v[16:17], v[10:11], v[12:13]
	v_mul_f64 v[12:13], v[8:9], v[12:13]
	s_waitcnt vmcnt(0)
	v_fma_f64 v[8:9], v[8:9], v[14:15], -v[16:17]
	v_fma_f64 v[10:11], v[10:11], v[14:15], v[12:13]
	v_add_f64 v[1:2], v[1:2], v[8:9]
	v_add_f64 v[3:4], v[3:4], v[10:11]
	s_andn2_b32 exec_lo, exec_lo, s5
	s_cbranch_execnz .LBB40_104
; %bb.105:
	s_or_b32 exec_lo, exec_lo, s5
.LBB40_106:
	s_or_b32 exec_lo, exec_lo, s49
	v_mov_b32_e32 v7, 0
	ds_read_b128 v[7:10], v7 offset:432
	s_waitcnt lgkmcnt(0)
	v_mul_f64 v[11:12], v[3:4], v[9:10]
	v_mul_f64 v[9:10], v[1:2], v[9:10]
	v_fma_f64 v[1:2], v[1:2], v[7:8], -v[11:12]
	v_fma_f64 v[3:4], v[3:4], v[7:8], v[9:10]
	buffer_store_dword v2, off, s[0:3], 0 offset:436
	buffer_store_dword v1, off, s[0:3], 0 offset:432
	;; [unrolled: 1-line block ×4, first 2 shown]
.LBB40_107:
	s_or_b32 exec_lo, exec_lo, s8
	v_mov_b32_e32 v4, s21
	v_cmp_lt_u32_e64 s5, 26, v0
	s_clause 0x3
	buffer_load_dword v1, v4, s[0:3], 0 offen
	buffer_load_dword v2, v4, s[0:3], 0 offen offset:4
	buffer_load_dword v3, v4, s[0:3], 0 offen offset:8
	;; [unrolled: 1-line block ×3, first 2 shown]
	s_waitcnt vmcnt(0)
	ds_write_b128 v6, v[1:4]
	s_waitcnt lgkmcnt(0)
	s_waitcnt_vscnt null, 0x0
	s_barrier
	buffer_gl0_inv
	s_and_saveexec_b32 s8, s5
	s_cbranch_execz .LBB40_115
; %bb.108:
	ds_read_b128 v[1:4], v6
	s_andn2_b32 vcc_lo, exec_lo, s48
	s_cbranch_vccnz .LBB40_110
; %bb.109:
	s_clause 0x3
	buffer_load_dword v7, v5, s[0:3], 0 offen offset:8
	buffer_load_dword v8, v5, s[0:3], 0 offen offset:12
	buffer_load_dword v9, v5, s[0:3], 0 offen
	buffer_load_dword v10, v5, s[0:3], 0 offen offset:4
	s_waitcnt vmcnt(2) lgkmcnt(0)
	v_mul_f64 v[11:12], v[3:4], v[7:8]
	v_mul_f64 v[7:8], v[1:2], v[7:8]
	s_waitcnt vmcnt(0)
	v_fma_f64 v[1:2], v[1:2], v[9:10], -v[11:12]
	v_fma_f64 v[3:4], v[3:4], v[9:10], v[7:8]
.LBB40_110:
	s_and_saveexec_b32 s49, s4
	s_cbranch_execz .LBB40_114
; %bb.111:
	v_subrev_nc_u32_e32 v7, 27, v0
	s_movk_i32 s50, 0x440
	s_mov_b32 s4, 0
	s_mov_b32 s51, s20
	.p2align	6
.LBB40_112:                             ; =>This Inner Loop Header: Depth=1
	v_mov_b32_e32 v8, s51
	v_add_nc_u32_e32 v7, -1, v7
	s_add_i32 s51, s51, 16
	s_clause 0x3
	buffer_load_dword v12, v8, s[0:3], 0 offen offset:8
	buffer_load_dword v13, v8, s[0:3], 0 offen offset:12
	buffer_load_dword v14, v8, s[0:3], 0 offen
	buffer_load_dword v15, v8, s[0:3], 0 offen offset:4
	v_mov_b32_e32 v8, s50
	v_cmp_eq_u32_e32 vcc_lo, 0, v7
	s_add_i32 s50, s50, 16
	ds_read_b128 v[8:11], v8
	s_or_b32 s4, vcc_lo, s4
	s_waitcnt vmcnt(2) lgkmcnt(0)
	v_mul_f64 v[16:17], v[10:11], v[12:13]
	v_mul_f64 v[12:13], v[8:9], v[12:13]
	s_waitcnt vmcnt(0)
	v_fma_f64 v[8:9], v[8:9], v[14:15], -v[16:17]
	v_fma_f64 v[10:11], v[10:11], v[14:15], v[12:13]
	v_add_f64 v[1:2], v[1:2], v[8:9]
	v_add_f64 v[3:4], v[3:4], v[10:11]
	s_andn2_b32 exec_lo, exec_lo, s4
	s_cbranch_execnz .LBB40_112
; %bb.113:
	s_or_b32 exec_lo, exec_lo, s4
.LBB40_114:
	s_or_b32 exec_lo, exec_lo, s49
	v_mov_b32_e32 v7, 0
	ds_read_b128 v[7:10], v7 offset:416
	s_waitcnt lgkmcnt(0)
	v_mul_f64 v[11:12], v[3:4], v[9:10]
	v_mul_f64 v[9:10], v[1:2], v[9:10]
	v_fma_f64 v[1:2], v[1:2], v[7:8], -v[11:12]
	v_fma_f64 v[3:4], v[3:4], v[7:8], v[9:10]
	buffer_store_dword v2, off, s[0:3], 0 offset:420
	buffer_store_dword v1, off, s[0:3], 0 offset:416
	;; [unrolled: 1-line block ×4, first 2 shown]
.LBB40_115:
	s_or_b32 exec_lo, exec_lo, s8
	v_mov_b32_e32 v4, s22
	v_cmp_lt_u32_e64 s4, 25, v0
	s_clause 0x3
	buffer_load_dword v1, v4, s[0:3], 0 offen
	buffer_load_dword v2, v4, s[0:3], 0 offen offset:4
	buffer_load_dword v3, v4, s[0:3], 0 offen offset:8
	;; [unrolled: 1-line block ×3, first 2 shown]
	s_waitcnt vmcnt(0)
	ds_write_b128 v6, v[1:4]
	s_waitcnt lgkmcnt(0)
	s_waitcnt_vscnt null, 0x0
	s_barrier
	buffer_gl0_inv
	s_and_saveexec_b32 s8, s4
	s_cbranch_execz .LBB40_123
; %bb.116:
	ds_read_b128 v[1:4], v6
	s_andn2_b32 vcc_lo, exec_lo, s48
	s_cbranch_vccnz .LBB40_118
; %bb.117:
	s_clause 0x3
	buffer_load_dword v7, v5, s[0:3], 0 offen offset:8
	buffer_load_dword v8, v5, s[0:3], 0 offen offset:12
	buffer_load_dword v9, v5, s[0:3], 0 offen
	buffer_load_dword v10, v5, s[0:3], 0 offen offset:4
	s_waitcnt vmcnt(2) lgkmcnt(0)
	v_mul_f64 v[11:12], v[3:4], v[7:8]
	v_mul_f64 v[7:8], v[1:2], v[7:8]
	s_waitcnt vmcnt(0)
	v_fma_f64 v[1:2], v[1:2], v[9:10], -v[11:12]
	v_fma_f64 v[3:4], v[3:4], v[9:10], v[7:8]
.LBB40_118:
	s_and_saveexec_b32 s49, s5
	s_cbranch_execz .LBB40_122
; %bb.119:
	v_subrev_nc_u32_e32 v7, 26, v0
	s_movk_i32 s50, 0x430
	s_mov_b32 s5, 0
	s_mov_b32 s51, s21
	.p2align	6
.LBB40_120:                             ; =>This Inner Loop Header: Depth=1
	v_mov_b32_e32 v8, s51
	v_add_nc_u32_e32 v7, -1, v7
	s_add_i32 s51, s51, 16
	s_clause 0x3
	buffer_load_dword v12, v8, s[0:3], 0 offen offset:8
	buffer_load_dword v13, v8, s[0:3], 0 offen offset:12
	buffer_load_dword v14, v8, s[0:3], 0 offen
	buffer_load_dword v15, v8, s[0:3], 0 offen offset:4
	v_mov_b32_e32 v8, s50
	v_cmp_eq_u32_e32 vcc_lo, 0, v7
	s_add_i32 s50, s50, 16
	ds_read_b128 v[8:11], v8
	s_or_b32 s5, vcc_lo, s5
	s_waitcnt vmcnt(2) lgkmcnt(0)
	v_mul_f64 v[16:17], v[10:11], v[12:13]
	v_mul_f64 v[12:13], v[8:9], v[12:13]
	s_waitcnt vmcnt(0)
	v_fma_f64 v[8:9], v[8:9], v[14:15], -v[16:17]
	v_fma_f64 v[10:11], v[10:11], v[14:15], v[12:13]
	v_add_f64 v[1:2], v[1:2], v[8:9]
	v_add_f64 v[3:4], v[3:4], v[10:11]
	s_andn2_b32 exec_lo, exec_lo, s5
	s_cbranch_execnz .LBB40_120
; %bb.121:
	s_or_b32 exec_lo, exec_lo, s5
.LBB40_122:
	s_or_b32 exec_lo, exec_lo, s49
	v_mov_b32_e32 v7, 0
	ds_read_b128 v[7:10], v7 offset:400
	s_waitcnt lgkmcnt(0)
	v_mul_f64 v[11:12], v[3:4], v[9:10]
	v_mul_f64 v[9:10], v[1:2], v[9:10]
	v_fma_f64 v[1:2], v[1:2], v[7:8], -v[11:12]
	v_fma_f64 v[3:4], v[3:4], v[7:8], v[9:10]
	buffer_store_dword v2, off, s[0:3], 0 offset:404
	buffer_store_dword v1, off, s[0:3], 0 offset:400
	;; [unrolled: 1-line block ×4, first 2 shown]
.LBB40_123:
	s_or_b32 exec_lo, exec_lo, s8
	v_mov_b32_e32 v4, s23
	v_cmp_lt_u32_e64 s5, 24, v0
	s_clause 0x3
	buffer_load_dword v1, v4, s[0:3], 0 offen
	buffer_load_dword v2, v4, s[0:3], 0 offen offset:4
	buffer_load_dword v3, v4, s[0:3], 0 offen offset:8
	buffer_load_dword v4, v4, s[0:3], 0 offen offset:12
	s_waitcnt vmcnt(0)
	ds_write_b128 v6, v[1:4]
	s_waitcnt lgkmcnt(0)
	s_waitcnt_vscnt null, 0x0
	s_barrier
	buffer_gl0_inv
	s_and_saveexec_b32 s8, s5
	s_cbranch_execz .LBB40_131
; %bb.124:
	ds_read_b128 v[1:4], v6
	s_andn2_b32 vcc_lo, exec_lo, s48
	s_cbranch_vccnz .LBB40_126
; %bb.125:
	s_clause 0x3
	buffer_load_dword v7, v5, s[0:3], 0 offen offset:8
	buffer_load_dword v8, v5, s[0:3], 0 offen offset:12
	buffer_load_dword v9, v5, s[0:3], 0 offen
	buffer_load_dword v10, v5, s[0:3], 0 offen offset:4
	s_waitcnt vmcnt(2) lgkmcnt(0)
	v_mul_f64 v[11:12], v[3:4], v[7:8]
	v_mul_f64 v[7:8], v[1:2], v[7:8]
	s_waitcnt vmcnt(0)
	v_fma_f64 v[1:2], v[1:2], v[9:10], -v[11:12]
	v_fma_f64 v[3:4], v[3:4], v[9:10], v[7:8]
.LBB40_126:
	s_and_saveexec_b32 s49, s4
	s_cbranch_execz .LBB40_130
; %bb.127:
	v_subrev_nc_u32_e32 v7, 25, v0
	s_movk_i32 s50, 0x420
	s_mov_b32 s4, 0
	s_mov_b32 s51, s22
	.p2align	6
.LBB40_128:                             ; =>This Inner Loop Header: Depth=1
	v_mov_b32_e32 v8, s51
	v_add_nc_u32_e32 v7, -1, v7
	s_add_i32 s51, s51, 16
	s_clause 0x3
	buffer_load_dword v12, v8, s[0:3], 0 offen offset:8
	buffer_load_dword v13, v8, s[0:3], 0 offen offset:12
	buffer_load_dword v14, v8, s[0:3], 0 offen
	buffer_load_dword v15, v8, s[0:3], 0 offen offset:4
	v_mov_b32_e32 v8, s50
	v_cmp_eq_u32_e32 vcc_lo, 0, v7
	s_add_i32 s50, s50, 16
	ds_read_b128 v[8:11], v8
	s_or_b32 s4, vcc_lo, s4
	s_waitcnt vmcnt(2) lgkmcnt(0)
	v_mul_f64 v[16:17], v[10:11], v[12:13]
	v_mul_f64 v[12:13], v[8:9], v[12:13]
	s_waitcnt vmcnt(0)
	v_fma_f64 v[8:9], v[8:9], v[14:15], -v[16:17]
	v_fma_f64 v[10:11], v[10:11], v[14:15], v[12:13]
	v_add_f64 v[1:2], v[1:2], v[8:9]
	v_add_f64 v[3:4], v[3:4], v[10:11]
	s_andn2_b32 exec_lo, exec_lo, s4
	s_cbranch_execnz .LBB40_128
; %bb.129:
	s_or_b32 exec_lo, exec_lo, s4
.LBB40_130:
	s_or_b32 exec_lo, exec_lo, s49
	v_mov_b32_e32 v7, 0
	ds_read_b128 v[7:10], v7 offset:384
	s_waitcnt lgkmcnt(0)
	v_mul_f64 v[11:12], v[3:4], v[9:10]
	v_mul_f64 v[9:10], v[1:2], v[9:10]
	v_fma_f64 v[1:2], v[1:2], v[7:8], -v[11:12]
	v_fma_f64 v[3:4], v[3:4], v[7:8], v[9:10]
	buffer_store_dword v2, off, s[0:3], 0 offset:388
	buffer_store_dword v1, off, s[0:3], 0 offset:384
	;; [unrolled: 1-line block ×4, first 2 shown]
.LBB40_131:
	s_or_b32 exec_lo, exec_lo, s8
	v_mov_b32_e32 v4, s24
	v_cmp_lt_u32_e64 s4, 23, v0
	s_clause 0x3
	buffer_load_dword v1, v4, s[0:3], 0 offen
	buffer_load_dword v2, v4, s[0:3], 0 offen offset:4
	buffer_load_dword v3, v4, s[0:3], 0 offen offset:8
	;; [unrolled: 1-line block ×3, first 2 shown]
	s_waitcnt vmcnt(0)
	ds_write_b128 v6, v[1:4]
	s_waitcnt lgkmcnt(0)
	s_waitcnt_vscnt null, 0x0
	s_barrier
	buffer_gl0_inv
	s_and_saveexec_b32 s8, s4
	s_cbranch_execz .LBB40_139
; %bb.132:
	ds_read_b128 v[1:4], v6
	s_andn2_b32 vcc_lo, exec_lo, s48
	s_cbranch_vccnz .LBB40_134
; %bb.133:
	s_clause 0x3
	buffer_load_dword v7, v5, s[0:3], 0 offen offset:8
	buffer_load_dword v8, v5, s[0:3], 0 offen offset:12
	buffer_load_dword v9, v5, s[0:3], 0 offen
	buffer_load_dword v10, v5, s[0:3], 0 offen offset:4
	s_waitcnt vmcnt(2) lgkmcnt(0)
	v_mul_f64 v[11:12], v[3:4], v[7:8]
	v_mul_f64 v[7:8], v[1:2], v[7:8]
	s_waitcnt vmcnt(0)
	v_fma_f64 v[1:2], v[1:2], v[9:10], -v[11:12]
	v_fma_f64 v[3:4], v[3:4], v[9:10], v[7:8]
.LBB40_134:
	s_and_saveexec_b32 s49, s5
	s_cbranch_execz .LBB40_138
; %bb.135:
	v_subrev_nc_u32_e32 v7, 24, v0
	s_movk_i32 s50, 0x410
	s_mov_b32 s5, 0
	s_mov_b32 s51, s23
	.p2align	6
.LBB40_136:                             ; =>This Inner Loop Header: Depth=1
	v_mov_b32_e32 v8, s51
	v_add_nc_u32_e32 v7, -1, v7
	s_add_i32 s51, s51, 16
	s_clause 0x3
	buffer_load_dword v12, v8, s[0:3], 0 offen offset:8
	buffer_load_dword v13, v8, s[0:3], 0 offen offset:12
	buffer_load_dword v14, v8, s[0:3], 0 offen
	buffer_load_dword v15, v8, s[0:3], 0 offen offset:4
	v_mov_b32_e32 v8, s50
	v_cmp_eq_u32_e32 vcc_lo, 0, v7
	s_add_i32 s50, s50, 16
	ds_read_b128 v[8:11], v8
	s_or_b32 s5, vcc_lo, s5
	s_waitcnt vmcnt(2) lgkmcnt(0)
	v_mul_f64 v[16:17], v[10:11], v[12:13]
	v_mul_f64 v[12:13], v[8:9], v[12:13]
	s_waitcnt vmcnt(0)
	v_fma_f64 v[8:9], v[8:9], v[14:15], -v[16:17]
	v_fma_f64 v[10:11], v[10:11], v[14:15], v[12:13]
	v_add_f64 v[1:2], v[1:2], v[8:9]
	v_add_f64 v[3:4], v[3:4], v[10:11]
	s_andn2_b32 exec_lo, exec_lo, s5
	s_cbranch_execnz .LBB40_136
; %bb.137:
	s_or_b32 exec_lo, exec_lo, s5
.LBB40_138:
	s_or_b32 exec_lo, exec_lo, s49
	v_mov_b32_e32 v7, 0
	ds_read_b128 v[7:10], v7 offset:368
	s_waitcnt lgkmcnt(0)
	v_mul_f64 v[11:12], v[3:4], v[9:10]
	v_mul_f64 v[9:10], v[1:2], v[9:10]
	v_fma_f64 v[1:2], v[1:2], v[7:8], -v[11:12]
	v_fma_f64 v[3:4], v[3:4], v[7:8], v[9:10]
	buffer_store_dword v2, off, s[0:3], 0 offset:372
	buffer_store_dword v1, off, s[0:3], 0 offset:368
	;; [unrolled: 1-line block ×4, first 2 shown]
.LBB40_139:
	s_or_b32 exec_lo, exec_lo, s8
	v_mov_b32_e32 v4, s25
	v_cmp_lt_u32_e64 s5, 22, v0
	s_clause 0x3
	buffer_load_dword v1, v4, s[0:3], 0 offen
	buffer_load_dword v2, v4, s[0:3], 0 offen offset:4
	buffer_load_dword v3, v4, s[0:3], 0 offen offset:8
	;; [unrolled: 1-line block ×3, first 2 shown]
	s_waitcnt vmcnt(0)
	ds_write_b128 v6, v[1:4]
	s_waitcnt lgkmcnt(0)
	s_waitcnt_vscnt null, 0x0
	s_barrier
	buffer_gl0_inv
	s_and_saveexec_b32 s8, s5
	s_cbranch_execz .LBB40_147
; %bb.140:
	ds_read_b128 v[1:4], v6
	s_andn2_b32 vcc_lo, exec_lo, s48
	s_cbranch_vccnz .LBB40_142
; %bb.141:
	s_clause 0x3
	buffer_load_dword v7, v5, s[0:3], 0 offen offset:8
	buffer_load_dword v8, v5, s[0:3], 0 offen offset:12
	buffer_load_dword v9, v5, s[0:3], 0 offen
	buffer_load_dword v10, v5, s[0:3], 0 offen offset:4
	s_waitcnt vmcnt(2) lgkmcnt(0)
	v_mul_f64 v[11:12], v[3:4], v[7:8]
	v_mul_f64 v[7:8], v[1:2], v[7:8]
	s_waitcnt vmcnt(0)
	v_fma_f64 v[1:2], v[1:2], v[9:10], -v[11:12]
	v_fma_f64 v[3:4], v[3:4], v[9:10], v[7:8]
.LBB40_142:
	s_and_saveexec_b32 s49, s4
	s_cbranch_execz .LBB40_146
; %bb.143:
	v_subrev_nc_u32_e32 v7, 23, v0
	s_movk_i32 s50, 0x400
	s_mov_b32 s4, 0
	s_mov_b32 s51, s24
	.p2align	6
.LBB40_144:                             ; =>This Inner Loop Header: Depth=1
	v_mov_b32_e32 v8, s51
	v_add_nc_u32_e32 v7, -1, v7
	s_add_i32 s51, s51, 16
	s_clause 0x3
	buffer_load_dword v12, v8, s[0:3], 0 offen offset:8
	buffer_load_dword v13, v8, s[0:3], 0 offen offset:12
	buffer_load_dword v14, v8, s[0:3], 0 offen
	buffer_load_dword v15, v8, s[0:3], 0 offen offset:4
	v_mov_b32_e32 v8, s50
	v_cmp_eq_u32_e32 vcc_lo, 0, v7
	s_add_i32 s50, s50, 16
	ds_read_b128 v[8:11], v8
	s_or_b32 s4, vcc_lo, s4
	s_waitcnt vmcnt(2) lgkmcnt(0)
	v_mul_f64 v[16:17], v[10:11], v[12:13]
	v_mul_f64 v[12:13], v[8:9], v[12:13]
	s_waitcnt vmcnt(0)
	v_fma_f64 v[8:9], v[8:9], v[14:15], -v[16:17]
	v_fma_f64 v[10:11], v[10:11], v[14:15], v[12:13]
	v_add_f64 v[1:2], v[1:2], v[8:9]
	v_add_f64 v[3:4], v[3:4], v[10:11]
	s_andn2_b32 exec_lo, exec_lo, s4
	s_cbranch_execnz .LBB40_144
; %bb.145:
	s_or_b32 exec_lo, exec_lo, s4
.LBB40_146:
	s_or_b32 exec_lo, exec_lo, s49
	v_mov_b32_e32 v7, 0
	ds_read_b128 v[7:10], v7 offset:352
	s_waitcnt lgkmcnt(0)
	v_mul_f64 v[11:12], v[3:4], v[9:10]
	v_mul_f64 v[9:10], v[1:2], v[9:10]
	v_fma_f64 v[1:2], v[1:2], v[7:8], -v[11:12]
	v_fma_f64 v[3:4], v[3:4], v[7:8], v[9:10]
	buffer_store_dword v2, off, s[0:3], 0 offset:356
	buffer_store_dword v1, off, s[0:3], 0 offset:352
	;; [unrolled: 1-line block ×4, first 2 shown]
.LBB40_147:
	s_or_b32 exec_lo, exec_lo, s8
	v_mov_b32_e32 v4, s26
	v_cmp_lt_u32_e64 s4, 21, v0
	s_clause 0x3
	buffer_load_dword v1, v4, s[0:3], 0 offen
	buffer_load_dword v2, v4, s[0:3], 0 offen offset:4
	buffer_load_dword v3, v4, s[0:3], 0 offen offset:8
	;; [unrolled: 1-line block ×3, first 2 shown]
	s_waitcnt vmcnt(0)
	ds_write_b128 v6, v[1:4]
	s_waitcnt lgkmcnt(0)
	s_waitcnt_vscnt null, 0x0
	s_barrier
	buffer_gl0_inv
	s_and_saveexec_b32 s8, s4
	s_cbranch_execz .LBB40_155
; %bb.148:
	ds_read_b128 v[1:4], v6
	s_andn2_b32 vcc_lo, exec_lo, s48
	s_cbranch_vccnz .LBB40_150
; %bb.149:
	s_clause 0x3
	buffer_load_dword v7, v5, s[0:3], 0 offen offset:8
	buffer_load_dword v8, v5, s[0:3], 0 offen offset:12
	buffer_load_dword v9, v5, s[0:3], 0 offen
	buffer_load_dword v10, v5, s[0:3], 0 offen offset:4
	s_waitcnt vmcnt(2) lgkmcnt(0)
	v_mul_f64 v[11:12], v[3:4], v[7:8]
	v_mul_f64 v[7:8], v[1:2], v[7:8]
	s_waitcnt vmcnt(0)
	v_fma_f64 v[1:2], v[1:2], v[9:10], -v[11:12]
	v_fma_f64 v[3:4], v[3:4], v[9:10], v[7:8]
.LBB40_150:
	s_and_saveexec_b32 s49, s5
	s_cbranch_execz .LBB40_154
; %bb.151:
	v_subrev_nc_u32_e32 v7, 22, v0
	s_movk_i32 s50, 0x3f0
	s_mov_b32 s5, 0
	s_mov_b32 s51, s25
	.p2align	6
.LBB40_152:                             ; =>This Inner Loop Header: Depth=1
	v_mov_b32_e32 v8, s51
	v_add_nc_u32_e32 v7, -1, v7
	s_add_i32 s51, s51, 16
	s_clause 0x3
	buffer_load_dword v12, v8, s[0:3], 0 offen offset:8
	buffer_load_dword v13, v8, s[0:3], 0 offen offset:12
	buffer_load_dword v14, v8, s[0:3], 0 offen
	buffer_load_dword v15, v8, s[0:3], 0 offen offset:4
	v_mov_b32_e32 v8, s50
	v_cmp_eq_u32_e32 vcc_lo, 0, v7
	s_add_i32 s50, s50, 16
	ds_read_b128 v[8:11], v8
	s_or_b32 s5, vcc_lo, s5
	s_waitcnt vmcnt(2) lgkmcnt(0)
	v_mul_f64 v[16:17], v[10:11], v[12:13]
	v_mul_f64 v[12:13], v[8:9], v[12:13]
	s_waitcnt vmcnt(0)
	v_fma_f64 v[8:9], v[8:9], v[14:15], -v[16:17]
	v_fma_f64 v[10:11], v[10:11], v[14:15], v[12:13]
	v_add_f64 v[1:2], v[1:2], v[8:9]
	v_add_f64 v[3:4], v[3:4], v[10:11]
	s_andn2_b32 exec_lo, exec_lo, s5
	s_cbranch_execnz .LBB40_152
; %bb.153:
	s_or_b32 exec_lo, exec_lo, s5
.LBB40_154:
	s_or_b32 exec_lo, exec_lo, s49
	v_mov_b32_e32 v7, 0
	ds_read_b128 v[7:10], v7 offset:336
	s_waitcnt lgkmcnt(0)
	v_mul_f64 v[11:12], v[3:4], v[9:10]
	v_mul_f64 v[9:10], v[1:2], v[9:10]
	v_fma_f64 v[1:2], v[1:2], v[7:8], -v[11:12]
	v_fma_f64 v[3:4], v[3:4], v[7:8], v[9:10]
	buffer_store_dword v2, off, s[0:3], 0 offset:340
	buffer_store_dword v1, off, s[0:3], 0 offset:336
	;; [unrolled: 1-line block ×4, first 2 shown]
.LBB40_155:
	s_or_b32 exec_lo, exec_lo, s8
	v_mov_b32_e32 v4, s27
	v_cmp_lt_u32_e64 s5, 20, v0
	s_clause 0x3
	buffer_load_dword v1, v4, s[0:3], 0 offen
	buffer_load_dword v2, v4, s[0:3], 0 offen offset:4
	buffer_load_dword v3, v4, s[0:3], 0 offen offset:8
	;; [unrolled: 1-line block ×3, first 2 shown]
	s_waitcnt vmcnt(0)
	ds_write_b128 v6, v[1:4]
	s_waitcnt lgkmcnt(0)
	s_waitcnt_vscnt null, 0x0
	s_barrier
	buffer_gl0_inv
	s_and_saveexec_b32 s8, s5
	s_cbranch_execz .LBB40_163
; %bb.156:
	ds_read_b128 v[1:4], v6
	s_andn2_b32 vcc_lo, exec_lo, s48
	s_cbranch_vccnz .LBB40_158
; %bb.157:
	s_clause 0x3
	buffer_load_dword v7, v5, s[0:3], 0 offen offset:8
	buffer_load_dword v8, v5, s[0:3], 0 offen offset:12
	buffer_load_dword v9, v5, s[0:3], 0 offen
	buffer_load_dword v10, v5, s[0:3], 0 offen offset:4
	s_waitcnt vmcnt(2) lgkmcnt(0)
	v_mul_f64 v[11:12], v[3:4], v[7:8]
	v_mul_f64 v[7:8], v[1:2], v[7:8]
	s_waitcnt vmcnt(0)
	v_fma_f64 v[1:2], v[1:2], v[9:10], -v[11:12]
	v_fma_f64 v[3:4], v[3:4], v[9:10], v[7:8]
.LBB40_158:
	s_and_saveexec_b32 s49, s4
	s_cbranch_execz .LBB40_162
; %bb.159:
	v_subrev_nc_u32_e32 v7, 21, v0
	s_movk_i32 s50, 0x3e0
	s_mov_b32 s4, 0
	s_mov_b32 s51, s26
	.p2align	6
.LBB40_160:                             ; =>This Inner Loop Header: Depth=1
	v_mov_b32_e32 v8, s51
	v_add_nc_u32_e32 v7, -1, v7
	s_add_i32 s51, s51, 16
	s_clause 0x3
	buffer_load_dword v12, v8, s[0:3], 0 offen offset:8
	buffer_load_dword v13, v8, s[0:3], 0 offen offset:12
	buffer_load_dword v14, v8, s[0:3], 0 offen
	buffer_load_dword v15, v8, s[0:3], 0 offen offset:4
	v_mov_b32_e32 v8, s50
	v_cmp_eq_u32_e32 vcc_lo, 0, v7
	s_add_i32 s50, s50, 16
	ds_read_b128 v[8:11], v8
	s_or_b32 s4, vcc_lo, s4
	s_waitcnt vmcnt(2) lgkmcnt(0)
	v_mul_f64 v[16:17], v[10:11], v[12:13]
	v_mul_f64 v[12:13], v[8:9], v[12:13]
	s_waitcnt vmcnt(0)
	v_fma_f64 v[8:9], v[8:9], v[14:15], -v[16:17]
	v_fma_f64 v[10:11], v[10:11], v[14:15], v[12:13]
	v_add_f64 v[1:2], v[1:2], v[8:9]
	v_add_f64 v[3:4], v[3:4], v[10:11]
	s_andn2_b32 exec_lo, exec_lo, s4
	s_cbranch_execnz .LBB40_160
; %bb.161:
	s_or_b32 exec_lo, exec_lo, s4
.LBB40_162:
	s_or_b32 exec_lo, exec_lo, s49
	v_mov_b32_e32 v7, 0
	ds_read_b128 v[7:10], v7 offset:320
	s_waitcnt lgkmcnt(0)
	v_mul_f64 v[11:12], v[3:4], v[9:10]
	v_mul_f64 v[9:10], v[1:2], v[9:10]
	v_fma_f64 v[1:2], v[1:2], v[7:8], -v[11:12]
	v_fma_f64 v[3:4], v[3:4], v[7:8], v[9:10]
	buffer_store_dword v2, off, s[0:3], 0 offset:324
	buffer_store_dword v1, off, s[0:3], 0 offset:320
	;; [unrolled: 1-line block ×4, first 2 shown]
.LBB40_163:
	s_or_b32 exec_lo, exec_lo, s8
	v_mov_b32_e32 v4, s28
	v_cmp_lt_u32_e64 s4, 19, v0
	s_clause 0x3
	buffer_load_dword v1, v4, s[0:3], 0 offen
	buffer_load_dword v2, v4, s[0:3], 0 offen offset:4
	buffer_load_dword v3, v4, s[0:3], 0 offen offset:8
	;; [unrolled: 1-line block ×3, first 2 shown]
	s_waitcnt vmcnt(0)
	ds_write_b128 v6, v[1:4]
	s_waitcnt lgkmcnt(0)
	s_waitcnt_vscnt null, 0x0
	s_barrier
	buffer_gl0_inv
	s_and_saveexec_b32 s8, s4
	s_cbranch_execz .LBB40_171
; %bb.164:
	ds_read_b128 v[1:4], v6
	s_andn2_b32 vcc_lo, exec_lo, s48
	s_cbranch_vccnz .LBB40_166
; %bb.165:
	s_clause 0x3
	buffer_load_dword v7, v5, s[0:3], 0 offen offset:8
	buffer_load_dword v8, v5, s[0:3], 0 offen offset:12
	buffer_load_dword v9, v5, s[0:3], 0 offen
	buffer_load_dword v10, v5, s[0:3], 0 offen offset:4
	s_waitcnt vmcnt(2) lgkmcnt(0)
	v_mul_f64 v[11:12], v[3:4], v[7:8]
	v_mul_f64 v[7:8], v[1:2], v[7:8]
	s_waitcnt vmcnt(0)
	v_fma_f64 v[1:2], v[1:2], v[9:10], -v[11:12]
	v_fma_f64 v[3:4], v[3:4], v[9:10], v[7:8]
.LBB40_166:
	s_and_saveexec_b32 s49, s5
	s_cbranch_execz .LBB40_170
; %bb.167:
	v_subrev_nc_u32_e32 v7, 20, v0
	s_movk_i32 s50, 0x3d0
	s_mov_b32 s5, 0
	s_mov_b32 s51, s27
	.p2align	6
.LBB40_168:                             ; =>This Inner Loop Header: Depth=1
	v_mov_b32_e32 v8, s51
	v_add_nc_u32_e32 v7, -1, v7
	s_add_i32 s51, s51, 16
	s_clause 0x3
	buffer_load_dword v12, v8, s[0:3], 0 offen offset:8
	buffer_load_dword v13, v8, s[0:3], 0 offen offset:12
	buffer_load_dword v14, v8, s[0:3], 0 offen
	buffer_load_dword v15, v8, s[0:3], 0 offen offset:4
	v_mov_b32_e32 v8, s50
	v_cmp_eq_u32_e32 vcc_lo, 0, v7
	s_add_i32 s50, s50, 16
	ds_read_b128 v[8:11], v8
	s_or_b32 s5, vcc_lo, s5
	s_waitcnt vmcnt(2) lgkmcnt(0)
	v_mul_f64 v[16:17], v[10:11], v[12:13]
	v_mul_f64 v[12:13], v[8:9], v[12:13]
	s_waitcnt vmcnt(0)
	v_fma_f64 v[8:9], v[8:9], v[14:15], -v[16:17]
	v_fma_f64 v[10:11], v[10:11], v[14:15], v[12:13]
	v_add_f64 v[1:2], v[1:2], v[8:9]
	v_add_f64 v[3:4], v[3:4], v[10:11]
	s_andn2_b32 exec_lo, exec_lo, s5
	s_cbranch_execnz .LBB40_168
; %bb.169:
	s_or_b32 exec_lo, exec_lo, s5
.LBB40_170:
	s_or_b32 exec_lo, exec_lo, s49
	v_mov_b32_e32 v7, 0
	ds_read_b128 v[7:10], v7 offset:304
	s_waitcnt lgkmcnt(0)
	v_mul_f64 v[11:12], v[3:4], v[9:10]
	v_mul_f64 v[9:10], v[1:2], v[9:10]
	v_fma_f64 v[1:2], v[1:2], v[7:8], -v[11:12]
	v_fma_f64 v[3:4], v[3:4], v[7:8], v[9:10]
	buffer_store_dword v2, off, s[0:3], 0 offset:308
	buffer_store_dword v1, off, s[0:3], 0 offset:304
	;; [unrolled: 1-line block ×4, first 2 shown]
.LBB40_171:
	s_or_b32 exec_lo, exec_lo, s8
	v_mov_b32_e32 v4, s29
	v_cmp_lt_u32_e64 s5, 18, v0
	s_clause 0x3
	buffer_load_dword v1, v4, s[0:3], 0 offen
	buffer_load_dword v2, v4, s[0:3], 0 offen offset:4
	buffer_load_dword v3, v4, s[0:3], 0 offen offset:8
	buffer_load_dword v4, v4, s[0:3], 0 offen offset:12
	s_waitcnt vmcnt(0)
	ds_write_b128 v6, v[1:4]
	s_waitcnt lgkmcnt(0)
	s_waitcnt_vscnt null, 0x0
	s_barrier
	buffer_gl0_inv
	s_and_saveexec_b32 s8, s5
	s_cbranch_execz .LBB40_179
; %bb.172:
	ds_read_b128 v[1:4], v6
	s_andn2_b32 vcc_lo, exec_lo, s48
	s_cbranch_vccnz .LBB40_174
; %bb.173:
	s_clause 0x3
	buffer_load_dword v7, v5, s[0:3], 0 offen offset:8
	buffer_load_dword v8, v5, s[0:3], 0 offen offset:12
	buffer_load_dword v9, v5, s[0:3], 0 offen
	buffer_load_dword v10, v5, s[0:3], 0 offen offset:4
	s_waitcnt vmcnt(2) lgkmcnt(0)
	v_mul_f64 v[11:12], v[3:4], v[7:8]
	v_mul_f64 v[7:8], v[1:2], v[7:8]
	s_waitcnt vmcnt(0)
	v_fma_f64 v[1:2], v[1:2], v[9:10], -v[11:12]
	v_fma_f64 v[3:4], v[3:4], v[9:10], v[7:8]
.LBB40_174:
	s_and_saveexec_b32 s49, s4
	s_cbranch_execz .LBB40_178
; %bb.175:
	v_subrev_nc_u32_e32 v7, 19, v0
	s_movk_i32 s50, 0x3c0
	s_mov_b32 s4, 0
	s_mov_b32 s51, s28
	.p2align	6
.LBB40_176:                             ; =>This Inner Loop Header: Depth=1
	v_mov_b32_e32 v8, s51
	v_add_nc_u32_e32 v7, -1, v7
	s_add_i32 s51, s51, 16
	s_clause 0x3
	buffer_load_dword v12, v8, s[0:3], 0 offen offset:8
	buffer_load_dword v13, v8, s[0:3], 0 offen offset:12
	buffer_load_dword v14, v8, s[0:3], 0 offen
	buffer_load_dword v15, v8, s[0:3], 0 offen offset:4
	v_mov_b32_e32 v8, s50
	v_cmp_eq_u32_e32 vcc_lo, 0, v7
	s_add_i32 s50, s50, 16
	ds_read_b128 v[8:11], v8
	s_or_b32 s4, vcc_lo, s4
	s_waitcnt vmcnt(2) lgkmcnt(0)
	v_mul_f64 v[16:17], v[10:11], v[12:13]
	v_mul_f64 v[12:13], v[8:9], v[12:13]
	s_waitcnt vmcnt(0)
	v_fma_f64 v[8:9], v[8:9], v[14:15], -v[16:17]
	v_fma_f64 v[10:11], v[10:11], v[14:15], v[12:13]
	v_add_f64 v[1:2], v[1:2], v[8:9]
	v_add_f64 v[3:4], v[3:4], v[10:11]
	s_andn2_b32 exec_lo, exec_lo, s4
	s_cbranch_execnz .LBB40_176
; %bb.177:
	s_or_b32 exec_lo, exec_lo, s4
.LBB40_178:
	s_or_b32 exec_lo, exec_lo, s49
	v_mov_b32_e32 v7, 0
	ds_read_b128 v[7:10], v7 offset:288
	s_waitcnt lgkmcnt(0)
	v_mul_f64 v[11:12], v[3:4], v[9:10]
	v_mul_f64 v[9:10], v[1:2], v[9:10]
	v_fma_f64 v[1:2], v[1:2], v[7:8], -v[11:12]
	v_fma_f64 v[3:4], v[3:4], v[7:8], v[9:10]
	buffer_store_dword v2, off, s[0:3], 0 offset:292
	buffer_store_dword v1, off, s[0:3], 0 offset:288
	;; [unrolled: 1-line block ×4, first 2 shown]
.LBB40_179:
	s_or_b32 exec_lo, exec_lo, s8
	v_mov_b32_e32 v4, s30
	v_cmp_lt_u32_e64 s4, 17, v0
	s_clause 0x3
	buffer_load_dword v1, v4, s[0:3], 0 offen
	buffer_load_dword v2, v4, s[0:3], 0 offen offset:4
	buffer_load_dword v3, v4, s[0:3], 0 offen offset:8
	;; [unrolled: 1-line block ×3, first 2 shown]
	s_waitcnt vmcnt(0)
	ds_write_b128 v6, v[1:4]
	s_waitcnt lgkmcnt(0)
	s_waitcnt_vscnt null, 0x0
	s_barrier
	buffer_gl0_inv
	s_and_saveexec_b32 s8, s4
	s_cbranch_execz .LBB40_187
; %bb.180:
	ds_read_b128 v[1:4], v6
	s_andn2_b32 vcc_lo, exec_lo, s48
	s_cbranch_vccnz .LBB40_182
; %bb.181:
	s_clause 0x3
	buffer_load_dword v7, v5, s[0:3], 0 offen offset:8
	buffer_load_dword v8, v5, s[0:3], 0 offen offset:12
	buffer_load_dword v9, v5, s[0:3], 0 offen
	buffer_load_dword v10, v5, s[0:3], 0 offen offset:4
	s_waitcnt vmcnt(2) lgkmcnt(0)
	v_mul_f64 v[11:12], v[3:4], v[7:8]
	v_mul_f64 v[7:8], v[1:2], v[7:8]
	s_waitcnt vmcnt(0)
	v_fma_f64 v[1:2], v[1:2], v[9:10], -v[11:12]
	v_fma_f64 v[3:4], v[3:4], v[9:10], v[7:8]
.LBB40_182:
	s_and_saveexec_b32 s49, s5
	s_cbranch_execz .LBB40_186
; %bb.183:
	v_subrev_nc_u32_e32 v7, 18, v0
	s_movk_i32 s50, 0x3b0
	s_mov_b32 s5, 0
	s_mov_b32 s51, s29
	.p2align	6
.LBB40_184:                             ; =>This Inner Loop Header: Depth=1
	v_mov_b32_e32 v8, s51
	v_add_nc_u32_e32 v7, -1, v7
	s_add_i32 s51, s51, 16
	s_clause 0x3
	buffer_load_dword v12, v8, s[0:3], 0 offen offset:8
	buffer_load_dword v13, v8, s[0:3], 0 offen offset:12
	buffer_load_dword v14, v8, s[0:3], 0 offen
	buffer_load_dword v15, v8, s[0:3], 0 offen offset:4
	v_mov_b32_e32 v8, s50
	v_cmp_eq_u32_e32 vcc_lo, 0, v7
	s_add_i32 s50, s50, 16
	ds_read_b128 v[8:11], v8
	s_or_b32 s5, vcc_lo, s5
	s_waitcnt vmcnt(2) lgkmcnt(0)
	v_mul_f64 v[16:17], v[10:11], v[12:13]
	v_mul_f64 v[12:13], v[8:9], v[12:13]
	s_waitcnt vmcnt(0)
	v_fma_f64 v[8:9], v[8:9], v[14:15], -v[16:17]
	v_fma_f64 v[10:11], v[10:11], v[14:15], v[12:13]
	v_add_f64 v[1:2], v[1:2], v[8:9]
	v_add_f64 v[3:4], v[3:4], v[10:11]
	s_andn2_b32 exec_lo, exec_lo, s5
	s_cbranch_execnz .LBB40_184
; %bb.185:
	s_or_b32 exec_lo, exec_lo, s5
.LBB40_186:
	s_or_b32 exec_lo, exec_lo, s49
	v_mov_b32_e32 v7, 0
	ds_read_b128 v[7:10], v7 offset:272
	s_waitcnt lgkmcnt(0)
	v_mul_f64 v[11:12], v[3:4], v[9:10]
	v_mul_f64 v[9:10], v[1:2], v[9:10]
	v_fma_f64 v[1:2], v[1:2], v[7:8], -v[11:12]
	v_fma_f64 v[3:4], v[3:4], v[7:8], v[9:10]
	buffer_store_dword v2, off, s[0:3], 0 offset:276
	buffer_store_dword v1, off, s[0:3], 0 offset:272
	;; [unrolled: 1-line block ×4, first 2 shown]
.LBB40_187:
	s_or_b32 exec_lo, exec_lo, s8
	v_mov_b32_e32 v4, s31
	v_cmp_lt_u32_e64 s5, 16, v0
	s_clause 0x3
	buffer_load_dword v1, v4, s[0:3], 0 offen
	buffer_load_dword v2, v4, s[0:3], 0 offen offset:4
	buffer_load_dword v3, v4, s[0:3], 0 offen offset:8
	buffer_load_dword v4, v4, s[0:3], 0 offen offset:12
	s_waitcnt vmcnt(0)
	ds_write_b128 v6, v[1:4]
	s_waitcnt lgkmcnt(0)
	s_waitcnt_vscnt null, 0x0
	s_barrier
	buffer_gl0_inv
	s_and_saveexec_b32 s8, s5
	s_cbranch_execz .LBB40_195
; %bb.188:
	ds_read_b128 v[1:4], v6
	s_andn2_b32 vcc_lo, exec_lo, s48
	s_cbranch_vccnz .LBB40_190
; %bb.189:
	s_clause 0x3
	buffer_load_dword v7, v5, s[0:3], 0 offen offset:8
	buffer_load_dword v8, v5, s[0:3], 0 offen offset:12
	buffer_load_dword v9, v5, s[0:3], 0 offen
	buffer_load_dword v10, v5, s[0:3], 0 offen offset:4
	s_waitcnt vmcnt(2) lgkmcnt(0)
	v_mul_f64 v[11:12], v[3:4], v[7:8]
	v_mul_f64 v[7:8], v[1:2], v[7:8]
	s_waitcnt vmcnt(0)
	v_fma_f64 v[1:2], v[1:2], v[9:10], -v[11:12]
	v_fma_f64 v[3:4], v[3:4], v[9:10], v[7:8]
.LBB40_190:
	s_and_saveexec_b32 s49, s4
	s_cbranch_execz .LBB40_194
; %bb.191:
	v_subrev_nc_u32_e32 v7, 17, v0
	s_movk_i32 s50, 0x3a0
	s_mov_b32 s4, 0
	s_mov_b32 s51, s30
	.p2align	6
.LBB40_192:                             ; =>This Inner Loop Header: Depth=1
	v_mov_b32_e32 v8, s51
	v_add_nc_u32_e32 v7, -1, v7
	s_add_i32 s51, s51, 16
	s_clause 0x3
	buffer_load_dword v12, v8, s[0:3], 0 offen offset:8
	buffer_load_dword v13, v8, s[0:3], 0 offen offset:12
	buffer_load_dword v14, v8, s[0:3], 0 offen
	buffer_load_dword v15, v8, s[0:3], 0 offen offset:4
	v_mov_b32_e32 v8, s50
	v_cmp_eq_u32_e32 vcc_lo, 0, v7
	s_add_i32 s50, s50, 16
	ds_read_b128 v[8:11], v8
	s_or_b32 s4, vcc_lo, s4
	s_waitcnt vmcnt(2) lgkmcnt(0)
	v_mul_f64 v[16:17], v[10:11], v[12:13]
	v_mul_f64 v[12:13], v[8:9], v[12:13]
	s_waitcnt vmcnt(0)
	v_fma_f64 v[8:9], v[8:9], v[14:15], -v[16:17]
	v_fma_f64 v[10:11], v[10:11], v[14:15], v[12:13]
	v_add_f64 v[1:2], v[1:2], v[8:9]
	v_add_f64 v[3:4], v[3:4], v[10:11]
	s_andn2_b32 exec_lo, exec_lo, s4
	s_cbranch_execnz .LBB40_192
; %bb.193:
	s_or_b32 exec_lo, exec_lo, s4
.LBB40_194:
	s_or_b32 exec_lo, exec_lo, s49
	v_mov_b32_e32 v7, 0
	ds_read_b128 v[7:10], v7 offset:256
	s_waitcnt lgkmcnt(0)
	v_mul_f64 v[11:12], v[3:4], v[9:10]
	v_mul_f64 v[9:10], v[1:2], v[9:10]
	v_fma_f64 v[1:2], v[1:2], v[7:8], -v[11:12]
	v_fma_f64 v[3:4], v[3:4], v[7:8], v[9:10]
	buffer_store_dword v2, off, s[0:3], 0 offset:260
	buffer_store_dword v1, off, s[0:3], 0 offset:256
	buffer_store_dword v4, off, s[0:3], 0 offset:268
	buffer_store_dword v3, off, s[0:3], 0 offset:264
.LBB40_195:
	s_or_b32 exec_lo, exec_lo, s8
	v_mov_b32_e32 v4, s33
	v_cmp_lt_u32_e64 s4, 15, v0
	s_clause 0x3
	buffer_load_dword v1, v4, s[0:3], 0 offen
	buffer_load_dword v2, v4, s[0:3], 0 offen offset:4
	buffer_load_dword v3, v4, s[0:3], 0 offen offset:8
	;; [unrolled: 1-line block ×3, first 2 shown]
	s_waitcnt vmcnt(0)
	ds_write_b128 v6, v[1:4]
	s_waitcnt lgkmcnt(0)
	s_waitcnt_vscnt null, 0x0
	s_barrier
	buffer_gl0_inv
	s_and_saveexec_b32 s8, s4
	s_cbranch_execz .LBB40_203
; %bb.196:
	ds_read_b128 v[1:4], v6
	s_andn2_b32 vcc_lo, exec_lo, s48
	s_cbranch_vccnz .LBB40_198
; %bb.197:
	s_clause 0x3
	buffer_load_dword v7, v5, s[0:3], 0 offen offset:8
	buffer_load_dword v8, v5, s[0:3], 0 offen offset:12
	buffer_load_dword v9, v5, s[0:3], 0 offen
	buffer_load_dword v10, v5, s[0:3], 0 offen offset:4
	s_waitcnt vmcnt(2) lgkmcnt(0)
	v_mul_f64 v[11:12], v[3:4], v[7:8]
	v_mul_f64 v[7:8], v[1:2], v[7:8]
	s_waitcnt vmcnt(0)
	v_fma_f64 v[1:2], v[1:2], v[9:10], -v[11:12]
	v_fma_f64 v[3:4], v[3:4], v[9:10], v[7:8]
.LBB40_198:
	s_and_saveexec_b32 s49, s5
	s_cbranch_execz .LBB40_202
; %bb.199:
	v_add_nc_u32_e32 v7, -16, v0
	s_movk_i32 s50, 0x390
	s_mov_b32 s5, 0
	s_mov_b32 s51, s31
	.p2align	6
.LBB40_200:                             ; =>This Inner Loop Header: Depth=1
	v_mov_b32_e32 v8, s51
	v_add_nc_u32_e32 v7, -1, v7
	s_add_i32 s51, s51, 16
	s_clause 0x3
	buffer_load_dword v12, v8, s[0:3], 0 offen offset:8
	buffer_load_dword v13, v8, s[0:3], 0 offen offset:12
	buffer_load_dword v14, v8, s[0:3], 0 offen
	buffer_load_dword v15, v8, s[0:3], 0 offen offset:4
	v_mov_b32_e32 v8, s50
	v_cmp_eq_u32_e32 vcc_lo, 0, v7
	s_add_i32 s50, s50, 16
	ds_read_b128 v[8:11], v8
	s_or_b32 s5, vcc_lo, s5
	s_waitcnt vmcnt(2) lgkmcnt(0)
	v_mul_f64 v[16:17], v[10:11], v[12:13]
	v_mul_f64 v[12:13], v[8:9], v[12:13]
	s_waitcnt vmcnt(0)
	v_fma_f64 v[8:9], v[8:9], v[14:15], -v[16:17]
	v_fma_f64 v[10:11], v[10:11], v[14:15], v[12:13]
	v_add_f64 v[1:2], v[1:2], v[8:9]
	v_add_f64 v[3:4], v[3:4], v[10:11]
	s_andn2_b32 exec_lo, exec_lo, s5
	s_cbranch_execnz .LBB40_200
; %bb.201:
	s_or_b32 exec_lo, exec_lo, s5
.LBB40_202:
	s_or_b32 exec_lo, exec_lo, s49
	v_mov_b32_e32 v7, 0
	ds_read_b128 v[7:10], v7 offset:240
	s_waitcnt lgkmcnt(0)
	v_mul_f64 v[11:12], v[3:4], v[9:10]
	v_mul_f64 v[9:10], v[1:2], v[9:10]
	v_fma_f64 v[1:2], v[1:2], v[7:8], -v[11:12]
	v_fma_f64 v[3:4], v[3:4], v[7:8], v[9:10]
	buffer_store_dword v2, off, s[0:3], 0 offset:244
	buffer_store_dword v1, off, s[0:3], 0 offset:240
	;; [unrolled: 1-line block ×4, first 2 shown]
.LBB40_203:
	s_or_b32 exec_lo, exec_lo, s8
	v_mov_b32_e32 v4, s34
	v_cmp_lt_u32_e64 s5, 14, v0
	s_clause 0x3
	buffer_load_dword v1, v4, s[0:3], 0 offen
	buffer_load_dword v2, v4, s[0:3], 0 offen offset:4
	buffer_load_dword v3, v4, s[0:3], 0 offen offset:8
	;; [unrolled: 1-line block ×3, first 2 shown]
	s_waitcnt vmcnt(0)
	ds_write_b128 v6, v[1:4]
	s_waitcnt lgkmcnt(0)
	s_waitcnt_vscnt null, 0x0
	s_barrier
	buffer_gl0_inv
	s_and_saveexec_b32 s8, s5
	s_cbranch_execz .LBB40_211
; %bb.204:
	ds_read_b128 v[1:4], v6
	s_andn2_b32 vcc_lo, exec_lo, s48
	s_cbranch_vccnz .LBB40_206
; %bb.205:
	s_clause 0x3
	buffer_load_dword v7, v5, s[0:3], 0 offen offset:8
	buffer_load_dword v8, v5, s[0:3], 0 offen offset:12
	buffer_load_dword v9, v5, s[0:3], 0 offen
	buffer_load_dword v10, v5, s[0:3], 0 offen offset:4
	s_waitcnt vmcnt(2) lgkmcnt(0)
	v_mul_f64 v[11:12], v[3:4], v[7:8]
	v_mul_f64 v[7:8], v[1:2], v[7:8]
	s_waitcnt vmcnt(0)
	v_fma_f64 v[1:2], v[1:2], v[9:10], -v[11:12]
	v_fma_f64 v[3:4], v[3:4], v[9:10], v[7:8]
.LBB40_206:
	s_and_saveexec_b32 s49, s4
	s_cbranch_execz .LBB40_210
; %bb.207:
	v_add_nc_u32_e32 v7, -15, v0
	s_movk_i32 s50, 0x380
	s_mov_b32 s4, 0
	s_mov_b32 s51, s33
	.p2align	6
.LBB40_208:                             ; =>This Inner Loop Header: Depth=1
	v_mov_b32_e32 v8, s51
	v_add_nc_u32_e32 v7, -1, v7
	s_add_i32 s51, s51, 16
	s_clause 0x3
	buffer_load_dword v12, v8, s[0:3], 0 offen offset:8
	buffer_load_dword v13, v8, s[0:3], 0 offen offset:12
	buffer_load_dword v14, v8, s[0:3], 0 offen
	buffer_load_dword v15, v8, s[0:3], 0 offen offset:4
	v_mov_b32_e32 v8, s50
	v_cmp_eq_u32_e32 vcc_lo, 0, v7
	s_add_i32 s50, s50, 16
	ds_read_b128 v[8:11], v8
	s_or_b32 s4, vcc_lo, s4
	s_waitcnt vmcnt(2) lgkmcnt(0)
	v_mul_f64 v[16:17], v[10:11], v[12:13]
	v_mul_f64 v[12:13], v[8:9], v[12:13]
	s_waitcnt vmcnt(0)
	v_fma_f64 v[8:9], v[8:9], v[14:15], -v[16:17]
	v_fma_f64 v[10:11], v[10:11], v[14:15], v[12:13]
	v_add_f64 v[1:2], v[1:2], v[8:9]
	v_add_f64 v[3:4], v[3:4], v[10:11]
	s_andn2_b32 exec_lo, exec_lo, s4
	s_cbranch_execnz .LBB40_208
; %bb.209:
	s_or_b32 exec_lo, exec_lo, s4
.LBB40_210:
	s_or_b32 exec_lo, exec_lo, s49
	v_mov_b32_e32 v7, 0
	ds_read_b128 v[7:10], v7 offset:224
	s_waitcnt lgkmcnt(0)
	v_mul_f64 v[11:12], v[3:4], v[9:10]
	v_mul_f64 v[9:10], v[1:2], v[9:10]
	v_fma_f64 v[1:2], v[1:2], v[7:8], -v[11:12]
	v_fma_f64 v[3:4], v[3:4], v[7:8], v[9:10]
	buffer_store_dword v2, off, s[0:3], 0 offset:228
	buffer_store_dword v1, off, s[0:3], 0 offset:224
	;; [unrolled: 1-line block ×4, first 2 shown]
.LBB40_211:
	s_or_b32 exec_lo, exec_lo, s8
	v_mov_b32_e32 v4, s35
	v_cmp_lt_u32_e64 s4, 13, v0
	s_clause 0x3
	buffer_load_dword v1, v4, s[0:3], 0 offen
	buffer_load_dword v2, v4, s[0:3], 0 offen offset:4
	buffer_load_dword v3, v4, s[0:3], 0 offen offset:8
	;; [unrolled: 1-line block ×3, first 2 shown]
	s_waitcnt vmcnt(0)
	ds_write_b128 v6, v[1:4]
	s_waitcnt lgkmcnt(0)
	s_waitcnt_vscnt null, 0x0
	s_barrier
	buffer_gl0_inv
	s_and_saveexec_b32 s8, s4
	s_cbranch_execz .LBB40_219
; %bb.212:
	ds_read_b128 v[1:4], v6
	s_andn2_b32 vcc_lo, exec_lo, s48
	s_cbranch_vccnz .LBB40_214
; %bb.213:
	s_clause 0x3
	buffer_load_dword v7, v5, s[0:3], 0 offen offset:8
	buffer_load_dword v8, v5, s[0:3], 0 offen offset:12
	buffer_load_dword v9, v5, s[0:3], 0 offen
	buffer_load_dword v10, v5, s[0:3], 0 offen offset:4
	s_waitcnt vmcnt(2) lgkmcnt(0)
	v_mul_f64 v[11:12], v[3:4], v[7:8]
	v_mul_f64 v[7:8], v[1:2], v[7:8]
	s_waitcnt vmcnt(0)
	v_fma_f64 v[1:2], v[1:2], v[9:10], -v[11:12]
	v_fma_f64 v[3:4], v[3:4], v[9:10], v[7:8]
.LBB40_214:
	s_and_saveexec_b32 s49, s5
	s_cbranch_execz .LBB40_218
; %bb.215:
	v_add_nc_u32_e32 v7, -14, v0
	s_movk_i32 s50, 0x370
	s_mov_b32 s5, 0
	s_mov_b32 s51, s34
	.p2align	6
.LBB40_216:                             ; =>This Inner Loop Header: Depth=1
	v_mov_b32_e32 v8, s51
	v_add_nc_u32_e32 v7, -1, v7
	s_add_i32 s51, s51, 16
	s_clause 0x3
	buffer_load_dword v12, v8, s[0:3], 0 offen offset:8
	buffer_load_dword v13, v8, s[0:3], 0 offen offset:12
	buffer_load_dword v14, v8, s[0:3], 0 offen
	buffer_load_dword v15, v8, s[0:3], 0 offen offset:4
	v_mov_b32_e32 v8, s50
	v_cmp_eq_u32_e32 vcc_lo, 0, v7
	s_add_i32 s50, s50, 16
	ds_read_b128 v[8:11], v8
	s_or_b32 s5, vcc_lo, s5
	s_waitcnt vmcnt(2) lgkmcnt(0)
	v_mul_f64 v[16:17], v[10:11], v[12:13]
	v_mul_f64 v[12:13], v[8:9], v[12:13]
	s_waitcnt vmcnt(0)
	v_fma_f64 v[8:9], v[8:9], v[14:15], -v[16:17]
	v_fma_f64 v[10:11], v[10:11], v[14:15], v[12:13]
	v_add_f64 v[1:2], v[1:2], v[8:9]
	v_add_f64 v[3:4], v[3:4], v[10:11]
	s_andn2_b32 exec_lo, exec_lo, s5
	s_cbranch_execnz .LBB40_216
; %bb.217:
	s_or_b32 exec_lo, exec_lo, s5
.LBB40_218:
	s_or_b32 exec_lo, exec_lo, s49
	v_mov_b32_e32 v7, 0
	ds_read_b128 v[7:10], v7 offset:208
	s_waitcnt lgkmcnt(0)
	v_mul_f64 v[11:12], v[3:4], v[9:10]
	v_mul_f64 v[9:10], v[1:2], v[9:10]
	v_fma_f64 v[1:2], v[1:2], v[7:8], -v[11:12]
	v_fma_f64 v[3:4], v[3:4], v[7:8], v[9:10]
	buffer_store_dword v2, off, s[0:3], 0 offset:212
	buffer_store_dword v1, off, s[0:3], 0 offset:208
	;; [unrolled: 1-line block ×4, first 2 shown]
.LBB40_219:
	s_or_b32 exec_lo, exec_lo, s8
	v_mov_b32_e32 v4, s36
	v_cmp_lt_u32_e64 s5, 12, v0
	s_clause 0x3
	buffer_load_dword v1, v4, s[0:3], 0 offen
	buffer_load_dword v2, v4, s[0:3], 0 offen offset:4
	buffer_load_dword v3, v4, s[0:3], 0 offen offset:8
	;; [unrolled: 1-line block ×3, first 2 shown]
	s_waitcnt vmcnt(0)
	ds_write_b128 v6, v[1:4]
	s_waitcnt lgkmcnt(0)
	s_waitcnt_vscnt null, 0x0
	s_barrier
	buffer_gl0_inv
	s_and_saveexec_b32 s8, s5
	s_cbranch_execz .LBB40_227
; %bb.220:
	ds_read_b128 v[1:4], v6
	s_andn2_b32 vcc_lo, exec_lo, s48
	s_cbranch_vccnz .LBB40_222
; %bb.221:
	s_clause 0x3
	buffer_load_dword v7, v5, s[0:3], 0 offen offset:8
	buffer_load_dword v8, v5, s[0:3], 0 offen offset:12
	buffer_load_dword v9, v5, s[0:3], 0 offen
	buffer_load_dword v10, v5, s[0:3], 0 offen offset:4
	s_waitcnt vmcnt(2) lgkmcnt(0)
	v_mul_f64 v[11:12], v[3:4], v[7:8]
	v_mul_f64 v[7:8], v[1:2], v[7:8]
	s_waitcnt vmcnt(0)
	v_fma_f64 v[1:2], v[1:2], v[9:10], -v[11:12]
	v_fma_f64 v[3:4], v[3:4], v[9:10], v[7:8]
.LBB40_222:
	s_and_saveexec_b32 s49, s4
	s_cbranch_execz .LBB40_226
; %bb.223:
	v_add_nc_u32_e32 v7, -13, v0
	s_movk_i32 s50, 0x360
	s_mov_b32 s4, 0
	s_mov_b32 s51, s35
	.p2align	6
.LBB40_224:                             ; =>This Inner Loop Header: Depth=1
	v_mov_b32_e32 v8, s51
	v_add_nc_u32_e32 v7, -1, v7
	s_add_i32 s51, s51, 16
	s_clause 0x3
	buffer_load_dword v12, v8, s[0:3], 0 offen offset:8
	buffer_load_dword v13, v8, s[0:3], 0 offen offset:12
	buffer_load_dword v14, v8, s[0:3], 0 offen
	buffer_load_dword v15, v8, s[0:3], 0 offen offset:4
	v_mov_b32_e32 v8, s50
	v_cmp_eq_u32_e32 vcc_lo, 0, v7
	s_add_i32 s50, s50, 16
	ds_read_b128 v[8:11], v8
	s_or_b32 s4, vcc_lo, s4
	s_waitcnt vmcnt(2) lgkmcnt(0)
	v_mul_f64 v[16:17], v[10:11], v[12:13]
	v_mul_f64 v[12:13], v[8:9], v[12:13]
	s_waitcnt vmcnt(0)
	v_fma_f64 v[8:9], v[8:9], v[14:15], -v[16:17]
	v_fma_f64 v[10:11], v[10:11], v[14:15], v[12:13]
	v_add_f64 v[1:2], v[1:2], v[8:9]
	v_add_f64 v[3:4], v[3:4], v[10:11]
	s_andn2_b32 exec_lo, exec_lo, s4
	s_cbranch_execnz .LBB40_224
; %bb.225:
	s_or_b32 exec_lo, exec_lo, s4
.LBB40_226:
	s_or_b32 exec_lo, exec_lo, s49
	v_mov_b32_e32 v7, 0
	ds_read_b128 v[7:10], v7 offset:192
	s_waitcnt lgkmcnt(0)
	v_mul_f64 v[11:12], v[3:4], v[9:10]
	v_mul_f64 v[9:10], v[1:2], v[9:10]
	v_fma_f64 v[1:2], v[1:2], v[7:8], -v[11:12]
	v_fma_f64 v[3:4], v[3:4], v[7:8], v[9:10]
	buffer_store_dword v2, off, s[0:3], 0 offset:196
	buffer_store_dword v1, off, s[0:3], 0 offset:192
	;; [unrolled: 1-line block ×4, first 2 shown]
.LBB40_227:
	s_or_b32 exec_lo, exec_lo, s8
	v_mov_b32_e32 v4, s37
	v_cmp_lt_u32_e64 s4, 11, v0
	s_clause 0x3
	buffer_load_dword v1, v4, s[0:3], 0 offen
	buffer_load_dword v2, v4, s[0:3], 0 offen offset:4
	buffer_load_dword v3, v4, s[0:3], 0 offen offset:8
	;; [unrolled: 1-line block ×3, first 2 shown]
	s_waitcnt vmcnt(0)
	ds_write_b128 v6, v[1:4]
	s_waitcnt lgkmcnt(0)
	s_waitcnt_vscnt null, 0x0
	s_barrier
	buffer_gl0_inv
	s_and_saveexec_b32 s8, s4
	s_cbranch_execz .LBB40_235
; %bb.228:
	ds_read_b128 v[1:4], v6
	s_andn2_b32 vcc_lo, exec_lo, s48
	s_cbranch_vccnz .LBB40_230
; %bb.229:
	s_clause 0x3
	buffer_load_dword v7, v5, s[0:3], 0 offen offset:8
	buffer_load_dword v8, v5, s[0:3], 0 offen offset:12
	buffer_load_dword v9, v5, s[0:3], 0 offen
	buffer_load_dword v10, v5, s[0:3], 0 offen offset:4
	s_waitcnt vmcnt(2) lgkmcnt(0)
	v_mul_f64 v[11:12], v[3:4], v[7:8]
	v_mul_f64 v[7:8], v[1:2], v[7:8]
	s_waitcnt vmcnt(0)
	v_fma_f64 v[1:2], v[1:2], v[9:10], -v[11:12]
	v_fma_f64 v[3:4], v[3:4], v[9:10], v[7:8]
.LBB40_230:
	s_and_saveexec_b32 s49, s5
	s_cbranch_execz .LBB40_234
; %bb.231:
	v_add_nc_u32_e32 v7, -12, v0
	s_movk_i32 s50, 0x350
	s_mov_b32 s5, 0
	s_mov_b32 s51, s36
	.p2align	6
.LBB40_232:                             ; =>This Inner Loop Header: Depth=1
	v_mov_b32_e32 v8, s51
	v_add_nc_u32_e32 v7, -1, v7
	s_add_i32 s51, s51, 16
	s_clause 0x3
	buffer_load_dword v12, v8, s[0:3], 0 offen offset:8
	buffer_load_dword v13, v8, s[0:3], 0 offen offset:12
	buffer_load_dword v14, v8, s[0:3], 0 offen
	buffer_load_dword v15, v8, s[0:3], 0 offen offset:4
	v_mov_b32_e32 v8, s50
	v_cmp_eq_u32_e32 vcc_lo, 0, v7
	s_add_i32 s50, s50, 16
	ds_read_b128 v[8:11], v8
	s_or_b32 s5, vcc_lo, s5
	s_waitcnt vmcnt(2) lgkmcnt(0)
	v_mul_f64 v[16:17], v[10:11], v[12:13]
	v_mul_f64 v[12:13], v[8:9], v[12:13]
	s_waitcnt vmcnt(0)
	v_fma_f64 v[8:9], v[8:9], v[14:15], -v[16:17]
	v_fma_f64 v[10:11], v[10:11], v[14:15], v[12:13]
	v_add_f64 v[1:2], v[1:2], v[8:9]
	v_add_f64 v[3:4], v[3:4], v[10:11]
	s_andn2_b32 exec_lo, exec_lo, s5
	s_cbranch_execnz .LBB40_232
; %bb.233:
	s_or_b32 exec_lo, exec_lo, s5
.LBB40_234:
	s_or_b32 exec_lo, exec_lo, s49
	v_mov_b32_e32 v7, 0
	ds_read_b128 v[7:10], v7 offset:176
	s_waitcnt lgkmcnt(0)
	v_mul_f64 v[11:12], v[3:4], v[9:10]
	v_mul_f64 v[9:10], v[1:2], v[9:10]
	v_fma_f64 v[1:2], v[1:2], v[7:8], -v[11:12]
	v_fma_f64 v[3:4], v[3:4], v[7:8], v[9:10]
	buffer_store_dword v2, off, s[0:3], 0 offset:180
	buffer_store_dword v1, off, s[0:3], 0 offset:176
	;; [unrolled: 1-line block ×4, first 2 shown]
.LBB40_235:
	s_or_b32 exec_lo, exec_lo, s8
	v_mov_b32_e32 v4, s38
	v_cmp_lt_u32_e64 s5, 10, v0
	s_clause 0x3
	buffer_load_dword v1, v4, s[0:3], 0 offen
	buffer_load_dword v2, v4, s[0:3], 0 offen offset:4
	buffer_load_dword v3, v4, s[0:3], 0 offen offset:8
	;; [unrolled: 1-line block ×3, first 2 shown]
	s_waitcnt vmcnt(0)
	ds_write_b128 v6, v[1:4]
	s_waitcnt lgkmcnt(0)
	s_waitcnt_vscnt null, 0x0
	s_barrier
	buffer_gl0_inv
	s_and_saveexec_b32 s8, s5
	s_cbranch_execz .LBB40_243
; %bb.236:
	ds_read_b128 v[1:4], v6
	s_andn2_b32 vcc_lo, exec_lo, s48
	s_cbranch_vccnz .LBB40_238
; %bb.237:
	s_clause 0x3
	buffer_load_dword v7, v5, s[0:3], 0 offen offset:8
	buffer_load_dword v8, v5, s[0:3], 0 offen offset:12
	buffer_load_dword v9, v5, s[0:3], 0 offen
	buffer_load_dword v10, v5, s[0:3], 0 offen offset:4
	s_waitcnt vmcnt(2) lgkmcnt(0)
	v_mul_f64 v[11:12], v[3:4], v[7:8]
	v_mul_f64 v[7:8], v[1:2], v[7:8]
	s_waitcnt vmcnt(0)
	v_fma_f64 v[1:2], v[1:2], v[9:10], -v[11:12]
	v_fma_f64 v[3:4], v[3:4], v[9:10], v[7:8]
.LBB40_238:
	s_and_saveexec_b32 s49, s4
	s_cbranch_execz .LBB40_242
; %bb.239:
	v_add_nc_u32_e32 v7, -11, v0
	s_movk_i32 s50, 0x340
	s_mov_b32 s4, 0
	s_mov_b32 s51, s37
	.p2align	6
.LBB40_240:                             ; =>This Inner Loop Header: Depth=1
	v_mov_b32_e32 v8, s51
	v_add_nc_u32_e32 v7, -1, v7
	s_add_i32 s51, s51, 16
	s_clause 0x3
	buffer_load_dword v12, v8, s[0:3], 0 offen offset:8
	buffer_load_dword v13, v8, s[0:3], 0 offen offset:12
	buffer_load_dword v14, v8, s[0:3], 0 offen
	buffer_load_dword v15, v8, s[0:3], 0 offen offset:4
	v_mov_b32_e32 v8, s50
	v_cmp_eq_u32_e32 vcc_lo, 0, v7
	s_add_i32 s50, s50, 16
	ds_read_b128 v[8:11], v8
	s_or_b32 s4, vcc_lo, s4
	s_waitcnt vmcnt(2) lgkmcnt(0)
	v_mul_f64 v[16:17], v[10:11], v[12:13]
	v_mul_f64 v[12:13], v[8:9], v[12:13]
	s_waitcnt vmcnt(0)
	v_fma_f64 v[8:9], v[8:9], v[14:15], -v[16:17]
	v_fma_f64 v[10:11], v[10:11], v[14:15], v[12:13]
	v_add_f64 v[1:2], v[1:2], v[8:9]
	v_add_f64 v[3:4], v[3:4], v[10:11]
	s_andn2_b32 exec_lo, exec_lo, s4
	s_cbranch_execnz .LBB40_240
; %bb.241:
	s_or_b32 exec_lo, exec_lo, s4
.LBB40_242:
	s_or_b32 exec_lo, exec_lo, s49
	v_mov_b32_e32 v7, 0
	ds_read_b128 v[7:10], v7 offset:160
	s_waitcnt lgkmcnt(0)
	v_mul_f64 v[11:12], v[3:4], v[9:10]
	v_mul_f64 v[9:10], v[1:2], v[9:10]
	v_fma_f64 v[1:2], v[1:2], v[7:8], -v[11:12]
	v_fma_f64 v[3:4], v[3:4], v[7:8], v[9:10]
	buffer_store_dword v2, off, s[0:3], 0 offset:164
	buffer_store_dword v1, off, s[0:3], 0 offset:160
	;; [unrolled: 1-line block ×4, first 2 shown]
.LBB40_243:
	s_or_b32 exec_lo, exec_lo, s8
	v_mov_b32_e32 v4, s39
	v_cmp_lt_u32_e64 s4, 9, v0
	s_clause 0x3
	buffer_load_dword v1, v4, s[0:3], 0 offen
	buffer_load_dword v2, v4, s[0:3], 0 offen offset:4
	buffer_load_dword v3, v4, s[0:3], 0 offen offset:8
	;; [unrolled: 1-line block ×3, first 2 shown]
	s_waitcnt vmcnt(0)
	ds_write_b128 v6, v[1:4]
	s_waitcnt lgkmcnt(0)
	s_waitcnt_vscnt null, 0x0
	s_barrier
	buffer_gl0_inv
	s_and_saveexec_b32 s8, s4
	s_cbranch_execz .LBB40_251
; %bb.244:
	ds_read_b128 v[1:4], v6
	s_andn2_b32 vcc_lo, exec_lo, s48
	s_cbranch_vccnz .LBB40_246
; %bb.245:
	s_clause 0x3
	buffer_load_dword v7, v5, s[0:3], 0 offen offset:8
	buffer_load_dword v8, v5, s[0:3], 0 offen offset:12
	buffer_load_dword v9, v5, s[0:3], 0 offen
	buffer_load_dword v10, v5, s[0:3], 0 offen offset:4
	s_waitcnt vmcnt(2) lgkmcnt(0)
	v_mul_f64 v[11:12], v[3:4], v[7:8]
	v_mul_f64 v[7:8], v[1:2], v[7:8]
	s_waitcnt vmcnt(0)
	v_fma_f64 v[1:2], v[1:2], v[9:10], -v[11:12]
	v_fma_f64 v[3:4], v[3:4], v[9:10], v[7:8]
.LBB40_246:
	s_and_saveexec_b32 s49, s5
	s_cbranch_execz .LBB40_250
; %bb.247:
	v_add_nc_u32_e32 v7, -10, v0
	s_movk_i32 s50, 0x330
	s_mov_b32 s5, 0
	s_mov_b32 s51, s38
	.p2align	6
.LBB40_248:                             ; =>This Inner Loop Header: Depth=1
	v_mov_b32_e32 v8, s51
	v_add_nc_u32_e32 v7, -1, v7
	s_add_i32 s51, s51, 16
	s_clause 0x3
	buffer_load_dword v12, v8, s[0:3], 0 offen offset:8
	buffer_load_dword v13, v8, s[0:3], 0 offen offset:12
	buffer_load_dword v14, v8, s[0:3], 0 offen
	buffer_load_dword v15, v8, s[0:3], 0 offen offset:4
	v_mov_b32_e32 v8, s50
	v_cmp_eq_u32_e32 vcc_lo, 0, v7
	s_add_i32 s50, s50, 16
	ds_read_b128 v[8:11], v8
	s_or_b32 s5, vcc_lo, s5
	s_waitcnt vmcnt(2) lgkmcnt(0)
	v_mul_f64 v[16:17], v[10:11], v[12:13]
	v_mul_f64 v[12:13], v[8:9], v[12:13]
	s_waitcnt vmcnt(0)
	v_fma_f64 v[8:9], v[8:9], v[14:15], -v[16:17]
	v_fma_f64 v[10:11], v[10:11], v[14:15], v[12:13]
	v_add_f64 v[1:2], v[1:2], v[8:9]
	v_add_f64 v[3:4], v[3:4], v[10:11]
	s_andn2_b32 exec_lo, exec_lo, s5
	s_cbranch_execnz .LBB40_248
; %bb.249:
	s_or_b32 exec_lo, exec_lo, s5
.LBB40_250:
	s_or_b32 exec_lo, exec_lo, s49
	v_mov_b32_e32 v7, 0
	ds_read_b128 v[7:10], v7 offset:144
	s_waitcnt lgkmcnt(0)
	v_mul_f64 v[11:12], v[3:4], v[9:10]
	v_mul_f64 v[9:10], v[1:2], v[9:10]
	v_fma_f64 v[1:2], v[1:2], v[7:8], -v[11:12]
	v_fma_f64 v[3:4], v[3:4], v[7:8], v[9:10]
	buffer_store_dword v2, off, s[0:3], 0 offset:148
	buffer_store_dword v1, off, s[0:3], 0 offset:144
	;; [unrolled: 1-line block ×4, first 2 shown]
.LBB40_251:
	s_or_b32 exec_lo, exec_lo, s8
	v_mov_b32_e32 v4, s40
	v_cmp_lt_u32_e64 s5, 8, v0
	s_clause 0x3
	buffer_load_dword v1, v4, s[0:3], 0 offen
	buffer_load_dword v2, v4, s[0:3], 0 offen offset:4
	buffer_load_dword v3, v4, s[0:3], 0 offen offset:8
	;; [unrolled: 1-line block ×3, first 2 shown]
	s_waitcnt vmcnt(0)
	ds_write_b128 v6, v[1:4]
	s_waitcnt lgkmcnt(0)
	s_waitcnt_vscnt null, 0x0
	s_barrier
	buffer_gl0_inv
	s_and_saveexec_b32 s8, s5
	s_cbranch_execz .LBB40_259
; %bb.252:
	ds_read_b128 v[1:4], v6
	s_andn2_b32 vcc_lo, exec_lo, s48
	s_cbranch_vccnz .LBB40_254
; %bb.253:
	s_clause 0x3
	buffer_load_dword v7, v5, s[0:3], 0 offen offset:8
	buffer_load_dword v8, v5, s[0:3], 0 offen offset:12
	buffer_load_dword v9, v5, s[0:3], 0 offen
	buffer_load_dword v10, v5, s[0:3], 0 offen offset:4
	s_waitcnt vmcnt(2) lgkmcnt(0)
	v_mul_f64 v[11:12], v[3:4], v[7:8]
	v_mul_f64 v[7:8], v[1:2], v[7:8]
	s_waitcnt vmcnt(0)
	v_fma_f64 v[1:2], v[1:2], v[9:10], -v[11:12]
	v_fma_f64 v[3:4], v[3:4], v[9:10], v[7:8]
.LBB40_254:
	s_and_saveexec_b32 s49, s4
	s_cbranch_execz .LBB40_258
; %bb.255:
	v_add_nc_u32_e32 v7, -9, v0
	s_movk_i32 s50, 0x320
	s_mov_b32 s4, 0
	s_mov_b32 s51, s39
	.p2align	6
.LBB40_256:                             ; =>This Inner Loop Header: Depth=1
	v_mov_b32_e32 v8, s51
	v_add_nc_u32_e32 v7, -1, v7
	s_add_i32 s51, s51, 16
	s_clause 0x3
	buffer_load_dword v12, v8, s[0:3], 0 offen offset:8
	buffer_load_dword v13, v8, s[0:3], 0 offen offset:12
	buffer_load_dword v14, v8, s[0:3], 0 offen
	buffer_load_dword v15, v8, s[0:3], 0 offen offset:4
	v_mov_b32_e32 v8, s50
	v_cmp_eq_u32_e32 vcc_lo, 0, v7
	s_add_i32 s50, s50, 16
	ds_read_b128 v[8:11], v8
	s_or_b32 s4, vcc_lo, s4
	s_waitcnt vmcnt(2) lgkmcnt(0)
	v_mul_f64 v[16:17], v[10:11], v[12:13]
	v_mul_f64 v[12:13], v[8:9], v[12:13]
	s_waitcnt vmcnt(0)
	v_fma_f64 v[8:9], v[8:9], v[14:15], -v[16:17]
	v_fma_f64 v[10:11], v[10:11], v[14:15], v[12:13]
	v_add_f64 v[1:2], v[1:2], v[8:9]
	v_add_f64 v[3:4], v[3:4], v[10:11]
	s_andn2_b32 exec_lo, exec_lo, s4
	s_cbranch_execnz .LBB40_256
; %bb.257:
	s_or_b32 exec_lo, exec_lo, s4
.LBB40_258:
	s_or_b32 exec_lo, exec_lo, s49
	v_mov_b32_e32 v7, 0
	ds_read_b128 v[7:10], v7 offset:128
	s_waitcnt lgkmcnt(0)
	v_mul_f64 v[11:12], v[3:4], v[9:10]
	v_mul_f64 v[9:10], v[1:2], v[9:10]
	v_fma_f64 v[1:2], v[1:2], v[7:8], -v[11:12]
	v_fma_f64 v[3:4], v[3:4], v[7:8], v[9:10]
	buffer_store_dword v2, off, s[0:3], 0 offset:132
	buffer_store_dword v1, off, s[0:3], 0 offset:128
	;; [unrolled: 1-line block ×4, first 2 shown]
.LBB40_259:
	s_or_b32 exec_lo, exec_lo, s8
	v_mov_b32_e32 v4, s41
	v_cmp_lt_u32_e64 s4, 7, v0
	s_clause 0x3
	buffer_load_dword v1, v4, s[0:3], 0 offen
	buffer_load_dword v2, v4, s[0:3], 0 offen offset:4
	buffer_load_dword v3, v4, s[0:3], 0 offen offset:8
	;; [unrolled: 1-line block ×3, first 2 shown]
	s_waitcnt vmcnt(0)
	ds_write_b128 v6, v[1:4]
	s_waitcnt lgkmcnt(0)
	s_waitcnt_vscnt null, 0x0
	s_barrier
	buffer_gl0_inv
	s_and_saveexec_b32 s8, s4
	s_cbranch_execz .LBB40_267
; %bb.260:
	ds_read_b128 v[1:4], v6
	s_andn2_b32 vcc_lo, exec_lo, s48
	s_cbranch_vccnz .LBB40_262
; %bb.261:
	s_clause 0x3
	buffer_load_dword v7, v5, s[0:3], 0 offen offset:8
	buffer_load_dword v8, v5, s[0:3], 0 offen offset:12
	buffer_load_dword v9, v5, s[0:3], 0 offen
	buffer_load_dword v10, v5, s[0:3], 0 offen offset:4
	s_waitcnt vmcnt(2) lgkmcnt(0)
	v_mul_f64 v[11:12], v[3:4], v[7:8]
	v_mul_f64 v[7:8], v[1:2], v[7:8]
	s_waitcnt vmcnt(0)
	v_fma_f64 v[1:2], v[1:2], v[9:10], -v[11:12]
	v_fma_f64 v[3:4], v[3:4], v[9:10], v[7:8]
.LBB40_262:
	s_and_saveexec_b32 s49, s5
	s_cbranch_execz .LBB40_266
; %bb.263:
	v_add_nc_u32_e32 v7, -8, v0
	s_movk_i32 s50, 0x310
	s_mov_b32 s5, 0
	s_mov_b32 s51, s40
	.p2align	6
.LBB40_264:                             ; =>This Inner Loop Header: Depth=1
	v_mov_b32_e32 v8, s51
	v_add_nc_u32_e32 v7, -1, v7
	s_add_i32 s51, s51, 16
	s_clause 0x3
	buffer_load_dword v12, v8, s[0:3], 0 offen offset:8
	buffer_load_dword v13, v8, s[0:3], 0 offen offset:12
	buffer_load_dword v14, v8, s[0:3], 0 offen
	buffer_load_dword v15, v8, s[0:3], 0 offen offset:4
	v_mov_b32_e32 v8, s50
	v_cmp_eq_u32_e32 vcc_lo, 0, v7
	s_add_i32 s50, s50, 16
	ds_read_b128 v[8:11], v8
	s_or_b32 s5, vcc_lo, s5
	s_waitcnt vmcnt(2) lgkmcnt(0)
	v_mul_f64 v[16:17], v[10:11], v[12:13]
	v_mul_f64 v[12:13], v[8:9], v[12:13]
	s_waitcnt vmcnt(0)
	v_fma_f64 v[8:9], v[8:9], v[14:15], -v[16:17]
	v_fma_f64 v[10:11], v[10:11], v[14:15], v[12:13]
	v_add_f64 v[1:2], v[1:2], v[8:9]
	v_add_f64 v[3:4], v[3:4], v[10:11]
	s_andn2_b32 exec_lo, exec_lo, s5
	s_cbranch_execnz .LBB40_264
; %bb.265:
	s_or_b32 exec_lo, exec_lo, s5
.LBB40_266:
	s_or_b32 exec_lo, exec_lo, s49
	v_mov_b32_e32 v7, 0
	ds_read_b128 v[7:10], v7 offset:112
	s_waitcnt lgkmcnt(0)
	v_mul_f64 v[11:12], v[3:4], v[9:10]
	v_mul_f64 v[9:10], v[1:2], v[9:10]
	v_fma_f64 v[1:2], v[1:2], v[7:8], -v[11:12]
	v_fma_f64 v[3:4], v[3:4], v[7:8], v[9:10]
	buffer_store_dword v2, off, s[0:3], 0 offset:116
	buffer_store_dword v1, off, s[0:3], 0 offset:112
	;; [unrolled: 1-line block ×4, first 2 shown]
.LBB40_267:
	s_or_b32 exec_lo, exec_lo, s8
	v_mov_b32_e32 v4, s42
	v_cmp_lt_u32_e64 s5, 6, v0
	s_clause 0x3
	buffer_load_dword v1, v4, s[0:3], 0 offen
	buffer_load_dword v2, v4, s[0:3], 0 offen offset:4
	buffer_load_dword v3, v4, s[0:3], 0 offen offset:8
	;; [unrolled: 1-line block ×3, first 2 shown]
	s_waitcnt vmcnt(0)
	ds_write_b128 v6, v[1:4]
	s_waitcnt lgkmcnt(0)
	s_waitcnt_vscnt null, 0x0
	s_barrier
	buffer_gl0_inv
	s_and_saveexec_b32 s8, s5
	s_cbranch_execz .LBB40_275
; %bb.268:
	ds_read_b128 v[1:4], v6
	s_andn2_b32 vcc_lo, exec_lo, s48
	s_cbranch_vccnz .LBB40_270
; %bb.269:
	s_clause 0x3
	buffer_load_dword v7, v5, s[0:3], 0 offen offset:8
	buffer_load_dword v8, v5, s[0:3], 0 offen offset:12
	buffer_load_dword v9, v5, s[0:3], 0 offen
	buffer_load_dword v10, v5, s[0:3], 0 offen offset:4
	s_waitcnt vmcnt(2) lgkmcnt(0)
	v_mul_f64 v[11:12], v[3:4], v[7:8]
	v_mul_f64 v[7:8], v[1:2], v[7:8]
	s_waitcnt vmcnt(0)
	v_fma_f64 v[1:2], v[1:2], v[9:10], -v[11:12]
	v_fma_f64 v[3:4], v[3:4], v[9:10], v[7:8]
.LBB40_270:
	s_and_saveexec_b32 s49, s4
	s_cbranch_execz .LBB40_274
; %bb.271:
	v_add_nc_u32_e32 v7, -7, v0
	s_movk_i32 s50, 0x300
	s_mov_b32 s4, 0
	s_mov_b32 s51, s41
	.p2align	6
.LBB40_272:                             ; =>This Inner Loop Header: Depth=1
	v_mov_b32_e32 v8, s51
	v_add_nc_u32_e32 v7, -1, v7
	s_add_i32 s51, s51, 16
	s_clause 0x3
	buffer_load_dword v12, v8, s[0:3], 0 offen offset:8
	buffer_load_dword v13, v8, s[0:3], 0 offen offset:12
	buffer_load_dword v14, v8, s[0:3], 0 offen
	buffer_load_dword v15, v8, s[0:3], 0 offen offset:4
	v_mov_b32_e32 v8, s50
	v_cmp_eq_u32_e32 vcc_lo, 0, v7
	s_add_i32 s50, s50, 16
	ds_read_b128 v[8:11], v8
	s_or_b32 s4, vcc_lo, s4
	s_waitcnt vmcnt(2) lgkmcnt(0)
	v_mul_f64 v[16:17], v[10:11], v[12:13]
	v_mul_f64 v[12:13], v[8:9], v[12:13]
	s_waitcnt vmcnt(0)
	v_fma_f64 v[8:9], v[8:9], v[14:15], -v[16:17]
	v_fma_f64 v[10:11], v[10:11], v[14:15], v[12:13]
	v_add_f64 v[1:2], v[1:2], v[8:9]
	v_add_f64 v[3:4], v[3:4], v[10:11]
	s_andn2_b32 exec_lo, exec_lo, s4
	s_cbranch_execnz .LBB40_272
; %bb.273:
	s_or_b32 exec_lo, exec_lo, s4
.LBB40_274:
	s_or_b32 exec_lo, exec_lo, s49
	v_mov_b32_e32 v7, 0
	ds_read_b128 v[7:10], v7 offset:96
	s_waitcnt lgkmcnt(0)
	v_mul_f64 v[11:12], v[3:4], v[9:10]
	v_mul_f64 v[9:10], v[1:2], v[9:10]
	v_fma_f64 v[1:2], v[1:2], v[7:8], -v[11:12]
	v_fma_f64 v[3:4], v[3:4], v[7:8], v[9:10]
	buffer_store_dword v2, off, s[0:3], 0 offset:100
	buffer_store_dword v1, off, s[0:3], 0 offset:96
	buffer_store_dword v4, off, s[0:3], 0 offset:108
	buffer_store_dword v3, off, s[0:3], 0 offset:104
.LBB40_275:
	s_or_b32 exec_lo, exec_lo, s8
	v_mov_b32_e32 v4, s43
	v_cmp_lt_u32_e64 s4, 5, v0
	s_clause 0x3
	buffer_load_dword v1, v4, s[0:3], 0 offen
	buffer_load_dword v2, v4, s[0:3], 0 offen offset:4
	buffer_load_dword v3, v4, s[0:3], 0 offen offset:8
	buffer_load_dword v4, v4, s[0:3], 0 offen offset:12
	s_waitcnt vmcnt(0)
	ds_write_b128 v6, v[1:4]
	s_waitcnt lgkmcnt(0)
	s_waitcnt_vscnt null, 0x0
	s_barrier
	buffer_gl0_inv
	s_and_saveexec_b32 s8, s4
	s_cbranch_execz .LBB40_283
; %bb.276:
	ds_read_b128 v[1:4], v6
	s_andn2_b32 vcc_lo, exec_lo, s48
	s_cbranch_vccnz .LBB40_278
; %bb.277:
	s_clause 0x3
	buffer_load_dword v7, v5, s[0:3], 0 offen offset:8
	buffer_load_dword v8, v5, s[0:3], 0 offen offset:12
	buffer_load_dword v9, v5, s[0:3], 0 offen
	buffer_load_dword v10, v5, s[0:3], 0 offen offset:4
	s_waitcnt vmcnt(2) lgkmcnt(0)
	v_mul_f64 v[11:12], v[3:4], v[7:8]
	v_mul_f64 v[7:8], v[1:2], v[7:8]
	s_waitcnt vmcnt(0)
	v_fma_f64 v[1:2], v[1:2], v[9:10], -v[11:12]
	v_fma_f64 v[3:4], v[3:4], v[9:10], v[7:8]
.LBB40_278:
	s_and_saveexec_b32 s49, s5
	s_cbranch_execz .LBB40_282
; %bb.279:
	v_add_nc_u32_e32 v7, -6, v0
	s_movk_i32 s50, 0x2f0
	s_mov_b32 s5, 0
	s_mov_b32 s51, s42
	.p2align	6
.LBB40_280:                             ; =>This Inner Loop Header: Depth=1
	v_mov_b32_e32 v8, s51
	v_add_nc_u32_e32 v7, -1, v7
	s_add_i32 s51, s51, 16
	s_clause 0x3
	buffer_load_dword v12, v8, s[0:3], 0 offen offset:8
	buffer_load_dword v13, v8, s[0:3], 0 offen offset:12
	buffer_load_dword v14, v8, s[0:3], 0 offen
	buffer_load_dword v15, v8, s[0:3], 0 offen offset:4
	v_mov_b32_e32 v8, s50
	v_cmp_eq_u32_e32 vcc_lo, 0, v7
	s_add_i32 s50, s50, 16
	ds_read_b128 v[8:11], v8
	s_or_b32 s5, vcc_lo, s5
	s_waitcnt vmcnt(2) lgkmcnt(0)
	v_mul_f64 v[16:17], v[10:11], v[12:13]
	v_mul_f64 v[12:13], v[8:9], v[12:13]
	s_waitcnt vmcnt(0)
	v_fma_f64 v[8:9], v[8:9], v[14:15], -v[16:17]
	v_fma_f64 v[10:11], v[10:11], v[14:15], v[12:13]
	v_add_f64 v[1:2], v[1:2], v[8:9]
	v_add_f64 v[3:4], v[3:4], v[10:11]
	s_andn2_b32 exec_lo, exec_lo, s5
	s_cbranch_execnz .LBB40_280
; %bb.281:
	s_or_b32 exec_lo, exec_lo, s5
.LBB40_282:
	s_or_b32 exec_lo, exec_lo, s49
	v_mov_b32_e32 v7, 0
	ds_read_b128 v[7:10], v7 offset:80
	s_waitcnt lgkmcnt(0)
	v_mul_f64 v[11:12], v[3:4], v[9:10]
	v_mul_f64 v[9:10], v[1:2], v[9:10]
	v_fma_f64 v[1:2], v[1:2], v[7:8], -v[11:12]
	v_fma_f64 v[3:4], v[3:4], v[7:8], v[9:10]
	buffer_store_dword v2, off, s[0:3], 0 offset:84
	buffer_store_dword v1, off, s[0:3], 0 offset:80
	buffer_store_dword v4, off, s[0:3], 0 offset:92
	buffer_store_dword v3, off, s[0:3], 0 offset:88
.LBB40_283:
	s_or_b32 exec_lo, exec_lo, s8
	v_mov_b32_e32 v4, s44
	v_cmp_lt_u32_e64 s5, 4, v0
	s_clause 0x3
	buffer_load_dword v1, v4, s[0:3], 0 offen
	buffer_load_dword v2, v4, s[0:3], 0 offen offset:4
	buffer_load_dword v3, v4, s[0:3], 0 offen offset:8
	;; [unrolled: 1-line block ×3, first 2 shown]
	s_waitcnt vmcnt(0)
	ds_write_b128 v6, v[1:4]
	s_waitcnt lgkmcnt(0)
	s_waitcnt_vscnt null, 0x0
	s_barrier
	buffer_gl0_inv
	s_and_saveexec_b32 s8, s5
	s_cbranch_execz .LBB40_291
; %bb.284:
	ds_read_b128 v[1:4], v6
	s_andn2_b32 vcc_lo, exec_lo, s48
	s_cbranch_vccnz .LBB40_286
; %bb.285:
	s_clause 0x3
	buffer_load_dword v7, v5, s[0:3], 0 offen offset:8
	buffer_load_dword v8, v5, s[0:3], 0 offen offset:12
	buffer_load_dword v9, v5, s[0:3], 0 offen
	buffer_load_dword v10, v5, s[0:3], 0 offen offset:4
	s_waitcnt vmcnt(2) lgkmcnt(0)
	v_mul_f64 v[11:12], v[3:4], v[7:8]
	v_mul_f64 v[7:8], v[1:2], v[7:8]
	s_waitcnt vmcnt(0)
	v_fma_f64 v[1:2], v[1:2], v[9:10], -v[11:12]
	v_fma_f64 v[3:4], v[3:4], v[9:10], v[7:8]
.LBB40_286:
	s_and_saveexec_b32 s49, s4
	s_cbranch_execz .LBB40_290
; %bb.287:
	v_add_nc_u32_e32 v7, -5, v0
	s_movk_i32 s50, 0x2e0
	s_mov_b32 s4, 0
	s_mov_b32 s51, s43
	.p2align	6
.LBB40_288:                             ; =>This Inner Loop Header: Depth=1
	v_mov_b32_e32 v8, s51
	v_add_nc_u32_e32 v7, -1, v7
	s_add_i32 s51, s51, 16
	s_clause 0x3
	buffer_load_dword v12, v8, s[0:3], 0 offen offset:8
	buffer_load_dword v13, v8, s[0:3], 0 offen offset:12
	buffer_load_dword v14, v8, s[0:3], 0 offen
	buffer_load_dword v15, v8, s[0:3], 0 offen offset:4
	v_mov_b32_e32 v8, s50
	v_cmp_eq_u32_e32 vcc_lo, 0, v7
	s_add_i32 s50, s50, 16
	ds_read_b128 v[8:11], v8
	s_or_b32 s4, vcc_lo, s4
	s_waitcnt vmcnt(2) lgkmcnt(0)
	v_mul_f64 v[16:17], v[10:11], v[12:13]
	v_mul_f64 v[12:13], v[8:9], v[12:13]
	s_waitcnt vmcnt(0)
	v_fma_f64 v[8:9], v[8:9], v[14:15], -v[16:17]
	v_fma_f64 v[10:11], v[10:11], v[14:15], v[12:13]
	v_add_f64 v[1:2], v[1:2], v[8:9]
	v_add_f64 v[3:4], v[3:4], v[10:11]
	s_andn2_b32 exec_lo, exec_lo, s4
	s_cbranch_execnz .LBB40_288
; %bb.289:
	s_or_b32 exec_lo, exec_lo, s4
.LBB40_290:
	s_or_b32 exec_lo, exec_lo, s49
	v_mov_b32_e32 v7, 0
	ds_read_b128 v[7:10], v7 offset:64
	s_waitcnt lgkmcnt(0)
	v_mul_f64 v[11:12], v[3:4], v[9:10]
	v_mul_f64 v[9:10], v[1:2], v[9:10]
	v_fma_f64 v[1:2], v[1:2], v[7:8], -v[11:12]
	v_fma_f64 v[3:4], v[3:4], v[7:8], v[9:10]
	buffer_store_dword v2, off, s[0:3], 0 offset:68
	buffer_store_dword v1, off, s[0:3], 0 offset:64
	;; [unrolled: 1-line block ×4, first 2 shown]
.LBB40_291:
	s_or_b32 exec_lo, exec_lo, s8
	v_mov_b32_e32 v4, s45
	v_cmp_lt_u32_e64 s4, 3, v0
	s_clause 0x3
	buffer_load_dword v1, v4, s[0:3], 0 offen
	buffer_load_dword v2, v4, s[0:3], 0 offen offset:4
	buffer_load_dword v3, v4, s[0:3], 0 offen offset:8
	;; [unrolled: 1-line block ×3, first 2 shown]
	s_waitcnt vmcnt(0)
	ds_write_b128 v6, v[1:4]
	s_waitcnt lgkmcnt(0)
	s_waitcnt_vscnt null, 0x0
	s_barrier
	buffer_gl0_inv
	s_and_saveexec_b32 s8, s4
	s_cbranch_execz .LBB40_299
; %bb.292:
	ds_read_b128 v[1:4], v6
	s_andn2_b32 vcc_lo, exec_lo, s48
	s_cbranch_vccnz .LBB40_294
; %bb.293:
	s_clause 0x3
	buffer_load_dword v7, v5, s[0:3], 0 offen offset:8
	buffer_load_dword v8, v5, s[0:3], 0 offen offset:12
	buffer_load_dword v9, v5, s[0:3], 0 offen
	buffer_load_dword v10, v5, s[0:3], 0 offen offset:4
	s_waitcnt vmcnt(2) lgkmcnt(0)
	v_mul_f64 v[11:12], v[3:4], v[7:8]
	v_mul_f64 v[7:8], v[1:2], v[7:8]
	s_waitcnt vmcnt(0)
	v_fma_f64 v[1:2], v[1:2], v[9:10], -v[11:12]
	v_fma_f64 v[3:4], v[3:4], v[9:10], v[7:8]
.LBB40_294:
	s_and_saveexec_b32 s49, s5
	s_cbranch_execz .LBB40_298
; %bb.295:
	v_add_nc_u32_e32 v7, -4, v0
	s_movk_i32 s50, 0x2d0
	s_mov_b32 s5, 0
	s_mov_b32 s51, s44
	.p2align	6
.LBB40_296:                             ; =>This Inner Loop Header: Depth=1
	v_mov_b32_e32 v8, s51
	v_add_nc_u32_e32 v7, -1, v7
	s_add_i32 s51, s51, 16
	s_clause 0x3
	buffer_load_dword v12, v8, s[0:3], 0 offen offset:8
	buffer_load_dword v13, v8, s[0:3], 0 offen offset:12
	buffer_load_dword v14, v8, s[0:3], 0 offen
	buffer_load_dword v15, v8, s[0:3], 0 offen offset:4
	v_mov_b32_e32 v8, s50
	v_cmp_eq_u32_e32 vcc_lo, 0, v7
	s_add_i32 s50, s50, 16
	ds_read_b128 v[8:11], v8
	s_or_b32 s5, vcc_lo, s5
	s_waitcnt vmcnt(2) lgkmcnt(0)
	v_mul_f64 v[16:17], v[10:11], v[12:13]
	v_mul_f64 v[12:13], v[8:9], v[12:13]
	s_waitcnt vmcnt(0)
	v_fma_f64 v[8:9], v[8:9], v[14:15], -v[16:17]
	v_fma_f64 v[10:11], v[10:11], v[14:15], v[12:13]
	v_add_f64 v[1:2], v[1:2], v[8:9]
	v_add_f64 v[3:4], v[3:4], v[10:11]
	s_andn2_b32 exec_lo, exec_lo, s5
	s_cbranch_execnz .LBB40_296
; %bb.297:
	s_or_b32 exec_lo, exec_lo, s5
.LBB40_298:
	s_or_b32 exec_lo, exec_lo, s49
	v_mov_b32_e32 v7, 0
	ds_read_b128 v[7:10], v7 offset:48
	s_waitcnt lgkmcnt(0)
	v_mul_f64 v[11:12], v[3:4], v[9:10]
	v_mul_f64 v[9:10], v[1:2], v[9:10]
	v_fma_f64 v[1:2], v[1:2], v[7:8], -v[11:12]
	v_fma_f64 v[3:4], v[3:4], v[7:8], v[9:10]
	buffer_store_dword v2, off, s[0:3], 0 offset:52
	buffer_store_dword v1, off, s[0:3], 0 offset:48
	;; [unrolled: 1-line block ×4, first 2 shown]
.LBB40_299:
	s_or_b32 exec_lo, exec_lo, s8
	v_mov_b32_e32 v4, s46
	v_cmp_lt_u32_e64 s5, 2, v0
	s_clause 0x3
	buffer_load_dword v1, v4, s[0:3], 0 offen
	buffer_load_dword v2, v4, s[0:3], 0 offen offset:4
	buffer_load_dword v3, v4, s[0:3], 0 offen offset:8
	;; [unrolled: 1-line block ×3, first 2 shown]
	s_waitcnt vmcnt(0)
	ds_write_b128 v6, v[1:4]
	s_waitcnt lgkmcnt(0)
	s_waitcnt_vscnt null, 0x0
	s_barrier
	buffer_gl0_inv
	s_and_saveexec_b32 s8, s5
	s_cbranch_execz .LBB40_307
; %bb.300:
	ds_read_b128 v[1:4], v6
	s_andn2_b32 vcc_lo, exec_lo, s48
	s_cbranch_vccnz .LBB40_302
; %bb.301:
	s_clause 0x3
	buffer_load_dword v7, v5, s[0:3], 0 offen offset:8
	buffer_load_dword v8, v5, s[0:3], 0 offen offset:12
	buffer_load_dword v9, v5, s[0:3], 0 offen
	buffer_load_dword v10, v5, s[0:3], 0 offen offset:4
	s_waitcnt vmcnt(2) lgkmcnt(0)
	v_mul_f64 v[11:12], v[3:4], v[7:8]
	v_mul_f64 v[7:8], v[1:2], v[7:8]
	s_waitcnt vmcnt(0)
	v_fma_f64 v[1:2], v[1:2], v[9:10], -v[11:12]
	v_fma_f64 v[3:4], v[3:4], v[9:10], v[7:8]
.LBB40_302:
	s_and_saveexec_b32 s49, s4
	s_cbranch_execz .LBB40_306
; %bb.303:
	v_add_nc_u32_e32 v7, -3, v0
	s_movk_i32 s50, 0x2c0
	s_mov_b32 s4, 0
	s_mov_b32 s51, s45
	.p2align	6
.LBB40_304:                             ; =>This Inner Loop Header: Depth=1
	v_mov_b32_e32 v8, s51
	v_add_nc_u32_e32 v7, -1, v7
	s_add_i32 s51, s51, 16
	s_clause 0x3
	buffer_load_dword v12, v8, s[0:3], 0 offen offset:8
	buffer_load_dword v13, v8, s[0:3], 0 offen offset:12
	buffer_load_dword v14, v8, s[0:3], 0 offen
	buffer_load_dword v15, v8, s[0:3], 0 offen offset:4
	v_mov_b32_e32 v8, s50
	v_cmp_eq_u32_e32 vcc_lo, 0, v7
	s_add_i32 s50, s50, 16
	ds_read_b128 v[8:11], v8
	s_or_b32 s4, vcc_lo, s4
	s_waitcnt vmcnt(2) lgkmcnt(0)
	v_mul_f64 v[16:17], v[10:11], v[12:13]
	v_mul_f64 v[12:13], v[8:9], v[12:13]
	s_waitcnt vmcnt(0)
	v_fma_f64 v[8:9], v[8:9], v[14:15], -v[16:17]
	v_fma_f64 v[10:11], v[10:11], v[14:15], v[12:13]
	v_add_f64 v[1:2], v[1:2], v[8:9]
	v_add_f64 v[3:4], v[3:4], v[10:11]
	s_andn2_b32 exec_lo, exec_lo, s4
	s_cbranch_execnz .LBB40_304
; %bb.305:
	s_or_b32 exec_lo, exec_lo, s4
.LBB40_306:
	s_or_b32 exec_lo, exec_lo, s49
	v_mov_b32_e32 v7, 0
	ds_read_b128 v[7:10], v7 offset:32
	s_waitcnt lgkmcnt(0)
	v_mul_f64 v[11:12], v[3:4], v[9:10]
	v_mul_f64 v[9:10], v[1:2], v[9:10]
	v_fma_f64 v[1:2], v[1:2], v[7:8], -v[11:12]
	v_fma_f64 v[3:4], v[3:4], v[7:8], v[9:10]
	buffer_store_dword v2, off, s[0:3], 0 offset:36
	buffer_store_dword v1, off, s[0:3], 0 offset:32
	;; [unrolled: 1-line block ×4, first 2 shown]
.LBB40_307:
	s_or_b32 exec_lo, exec_lo, s8
	v_mov_b32_e32 v4, s47
	v_cmp_lt_u32_e64 s4, 1, v0
	s_clause 0x3
	buffer_load_dword v1, v4, s[0:3], 0 offen
	buffer_load_dword v2, v4, s[0:3], 0 offen offset:4
	buffer_load_dword v3, v4, s[0:3], 0 offen offset:8
	;; [unrolled: 1-line block ×3, first 2 shown]
	s_waitcnt vmcnt(0)
	ds_write_b128 v6, v[1:4]
	s_waitcnt lgkmcnt(0)
	s_waitcnt_vscnt null, 0x0
	s_barrier
	buffer_gl0_inv
	s_and_saveexec_b32 s8, s4
	s_cbranch_execz .LBB40_315
; %bb.308:
	ds_read_b128 v[1:4], v6
	s_andn2_b32 vcc_lo, exec_lo, s48
	s_cbranch_vccnz .LBB40_310
; %bb.309:
	s_clause 0x3
	buffer_load_dword v7, v5, s[0:3], 0 offen offset:8
	buffer_load_dword v8, v5, s[0:3], 0 offen offset:12
	buffer_load_dword v9, v5, s[0:3], 0 offen
	buffer_load_dword v10, v5, s[0:3], 0 offen offset:4
	s_waitcnt vmcnt(2) lgkmcnt(0)
	v_mul_f64 v[11:12], v[3:4], v[7:8]
	v_mul_f64 v[7:8], v[1:2], v[7:8]
	s_waitcnt vmcnt(0)
	v_fma_f64 v[1:2], v[1:2], v[9:10], -v[11:12]
	v_fma_f64 v[3:4], v[3:4], v[9:10], v[7:8]
.LBB40_310:
	s_and_saveexec_b32 s49, s5
	s_cbranch_execz .LBB40_314
; %bb.311:
	v_add_nc_u32_e32 v7, -2, v0
	s_movk_i32 s50, 0x2b0
	s_mov_b32 s5, 0
	s_mov_b32 s51, s46
	.p2align	6
.LBB40_312:                             ; =>This Inner Loop Header: Depth=1
	v_mov_b32_e32 v8, s51
	v_add_nc_u32_e32 v7, -1, v7
	s_add_i32 s51, s51, 16
	s_clause 0x3
	buffer_load_dword v12, v8, s[0:3], 0 offen offset:8
	buffer_load_dword v13, v8, s[0:3], 0 offen offset:12
	buffer_load_dword v14, v8, s[0:3], 0 offen
	buffer_load_dword v15, v8, s[0:3], 0 offen offset:4
	v_mov_b32_e32 v8, s50
	v_cmp_eq_u32_e32 vcc_lo, 0, v7
	s_add_i32 s50, s50, 16
	ds_read_b128 v[8:11], v8
	s_or_b32 s5, vcc_lo, s5
	s_waitcnt vmcnt(2) lgkmcnt(0)
	v_mul_f64 v[16:17], v[10:11], v[12:13]
	v_mul_f64 v[12:13], v[8:9], v[12:13]
	s_waitcnt vmcnt(0)
	v_fma_f64 v[8:9], v[8:9], v[14:15], -v[16:17]
	v_fma_f64 v[10:11], v[10:11], v[14:15], v[12:13]
	v_add_f64 v[1:2], v[1:2], v[8:9]
	v_add_f64 v[3:4], v[3:4], v[10:11]
	s_andn2_b32 exec_lo, exec_lo, s5
	s_cbranch_execnz .LBB40_312
; %bb.313:
	s_or_b32 exec_lo, exec_lo, s5
.LBB40_314:
	s_or_b32 exec_lo, exec_lo, s49
	v_mov_b32_e32 v7, 0
	ds_read_b128 v[7:10], v7 offset:16
	s_waitcnt lgkmcnt(0)
	v_mul_f64 v[11:12], v[3:4], v[9:10]
	v_mul_f64 v[9:10], v[1:2], v[9:10]
	v_fma_f64 v[1:2], v[1:2], v[7:8], -v[11:12]
	v_fma_f64 v[3:4], v[3:4], v[7:8], v[9:10]
	buffer_store_dword v2, off, s[0:3], 0 offset:20
	buffer_store_dword v1, off, s[0:3], 0 offset:16
	;; [unrolled: 1-line block ×4, first 2 shown]
.LBB40_315:
	s_or_b32 exec_lo, exec_lo, s8
	s_clause 0x3
	buffer_load_dword v1, off, s[0:3], 0
	buffer_load_dword v2, off, s[0:3], 0 offset:4
	buffer_load_dword v3, off, s[0:3], 0 offset:8
	;; [unrolled: 1-line block ×3, first 2 shown]
	s_mov_b32 s8, 0
	s_mov_b32 s5, 0
	s_mov_b32 s49, exec_lo
                                        ; implicit-def: $sgpr50
	s_waitcnt vmcnt(0)
	ds_write_b128 v6, v[1:4]
	s_waitcnt lgkmcnt(0)
	s_waitcnt_vscnt null, 0x0
	s_barrier
	buffer_gl0_inv
                                        ; implicit-def: $vgpr1_vgpr2
	v_cmpx_ne_u32_e32 0, v0
	s_cbranch_execz .LBB40_323
; %bb.316:
	ds_read_b128 v[1:4], v6
	s_andn2_b32 vcc_lo, exec_lo, s48
	s_cbranch_vccnz .LBB40_318
; %bb.317:
	s_clause 0x3
	buffer_load_dword v7, v5, s[0:3], 0 offen offset:8
	buffer_load_dword v8, v5, s[0:3], 0 offen offset:12
	buffer_load_dword v9, v5, s[0:3], 0 offen
	buffer_load_dword v10, v5, s[0:3], 0 offen offset:4
	s_waitcnt vmcnt(2) lgkmcnt(0)
	v_mul_f64 v[11:12], v[3:4], v[7:8]
	v_mul_f64 v[7:8], v[1:2], v[7:8]
	s_waitcnt vmcnt(0)
	v_fma_f64 v[1:2], v[1:2], v[9:10], -v[11:12]
	v_fma_f64 v[3:4], v[3:4], v[9:10], v[7:8]
.LBB40_318:
	s_and_saveexec_b32 s5, s4
	s_cbranch_execz .LBB40_322
; %bb.319:
	v_add_nc_u32_e32 v7, -1, v0
	s_movk_i32 s50, 0x2a0
	s_mov_b32 s4, 0
	s_mov_b32 s51, s47
	.p2align	6
.LBB40_320:                             ; =>This Inner Loop Header: Depth=1
	v_mov_b32_e32 v8, s51
	v_add_nc_u32_e32 v7, -1, v7
	s_add_i32 s51, s51, 16
	s_clause 0x3
	buffer_load_dword v12, v8, s[0:3], 0 offen offset:8
	buffer_load_dword v13, v8, s[0:3], 0 offen offset:12
	buffer_load_dword v14, v8, s[0:3], 0 offen
	buffer_load_dword v15, v8, s[0:3], 0 offen offset:4
	v_mov_b32_e32 v8, s50
	v_cmp_eq_u32_e32 vcc_lo, 0, v7
	s_add_i32 s50, s50, 16
	ds_read_b128 v[8:11], v8
	s_or_b32 s4, vcc_lo, s4
	s_waitcnt vmcnt(2) lgkmcnt(0)
	v_mul_f64 v[16:17], v[10:11], v[12:13]
	v_mul_f64 v[12:13], v[8:9], v[12:13]
	s_waitcnt vmcnt(0)
	v_fma_f64 v[8:9], v[8:9], v[14:15], -v[16:17]
	v_fma_f64 v[10:11], v[10:11], v[14:15], v[12:13]
	v_add_f64 v[1:2], v[1:2], v[8:9]
	v_add_f64 v[3:4], v[3:4], v[10:11]
	s_andn2_b32 exec_lo, exec_lo, s4
	s_cbranch_execnz .LBB40_320
; %bb.321:
	s_or_b32 exec_lo, exec_lo, s4
.LBB40_322:
	s_or_b32 exec_lo, exec_lo, s5
	v_mov_b32_e32 v7, 0
	s_mov_b32 s5, exec_lo
	s_or_b32 s50, 0, 8
	ds_read_b128 v[7:10], v7
	s_waitcnt lgkmcnt(0)
	v_mul_f64 v[11:12], v[3:4], v[9:10]
	v_mul_f64 v[9:10], v[1:2], v[9:10]
	v_fma_f64 v[11:12], v[1:2], v[7:8], -v[11:12]
	v_fma_f64 v[1:2], v[3:4], v[7:8], v[9:10]
	buffer_store_dword v12, off, s[0:3], 0 offset:4
	buffer_store_dword v11, off, s[0:3], 0
.LBB40_323:
	s_or_b32 exec_lo, exec_lo, s49
	s_and_b32 vcc_lo, exec_lo, s8
	s_cbranch_vccnz .LBB40_325
	s_branch .LBB40_640
.LBB40_324:
	s_mov_b32 s5, 0
                                        ; implicit-def: $vgpr1_vgpr2
                                        ; implicit-def: $sgpr50
	s_cbranch_execz .LBB40_640
.LBB40_325:
	v_mov_b32_e32 v4, s47
	v_cmp_eq_u32_e64 s4, 0, v0
	v_cndmask_b32_e64 v7, 0, 1, s48
	s_clause 0x3
	buffer_load_dword v1, v4, s[0:3], 0 offen
	buffer_load_dword v2, v4, s[0:3], 0 offen offset:4
	buffer_load_dword v3, v4, s[0:3], 0 offen offset:8
	;; [unrolled: 1-line block ×3, first 2 shown]
	s_waitcnt vmcnt(0)
	ds_write_b128 v6, v[1:4]
	s_waitcnt lgkmcnt(0)
	s_waitcnt_vscnt null, 0x0
	s_barrier
	buffer_gl0_inv
	s_and_saveexec_b32 s8, s4
	s_cbranch_execz .LBB40_329
; %bb.326:
	ds_read_b128 v[1:4], v6
	s_andn2_b32 vcc_lo, exec_lo, s48
	s_cbranch_vccnz .LBB40_328
; %bb.327:
	s_clause 0x3
	buffer_load_dword v8, v5, s[0:3], 0 offen offset:8
	buffer_load_dword v9, v5, s[0:3], 0 offen offset:12
	buffer_load_dword v10, v5, s[0:3], 0 offen
	buffer_load_dword v11, v5, s[0:3], 0 offen offset:4
	s_waitcnt vmcnt(2) lgkmcnt(0)
	v_mul_f64 v[12:13], v[3:4], v[8:9]
	v_mul_f64 v[8:9], v[1:2], v[8:9]
	s_waitcnt vmcnt(0)
	v_fma_f64 v[1:2], v[1:2], v[10:11], -v[12:13]
	v_fma_f64 v[3:4], v[3:4], v[10:11], v[8:9]
.LBB40_328:
	v_mov_b32_e32 v8, 0
	ds_read_b128 v[8:11], v8 offset:16
	s_waitcnt lgkmcnt(0)
	v_mul_f64 v[12:13], v[3:4], v[10:11]
	v_mul_f64 v[10:11], v[1:2], v[10:11]
	v_fma_f64 v[1:2], v[1:2], v[8:9], -v[12:13]
	v_fma_f64 v[3:4], v[3:4], v[8:9], v[10:11]
	buffer_store_dword v2, off, s[0:3], 0 offset:20
	buffer_store_dword v1, off, s[0:3], 0 offset:16
	buffer_store_dword v4, off, s[0:3], 0 offset:28
	buffer_store_dword v3, off, s[0:3], 0 offset:24
.LBB40_329:
	s_or_b32 exec_lo, exec_lo, s8
	v_mov_b32_e32 v4, s46
	s_mov_b32 s8, exec_lo
	s_clause 0x3
	buffer_load_dword v1, v4, s[0:3], 0 offen
	buffer_load_dword v2, v4, s[0:3], 0 offen offset:4
	buffer_load_dword v3, v4, s[0:3], 0 offen offset:8
	;; [unrolled: 1-line block ×3, first 2 shown]
	s_waitcnt vmcnt(0)
	ds_write_b128 v6, v[1:4]
	s_waitcnt lgkmcnt(0)
	s_waitcnt_vscnt null, 0x0
	s_barrier
	buffer_gl0_inv
	v_cmpx_gt_u32_e32 2, v0
	s_cbranch_execz .LBB40_335
; %bb.330:
	ds_read_b128 v[1:4], v6
	v_cmp_ne_u32_e32 vcc_lo, 1, v7
	s_cbranch_vccnz .LBB40_332
; %bb.331:
	s_clause 0x3
	buffer_load_dword v8, v5, s[0:3], 0 offen offset:8
	buffer_load_dword v9, v5, s[0:3], 0 offen offset:12
	buffer_load_dword v10, v5, s[0:3], 0 offen
	buffer_load_dword v11, v5, s[0:3], 0 offen offset:4
	s_waitcnt vmcnt(2) lgkmcnt(0)
	v_mul_f64 v[12:13], v[3:4], v[8:9]
	v_mul_f64 v[8:9], v[1:2], v[8:9]
	s_waitcnt vmcnt(0)
	v_fma_f64 v[1:2], v[1:2], v[10:11], -v[12:13]
	v_fma_f64 v[3:4], v[3:4], v[10:11], v[8:9]
.LBB40_332:
	s_and_saveexec_b32 s48, s4
	s_cbranch_execz .LBB40_334
; %bb.333:
	s_clause 0x3
	buffer_load_dword v12, off, s[0:3], 0 offset:24
	buffer_load_dword v13, off, s[0:3], 0 offset:28
	buffer_load_dword v14, off, s[0:3], 0 offset:16
	buffer_load_dword v15, off, s[0:3], 0 offset:20
	v_mov_b32_e32 v8, 0
	ds_read_b128 v[8:11], v8 offset:672
	s_waitcnt vmcnt(2) lgkmcnt(0)
	v_mul_f64 v[16:17], v[10:11], v[12:13]
	v_mul_f64 v[12:13], v[8:9], v[12:13]
	s_waitcnt vmcnt(0)
	v_fma_f64 v[8:9], v[8:9], v[14:15], -v[16:17]
	v_fma_f64 v[10:11], v[10:11], v[14:15], v[12:13]
	v_add_f64 v[1:2], v[1:2], v[8:9]
	v_add_f64 v[3:4], v[3:4], v[10:11]
.LBB40_334:
	s_or_b32 exec_lo, exec_lo, s48
	v_mov_b32_e32 v8, 0
	ds_read_b128 v[8:11], v8 offset:32
	s_waitcnt lgkmcnt(0)
	v_mul_f64 v[12:13], v[3:4], v[10:11]
	v_mul_f64 v[10:11], v[1:2], v[10:11]
	v_fma_f64 v[1:2], v[1:2], v[8:9], -v[12:13]
	v_fma_f64 v[3:4], v[3:4], v[8:9], v[10:11]
	buffer_store_dword v2, off, s[0:3], 0 offset:36
	buffer_store_dword v1, off, s[0:3], 0 offset:32
	;; [unrolled: 1-line block ×4, first 2 shown]
.LBB40_335:
	s_or_b32 exec_lo, exec_lo, s8
	v_mov_b32_e32 v4, s45
	s_mov_b32 s8, exec_lo
	s_clause 0x3
	buffer_load_dword v1, v4, s[0:3], 0 offen
	buffer_load_dword v2, v4, s[0:3], 0 offen offset:4
	buffer_load_dword v3, v4, s[0:3], 0 offen offset:8
	;; [unrolled: 1-line block ×3, first 2 shown]
	s_waitcnt vmcnt(0)
	ds_write_b128 v6, v[1:4]
	s_waitcnt lgkmcnt(0)
	s_waitcnt_vscnt null, 0x0
	s_barrier
	buffer_gl0_inv
	v_cmpx_gt_u32_e32 3, v0
	s_cbranch_execz .LBB40_343
; %bb.336:
	ds_read_b128 v[1:4], v6
	v_cmp_ne_u32_e32 vcc_lo, 1, v7
	s_cbranch_vccnz .LBB40_338
; %bb.337:
	s_clause 0x3
	buffer_load_dword v8, v5, s[0:3], 0 offen offset:8
	buffer_load_dword v9, v5, s[0:3], 0 offen offset:12
	buffer_load_dword v10, v5, s[0:3], 0 offen
	buffer_load_dword v11, v5, s[0:3], 0 offen offset:4
	s_waitcnt vmcnt(2) lgkmcnt(0)
	v_mul_f64 v[12:13], v[3:4], v[8:9]
	v_mul_f64 v[8:9], v[1:2], v[8:9]
	s_waitcnt vmcnt(0)
	v_fma_f64 v[1:2], v[1:2], v[10:11], -v[12:13]
	v_fma_f64 v[3:4], v[3:4], v[10:11], v[8:9]
.LBB40_338:
	s_mov_b32 s48, exec_lo
	v_cmpx_ne_u32_e32 2, v0
	s_cbranch_execz .LBB40_342
; %bb.339:
	s_clause 0x3
	buffer_load_dword v12, v5, s[0:3], 0 offen offset:24
	buffer_load_dword v13, v5, s[0:3], 0 offen offset:28
	;; [unrolled: 1-line block ×4, first 2 shown]
	ds_read_b128 v[8:11], v6 offset:16
	s_waitcnt vmcnt(2) lgkmcnt(0)
	v_mul_f64 v[16:17], v[10:11], v[12:13]
	v_mul_f64 v[12:13], v[8:9], v[12:13]
	s_waitcnt vmcnt(0)
	v_fma_f64 v[8:9], v[8:9], v[14:15], -v[16:17]
	v_fma_f64 v[10:11], v[10:11], v[14:15], v[12:13]
	v_add_f64 v[1:2], v[1:2], v[8:9]
	v_add_f64 v[3:4], v[3:4], v[10:11]
	s_and_saveexec_b32 s49, s4
	s_cbranch_execz .LBB40_341
; %bb.340:
	s_clause 0x3
	buffer_load_dword v12, off, s[0:3], 0 offset:40
	buffer_load_dword v13, off, s[0:3], 0 offset:44
	;; [unrolled: 1-line block ×4, first 2 shown]
	v_mov_b32_e32 v8, 0
	ds_read_b128 v[8:11], v8 offset:688
	s_waitcnt vmcnt(2) lgkmcnt(0)
	v_mul_f64 v[16:17], v[8:9], v[12:13]
	v_mul_f64 v[12:13], v[10:11], v[12:13]
	s_waitcnt vmcnt(0)
	v_fma_f64 v[10:11], v[10:11], v[14:15], v[16:17]
	v_fma_f64 v[8:9], v[8:9], v[14:15], -v[12:13]
	v_add_f64 v[3:4], v[3:4], v[10:11]
	v_add_f64 v[1:2], v[1:2], v[8:9]
.LBB40_341:
	s_or_b32 exec_lo, exec_lo, s49
.LBB40_342:
	s_or_b32 exec_lo, exec_lo, s48
	v_mov_b32_e32 v8, 0
	ds_read_b128 v[8:11], v8 offset:48
	s_waitcnt lgkmcnt(0)
	v_mul_f64 v[12:13], v[3:4], v[10:11]
	v_mul_f64 v[10:11], v[1:2], v[10:11]
	v_fma_f64 v[1:2], v[1:2], v[8:9], -v[12:13]
	v_fma_f64 v[3:4], v[3:4], v[8:9], v[10:11]
	buffer_store_dword v2, off, s[0:3], 0 offset:52
	buffer_store_dword v1, off, s[0:3], 0 offset:48
	;; [unrolled: 1-line block ×4, first 2 shown]
.LBB40_343:
	s_or_b32 exec_lo, exec_lo, s8
	v_mov_b32_e32 v4, s44
	s_mov_b32 s4, exec_lo
	s_clause 0x3
	buffer_load_dword v1, v4, s[0:3], 0 offen
	buffer_load_dword v2, v4, s[0:3], 0 offen offset:4
	buffer_load_dword v3, v4, s[0:3], 0 offen offset:8
	;; [unrolled: 1-line block ×3, first 2 shown]
	s_waitcnt vmcnt(0)
	ds_write_b128 v6, v[1:4]
	s_waitcnt lgkmcnt(0)
	s_waitcnt_vscnt null, 0x0
	s_barrier
	buffer_gl0_inv
	v_cmpx_gt_u32_e32 4, v0
	s_cbranch_execz .LBB40_351
; %bb.344:
	ds_read_b128 v[1:4], v6
	v_cmp_ne_u32_e32 vcc_lo, 1, v7
	s_cbranch_vccnz .LBB40_346
; %bb.345:
	s_clause 0x3
	buffer_load_dword v8, v5, s[0:3], 0 offen offset:8
	buffer_load_dword v9, v5, s[0:3], 0 offen offset:12
	buffer_load_dword v10, v5, s[0:3], 0 offen
	buffer_load_dword v11, v5, s[0:3], 0 offen offset:4
	s_waitcnt vmcnt(2) lgkmcnt(0)
	v_mul_f64 v[12:13], v[3:4], v[8:9]
	v_mul_f64 v[8:9], v[1:2], v[8:9]
	s_waitcnt vmcnt(0)
	v_fma_f64 v[1:2], v[1:2], v[10:11], -v[12:13]
	v_fma_f64 v[3:4], v[3:4], v[10:11], v[8:9]
.LBB40_346:
	s_mov_b32 s8, exec_lo
	v_cmpx_ne_u32_e32 3, v0
	s_cbranch_execz .LBB40_350
; %bb.347:
	v_add_nc_u32_e32 v8, 0x2a0, v103
	v_add3_u32 v9, 0, v103, 16
	v_mov_b32_e32 v10, v0
	s_mov_b32 s48, 0
	.p2align	6
.LBB40_348:                             ; =>This Inner Loop Header: Depth=1
	s_clause 0x3
	buffer_load_dword v15, v9, s[0:3], 0 offen offset:8
	buffer_load_dword v16, v9, s[0:3], 0 offen offset:12
	buffer_load_dword v17, v9, s[0:3], 0 offen
	buffer_load_dword v18, v9, s[0:3], 0 offen offset:4
	ds_read_b128 v[11:14], v8
	v_add_nc_u32_e32 v10, 1, v10
	v_add_nc_u32_e32 v8, 16, v8
	v_add_nc_u32_e32 v9, 16, v9
	v_cmp_lt_u32_e32 vcc_lo, 2, v10
	s_or_b32 s48, vcc_lo, s48
	s_waitcnt vmcnt(2) lgkmcnt(0)
	v_mul_f64 v[19:20], v[13:14], v[15:16]
	v_mul_f64 v[15:16], v[11:12], v[15:16]
	s_waitcnt vmcnt(0)
	v_fma_f64 v[11:12], v[11:12], v[17:18], -v[19:20]
	v_fma_f64 v[13:14], v[13:14], v[17:18], v[15:16]
	v_add_f64 v[1:2], v[1:2], v[11:12]
	v_add_f64 v[3:4], v[3:4], v[13:14]
	s_andn2_b32 exec_lo, exec_lo, s48
	s_cbranch_execnz .LBB40_348
; %bb.349:
	s_or_b32 exec_lo, exec_lo, s48
.LBB40_350:
	s_or_b32 exec_lo, exec_lo, s8
	v_mov_b32_e32 v8, 0
	ds_read_b128 v[8:11], v8 offset:64
	s_waitcnt lgkmcnt(0)
	v_mul_f64 v[12:13], v[3:4], v[10:11]
	v_mul_f64 v[10:11], v[1:2], v[10:11]
	v_fma_f64 v[1:2], v[1:2], v[8:9], -v[12:13]
	v_fma_f64 v[3:4], v[3:4], v[8:9], v[10:11]
	buffer_store_dword v2, off, s[0:3], 0 offset:68
	buffer_store_dword v1, off, s[0:3], 0 offset:64
	;; [unrolled: 1-line block ×4, first 2 shown]
.LBB40_351:
	s_or_b32 exec_lo, exec_lo, s4
	v_mov_b32_e32 v4, s43
	s_mov_b32 s4, exec_lo
	s_clause 0x3
	buffer_load_dword v1, v4, s[0:3], 0 offen
	buffer_load_dword v2, v4, s[0:3], 0 offen offset:4
	buffer_load_dword v3, v4, s[0:3], 0 offen offset:8
	;; [unrolled: 1-line block ×3, first 2 shown]
	s_waitcnt vmcnt(0)
	ds_write_b128 v6, v[1:4]
	s_waitcnt lgkmcnt(0)
	s_waitcnt_vscnt null, 0x0
	s_barrier
	buffer_gl0_inv
	v_cmpx_gt_u32_e32 5, v0
	s_cbranch_execz .LBB40_359
; %bb.352:
	ds_read_b128 v[1:4], v6
	v_cmp_ne_u32_e32 vcc_lo, 1, v7
	s_cbranch_vccnz .LBB40_354
; %bb.353:
	s_clause 0x3
	buffer_load_dword v8, v5, s[0:3], 0 offen offset:8
	buffer_load_dword v9, v5, s[0:3], 0 offen offset:12
	buffer_load_dword v10, v5, s[0:3], 0 offen
	buffer_load_dword v11, v5, s[0:3], 0 offen offset:4
	s_waitcnt vmcnt(2) lgkmcnt(0)
	v_mul_f64 v[12:13], v[3:4], v[8:9]
	v_mul_f64 v[8:9], v[1:2], v[8:9]
	s_waitcnt vmcnt(0)
	v_fma_f64 v[1:2], v[1:2], v[10:11], -v[12:13]
	v_fma_f64 v[3:4], v[3:4], v[10:11], v[8:9]
.LBB40_354:
	s_mov_b32 s8, exec_lo
	v_cmpx_ne_u32_e32 4, v0
	s_cbranch_execz .LBB40_358
; %bb.355:
	v_add_nc_u32_e32 v8, 0x2a0, v103
	v_add3_u32 v9, 0, v103, 16
	v_mov_b32_e32 v10, v0
	s_mov_b32 s48, 0
	.p2align	6
.LBB40_356:                             ; =>This Inner Loop Header: Depth=1
	s_clause 0x3
	buffer_load_dword v15, v9, s[0:3], 0 offen offset:8
	buffer_load_dword v16, v9, s[0:3], 0 offen offset:12
	buffer_load_dword v17, v9, s[0:3], 0 offen
	buffer_load_dword v18, v9, s[0:3], 0 offen offset:4
	ds_read_b128 v[11:14], v8
	v_add_nc_u32_e32 v10, 1, v10
	v_add_nc_u32_e32 v8, 16, v8
	v_add_nc_u32_e32 v9, 16, v9
	v_cmp_lt_u32_e32 vcc_lo, 3, v10
	s_or_b32 s48, vcc_lo, s48
	s_waitcnt vmcnt(2) lgkmcnt(0)
	v_mul_f64 v[19:20], v[13:14], v[15:16]
	v_mul_f64 v[15:16], v[11:12], v[15:16]
	s_waitcnt vmcnt(0)
	v_fma_f64 v[11:12], v[11:12], v[17:18], -v[19:20]
	v_fma_f64 v[13:14], v[13:14], v[17:18], v[15:16]
	v_add_f64 v[1:2], v[1:2], v[11:12]
	v_add_f64 v[3:4], v[3:4], v[13:14]
	s_andn2_b32 exec_lo, exec_lo, s48
	s_cbranch_execnz .LBB40_356
; %bb.357:
	s_or_b32 exec_lo, exec_lo, s48
.LBB40_358:
	s_or_b32 exec_lo, exec_lo, s8
	v_mov_b32_e32 v8, 0
	ds_read_b128 v[8:11], v8 offset:80
	s_waitcnt lgkmcnt(0)
	v_mul_f64 v[12:13], v[3:4], v[10:11]
	v_mul_f64 v[10:11], v[1:2], v[10:11]
	v_fma_f64 v[1:2], v[1:2], v[8:9], -v[12:13]
	v_fma_f64 v[3:4], v[3:4], v[8:9], v[10:11]
	buffer_store_dword v2, off, s[0:3], 0 offset:84
	buffer_store_dword v1, off, s[0:3], 0 offset:80
	;; [unrolled: 1-line block ×4, first 2 shown]
.LBB40_359:
	s_or_b32 exec_lo, exec_lo, s4
	v_mov_b32_e32 v4, s42
	s_mov_b32 s4, exec_lo
	s_clause 0x3
	buffer_load_dword v1, v4, s[0:3], 0 offen
	buffer_load_dword v2, v4, s[0:3], 0 offen offset:4
	buffer_load_dword v3, v4, s[0:3], 0 offen offset:8
	;; [unrolled: 1-line block ×3, first 2 shown]
	s_waitcnt vmcnt(0)
	ds_write_b128 v6, v[1:4]
	s_waitcnt lgkmcnt(0)
	s_waitcnt_vscnt null, 0x0
	s_barrier
	buffer_gl0_inv
	v_cmpx_gt_u32_e32 6, v0
	s_cbranch_execz .LBB40_367
; %bb.360:
	ds_read_b128 v[1:4], v6
	v_cmp_ne_u32_e32 vcc_lo, 1, v7
	s_cbranch_vccnz .LBB40_362
; %bb.361:
	s_clause 0x3
	buffer_load_dword v8, v5, s[0:3], 0 offen offset:8
	buffer_load_dword v9, v5, s[0:3], 0 offen offset:12
	buffer_load_dword v10, v5, s[0:3], 0 offen
	buffer_load_dword v11, v5, s[0:3], 0 offen offset:4
	s_waitcnt vmcnt(2) lgkmcnt(0)
	v_mul_f64 v[12:13], v[3:4], v[8:9]
	v_mul_f64 v[8:9], v[1:2], v[8:9]
	s_waitcnt vmcnt(0)
	v_fma_f64 v[1:2], v[1:2], v[10:11], -v[12:13]
	v_fma_f64 v[3:4], v[3:4], v[10:11], v[8:9]
.LBB40_362:
	s_mov_b32 s8, exec_lo
	v_cmpx_ne_u32_e32 5, v0
	s_cbranch_execz .LBB40_366
; %bb.363:
	v_add_nc_u32_e32 v8, 0x2a0, v103
	v_add3_u32 v9, 0, v103, 16
	v_mov_b32_e32 v10, v0
	s_mov_b32 s48, 0
	.p2align	6
.LBB40_364:                             ; =>This Inner Loop Header: Depth=1
	s_clause 0x3
	buffer_load_dword v15, v9, s[0:3], 0 offen offset:8
	buffer_load_dword v16, v9, s[0:3], 0 offen offset:12
	buffer_load_dword v17, v9, s[0:3], 0 offen
	buffer_load_dword v18, v9, s[0:3], 0 offen offset:4
	ds_read_b128 v[11:14], v8
	v_add_nc_u32_e32 v10, 1, v10
	v_add_nc_u32_e32 v8, 16, v8
	;; [unrolled: 1-line block ×3, first 2 shown]
	v_cmp_lt_u32_e32 vcc_lo, 4, v10
	s_or_b32 s48, vcc_lo, s48
	s_waitcnt vmcnt(2) lgkmcnt(0)
	v_mul_f64 v[19:20], v[13:14], v[15:16]
	v_mul_f64 v[15:16], v[11:12], v[15:16]
	s_waitcnt vmcnt(0)
	v_fma_f64 v[11:12], v[11:12], v[17:18], -v[19:20]
	v_fma_f64 v[13:14], v[13:14], v[17:18], v[15:16]
	v_add_f64 v[1:2], v[1:2], v[11:12]
	v_add_f64 v[3:4], v[3:4], v[13:14]
	s_andn2_b32 exec_lo, exec_lo, s48
	s_cbranch_execnz .LBB40_364
; %bb.365:
	s_or_b32 exec_lo, exec_lo, s48
.LBB40_366:
	s_or_b32 exec_lo, exec_lo, s8
	v_mov_b32_e32 v8, 0
	ds_read_b128 v[8:11], v8 offset:96
	s_waitcnt lgkmcnt(0)
	v_mul_f64 v[12:13], v[3:4], v[10:11]
	v_mul_f64 v[10:11], v[1:2], v[10:11]
	v_fma_f64 v[1:2], v[1:2], v[8:9], -v[12:13]
	v_fma_f64 v[3:4], v[3:4], v[8:9], v[10:11]
	buffer_store_dword v2, off, s[0:3], 0 offset:100
	buffer_store_dword v1, off, s[0:3], 0 offset:96
	;; [unrolled: 1-line block ×4, first 2 shown]
.LBB40_367:
	s_or_b32 exec_lo, exec_lo, s4
	v_mov_b32_e32 v4, s41
	s_mov_b32 s4, exec_lo
	s_clause 0x3
	buffer_load_dword v1, v4, s[0:3], 0 offen
	buffer_load_dword v2, v4, s[0:3], 0 offen offset:4
	buffer_load_dword v3, v4, s[0:3], 0 offen offset:8
	;; [unrolled: 1-line block ×3, first 2 shown]
	s_waitcnt vmcnt(0)
	ds_write_b128 v6, v[1:4]
	s_waitcnt lgkmcnt(0)
	s_waitcnt_vscnt null, 0x0
	s_barrier
	buffer_gl0_inv
	v_cmpx_gt_u32_e32 7, v0
	s_cbranch_execz .LBB40_375
; %bb.368:
	ds_read_b128 v[1:4], v6
	v_cmp_ne_u32_e32 vcc_lo, 1, v7
	s_cbranch_vccnz .LBB40_370
; %bb.369:
	s_clause 0x3
	buffer_load_dword v8, v5, s[0:3], 0 offen offset:8
	buffer_load_dword v9, v5, s[0:3], 0 offen offset:12
	buffer_load_dword v10, v5, s[0:3], 0 offen
	buffer_load_dword v11, v5, s[0:3], 0 offen offset:4
	s_waitcnt vmcnt(2) lgkmcnt(0)
	v_mul_f64 v[12:13], v[3:4], v[8:9]
	v_mul_f64 v[8:9], v[1:2], v[8:9]
	s_waitcnt vmcnt(0)
	v_fma_f64 v[1:2], v[1:2], v[10:11], -v[12:13]
	v_fma_f64 v[3:4], v[3:4], v[10:11], v[8:9]
.LBB40_370:
	s_mov_b32 s8, exec_lo
	v_cmpx_ne_u32_e32 6, v0
	s_cbranch_execz .LBB40_374
; %bb.371:
	v_add_nc_u32_e32 v8, 0x2a0, v103
	v_add3_u32 v9, 0, v103, 16
	v_mov_b32_e32 v10, v0
	s_mov_b32 s48, 0
	.p2align	6
.LBB40_372:                             ; =>This Inner Loop Header: Depth=1
	s_clause 0x3
	buffer_load_dword v15, v9, s[0:3], 0 offen offset:8
	buffer_load_dword v16, v9, s[0:3], 0 offen offset:12
	buffer_load_dword v17, v9, s[0:3], 0 offen
	buffer_load_dword v18, v9, s[0:3], 0 offen offset:4
	ds_read_b128 v[11:14], v8
	v_add_nc_u32_e32 v10, 1, v10
	v_add_nc_u32_e32 v8, 16, v8
	;; [unrolled: 1-line block ×3, first 2 shown]
	v_cmp_lt_u32_e32 vcc_lo, 5, v10
	s_or_b32 s48, vcc_lo, s48
	s_waitcnt vmcnt(2) lgkmcnt(0)
	v_mul_f64 v[19:20], v[13:14], v[15:16]
	v_mul_f64 v[15:16], v[11:12], v[15:16]
	s_waitcnt vmcnt(0)
	v_fma_f64 v[11:12], v[11:12], v[17:18], -v[19:20]
	v_fma_f64 v[13:14], v[13:14], v[17:18], v[15:16]
	v_add_f64 v[1:2], v[1:2], v[11:12]
	v_add_f64 v[3:4], v[3:4], v[13:14]
	s_andn2_b32 exec_lo, exec_lo, s48
	s_cbranch_execnz .LBB40_372
; %bb.373:
	s_or_b32 exec_lo, exec_lo, s48
.LBB40_374:
	s_or_b32 exec_lo, exec_lo, s8
	v_mov_b32_e32 v8, 0
	ds_read_b128 v[8:11], v8 offset:112
	s_waitcnt lgkmcnt(0)
	v_mul_f64 v[12:13], v[3:4], v[10:11]
	v_mul_f64 v[10:11], v[1:2], v[10:11]
	v_fma_f64 v[1:2], v[1:2], v[8:9], -v[12:13]
	v_fma_f64 v[3:4], v[3:4], v[8:9], v[10:11]
	buffer_store_dword v2, off, s[0:3], 0 offset:116
	buffer_store_dword v1, off, s[0:3], 0 offset:112
	;; [unrolled: 1-line block ×4, first 2 shown]
.LBB40_375:
	s_or_b32 exec_lo, exec_lo, s4
	v_mov_b32_e32 v4, s40
	s_mov_b32 s4, exec_lo
	s_clause 0x3
	buffer_load_dword v1, v4, s[0:3], 0 offen
	buffer_load_dword v2, v4, s[0:3], 0 offen offset:4
	buffer_load_dword v3, v4, s[0:3], 0 offen offset:8
	;; [unrolled: 1-line block ×3, first 2 shown]
	s_waitcnt vmcnt(0)
	ds_write_b128 v6, v[1:4]
	s_waitcnt lgkmcnt(0)
	s_waitcnt_vscnt null, 0x0
	s_barrier
	buffer_gl0_inv
	v_cmpx_gt_u32_e32 8, v0
	s_cbranch_execz .LBB40_383
; %bb.376:
	ds_read_b128 v[1:4], v6
	v_cmp_ne_u32_e32 vcc_lo, 1, v7
	s_cbranch_vccnz .LBB40_378
; %bb.377:
	s_clause 0x3
	buffer_load_dword v8, v5, s[0:3], 0 offen offset:8
	buffer_load_dword v9, v5, s[0:3], 0 offen offset:12
	buffer_load_dword v10, v5, s[0:3], 0 offen
	buffer_load_dword v11, v5, s[0:3], 0 offen offset:4
	s_waitcnt vmcnt(2) lgkmcnt(0)
	v_mul_f64 v[12:13], v[3:4], v[8:9]
	v_mul_f64 v[8:9], v[1:2], v[8:9]
	s_waitcnt vmcnt(0)
	v_fma_f64 v[1:2], v[1:2], v[10:11], -v[12:13]
	v_fma_f64 v[3:4], v[3:4], v[10:11], v[8:9]
.LBB40_378:
	s_mov_b32 s8, exec_lo
	v_cmpx_ne_u32_e32 7, v0
	s_cbranch_execz .LBB40_382
; %bb.379:
	v_add_nc_u32_e32 v8, 0x2a0, v103
	v_add3_u32 v9, 0, v103, 16
	v_mov_b32_e32 v10, v0
	s_mov_b32 s48, 0
	.p2align	6
.LBB40_380:                             ; =>This Inner Loop Header: Depth=1
	s_clause 0x3
	buffer_load_dword v15, v9, s[0:3], 0 offen offset:8
	buffer_load_dword v16, v9, s[0:3], 0 offen offset:12
	buffer_load_dword v17, v9, s[0:3], 0 offen
	buffer_load_dword v18, v9, s[0:3], 0 offen offset:4
	ds_read_b128 v[11:14], v8
	v_add_nc_u32_e32 v10, 1, v10
	v_add_nc_u32_e32 v8, 16, v8
	;; [unrolled: 1-line block ×3, first 2 shown]
	v_cmp_lt_u32_e32 vcc_lo, 6, v10
	s_or_b32 s48, vcc_lo, s48
	s_waitcnt vmcnt(2) lgkmcnt(0)
	v_mul_f64 v[19:20], v[13:14], v[15:16]
	v_mul_f64 v[15:16], v[11:12], v[15:16]
	s_waitcnt vmcnt(0)
	v_fma_f64 v[11:12], v[11:12], v[17:18], -v[19:20]
	v_fma_f64 v[13:14], v[13:14], v[17:18], v[15:16]
	v_add_f64 v[1:2], v[1:2], v[11:12]
	v_add_f64 v[3:4], v[3:4], v[13:14]
	s_andn2_b32 exec_lo, exec_lo, s48
	s_cbranch_execnz .LBB40_380
; %bb.381:
	s_or_b32 exec_lo, exec_lo, s48
.LBB40_382:
	s_or_b32 exec_lo, exec_lo, s8
	v_mov_b32_e32 v8, 0
	ds_read_b128 v[8:11], v8 offset:128
	s_waitcnt lgkmcnt(0)
	v_mul_f64 v[12:13], v[3:4], v[10:11]
	v_mul_f64 v[10:11], v[1:2], v[10:11]
	v_fma_f64 v[1:2], v[1:2], v[8:9], -v[12:13]
	v_fma_f64 v[3:4], v[3:4], v[8:9], v[10:11]
	buffer_store_dword v2, off, s[0:3], 0 offset:132
	buffer_store_dword v1, off, s[0:3], 0 offset:128
	;; [unrolled: 1-line block ×4, first 2 shown]
.LBB40_383:
	s_or_b32 exec_lo, exec_lo, s4
	v_mov_b32_e32 v4, s39
	s_mov_b32 s4, exec_lo
	s_clause 0x3
	buffer_load_dword v1, v4, s[0:3], 0 offen
	buffer_load_dword v2, v4, s[0:3], 0 offen offset:4
	buffer_load_dword v3, v4, s[0:3], 0 offen offset:8
	;; [unrolled: 1-line block ×3, first 2 shown]
	s_waitcnt vmcnt(0)
	ds_write_b128 v6, v[1:4]
	s_waitcnt lgkmcnt(0)
	s_waitcnt_vscnt null, 0x0
	s_barrier
	buffer_gl0_inv
	v_cmpx_gt_u32_e32 9, v0
	s_cbranch_execz .LBB40_391
; %bb.384:
	ds_read_b128 v[1:4], v6
	v_cmp_ne_u32_e32 vcc_lo, 1, v7
	s_cbranch_vccnz .LBB40_386
; %bb.385:
	s_clause 0x3
	buffer_load_dword v8, v5, s[0:3], 0 offen offset:8
	buffer_load_dword v9, v5, s[0:3], 0 offen offset:12
	buffer_load_dword v10, v5, s[0:3], 0 offen
	buffer_load_dword v11, v5, s[0:3], 0 offen offset:4
	s_waitcnt vmcnt(2) lgkmcnt(0)
	v_mul_f64 v[12:13], v[3:4], v[8:9]
	v_mul_f64 v[8:9], v[1:2], v[8:9]
	s_waitcnt vmcnt(0)
	v_fma_f64 v[1:2], v[1:2], v[10:11], -v[12:13]
	v_fma_f64 v[3:4], v[3:4], v[10:11], v[8:9]
.LBB40_386:
	s_mov_b32 s8, exec_lo
	v_cmpx_ne_u32_e32 8, v0
	s_cbranch_execz .LBB40_390
; %bb.387:
	v_add_nc_u32_e32 v8, 0x2a0, v103
	v_add3_u32 v9, 0, v103, 16
	v_mov_b32_e32 v10, v0
	s_mov_b32 s48, 0
	.p2align	6
.LBB40_388:                             ; =>This Inner Loop Header: Depth=1
	s_clause 0x3
	buffer_load_dword v15, v9, s[0:3], 0 offen offset:8
	buffer_load_dword v16, v9, s[0:3], 0 offen offset:12
	buffer_load_dword v17, v9, s[0:3], 0 offen
	buffer_load_dword v18, v9, s[0:3], 0 offen offset:4
	ds_read_b128 v[11:14], v8
	v_add_nc_u32_e32 v10, 1, v10
	v_add_nc_u32_e32 v8, 16, v8
	;; [unrolled: 1-line block ×3, first 2 shown]
	v_cmp_lt_u32_e32 vcc_lo, 7, v10
	s_or_b32 s48, vcc_lo, s48
	s_waitcnt vmcnt(2) lgkmcnt(0)
	v_mul_f64 v[19:20], v[13:14], v[15:16]
	v_mul_f64 v[15:16], v[11:12], v[15:16]
	s_waitcnt vmcnt(0)
	v_fma_f64 v[11:12], v[11:12], v[17:18], -v[19:20]
	v_fma_f64 v[13:14], v[13:14], v[17:18], v[15:16]
	v_add_f64 v[1:2], v[1:2], v[11:12]
	v_add_f64 v[3:4], v[3:4], v[13:14]
	s_andn2_b32 exec_lo, exec_lo, s48
	s_cbranch_execnz .LBB40_388
; %bb.389:
	s_or_b32 exec_lo, exec_lo, s48
.LBB40_390:
	s_or_b32 exec_lo, exec_lo, s8
	v_mov_b32_e32 v8, 0
	ds_read_b128 v[8:11], v8 offset:144
	s_waitcnt lgkmcnt(0)
	v_mul_f64 v[12:13], v[3:4], v[10:11]
	v_mul_f64 v[10:11], v[1:2], v[10:11]
	v_fma_f64 v[1:2], v[1:2], v[8:9], -v[12:13]
	v_fma_f64 v[3:4], v[3:4], v[8:9], v[10:11]
	buffer_store_dword v2, off, s[0:3], 0 offset:148
	buffer_store_dword v1, off, s[0:3], 0 offset:144
	;; [unrolled: 1-line block ×4, first 2 shown]
.LBB40_391:
	s_or_b32 exec_lo, exec_lo, s4
	v_mov_b32_e32 v4, s38
	s_mov_b32 s4, exec_lo
	s_clause 0x3
	buffer_load_dword v1, v4, s[0:3], 0 offen
	buffer_load_dword v2, v4, s[0:3], 0 offen offset:4
	buffer_load_dword v3, v4, s[0:3], 0 offen offset:8
	;; [unrolled: 1-line block ×3, first 2 shown]
	s_waitcnt vmcnt(0)
	ds_write_b128 v6, v[1:4]
	s_waitcnt lgkmcnt(0)
	s_waitcnt_vscnt null, 0x0
	s_barrier
	buffer_gl0_inv
	v_cmpx_gt_u32_e32 10, v0
	s_cbranch_execz .LBB40_399
; %bb.392:
	ds_read_b128 v[1:4], v6
	v_cmp_ne_u32_e32 vcc_lo, 1, v7
	s_cbranch_vccnz .LBB40_394
; %bb.393:
	s_clause 0x3
	buffer_load_dword v8, v5, s[0:3], 0 offen offset:8
	buffer_load_dword v9, v5, s[0:3], 0 offen offset:12
	buffer_load_dword v10, v5, s[0:3], 0 offen
	buffer_load_dword v11, v5, s[0:3], 0 offen offset:4
	s_waitcnt vmcnt(2) lgkmcnt(0)
	v_mul_f64 v[12:13], v[3:4], v[8:9]
	v_mul_f64 v[8:9], v[1:2], v[8:9]
	s_waitcnt vmcnt(0)
	v_fma_f64 v[1:2], v[1:2], v[10:11], -v[12:13]
	v_fma_f64 v[3:4], v[3:4], v[10:11], v[8:9]
.LBB40_394:
	s_mov_b32 s8, exec_lo
	v_cmpx_ne_u32_e32 9, v0
	s_cbranch_execz .LBB40_398
; %bb.395:
	v_add_nc_u32_e32 v8, 0x2a0, v103
	v_add3_u32 v9, 0, v103, 16
	v_mov_b32_e32 v10, v0
	s_mov_b32 s48, 0
	.p2align	6
.LBB40_396:                             ; =>This Inner Loop Header: Depth=1
	s_clause 0x3
	buffer_load_dword v15, v9, s[0:3], 0 offen offset:8
	buffer_load_dword v16, v9, s[0:3], 0 offen offset:12
	buffer_load_dword v17, v9, s[0:3], 0 offen
	buffer_load_dword v18, v9, s[0:3], 0 offen offset:4
	ds_read_b128 v[11:14], v8
	v_add_nc_u32_e32 v10, 1, v10
	v_add_nc_u32_e32 v8, 16, v8
	;; [unrolled: 1-line block ×3, first 2 shown]
	v_cmp_lt_u32_e32 vcc_lo, 8, v10
	s_or_b32 s48, vcc_lo, s48
	s_waitcnt vmcnt(2) lgkmcnt(0)
	v_mul_f64 v[19:20], v[13:14], v[15:16]
	v_mul_f64 v[15:16], v[11:12], v[15:16]
	s_waitcnt vmcnt(0)
	v_fma_f64 v[11:12], v[11:12], v[17:18], -v[19:20]
	v_fma_f64 v[13:14], v[13:14], v[17:18], v[15:16]
	v_add_f64 v[1:2], v[1:2], v[11:12]
	v_add_f64 v[3:4], v[3:4], v[13:14]
	s_andn2_b32 exec_lo, exec_lo, s48
	s_cbranch_execnz .LBB40_396
; %bb.397:
	s_or_b32 exec_lo, exec_lo, s48
.LBB40_398:
	s_or_b32 exec_lo, exec_lo, s8
	v_mov_b32_e32 v8, 0
	ds_read_b128 v[8:11], v8 offset:160
	s_waitcnt lgkmcnt(0)
	v_mul_f64 v[12:13], v[3:4], v[10:11]
	v_mul_f64 v[10:11], v[1:2], v[10:11]
	v_fma_f64 v[1:2], v[1:2], v[8:9], -v[12:13]
	v_fma_f64 v[3:4], v[3:4], v[8:9], v[10:11]
	buffer_store_dword v2, off, s[0:3], 0 offset:164
	buffer_store_dword v1, off, s[0:3], 0 offset:160
	;; [unrolled: 1-line block ×4, first 2 shown]
.LBB40_399:
	s_or_b32 exec_lo, exec_lo, s4
	v_mov_b32_e32 v4, s37
	s_mov_b32 s4, exec_lo
	s_clause 0x3
	buffer_load_dword v1, v4, s[0:3], 0 offen
	buffer_load_dword v2, v4, s[0:3], 0 offen offset:4
	buffer_load_dword v3, v4, s[0:3], 0 offen offset:8
	;; [unrolled: 1-line block ×3, first 2 shown]
	s_waitcnt vmcnt(0)
	ds_write_b128 v6, v[1:4]
	s_waitcnt lgkmcnt(0)
	s_waitcnt_vscnt null, 0x0
	s_barrier
	buffer_gl0_inv
	v_cmpx_gt_u32_e32 11, v0
	s_cbranch_execz .LBB40_407
; %bb.400:
	ds_read_b128 v[1:4], v6
	v_cmp_ne_u32_e32 vcc_lo, 1, v7
	s_cbranch_vccnz .LBB40_402
; %bb.401:
	s_clause 0x3
	buffer_load_dword v8, v5, s[0:3], 0 offen offset:8
	buffer_load_dword v9, v5, s[0:3], 0 offen offset:12
	buffer_load_dword v10, v5, s[0:3], 0 offen
	buffer_load_dword v11, v5, s[0:3], 0 offen offset:4
	s_waitcnt vmcnt(2) lgkmcnt(0)
	v_mul_f64 v[12:13], v[3:4], v[8:9]
	v_mul_f64 v[8:9], v[1:2], v[8:9]
	s_waitcnt vmcnt(0)
	v_fma_f64 v[1:2], v[1:2], v[10:11], -v[12:13]
	v_fma_f64 v[3:4], v[3:4], v[10:11], v[8:9]
.LBB40_402:
	s_mov_b32 s8, exec_lo
	v_cmpx_ne_u32_e32 10, v0
	s_cbranch_execz .LBB40_406
; %bb.403:
	v_add_nc_u32_e32 v8, 0x2a0, v103
	v_add3_u32 v9, 0, v103, 16
	v_mov_b32_e32 v10, v0
	s_mov_b32 s48, 0
	.p2align	6
.LBB40_404:                             ; =>This Inner Loop Header: Depth=1
	s_clause 0x3
	buffer_load_dword v15, v9, s[0:3], 0 offen offset:8
	buffer_load_dword v16, v9, s[0:3], 0 offen offset:12
	buffer_load_dword v17, v9, s[0:3], 0 offen
	buffer_load_dword v18, v9, s[0:3], 0 offen offset:4
	ds_read_b128 v[11:14], v8
	v_add_nc_u32_e32 v10, 1, v10
	v_add_nc_u32_e32 v8, 16, v8
	;; [unrolled: 1-line block ×3, first 2 shown]
	v_cmp_lt_u32_e32 vcc_lo, 9, v10
	s_or_b32 s48, vcc_lo, s48
	s_waitcnt vmcnt(2) lgkmcnt(0)
	v_mul_f64 v[19:20], v[13:14], v[15:16]
	v_mul_f64 v[15:16], v[11:12], v[15:16]
	s_waitcnt vmcnt(0)
	v_fma_f64 v[11:12], v[11:12], v[17:18], -v[19:20]
	v_fma_f64 v[13:14], v[13:14], v[17:18], v[15:16]
	v_add_f64 v[1:2], v[1:2], v[11:12]
	v_add_f64 v[3:4], v[3:4], v[13:14]
	s_andn2_b32 exec_lo, exec_lo, s48
	s_cbranch_execnz .LBB40_404
; %bb.405:
	s_or_b32 exec_lo, exec_lo, s48
.LBB40_406:
	s_or_b32 exec_lo, exec_lo, s8
	v_mov_b32_e32 v8, 0
	ds_read_b128 v[8:11], v8 offset:176
	s_waitcnt lgkmcnt(0)
	v_mul_f64 v[12:13], v[3:4], v[10:11]
	v_mul_f64 v[10:11], v[1:2], v[10:11]
	v_fma_f64 v[1:2], v[1:2], v[8:9], -v[12:13]
	v_fma_f64 v[3:4], v[3:4], v[8:9], v[10:11]
	buffer_store_dword v2, off, s[0:3], 0 offset:180
	buffer_store_dword v1, off, s[0:3], 0 offset:176
	;; [unrolled: 1-line block ×4, first 2 shown]
.LBB40_407:
	s_or_b32 exec_lo, exec_lo, s4
	v_mov_b32_e32 v4, s36
	s_mov_b32 s4, exec_lo
	s_clause 0x3
	buffer_load_dword v1, v4, s[0:3], 0 offen
	buffer_load_dword v2, v4, s[0:3], 0 offen offset:4
	buffer_load_dword v3, v4, s[0:3], 0 offen offset:8
	buffer_load_dword v4, v4, s[0:3], 0 offen offset:12
	s_waitcnt vmcnt(0)
	ds_write_b128 v6, v[1:4]
	s_waitcnt lgkmcnt(0)
	s_waitcnt_vscnt null, 0x0
	s_barrier
	buffer_gl0_inv
	v_cmpx_gt_u32_e32 12, v0
	s_cbranch_execz .LBB40_415
; %bb.408:
	ds_read_b128 v[1:4], v6
	v_cmp_ne_u32_e32 vcc_lo, 1, v7
	s_cbranch_vccnz .LBB40_410
; %bb.409:
	s_clause 0x3
	buffer_load_dword v8, v5, s[0:3], 0 offen offset:8
	buffer_load_dword v9, v5, s[0:3], 0 offen offset:12
	buffer_load_dword v10, v5, s[0:3], 0 offen
	buffer_load_dword v11, v5, s[0:3], 0 offen offset:4
	s_waitcnt vmcnt(2) lgkmcnt(0)
	v_mul_f64 v[12:13], v[3:4], v[8:9]
	v_mul_f64 v[8:9], v[1:2], v[8:9]
	s_waitcnt vmcnt(0)
	v_fma_f64 v[1:2], v[1:2], v[10:11], -v[12:13]
	v_fma_f64 v[3:4], v[3:4], v[10:11], v[8:9]
.LBB40_410:
	s_mov_b32 s8, exec_lo
	v_cmpx_ne_u32_e32 11, v0
	s_cbranch_execz .LBB40_414
; %bb.411:
	v_add_nc_u32_e32 v8, 0x2a0, v103
	v_add3_u32 v9, 0, v103, 16
	v_mov_b32_e32 v10, v0
	s_mov_b32 s48, 0
	.p2align	6
.LBB40_412:                             ; =>This Inner Loop Header: Depth=1
	s_clause 0x3
	buffer_load_dword v15, v9, s[0:3], 0 offen offset:8
	buffer_load_dword v16, v9, s[0:3], 0 offen offset:12
	buffer_load_dword v17, v9, s[0:3], 0 offen
	buffer_load_dword v18, v9, s[0:3], 0 offen offset:4
	ds_read_b128 v[11:14], v8
	v_add_nc_u32_e32 v10, 1, v10
	v_add_nc_u32_e32 v8, 16, v8
	;; [unrolled: 1-line block ×3, first 2 shown]
	v_cmp_lt_u32_e32 vcc_lo, 10, v10
	s_or_b32 s48, vcc_lo, s48
	s_waitcnt vmcnt(2) lgkmcnt(0)
	v_mul_f64 v[19:20], v[13:14], v[15:16]
	v_mul_f64 v[15:16], v[11:12], v[15:16]
	s_waitcnt vmcnt(0)
	v_fma_f64 v[11:12], v[11:12], v[17:18], -v[19:20]
	v_fma_f64 v[13:14], v[13:14], v[17:18], v[15:16]
	v_add_f64 v[1:2], v[1:2], v[11:12]
	v_add_f64 v[3:4], v[3:4], v[13:14]
	s_andn2_b32 exec_lo, exec_lo, s48
	s_cbranch_execnz .LBB40_412
; %bb.413:
	s_or_b32 exec_lo, exec_lo, s48
.LBB40_414:
	s_or_b32 exec_lo, exec_lo, s8
	v_mov_b32_e32 v8, 0
	ds_read_b128 v[8:11], v8 offset:192
	s_waitcnt lgkmcnt(0)
	v_mul_f64 v[12:13], v[3:4], v[10:11]
	v_mul_f64 v[10:11], v[1:2], v[10:11]
	v_fma_f64 v[1:2], v[1:2], v[8:9], -v[12:13]
	v_fma_f64 v[3:4], v[3:4], v[8:9], v[10:11]
	buffer_store_dword v2, off, s[0:3], 0 offset:196
	buffer_store_dword v1, off, s[0:3], 0 offset:192
	;; [unrolled: 1-line block ×4, first 2 shown]
.LBB40_415:
	s_or_b32 exec_lo, exec_lo, s4
	v_mov_b32_e32 v4, s35
	s_mov_b32 s4, exec_lo
	s_clause 0x3
	buffer_load_dword v1, v4, s[0:3], 0 offen
	buffer_load_dword v2, v4, s[0:3], 0 offen offset:4
	buffer_load_dword v3, v4, s[0:3], 0 offen offset:8
	;; [unrolled: 1-line block ×3, first 2 shown]
	s_waitcnt vmcnt(0)
	ds_write_b128 v6, v[1:4]
	s_waitcnt lgkmcnt(0)
	s_waitcnt_vscnt null, 0x0
	s_barrier
	buffer_gl0_inv
	v_cmpx_gt_u32_e32 13, v0
	s_cbranch_execz .LBB40_423
; %bb.416:
	ds_read_b128 v[1:4], v6
	v_cmp_ne_u32_e32 vcc_lo, 1, v7
	s_cbranch_vccnz .LBB40_418
; %bb.417:
	s_clause 0x3
	buffer_load_dword v8, v5, s[0:3], 0 offen offset:8
	buffer_load_dword v9, v5, s[0:3], 0 offen offset:12
	buffer_load_dword v10, v5, s[0:3], 0 offen
	buffer_load_dword v11, v5, s[0:3], 0 offen offset:4
	s_waitcnt vmcnt(2) lgkmcnt(0)
	v_mul_f64 v[12:13], v[3:4], v[8:9]
	v_mul_f64 v[8:9], v[1:2], v[8:9]
	s_waitcnt vmcnt(0)
	v_fma_f64 v[1:2], v[1:2], v[10:11], -v[12:13]
	v_fma_f64 v[3:4], v[3:4], v[10:11], v[8:9]
.LBB40_418:
	s_mov_b32 s8, exec_lo
	v_cmpx_ne_u32_e32 12, v0
	s_cbranch_execz .LBB40_422
; %bb.419:
	v_add_nc_u32_e32 v8, 0x2a0, v103
	v_add3_u32 v9, 0, v103, 16
	v_mov_b32_e32 v10, v0
	s_mov_b32 s48, 0
	.p2align	6
.LBB40_420:                             ; =>This Inner Loop Header: Depth=1
	s_clause 0x3
	buffer_load_dword v15, v9, s[0:3], 0 offen offset:8
	buffer_load_dword v16, v9, s[0:3], 0 offen offset:12
	buffer_load_dword v17, v9, s[0:3], 0 offen
	buffer_load_dword v18, v9, s[0:3], 0 offen offset:4
	ds_read_b128 v[11:14], v8
	v_add_nc_u32_e32 v10, 1, v10
	v_add_nc_u32_e32 v8, 16, v8
	;; [unrolled: 1-line block ×3, first 2 shown]
	v_cmp_lt_u32_e32 vcc_lo, 11, v10
	s_or_b32 s48, vcc_lo, s48
	s_waitcnt vmcnt(2) lgkmcnt(0)
	v_mul_f64 v[19:20], v[13:14], v[15:16]
	v_mul_f64 v[15:16], v[11:12], v[15:16]
	s_waitcnt vmcnt(0)
	v_fma_f64 v[11:12], v[11:12], v[17:18], -v[19:20]
	v_fma_f64 v[13:14], v[13:14], v[17:18], v[15:16]
	v_add_f64 v[1:2], v[1:2], v[11:12]
	v_add_f64 v[3:4], v[3:4], v[13:14]
	s_andn2_b32 exec_lo, exec_lo, s48
	s_cbranch_execnz .LBB40_420
; %bb.421:
	s_or_b32 exec_lo, exec_lo, s48
.LBB40_422:
	s_or_b32 exec_lo, exec_lo, s8
	v_mov_b32_e32 v8, 0
	ds_read_b128 v[8:11], v8 offset:208
	s_waitcnt lgkmcnt(0)
	v_mul_f64 v[12:13], v[3:4], v[10:11]
	v_mul_f64 v[10:11], v[1:2], v[10:11]
	v_fma_f64 v[1:2], v[1:2], v[8:9], -v[12:13]
	v_fma_f64 v[3:4], v[3:4], v[8:9], v[10:11]
	buffer_store_dword v2, off, s[0:3], 0 offset:212
	buffer_store_dword v1, off, s[0:3], 0 offset:208
	;; [unrolled: 1-line block ×4, first 2 shown]
.LBB40_423:
	s_or_b32 exec_lo, exec_lo, s4
	v_mov_b32_e32 v4, s34
	s_mov_b32 s4, exec_lo
	s_clause 0x3
	buffer_load_dword v1, v4, s[0:3], 0 offen
	buffer_load_dword v2, v4, s[0:3], 0 offen offset:4
	buffer_load_dword v3, v4, s[0:3], 0 offen offset:8
	;; [unrolled: 1-line block ×3, first 2 shown]
	s_waitcnt vmcnt(0)
	ds_write_b128 v6, v[1:4]
	s_waitcnt lgkmcnt(0)
	s_waitcnt_vscnt null, 0x0
	s_barrier
	buffer_gl0_inv
	v_cmpx_gt_u32_e32 14, v0
	s_cbranch_execz .LBB40_431
; %bb.424:
	ds_read_b128 v[1:4], v6
	v_cmp_ne_u32_e32 vcc_lo, 1, v7
	s_cbranch_vccnz .LBB40_426
; %bb.425:
	s_clause 0x3
	buffer_load_dword v8, v5, s[0:3], 0 offen offset:8
	buffer_load_dword v9, v5, s[0:3], 0 offen offset:12
	buffer_load_dword v10, v5, s[0:3], 0 offen
	buffer_load_dword v11, v5, s[0:3], 0 offen offset:4
	s_waitcnt vmcnt(2) lgkmcnt(0)
	v_mul_f64 v[12:13], v[3:4], v[8:9]
	v_mul_f64 v[8:9], v[1:2], v[8:9]
	s_waitcnt vmcnt(0)
	v_fma_f64 v[1:2], v[1:2], v[10:11], -v[12:13]
	v_fma_f64 v[3:4], v[3:4], v[10:11], v[8:9]
.LBB40_426:
	s_mov_b32 s8, exec_lo
	v_cmpx_ne_u32_e32 13, v0
	s_cbranch_execz .LBB40_430
; %bb.427:
	v_add_nc_u32_e32 v8, 0x2a0, v103
	v_add3_u32 v9, 0, v103, 16
	v_mov_b32_e32 v10, v0
	s_mov_b32 s48, 0
	.p2align	6
.LBB40_428:                             ; =>This Inner Loop Header: Depth=1
	s_clause 0x3
	buffer_load_dword v15, v9, s[0:3], 0 offen offset:8
	buffer_load_dword v16, v9, s[0:3], 0 offen offset:12
	buffer_load_dword v17, v9, s[0:3], 0 offen
	buffer_load_dword v18, v9, s[0:3], 0 offen offset:4
	ds_read_b128 v[11:14], v8
	v_add_nc_u32_e32 v10, 1, v10
	v_add_nc_u32_e32 v8, 16, v8
	;; [unrolled: 1-line block ×3, first 2 shown]
	v_cmp_lt_u32_e32 vcc_lo, 12, v10
	s_or_b32 s48, vcc_lo, s48
	s_waitcnt vmcnt(2) lgkmcnt(0)
	v_mul_f64 v[19:20], v[13:14], v[15:16]
	v_mul_f64 v[15:16], v[11:12], v[15:16]
	s_waitcnt vmcnt(0)
	v_fma_f64 v[11:12], v[11:12], v[17:18], -v[19:20]
	v_fma_f64 v[13:14], v[13:14], v[17:18], v[15:16]
	v_add_f64 v[1:2], v[1:2], v[11:12]
	v_add_f64 v[3:4], v[3:4], v[13:14]
	s_andn2_b32 exec_lo, exec_lo, s48
	s_cbranch_execnz .LBB40_428
; %bb.429:
	s_or_b32 exec_lo, exec_lo, s48
.LBB40_430:
	s_or_b32 exec_lo, exec_lo, s8
	v_mov_b32_e32 v8, 0
	ds_read_b128 v[8:11], v8 offset:224
	s_waitcnt lgkmcnt(0)
	v_mul_f64 v[12:13], v[3:4], v[10:11]
	v_mul_f64 v[10:11], v[1:2], v[10:11]
	v_fma_f64 v[1:2], v[1:2], v[8:9], -v[12:13]
	v_fma_f64 v[3:4], v[3:4], v[8:9], v[10:11]
	buffer_store_dword v2, off, s[0:3], 0 offset:228
	buffer_store_dword v1, off, s[0:3], 0 offset:224
	;; [unrolled: 1-line block ×4, first 2 shown]
.LBB40_431:
	s_or_b32 exec_lo, exec_lo, s4
	v_mov_b32_e32 v4, s33
	s_mov_b32 s4, exec_lo
	s_clause 0x3
	buffer_load_dword v1, v4, s[0:3], 0 offen
	buffer_load_dword v2, v4, s[0:3], 0 offen offset:4
	buffer_load_dword v3, v4, s[0:3], 0 offen offset:8
	;; [unrolled: 1-line block ×3, first 2 shown]
	s_waitcnt vmcnt(0)
	ds_write_b128 v6, v[1:4]
	s_waitcnt lgkmcnt(0)
	s_waitcnt_vscnt null, 0x0
	s_barrier
	buffer_gl0_inv
	v_cmpx_gt_u32_e32 15, v0
	s_cbranch_execz .LBB40_439
; %bb.432:
	ds_read_b128 v[1:4], v6
	v_cmp_ne_u32_e32 vcc_lo, 1, v7
	s_cbranch_vccnz .LBB40_434
; %bb.433:
	s_clause 0x3
	buffer_load_dword v8, v5, s[0:3], 0 offen offset:8
	buffer_load_dword v9, v5, s[0:3], 0 offen offset:12
	buffer_load_dword v10, v5, s[0:3], 0 offen
	buffer_load_dword v11, v5, s[0:3], 0 offen offset:4
	s_waitcnt vmcnt(2) lgkmcnt(0)
	v_mul_f64 v[12:13], v[3:4], v[8:9]
	v_mul_f64 v[8:9], v[1:2], v[8:9]
	s_waitcnt vmcnt(0)
	v_fma_f64 v[1:2], v[1:2], v[10:11], -v[12:13]
	v_fma_f64 v[3:4], v[3:4], v[10:11], v[8:9]
.LBB40_434:
	s_mov_b32 s8, exec_lo
	v_cmpx_ne_u32_e32 14, v0
	s_cbranch_execz .LBB40_438
; %bb.435:
	v_add_nc_u32_e32 v8, 0x2a0, v103
	v_add3_u32 v9, 0, v103, 16
	v_mov_b32_e32 v10, v0
	s_mov_b32 s48, 0
	.p2align	6
.LBB40_436:                             ; =>This Inner Loop Header: Depth=1
	s_clause 0x3
	buffer_load_dword v15, v9, s[0:3], 0 offen offset:8
	buffer_load_dword v16, v9, s[0:3], 0 offen offset:12
	buffer_load_dword v17, v9, s[0:3], 0 offen
	buffer_load_dword v18, v9, s[0:3], 0 offen offset:4
	ds_read_b128 v[11:14], v8
	v_add_nc_u32_e32 v10, 1, v10
	v_add_nc_u32_e32 v8, 16, v8
	;; [unrolled: 1-line block ×3, first 2 shown]
	v_cmp_lt_u32_e32 vcc_lo, 13, v10
	s_or_b32 s48, vcc_lo, s48
	s_waitcnt vmcnt(2) lgkmcnt(0)
	v_mul_f64 v[19:20], v[13:14], v[15:16]
	v_mul_f64 v[15:16], v[11:12], v[15:16]
	s_waitcnt vmcnt(0)
	v_fma_f64 v[11:12], v[11:12], v[17:18], -v[19:20]
	v_fma_f64 v[13:14], v[13:14], v[17:18], v[15:16]
	v_add_f64 v[1:2], v[1:2], v[11:12]
	v_add_f64 v[3:4], v[3:4], v[13:14]
	s_andn2_b32 exec_lo, exec_lo, s48
	s_cbranch_execnz .LBB40_436
; %bb.437:
	s_or_b32 exec_lo, exec_lo, s48
.LBB40_438:
	s_or_b32 exec_lo, exec_lo, s8
	v_mov_b32_e32 v8, 0
	ds_read_b128 v[8:11], v8 offset:240
	s_waitcnt lgkmcnt(0)
	v_mul_f64 v[12:13], v[3:4], v[10:11]
	v_mul_f64 v[10:11], v[1:2], v[10:11]
	v_fma_f64 v[1:2], v[1:2], v[8:9], -v[12:13]
	v_fma_f64 v[3:4], v[3:4], v[8:9], v[10:11]
	buffer_store_dword v2, off, s[0:3], 0 offset:244
	buffer_store_dword v1, off, s[0:3], 0 offset:240
	;; [unrolled: 1-line block ×4, first 2 shown]
.LBB40_439:
	s_or_b32 exec_lo, exec_lo, s4
	v_mov_b32_e32 v4, s31
	s_mov_b32 s4, exec_lo
	s_clause 0x3
	buffer_load_dword v1, v4, s[0:3], 0 offen
	buffer_load_dword v2, v4, s[0:3], 0 offen offset:4
	buffer_load_dword v3, v4, s[0:3], 0 offen offset:8
	;; [unrolled: 1-line block ×3, first 2 shown]
	s_waitcnt vmcnt(0)
	ds_write_b128 v6, v[1:4]
	s_waitcnt lgkmcnt(0)
	s_waitcnt_vscnt null, 0x0
	s_barrier
	buffer_gl0_inv
	v_cmpx_gt_u32_e32 16, v0
	s_cbranch_execz .LBB40_447
; %bb.440:
	ds_read_b128 v[1:4], v6
	v_cmp_ne_u32_e32 vcc_lo, 1, v7
	s_cbranch_vccnz .LBB40_442
; %bb.441:
	s_clause 0x3
	buffer_load_dword v8, v5, s[0:3], 0 offen offset:8
	buffer_load_dword v9, v5, s[0:3], 0 offen offset:12
	buffer_load_dword v10, v5, s[0:3], 0 offen
	buffer_load_dword v11, v5, s[0:3], 0 offen offset:4
	s_waitcnt vmcnt(2) lgkmcnt(0)
	v_mul_f64 v[12:13], v[3:4], v[8:9]
	v_mul_f64 v[8:9], v[1:2], v[8:9]
	s_waitcnt vmcnt(0)
	v_fma_f64 v[1:2], v[1:2], v[10:11], -v[12:13]
	v_fma_f64 v[3:4], v[3:4], v[10:11], v[8:9]
.LBB40_442:
	s_mov_b32 s8, exec_lo
	v_cmpx_ne_u32_e32 15, v0
	s_cbranch_execz .LBB40_446
; %bb.443:
	v_add_nc_u32_e32 v8, 0x2a0, v103
	v_add3_u32 v9, 0, v103, 16
	v_mov_b32_e32 v10, v0
	s_mov_b32 s48, 0
	.p2align	6
.LBB40_444:                             ; =>This Inner Loop Header: Depth=1
	s_clause 0x3
	buffer_load_dword v15, v9, s[0:3], 0 offen offset:8
	buffer_load_dword v16, v9, s[0:3], 0 offen offset:12
	buffer_load_dword v17, v9, s[0:3], 0 offen
	buffer_load_dword v18, v9, s[0:3], 0 offen offset:4
	ds_read_b128 v[11:14], v8
	v_add_nc_u32_e32 v10, 1, v10
	v_add_nc_u32_e32 v8, 16, v8
	;; [unrolled: 1-line block ×3, first 2 shown]
	v_cmp_lt_u32_e32 vcc_lo, 14, v10
	s_or_b32 s48, vcc_lo, s48
	s_waitcnt vmcnt(2) lgkmcnt(0)
	v_mul_f64 v[19:20], v[13:14], v[15:16]
	v_mul_f64 v[15:16], v[11:12], v[15:16]
	s_waitcnt vmcnt(0)
	v_fma_f64 v[11:12], v[11:12], v[17:18], -v[19:20]
	v_fma_f64 v[13:14], v[13:14], v[17:18], v[15:16]
	v_add_f64 v[1:2], v[1:2], v[11:12]
	v_add_f64 v[3:4], v[3:4], v[13:14]
	s_andn2_b32 exec_lo, exec_lo, s48
	s_cbranch_execnz .LBB40_444
; %bb.445:
	s_or_b32 exec_lo, exec_lo, s48
.LBB40_446:
	s_or_b32 exec_lo, exec_lo, s8
	v_mov_b32_e32 v8, 0
	ds_read_b128 v[8:11], v8 offset:256
	s_waitcnt lgkmcnt(0)
	v_mul_f64 v[12:13], v[3:4], v[10:11]
	v_mul_f64 v[10:11], v[1:2], v[10:11]
	v_fma_f64 v[1:2], v[1:2], v[8:9], -v[12:13]
	v_fma_f64 v[3:4], v[3:4], v[8:9], v[10:11]
	buffer_store_dword v2, off, s[0:3], 0 offset:260
	buffer_store_dword v1, off, s[0:3], 0 offset:256
	;; [unrolled: 1-line block ×4, first 2 shown]
.LBB40_447:
	s_or_b32 exec_lo, exec_lo, s4
	v_mov_b32_e32 v4, s30
	s_mov_b32 s4, exec_lo
	s_clause 0x3
	buffer_load_dword v1, v4, s[0:3], 0 offen
	buffer_load_dword v2, v4, s[0:3], 0 offen offset:4
	buffer_load_dword v3, v4, s[0:3], 0 offen offset:8
	;; [unrolled: 1-line block ×3, first 2 shown]
	s_waitcnt vmcnt(0)
	ds_write_b128 v6, v[1:4]
	s_waitcnt lgkmcnt(0)
	s_waitcnt_vscnt null, 0x0
	s_barrier
	buffer_gl0_inv
	v_cmpx_gt_u32_e32 17, v0
	s_cbranch_execz .LBB40_455
; %bb.448:
	ds_read_b128 v[1:4], v6
	v_cmp_ne_u32_e32 vcc_lo, 1, v7
	s_cbranch_vccnz .LBB40_450
; %bb.449:
	s_clause 0x3
	buffer_load_dword v8, v5, s[0:3], 0 offen offset:8
	buffer_load_dword v9, v5, s[0:3], 0 offen offset:12
	buffer_load_dword v10, v5, s[0:3], 0 offen
	buffer_load_dword v11, v5, s[0:3], 0 offen offset:4
	s_waitcnt vmcnt(2) lgkmcnt(0)
	v_mul_f64 v[12:13], v[3:4], v[8:9]
	v_mul_f64 v[8:9], v[1:2], v[8:9]
	s_waitcnt vmcnt(0)
	v_fma_f64 v[1:2], v[1:2], v[10:11], -v[12:13]
	v_fma_f64 v[3:4], v[3:4], v[10:11], v[8:9]
.LBB40_450:
	s_mov_b32 s8, exec_lo
	v_cmpx_ne_u32_e32 16, v0
	s_cbranch_execz .LBB40_454
; %bb.451:
	v_add_nc_u32_e32 v8, 0x2a0, v103
	v_add3_u32 v9, 0, v103, 16
	v_mov_b32_e32 v10, v0
	s_mov_b32 s48, 0
	.p2align	6
.LBB40_452:                             ; =>This Inner Loop Header: Depth=1
	s_clause 0x3
	buffer_load_dword v15, v9, s[0:3], 0 offen offset:8
	buffer_load_dword v16, v9, s[0:3], 0 offen offset:12
	buffer_load_dword v17, v9, s[0:3], 0 offen
	buffer_load_dword v18, v9, s[0:3], 0 offen offset:4
	ds_read_b128 v[11:14], v8
	v_add_nc_u32_e32 v10, 1, v10
	v_add_nc_u32_e32 v8, 16, v8
	;; [unrolled: 1-line block ×3, first 2 shown]
	v_cmp_lt_u32_e32 vcc_lo, 15, v10
	s_or_b32 s48, vcc_lo, s48
	s_waitcnt vmcnt(2) lgkmcnt(0)
	v_mul_f64 v[19:20], v[13:14], v[15:16]
	v_mul_f64 v[15:16], v[11:12], v[15:16]
	s_waitcnt vmcnt(0)
	v_fma_f64 v[11:12], v[11:12], v[17:18], -v[19:20]
	v_fma_f64 v[13:14], v[13:14], v[17:18], v[15:16]
	v_add_f64 v[1:2], v[1:2], v[11:12]
	v_add_f64 v[3:4], v[3:4], v[13:14]
	s_andn2_b32 exec_lo, exec_lo, s48
	s_cbranch_execnz .LBB40_452
; %bb.453:
	s_or_b32 exec_lo, exec_lo, s48
.LBB40_454:
	s_or_b32 exec_lo, exec_lo, s8
	v_mov_b32_e32 v8, 0
	ds_read_b128 v[8:11], v8 offset:272
	s_waitcnt lgkmcnt(0)
	v_mul_f64 v[12:13], v[3:4], v[10:11]
	v_mul_f64 v[10:11], v[1:2], v[10:11]
	v_fma_f64 v[1:2], v[1:2], v[8:9], -v[12:13]
	v_fma_f64 v[3:4], v[3:4], v[8:9], v[10:11]
	buffer_store_dword v2, off, s[0:3], 0 offset:276
	buffer_store_dword v1, off, s[0:3], 0 offset:272
	;; [unrolled: 1-line block ×4, first 2 shown]
.LBB40_455:
	s_or_b32 exec_lo, exec_lo, s4
	v_mov_b32_e32 v4, s29
	s_mov_b32 s4, exec_lo
	s_clause 0x3
	buffer_load_dword v1, v4, s[0:3], 0 offen
	buffer_load_dword v2, v4, s[0:3], 0 offen offset:4
	buffer_load_dword v3, v4, s[0:3], 0 offen offset:8
	;; [unrolled: 1-line block ×3, first 2 shown]
	s_waitcnt vmcnt(0)
	ds_write_b128 v6, v[1:4]
	s_waitcnt lgkmcnt(0)
	s_waitcnt_vscnt null, 0x0
	s_barrier
	buffer_gl0_inv
	v_cmpx_gt_u32_e32 18, v0
	s_cbranch_execz .LBB40_463
; %bb.456:
	ds_read_b128 v[1:4], v6
	v_cmp_ne_u32_e32 vcc_lo, 1, v7
	s_cbranch_vccnz .LBB40_458
; %bb.457:
	s_clause 0x3
	buffer_load_dword v8, v5, s[0:3], 0 offen offset:8
	buffer_load_dword v9, v5, s[0:3], 0 offen offset:12
	buffer_load_dword v10, v5, s[0:3], 0 offen
	buffer_load_dword v11, v5, s[0:3], 0 offen offset:4
	s_waitcnt vmcnt(2) lgkmcnt(0)
	v_mul_f64 v[12:13], v[3:4], v[8:9]
	v_mul_f64 v[8:9], v[1:2], v[8:9]
	s_waitcnt vmcnt(0)
	v_fma_f64 v[1:2], v[1:2], v[10:11], -v[12:13]
	v_fma_f64 v[3:4], v[3:4], v[10:11], v[8:9]
.LBB40_458:
	s_mov_b32 s8, exec_lo
	v_cmpx_ne_u32_e32 17, v0
	s_cbranch_execz .LBB40_462
; %bb.459:
	v_add_nc_u32_e32 v8, 0x2a0, v103
	v_add3_u32 v9, 0, v103, 16
	v_mov_b32_e32 v10, v0
	s_mov_b32 s48, 0
	.p2align	6
.LBB40_460:                             ; =>This Inner Loop Header: Depth=1
	s_clause 0x3
	buffer_load_dword v15, v9, s[0:3], 0 offen offset:8
	buffer_load_dword v16, v9, s[0:3], 0 offen offset:12
	buffer_load_dword v17, v9, s[0:3], 0 offen
	buffer_load_dword v18, v9, s[0:3], 0 offen offset:4
	ds_read_b128 v[11:14], v8
	v_add_nc_u32_e32 v10, 1, v10
	v_add_nc_u32_e32 v8, 16, v8
	;; [unrolled: 1-line block ×3, first 2 shown]
	v_cmp_lt_u32_e32 vcc_lo, 16, v10
	s_or_b32 s48, vcc_lo, s48
	s_waitcnt vmcnt(2) lgkmcnt(0)
	v_mul_f64 v[19:20], v[13:14], v[15:16]
	v_mul_f64 v[15:16], v[11:12], v[15:16]
	s_waitcnt vmcnt(0)
	v_fma_f64 v[11:12], v[11:12], v[17:18], -v[19:20]
	v_fma_f64 v[13:14], v[13:14], v[17:18], v[15:16]
	v_add_f64 v[1:2], v[1:2], v[11:12]
	v_add_f64 v[3:4], v[3:4], v[13:14]
	s_andn2_b32 exec_lo, exec_lo, s48
	s_cbranch_execnz .LBB40_460
; %bb.461:
	s_or_b32 exec_lo, exec_lo, s48
.LBB40_462:
	s_or_b32 exec_lo, exec_lo, s8
	v_mov_b32_e32 v8, 0
	ds_read_b128 v[8:11], v8 offset:288
	s_waitcnt lgkmcnt(0)
	v_mul_f64 v[12:13], v[3:4], v[10:11]
	v_mul_f64 v[10:11], v[1:2], v[10:11]
	v_fma_f64 v[1:2], v[1:2], v[8:9], -v[12:13]
	v_fma_f64 v[3:4], v[3:4], v[8:9], v[10:11]
	buffer_store_dword v2, off, s[0:3], 0 offset:292
	buffer_store_dword v1, off, s[0:3], 0 offset:288
	;; [unrolled: 1-line block ×4, first 2 shown]
.LBB40_463:
	s_or_b32 exec_lo, exec_lo, s4
	v_mov_b32_e32 v4, s28
	s_mov_b32 s4, exec_lo
	s_clause 0x3
	buffer_load_dword v1, v4, s[0:3], 0 offen
	buffer_load_dword v2, v4, s[0:3], 0 offen offset:4
	buffer_load_dword v3, v4, s[0:3], 0 offen offset:8
	buffer_load_dword v4, v4, s[0:3], 0 offen offset:12
	s_waitcnt vmcnt(0)
	ds_write_b128 v6, v[1:4]
	s_waitcnt lgkmcnt(0)
	s_waitcnt_vscnt null, 0x0
	s_barrier
	buffer_gl0_inv
	v_cmpx_gt_u32_e32 19, v0
	s_cbranch_execz .LBB40_471
; %bb.464:
	ds_read_b128 v[1:4], v6
	v_cmp_ne_u32_e32 vcc_lo, 1, v7
	s_cbranch_vccnz .LBB40_466
; %bb.465:
	s_clause 0x3
	buffer_load_dword v8, v5, s[0:3], 0 offen offset:8
	buffer_load_dword v9, v5, s[0:3], 0 offen offset:12
	buffer_load_dword v10, v5, s[0:3], 0 offen
	buffer_load_dword v11, v5, s[0:3], 0 offen offset:4
	s_waitcnt vmcnt(2) lgkmcnt(0)
	v_mul_f64 v[12:13], v[3:4], v[8:9]
	v_mul_f64 v[8:9], v[1:2], v[8:9]
	s_waitcnt vmcnt(0)
	v_fma_f64 v[1:2], v[1:2], v[10:11], -v[12:13]
	v_fma_f64 v[3:4], v[3:4], v[10:11], v[8:9]
.LBB40_466:
	s_mov_b32 s8, exec_lo
	v_cmpx_ne_u32_e32 18, v0
	s_cbranch_execz .LBB40_470
; %bb.467:
	v_add_nc_u32_e32 v8, 0x2a0, v103
	v_add3_u32 v9, 0, v103, 16
	v_mov_b32_e32 v10, v0
	s_mov_b32 s48, 0
	.p2align	6
.LBB40_468:                             ; =>This Inner Loop Header: Depth=1
	s_clause 0x3
	buffer_load_dword v15, v9, s[0:3], 0 offen offset:8
	buffer_load_dword v16, v9, s[0:3], 0 offen offset:12
	buffer_load_dword v17, v9, s[0:3], 0 offen
	buffer_load_dword v18, v9, s[0:3], 0 offen offset:4
	ds_read_b128 v[11:14], v8
	v_add_nc_u32_e32 v10, 1, v10
	v_add_nc_u32_e32 v8, 16, v8
	;; [unrolled: 1-line block ×3, first 2 shown]
	v_cmp_lt_u32_e32 vcc_lo, 17, v10
	s_or_b32 s48, vcc_lo, s48
	s_waitcnt vmcnt(2) lgkmcnt(0)
	v_mul_f64 v[19:20], v[13:14], v[15:16]
	v_mul_f64 v[15:16], v[11:12], v[15:16]
	s_waitcnt vmcnt(0)
	v_fma_f64 v[11:12], v[11:12], v[17:18], -v[19:20]
	v_fma_f64 v[13:14], v[13:14], v[17:18], v[15:16]
	v_add_f64 v[1:2], v[1:2], v[11:12]
	v_add_f64 v[3:4], v[3:4], v[13:14]
	s_andn2_b32 exec_lo, exec_lo, s48
	s_cbranch_execnz .LBB40_468
; %bb.469:
	s_or_b32 exec_lo, exec_lo, s48
.LBB40_470:
	s_or_b32 exec_lo, exec_lo, s8
	v_mov_b32_e32 v8, 0
	ds_read_b128 v[8:11], v8 offset:304
	s_waitcnt lgkmcnt(0)
	v_mul_f64 v[12:13], v[3:4], v[10:11]
	v_mul_f64 v[10:11], v[1:2], v[10:11]
	v_fma_f64 v[1:2], v[1:2], v[8:9], -v[12:13]
	v_fma_f64 v[3:4], v[3:4], v[8:9], v[10:11]
	buffer_store_dword v2, off, s[0:3], 0 offset:308
	buffer_store_dword v1, off, s[0:3], 0 offset:304
	buffer_store_dword v4, off, s[0:3], 0 offset:316
	buffer_store_dword v3, off, s[0:3], 0 offset:312
.LBB40_471:
	s_or_b32 exec_lo, exec_lo, s4
	v_mov_b32_e32 v4, s27
	s_mov_b32 s4, exec_lo
	s_clause 0x3
	buffer_load_dword v1, v4, s[0:3], 0 offen
	buffer_load_dword v2, v4, s[0:3], 0 offen offset:4
	buffer_load_dword v3, v4, s[0:3], 0 offen offset:8
	;; [unrolled: 1-line block ×3, first 2 shown]
	s_waitcnt vmcnt(0)
	ds_write_b128 v6, v[1:4]
	s_waitcnt lgkmcnt(0)
	s_waitcnt_vscnt null, 0x0
	s_barrier
	buffer_gl0_inv
	v_cmpx_gt_u32_e32 20, v0
	s_cbranch_execz .LBB40_479
; %bb.472:
	ds_read_b128 v[1:4], v6
	v_cmp_ne_u32_e32 vcc_lo, 1, v7
	s_cbranch_vccnz .LBB40_474
; %bb.473:
	s_clause 0x3
	buffer_load_dword v8, v5, s[0:3], 0 offen offset:8
	buffer_load_dword v9, v5, s[0:3], 0 offen offset:12
	buffer_load_dword v10, v5, s[0:3], 0 offen
	buffer_load_dword v11, v5, s[0:3], 0 offen offset:4
	s_waitcnt vmcnt(2) lgkmcnt(0)
	v_mul_f64 v[12:13], v[3:4], v[8:9]
	v_mul_f64 v[8:9], v[1:2], v[8:9]
	s_waitcnt vmcnt(0)
	v_fma_f64 v[1:2], v[1:2], v[10:11], -v[12:13]
	v_fma_f64 v[3:4], v[3:4], v[10:11], v[8:9]
.LBB40_474:
	s_mov_b32 s8, exec_lo
	v_cmpx_ne_u32_e32 19, v0
	s_cbranch_execz .LBB40_478
; %bb.475:
	v_add_nc_u32_e32 v8, 0x2a0, v103
	v_add3_u32 v9, 0, v103, 16
	v_mov_b32_e32 v10, v0
	s_mov_b32 s48, 0
	.p2align	6
.LBB40_476:                             ; =>This Inner Loop Header: Depth=1
	s_clause 0x3
	buffer_load_dword v15, v9, s[0:3], 0 offen offset:8
	buffer_load_dword v16, v9, s[0:3], 0 offen offset:12
	buffer_load_dword v17, v9, s[0:3], 0 offen
	buffer_load_dword v18, v9, s[0:3], 0 offen offset:4
	ds_read_b128 v[11:14], v8
	v_add_nc_u32_e32 v10, 1, v10
	v_add_nc_u32_e32 v8, 16, v8
	;; [unrolled: 1-line block ×3, first 2 shown]
	v_cmp_lt_u32_e32 vcc_lo, 18, v10
	s_or_b32 s48, vcc_lo, s48
	s_waitcnt vmcnt(2) lgkmcnt(0)
	v_mul_f64 v[19:20], v[13:14], v[15:16]
	v_mul_f64 v[15:16], v[11:12], v[15:16]
	s_waitcnt vmcnt(0)
	v_fma_f64 v[11:12], v[11:12], v[17:18], -v[19:20]
	v_fma_f64 v[13:14], v[13:14], v[17:18], v[15:16]
	v_add_f64 v[1:2], v[1:2], v[11:12]
	v_add_f64 v[3:4], v[3:4], v[13:14]
	s_andn2_b32 exec_lo, exec_lo, s48
	s_cbranch_execnz .LBB40_476
; %bb.477:
	s_or_b32 exec_lo, exec_lo, s48
.LBB40_478:
	s_or_b32 exec_lo, exec_lo, s8
	v_mov_b32_e32 v8, 0
	ds_read_b128 v[8:11], v8 offset:320
	s_waitcnt lgkmcnt(0)
	v_mul_f64 v[12:13], v[3:4], v[10:11]
	v_mul_f64 v[10:11], v[1:2], v[10:11]
	v_fma_f64 v[1:2], v[1:2], v[8:9], -v[12:13]
	v_fma_f64 v[3:4], v[3:4], v[8:9], v[10:11]
	buffer_store_dword v2, off, s[0:3], 0 offset:324
	buffer_store_dword v1, off, s[0:3], 0 offset:320
	;; [unrolled: 1-line block ×4, first 2 shown]
.LBB40_479:
	s_or_b32 exec_lo, exec_lo, s4
	v_mov_b32_e32 v4, s26
	s_mov_b32 s4, exec_lo
	s_clause 0x3
	buffer_load_dword v1, v4, s[0:3], 0 offen
	buffer_load_dword v2, v4, s[0:3], 0 offen offset:4
	buffer_load_dword v3, v4, s[0:3], 0 offen offset:8
	buffer_load_dword v4, v4, s[0:3], 0 offen offset:12
	s_waitcnt vmcnt(0)
	ds_write_b128 v6, v[1:4]
	s_waitcnt lgkmcnt(0)
	s_waitcnt_vscnt null, 0x0
	s_barrier
	buffer_gl0_inv
	v_cmpx_gt_u32_e32 21, v0
	s_cbranch_execz .LBB40_487
; %bb.480:
	ds_read_b128 v[1:4], v6
	v_cmp_ne_u32_e32 vcc_lo, 1, v7
	s_cbranch_vccnz .LBB40_482
; %bb.481:
	s_clause 0x3
	buffer_load_dword v8, v5, s[0:3], 0 offen offset:8
	buffer_load_dword v9, v5, s[0:3], 0 offen offset:12
	buffer_load_dword v10, v5, s[0:3], 0 offen
	buffer_load_dword v11, v5, s[0:3], 0 offen offset:4
	s_waitcnt vmcnt(2) lgkmcnt(0)
	v_mul_f64 v[12:13], v[3:4], v[8:9]
	v_mul_f64 v[8:9], v[1:2], v[8:9]
	s_waitcnt vmcnt(0)
	v_fma_f64 v[1:2], v[1:2], v[10:11], -v[12:13]
	v_fma_f64 v[3:4], v[3:4], v[10:11], v[8:9]
.LBB40_482:
	s_mov_b32 s8, exec_lo
	v_cmpx_ne_u32_e32 20, v0
	s_cbranch_execz .LBB40_486
; %bb.483:
	v_add_nc_u32_e32 v8, 0x2a0, v103
	v_add3_u32 v9, 0, v103, 16
	v_mov_b32_e32 v10, v0
	s_mov_b32 s48, 0
	.p2align	6
.LBB40_484:                             ; =>This Inner Loop Header: Depth=1
	s_clause 0x3
	buffer_load_dword v15, v9, s[0:3], 0 offen offset:8
	buffer_load_dword v16, v9, s[0:3], 0 offen offset:12
	buffer_load_dword v17, v9, s[0:3], 0 offen
	buffer_load_dword v18, v9, s[0:3], 0 offen offset:4
	ds_read_b128 v[11:14], v8
	v_add_nc_u32_e32 v10, 1, v10
	v_add_nc_u32_e32 v8, 16, v8
	;; [unrolled: 1-line block ×3, first 2 shown]
	v_cmp_lt_u32_e32 vcc_lo, 19, v10
	s_or_b32 s48, vcc_lo, s48
	s_waitcnt vmcnt(2) lgkmcnt(0)
	v_mul_f64 v[19:20], v[13:14], v[15:16]
	v_mul_f64 v[15:16], v[11:12], v[15:16]
	s_waitcnt vmcnt(0)
	v_fma_f64 v[11:12], v[11:12], v[17:18], -v[19:20]
	v_fma_f64 v[13:14], v[13:14], v[17:18], v[15:16]
	v_add_f64 v[1:2], v[1:2], v[11:12]
	v_add_f64 v[3:4], v[3:4], v[13:14]
	s_andn2_b32 exec_lo, exec_lo, s48
	s_cbranch_execnz .LBB40_484
; %bb.485:
	s_or_b32 exec_lo, exec_lo, s48
.LBB40_486:
	s_or_b32 exec_lo, exec_lo, s8
	v_mov_b32_e32 v8, 0
	ds_read_b128 v[8:11], v8 offset:336
	s_waitcnt lgkmcnt(0)
	v_mul_f64 v[12:13], v[3:4], v[10:11]
	v_mul_f64 v[10:11], v[1:2], v[10:11]
	v_fma_f64 v[1:2], v[1:2], v[8:9], -v[12:13]
	v_fma_f64 v[3:4], v[3:4], v[8:9], v[10:11]
	buffer_store_dword v2, off, s[0:3], 0 offset:340
	buffer_store_dword v1, off, s[0:3], 0 offset:336
	;; [unrolled: 1-line block ×4, first 2 shown]
.LBB40_487:
	s_or_b32 exec_lo, exec_lo, s4
	v_mov_b32_e32 v4, s25
	s_mov_b32 s4, exec_lo
	s_clause 0x3
	buffer_load_dword v1, v4, s[0:3], 0 offen
	buffer_load_dword v2, v4, s[0:3], 0 offen offset:4
	buffer_load_dword v3, v4, s[0:3], 0 offen offset:8
	buffer_load_dword v4, v4, s[0:3], 0 offen offset:12
	s_waitcnt vmcnt(0)
	ds_write_b128 v6, v[1:4]
	s_waitcnt lgkmcnt(0)
	s_waitcnt_vscnt null, 0x0
	s_barrier
	buffer_gl0_inv
	v_cmpx_gt_u32_e32 22, v0
	s_cbranch_execz .LBB40_495
; %bb.488:
	ds_read_b128 v[1:4], v6
	v_cmp_ne_u32_e32 vcc_lo, 1, v7
	s_cbranch_vccnz .LBB40_490
; %bb.489:
	s_clause 0x3
	buffer_load_dword v8, v5, s[0:3], 0 offen offset:8
	buffer_load_dword v9, v5, s[0:3], 0 offen offset:12
	buffer_load_dword v10, v5, s[0:3], 0 offen
	buffer_load_dword v11, v5, s[0:3], 0 offen offset:4
	s_waitcnt vmcnt(2) lgkmcnt(0)
	v_mul_f64 v[12:13], v[3:4], v[8:9]
	v_mul_f64 v[8:9], v[1:2], v[8:9]
	s_waitcnt vmcnt(0)
	v_fma_f64 v[1:2], v[1:2], v[10:11], -v[12:13]
	v_fma_f64 v[3:4], v[3:4], v[10:11], v[8:9]
.LBB40_490:
	s_mov_b32 s8, exec_lo
	v_cmpx_ne_u32_e32 21, v0
	s_cbranch_execz .LBB40_494
; %bb.491:
	v_add_nc_u32_e32 v8, 0x2a0, v103
	v_add3_u32 v9, 0, v103, 16
	v_mov_b32_e32 v10, v0
	s_mov_b32 s48, 0
	.p2align	6
.LBB40_492:                             ; =>This Inner Loop Header: Depth=1
	s_clause 0x3
	buffer_load_dword v15, v9, s[0:3], 0 offen offset:8
	buffer_load_dword v16, v9, s[0:3], 0 offen offset:12
	buffer_load_dword v17, v9, s[0:3], 0 offen
	buffer_load_dword v18, v9, s[0:3], 0 offen offset:4
	ds_read_b128 v[11:14], v8
	v_add_nc_u32_e32 v10, 1, v10
	v_add_nc_u32_e32 v8, 16, v8
	;; [unrolled: 1-line block ×3, first 2 shown]
	v_cmp_lt_u32_e32 vcc_lo, 20, v10
	s_or_b32 s48, vcc_lo, s48
	s_waitcnt vmcnt(2) lgkmcnt(0)
	v_mul_f64 v[19:20], v[13:14], v[15:16]
	v_mul_f64 v[15:16], v[11:12], v[15:16]
	s_waitcnt vmcnt(0)
	v_fma_f64 v[11:12], v[11:12], v[17:18], -v[19:20]
	v_fma_f64 v[13:14], v[13:14], v[17:18], v[15:16]
	v_add_f64 v[1:2], v[1:2], v[11:12]
	v_add_f64 v[3:4], v[3:4], v[13:14]
	s_andn2_b32 exec_lo, exec_lo, s48
	s_cbranch_execnz .LBB40_492
; %bb.493:
	s_or_b32 exec_lo, exec_lo, s48
.LBB40_494:
	s_or_b32 exec_lo, exec_lo, s8
	v_mov_b32_e32 v8, 0
	ds_read_b128 v[8:11], v8 offset:352
	s_waitcnt lgkmcnt(0)
	v_mul_f64 v[12:13], v[3:4], v[10:11]
	v_mul_f64 v[10:11], v[1:2], v[10:11]
	v_fma_f64 v[1:2], v[1:2], v[8:9], -v[12:13]
	v_fma_f64 v[3:4], v[3:4], v[8:9], v[10:11]
	buffer_store_dword v2, off, s[0:3], 0 offset:356
	buffer_store_dword v1, off, s[0:3], 0 offset:352
	;; [unrolled: 1-line block ×4, first 2 shown]
.LBB40_495:
	s_or_b32 exec_lo, exec_lo, s4
	v_mov_b32_e32 v4, s24
	s_mov_b32 s4, exec_lo
	s_clause 0x3
	buffer_load_dword v1, v4, s[0:3], 0 offen
	buffer_load_dword v2, v4, s[0:3], 0 offen offset:4
	buffer_load_dword v3, v4, s[0:3], 0 offen offset:8
	;; [unrolled: 1-line block ×3, first 2 shown]
	s_waitcnt vmcnt(0)
	ds_write_b128 v6, v[1:4]
	s_waitcnt lgkmcnt(0)
	s_waitcnt_vscnt null, 0x0
	s_barrier
	buffer_gl0_inv
	v_cmpx_gt_u32_e32 23, v0
	s_cbranch_execz .LBB40_503
; %bb.496:
	ds_read_b128 v[1:4], v6
	v_cmp_ne_u32_e32 vcc_lo, 1, v7
	s_cbranch_vccnz .LBB40_498
; %bb.497:
	s_clause 0x3
	buffer_load_dword v8, v5, s[0:3], 0 offen offset:8
	buffer_load_dword v9, v5, s[0:3], 0 offen offset:12
	buffer_load_dword v10, v5, s[0:3], 0 offen
	buffer_load_dword v11, v5, s[0:3], 0 offen offset:4
	s_waitcnt vmcnt(2) lgkmcnt(0)
	v_mul_f64 v[12:13], v[3:4], v[8:9]
	v_mul_f64 v[8:9], v[1:2], v[8:9]
	s_waitcnt vmcnt(0)
	v_fma_f64 v[1:2], v[1:2], v[10:11], -v[12:13]
	v_fma_f64 v[3:4], v[3:4], v[10:11], v[8:9]
.LBB40_498:
	s_mov_b32 s8, exec_lo
	v_cmpx_ne_u32_e32 22, v0
	s_cbranch_execz .LBB40_502
; %bb.499:
	v_add_nc_u32_e32 v8, 0x2a0, v103
	v_add3_u32 v9, 0, v103, 16
	v_mov_b32_e32 v10, v0
	s_mov_b32 s48, 0
	.p2align	6
.LBB40_500:                             ; =>This Inner Loop Header: Depth=1
	s_clause 0x3
	buffer_load_dword v15, v9, s[0:3], 0 offen offset:8
	buffer_load_dword v16, v9, s[0:3], 0 offen offset:12
	buffer_load_dword v17, v9, s[0:3], 0 offen
	buffer_load_dword v18, v9, s[0:3], 0 offen offset:4
	ds_read_b128 v[11:14], v8
	v_add_nc_u32_e32 v10, 1, v10
	v_add_nc_u32_e32 v8, 16, v8
	;; [unrolled: 1-line block ×3, first 2 shown]
	v_cmp_lt_u32_e32 vcc_lo, 21, v10
	s_or_b32 s48, vcc_lo, s48
	s_waitcnt vmcnt(2) lgkmcnt(0)
	v_mul_f64 v[19:20], v[13:14], v[15:16]
	v_mul_f64 v[15:16], v[11:12], v[15:16]
	s_waitcnt vmcnt(0)
	v_fma_f64 v[11:12], v[11:12], v[17:18], -v[19:20]
	v_fma_f64 v[13:14], v[13:14], v[17:18], v[15:16]
	v_add_f64 v[1:2], v[1:2], v[11:12]
	v_add_f64 v[3:4], v[3:4], v[13:14]
	s_andn2_b32 exec_lo, exec_lo, s48
	s_cbranch_execnz .LBB40_500
; %bb.501:
	s_or_b32 exec_lo, exec_lo, s48
.LBB40_502:
	s_or_b32 exec_lo, exec_lo, s8
	v_mov_b32_e32 v8, 0
	ds_read_b128 v[8:11], v8 offset:368
	s_waitcnt lgkmcnt(0)
	v_mul_f64 v[12:13], v[3:4], v[10:11]
	v_mul_f64 v[10:11], v[1:2], v[10:11]
	v_fma_f64 v[1:2], v[1:2], v[8:9], -v[12:13]
	v_fma_f64 v[3:4], v[3:4], v[8:9], v[10:11]
	buffer_store_dword v2, off, s[0:3], 0 offset:372
	buffer_store_dword v1, off, s[0:3], 0 offset:368
	;; [unrolled: 1-line block ×4, first 2 shown]
.LBB40_503:
	s_or_b32 exec_lo, exec_lo, s4
	v_mov_b32_e32 v4, s23
	s_mov_b32 s4, exec_lo
	s_clause 0x3
	buffer_load_dword v1, v4, s[0:3], 0 offen
	buffer_load_dword v2, v4, s[0:3], 0 offen offset:4
	buffer_load_dword v3, v4, s[0:3], 0 offen offset:8
	;; [unrolled: 1-line block ×3, first 2 shown]
	s_waitcnt vmcnt(0)
	ds_write_b128 v6, v[1:4]
	s_waitcnt lgkmcnt(0)
	s_waitcnt_vscnt null, 0x0
	s_barrier
	buffer_gl0_inv
	v_cmpx_gt_u32_e32 24, v0
	s_cbranch_execz .LBB40_511
; %bb.504:
	ds_read_b128 v[1:4], v6
	v_cmp_ne_u32_e32 vcc_lo, 1, v7
	s_cbranch_vccnz .LBB40_506
; %bb.505:
	s_clause 0x3
	buffer_load_dword v8, v5, s[0:3], 0 offen offset:8
	buffer_load_dword v9, v5, s[0:3], 0 offen offset:12
	buffer_load_dword v10, v5, s[0:3], 0 offen
	buffer_load_dword v11, v5, s[0:3], 0 offen offset:4
	s_waitcnt vmcnt(2) lgkmcnt(0)
	v_mul_f64 v[12:13], v[3:4], v[8:9]
	v_mul_f64 v[8:9], v[1:2], v[8:9]
	s_waitcnt vmcnt(0)
	v_fma_f64 v[1:2], v[1:2], v[10:11], -v[12:13]
	v_fma_f64 v[3:4], v[3:4], v[10:11], v[8:9]
.LBB40_506:
	s_mov_b32 s8, exec_lo
	v_cmpx_ne_u32_e32 23, v0
	s_cbranch_execz .LBB40_510
; %bb.507:
	v_add_nc_u32_e32 v8, 0x2a0, v103
	v_add3_u32 v9, 0, v103, 16
	v_mov_b32_e32 v10, v0
	s_mov_b32 s48, 0
	.p2align	6
.LBB40_508:                             ; =>This Inner Loop Header: Depth=1
	s_clause 0x3
	buffer_load_dword v15, v9, s[0:3], 0 offen offset:8
	buffer_load_dword v16, v9, s[0:3], 0 offen offset:12
	buffer_load_dword v17, v9, s[0:3], 0 offen
	buffer_load_dword v18, v9, s[0:3], 0 offen offset:4
	ds_read_b128 v[11:14], v8
	v_add_nc_u32_e32 v10, 1, v10
	v_add_nc_u32_e32 v8, 16, v8
	;; [unrolled: 1-line block ×3, first 2 shown]
	v_cmp_lt_u32_e32 vcc_lo, 22, v10
	s_or_b32 s48, vcc_lo, s48
	s_waitcnt vmcnt(2) lgkmcnt(0)
	v_mul_f64 v[19:20], v[13:14], v[15:16]
	v_mul_f64 v[15:16], v[11:12], v[15:16]
	s_waitcnt vmcnt(0)
	v_fma_f64 v[11:12], v[11:12], v[17:18], -v[19:20]
	v_fma_f64 v[13:14], v[13:14], v[17:18], v[15:16]
	v_add_f64 v[1:2], v[1:2], v[11:12]
	v_add_f64 v[3:4], v[3:4], v[13:14]
	s_andn2_b32 exec_lo, exec_lo, s48
	s_cbranch_execnz .LBB40_508
; %bb.509:
	s_or_b32 exec_lo, exec_lo, s48
.LBB40_510:
	s_or_b32 exec_lo, exec_lo, s8
	v_mov_b32_e32 v8, 0
	ds_read_b128 v[8:11], v8 offset:384
	s_waitcnt lgkmcnt(0)
	v_mul_f64 v[12:13], v[3:4], v[10:11]
	v_mul_f64 v[10:11], v[1:2], v[10:11]
	v_fma_f64 v[1:2], v[1:2], v[8:9], -v[12:13]
	v_fma_f64 v[3:4], v[3:4], v[8:9], v[10:11]
	buffer_store_dword v2, off, s[0:3], 0 offset:388
	buffer_store_dword v1, off, s[0:3], 0 offset:384
	;; [unrolled: 1-line block ×4, first 2 shown]
.LBB40_511:
	s_or_b32 exec_lo, exec_lo, s4
	v_mov_b32_e32 v4, s22
	s_mov_b32 s4, exec_lo
	s_clause 0x3
	buffer_load_dword v1, v4, s[0:3], 0 offen
	buffer_load_dword v2, v4, s[0:3], 0 offen offset:4
	buffer_load_dword v3, v4, s[0:3], 0 offen offset:8
	;; [unrolled: 1-line block ×3, first 2 shown]
	s_waitcnt vmcnt(0)
	ds_write_b128 v6, v[1:4]
	s_waitcnt lgkmcnt(0)
	s_waitcnt_vscnt null, 0x0
	s_barrier
	buffer_gl0_inv
	v_cmpx_gt_u32_e32 25, v0
	s_cbranch_execz .LBB40_519
; %bb.512:
	ds_read_b128 v[1:4], v6
	v_cmp_ne_u32_e32 vcc_lo, 1, v7
	s_cbranch_vccnz .LBB40_514
; %bb.513:
	s_clause 0x3
	buffer_load_dword v8, v5, s[0:3], 0 offen offset:8
	buffer_load_dword v9, v5, s[0:3], 0 offen offset:12
	buffer_load_dword v10, v5, s[0:3], 0 offen
	buffer_load_dword v11, v5, s[0:3], 0 offen offset:4
	s_waitcnt vmcnt(2) lgkmcnt(0)
	v_mul_f64 v[12:13], v[3:4], v[8:9]
	v_mul_f64 v[8:9], v[1:2], v[8:9]
	s_waitcnt vmcnt(0)
	v_fma_f64 v[1:2], v[1:2], v[10:11], -v[12:13]
	v_fma_f64 v[3:4], v[3:4], v[10:11], v[8:9]
.LBB40_514:
	s_mov_b32 s8, exec_lo
	v_cmpx_ne_u32_e32 24, v0
	s_cbranch_execz .LBB40_518
; %bb.515:
	v_add_nc_u32_e32 v8, 0x2a0, v103
	v_add3_u32 v9, 0, v103, 16
	v_mov_b32_e32 v10, v0
	s_mov_b32 s48, 0
	.p2align	6
.LBB40_516:                             ; =>This Inner Loop Header: Depth=1
	s_clause 0x3
	buffer_load_dword v15, v9, s[0:3], 0 offen offset:8
	buffer_load_dword v16, v9, s[0:3], 0 offen offset:12
	buffer_load_dword v17, v9, s[0:3], 0 offen
	buffer_load_dword v18, v9, s[0:3], 0 offen offset:4
	ds_read_b128 v[11:14], v8
	v_add_nc_u32_e32 v10, 1, v10
	v_add_nc_u32_e32 v8, 16, v8
	;; [unrolled: 1-line block ×3, first 2 shown]
	v_cmp_lt_u32_e32 vcc_lo, 23, v10
	s_or_b32 s48, vcc_lo, s48
	s_waitcnt vmcnt(2) lgkmcnt(0)
	v_mul_f64 v[19:20], v[13:14], v[15:16]
	v_mul_f64 v[15:16], v[11:12], v[15:16]
	s_waitcnt vmcnt(0)
	v_fma_f64 v[11:12], v[11:12], v[17:18], -v[19:20]
	v_fma_f64 v[13:14], v[13:14], v[17:18], v[15:16]
	v_add_f64 v[1:2], v[1:2], v[11:12]
	v_add_f64 v[3:4], v[3:4], v[13:14]
	s_andn2_b32 exec_lo, exec_lo, s48
	s_cbranch_execnz .LBB40_516
; %bb.517:
	s_or_b32 exec_lo, exec_lo, s48
.LBB40_518:
	s_or_b32 exec_lo, exec_lo, s8
	v_mov_b32_e32 v8, 0
	ds_read_b128 v[8:11], v8 offset:400
	s_waitcnt lgkmcnt(0)
	v_mul_f64 v[12:13], v[3:4], v[10:11]
	v_mul_f64 v[10:11], v[1:2], v[10:11]
	v_fma_f64 v[1:2], v[1:2], v[8:9], -v[12:13]
	v_fma_f64 v[3:4], v[3:4], v[8:9], v[10:11]
	buffer_store_dword v2, off, s[0:3], 0 offset:404
	buffer_store_dword v1, off, s[0:3], 0 offset:400
	;; [unrolled: 1-line block ×4, first 2 shown]
.LBB40_519:
	s_or_b32 exec_lo, exec_lo, s4
	v_mov_b32_e32 v4, s21
	s_mov_b32 s4, exec_lo
	s_clause 0x3
	buffer_load_dword v1, v4, s[0:3], 0 offen
	buffer_load_dword v2, v4, s[0:3], 0 offen offset:4
	buffer_load_dword v3, v4, s[0:3], 0 offen offset:8
	;; [unrolled: 1-line block ×3, first 2 shown]
	s_waitcnt vmcnt(0)
	ds_write_b128 v6, v[1:4]
	s_waitcnt lgkmcnt(0)
	s_waitcnt_vscnt null, 0x0
	s_barrier
	buffer_gl0_inv
	v_cmpx_gt_u32_e32 26, v0
	s_cbranch_execz .LBB40_527
; %bb.520:
	ds_read_b128 v[1:4], v6
	v_cmp_ne_u32_e32 vcc_lo, 1, v7
	s_cbranch_vccnz .LBB40_522
; %bb.521:
	s_clause 0x3
	buffer_load_dword v8, v5, s[0:3], 0 offen offset:8
	buffer_load_dword v9, v5, s[0:3], 0 offen offset:12
	buffer_load_dword v10, v5, s[0:3], 0 offen
	buffer_load_dword v11, v5, s[0:3], 0 offen offset:4
	s_waitcnt vmcnt(2) lgkmcnt(0)
	v_mul_f64 v[12:13], v[3:4], v[8:9]
	v_mul_f64 v[8:9], v[1:2], v[8:9]
	s_waitcnt vmcnt(0)
	v_fma_f64 v[1:2], v[1:2], v[10:11], -v[12:13]
	v_fma_f64 v[3:4], v[3:4], v[10:11], v[8:9]
.LBB40_522:
	s_mov_b32 s8, exec_lo
	v_cmpx_ne_u32_e32 25, v0
	s_cbranch_execz .LBB40_526
; %bb.523:
	v_add_nc_u32_e32 v8, 0x2a0, v103
	v_add3_u32 v9, 0, v103, 16
	v_mov_b32_e32 v10, v0
	s_mov_b32 s48, 0
	.p2align	6
.LBB40_524:                             ; =>This Inner Loop Header: Depth=1
	s_clause 0x3
	buffer_load_dword v15, v9, s[0:3], 0 offen offset:8
	buffer_load_dword v16, v9, s[0:3], 0 offen offset:12
	buffer_load_dword v17, v9, s[0:3], 0 offen
	buffer_load_dword v18, v9, s[0:3], 0 offen offset:4
	ds_read_b128 v[11:14], v8
	v_add_nc_u32_e32 v10, 1, v10
	v_add_nc_u32_e32 v8, 16, v8
	;; [unrolled: 1-line block ×3, first 2 shown]
	v_cmp_lt_u32_e32 vcc_lo, 24, v10
	s_or_b32 s48, vcc_lo, s48
	s_waitcnt vmcnt(2) lgkmcnt(0)
	v_mul_f64 v[19:20], v[13:14], v[15:16]
	v_mul_f64 v[15:16], v[11:12], v[15:16]
	s_waitcnt vmcnt(0)
	v_fma_f64 v[11:12], v[11:12], v[17:18], -v[19:20]
	v_fma_f64 v[13:14], v[13:14], v[17:18], v[15:16]
	v_add_f64 v[1:2], v[1:2], v[11:12]
	v_add_f64 v[3:4], v[3:4], v[13:14]
	s_andn2_b32 exec_lo, exec_lo, s48
	s_cbranch_execnz .LBB40_524
; %bb.525:
	s_or_b32 exec_lo, exec_lo, s48
.LBB40_526:
	s_or_b32 exec_lo, exec_lo, s8
	v_mov_b32_e32 v8, 0
	ds_read_b128 v[8:11], v8 offset:416
	s_waitcnt lgkmcnt(0)
	v_mul_f64 v[12:13], v[3:4], v[10:11]
	v_mul_f64 v[10:11], v[1:2], v[10:11]
	v_fma_f64 v[1:2], v[1:2], v[8:9], -v[12:13]
	v_fma_f64 v[3:4], v[3:4], v[8:9], v[10:11]
	buffer_store_dword v2, off, s[0:3], 0 offset:420
	buffer_store_dword v1, off, s[0:3], 0 offset:416
	;; [unrolled: 1-line block ×4, first 2 shown]
.LBB40_527:
	s_or_b32 exec_lo, exec_lo, s4
	v_mov_b32_e32 v4, s20
	s_mov_b32 s4, exec_lo
	s_clause 0x3
	buffer_load_dword v1, v4, s[0:3], 0 offen
	buffer_load_dword v2, v4, s[0:3], 0 offen offset:4
	buffer_load_dword v3, v4, s[0:3], 0 offen offset:8
	;; [unrolled: 1-line block ×3, first 2 shown]
	s_waitcnt vmcnt(0)
	ds_write_b128 v6, v[1:4]
	s_waitcnt lgkmcnt(0)
	s_waitcnt_vscnt null, 0x0
	s_barrier
	buffer_gl0_inv
	v_cmpx_gt_u32_e32 27, v0
	s_cbranch_execz .LBB40_535
; %bb.528:
	ds_read_b128 v[1:4], v6
	v_cmp_ne_u32_e32 vcc_lo, 1, v7
	s_cbranch_vccnz .LBB40_530
; %bb.529:
	s_clause 0x3
	buffer_load_dword v8, v5, s[0:3], 0 offen offset:8
	buffer_load_dword v9, v5, s[0:3], 0 offen offset:12
	buffer_load_dword v10, v5, s[0:3], 0 offen
	buffer_load_dword v11, v5, s[0:3], 0 offen offset:4
	s_waitcnt vmcnt(2) lgkmcnt(0)
	v_mul_f64 v[12:13], v[3:4], v[8:9]
	v_mul_f64 v[8:9], v[1:2], v[8:9]
	s_waitcnt vmcnt(0)
	v_fma_f64 v[1:2], v[1:2], v[10:11], -v[12:13]
	v_fma_f64 v[3:4], v[3:4], v[10:11], v[8:9]
.LBB40_530:
	s_mov_b32 s8, exec_lo
	v_cmpx_ne_u32_e32 26, v0
	s_cbranch_execz .LBB40_534
; %bb.531:
	v_add_nc_u32_e32 v8, 0x2a0, v103
	v_add3_u32 v9, 0, v103, 16
	v_mov_b32_e32 v10, v0
	s_mov_b32 s48, 0
	.p2align	6
.LBB40_532:                             ; =>This Inner Loop Header: Depth=1
	s_clause 0x3
	buffer_load_dword v15, v9, s[0:3], 0 offen offset:8
	buffer_load_dword v16, v9, s[0:3], 0 offen offset:12
	buffer_load_dword v17, v9, s[0:3], 0 offen
	buffer_load_dword v18, v9, s[0:3], 0 offen offset:4
	ds_read_b128 v[11:14], v8
	v_add_nc_u32_e32 v10, 1, v10
	v_add_nc_u32_e32 v8, 16, v8
	;; [unrolled: 1-line block ×3, first 2 shown]
	v_cmp_lt_u32_e32 vcc_lo, 25, v10
	s_or_b32 s48, vcc_lo, s48
	s_waitcnt vmcnt(2) lgkmcnt(0)
	v_mul_f64 v[19:20], v[13:14], v[15:16]
	v_mul_f64 v[15:16], v[11:12], v[15:16]
	s_waitcnt vmcnt(0)
	v_fma_f64 v[11:12], v[11:12], v[17:18], -v[19:20]
	v_fma_f64 v[13:14], v[13:14], v[17:18], v[15:16]
	v_add_f64 v[1:2], v[1:2], v[11:12]
	v_add_f64 v[3:4], v[3:4], v[13:14]
	s_andn2_b32 exec_lo, exec_lo, s48
	s_cbranch_execnz .LBB40_532
; %bb.533:
	s_or_b32 exec_lo, exec_lo, s48
.LBB40_534:
	s_or_b32 exec_lo, exec_lo, s8
	v_mov_b32_e32 v8, 0
	ds_read_b128 v[8:11], v8 offset:432
	s_waitcnt lgkmcnt(0)
	v_mul_f64 v[12:13], v[3:4], v[10:11]
	v_mul_f64 v[10:11], v[1:2], v[10:11]
	v_fma_f64 v[1:2], v[1:2], v[8:9], -v[12:13]
	v_fma_f64 v[3:4], v[3:4], v[8:9], v[10:11]
	buffer_store_dword v2, off, s[0:3], 0 offset:436
	buffer_store_dword v1, off, s[0:3], 0 offset:432
	;; [unrolled: 1-line block ×4, first 2 shown]
.LBB40_535:
	s_or_b32 exec_lo, exec_lo, s4
	v_mov_b32_e32 v4, s19
	s_mov_b32 s4, exec_lo
	s_clause 0x3
	buffer_load_dword v1, v4, s[0:3], 0 offen
	buffer_load_dword v2, v4, s[0:3], 0 offen offset:4
	buffer_load_dword v3, v4, s[0:3], 0 offen offset:8
	;; [unrolled: 1-line block ×3, first 2 shown]
	s_waitcnt vmcnt(0)
	ds_write_b128 v6, v[1:4]
	s_waitcnt lgkmcnt(0)
	s_waitcnt_vscnt null, 0x0
	s_barrier
	buffer_gl0_inv
	v_cmpx_gt_u32_e32 28, v0
	s_cbranch_execz .LBB40_543
; %bb.536:
	ds_read_b128 v[1:4], v6
	v_cmp_ne_u32_e32 vcc_lo, 1, v7
	s_cbranch_vccnz .LBB40_538
; %bb.537:
	s_clause 0x3
	buffer_load_dword v8, v5, s[0:3], 0 offen offset:8
	buffer_load_dword v9, v5, s[0:3], 0 offen offset:12
	buffer_load_dword v10, v5, s[0:3], 0 offen
	buffer_load_dword v11, v5, s[0:3], 0 offen offset:4
	s_waitcnt vmcnt(2) lgkmcnt(0)
	v_mul_f64 v[12:13], v[3:4], v[8:9]
	v_mul_f64 v[8:9], v[1:2], v[8:9]
	s_waitcnt vmcnt(0)
	v_fma_f64 v[1:2], v[1:2], v[10:11], -v[12:13]
	v_fma_f64 v[3:4], v[3:4], v[10:11], v[8:9]
.LBB40_538:
	s_mov_b32 s8, exec_lo
	v_cmpx_ne_u32_e32 27, v0
	s_cbranch_execz .LBB40_542
; %bb.539:
	v_add_nc_u32_e32 v8, 0x2a0, v103
	v_add3_u32 v9, 0, v103, 16
	v_mov_b32_e32 v10, v0
	s_mov_b32 s48, 0
	.p2align	6
.LBB40_540:                             ; =>This Inner Loop Header: Depth=1
	s_clause 0x3
	buffer_load_dword v15, v9, s[0:3], 0 offen offset:8
	buffer_load_dword v16, v9, s[0:3], 0 offen offset:12
	buffer_load_dword v17, v9, s[0:3], 0 offen
	buffer_load_dword v18, v9, s[0:3], 0 offen offset:4
	ds_read_b128 v[11:14], v8
	v_add_nc_u32_e32 v10, 1, v10
	v_add_nc_u32_e32 v8, 16, v8
	;; [unrolled: 1-line block ×3, first 2 shown]
	v_cmp_lt_u32_e32 vcc_lo, 26, v10
	s_or_b32 s48, vcc_lo, s48
	s_waitcnt vmcnt(2) lgkmcnt(0)
	v_mul_f64 v[19:20], v[13:14], v[15:16]
	v_mul_f64 v[15:16], v[11:12], v[15:16]
	s_waitcnt vmcnt(0)
	v_fma_f64 v[11:12], v[11:12], v[17:18], -v[19:20]
	v_fma_f64 v[13:14], v[13:14], v[17:18], v[15:16]
	v_add_f64 v[1:2], v[1:2], v[11:12]
	v_add_f64 v[3:4], v[3:4], v[13:14]
	s_andn2_b32 exec_lo, exec_lo, s48
	s_cbranch_execnz .LBB40_540
; %bb.541:
	s_or_b32 exec_lo, exec_lo, s48
.LBB40_542:
	s_or_b32 exec_lo, exec_lo, s8
	v_mov_b32_e32 v8, 0
	ds_read_b128 v[8:11], v8 offset:448
	s_waitcnt lgkmcnt(0)
	v_mul_f64 v[12:13], v[3:4], v[10:11]
	v_mul_f64 v[10:11], v[1:2], v[10:11]
	v_fma_f64 v[1:2], v[1:2], v[8:9], -v[12:13]
	v_fma_f64 v[3:4], v[3:4], v[8:9], v[10:11]
	buffer_store_dword v2, off, s[0:3], 0 offset:452
	buffer_store_dword v1, off, s[0:3], 0 offset:448
	;; [unrolled: 1-line block ×4, first 2 shown]
.LBB40_543:
	s_or_b32 exec_lo, exec_lo, s4
	v_mov_b32_e32 v4, s18
	s_mov_b32 s4, exec_lo
	s_clause 0x3
	buffer_load_dword v1, v4, s[0:3], 0 offen
	buffer_load_dword v2, v4, s[0:3], 0 offen offset:4
	buffer_load_dword v3, v4, s[0:3], 0 offen offset:8
	;; [unrolled: 1-line block ×3, first 2 shown]
	s_waitcnt vmcnt(0)
	ds_write_b128 v6, v[1:4]
	s_waitcnt lgkmcnt(0)
	s_waitcnt_vscnt null, 0x0
	s_barrier
	buffer_gl0_inv
	v_cmpx_gt_u32_e32 29, v0
	s_cbranch_execz .LBB40_551
; %bb.544:
	ds_read_b128 v[1:4], v6
	v_cmp_ne_u32_e32 vcc_lo, 1, v7
	s_cbranch_vccnz .LBB40_546
; %bb.545:
	s_clause 0x3
	buffer_load_dword v8, v5, s[0:3], 0 offen offset:8
	buffer_load_dword v9, v5, s[0:3], 0 offen offset:12
	buffer_load_dword v10, v5, s[0:3], 0 offen
	buffer_load_dword v11, v5, s[0:3], 0 offen offset:4
	s_waitcnt vmcnt(2) lgkmcnt(0)
	v_mul_f64 v[12:13], v[3:4], v[8:9]
	v_mul_f64 v[8:9], v[1:2], v[8:9]
	s_waitcnt vmcnt(0)
	v_fma_f64 v[1:2], v[1:2], v[10:11], -v[12:13]
	v_fma_f64 v[3:4], v[3:4], v[10:11], v[8:9]
.LBB40_546:
	s_mov_b32 s8, exec_lo
	v_cmpx_ne_u32_e32 28, v0
	s_cbranch_execz .LBB40_550
; %bb.547:
	v_add_nc_u32_e32 v8, 0x2a0, v103
	v_add3_u32 v9, 0, v103, 16
	v_mov_b32_e32 v10, v0
	s_mov_b32 s48, 0
	.p2align	6
.LBB40_548:                             ; =>This Inner Loop Header: Depth=1
	s_clause 0x3
	buffer_load_dword v15, v9, s[0:3], 0 offen offset:8
	buffer_load_dword v16, v9, s[0:3], 0 offen offset:12
	buffer_load_dword v17, v9, s[0:3], 0 offen
	buffer_load_dword v18, v9, s[0:3], 0 offen offset:4
	ds_read_b128 v[11:14], v8
	v_add_nc_u32_e32 v10, 1, v10
	v_add_nc_u32_e32 v8, 16, v8
	;; [unrolled: 1-line block ×3, first 2 shown]
	v_cmp_lt_u32_e32 vcc_lo, 27, v10
	s_or_b32 s48, vcc_lo, s48
	s_waitcnt vmcnt(2) lgkmcnt(0)
	v_mul_f64 v[19:20], v[13:14], v[15:16]
	v_mul_f64 v[15:16], v[11:12], v[15:16]
	s_waitcnt vmcnt(0)
	v_fma_f64 v[11:12], v[11:12], v[17:18], -v[19:20]
	v_fma_f64 v[13:14], v[13:14], v[17:18], v[15:16]
	v_add_f64 v[1:2], v[1:2], v[11:12]
	v_add_f64 v[3:4], v[3:4], v[13:14]
	s_andn2_b32 exec_lo, exec_lo, s48
	s_cbranch_execnz .LBB40_548
; %bb.549:
	s_or_b32 exec_lo, exec_lo, s48
.LBB40_550:
	s_or_b32 exec_lo, exec_lo, s8
	v_mov_b32_e32 v8, 0
	ds_read_b128 v[8:11], v8 offset:464
	s_waitcnt lgkmcnt(0)
	v_mul_f64 v[12:13], v[3:4], v[10:11]
	v_mul_f64 v[10:11], v[1:2], v[10:11]
	v_fma_f64 v[1:2], v[1:2], v[8:9], -v[12:13]
	v_fma_f64 v[3:4], v[3:4], v[8:9], v[10:11]
	buffer_store_dword v2, off, s[0:3], 0 offset:468
	buffer_store_dword v1, off, s[0:3], 0 offset:464
	buffer_store_dword v4, off, s[0:3], 0 offset:476
	buffer_store_dword v3, off, s[0:3], 0 offset:472
.LBB40_551:
	s_or_b32 exec_lo, exec_lo, s4
	v_mov_b32_e32 v4, s17
	s_mov_b32 s4, exec_lo
	s_clause 0x3
	buffer_load_dword v1, v4, s[0:3], 0 offen
	buffer_load_dword v2, v4, s[0:3], 0 offen offset:4
	buffer_load_dword v3, v4, s[0:3], 0 offen offset:8
	;; [unrolled: 1-line block ×3, first 2 shown]
	s_waitcnt vmcnt(0)
	ds_write_b128 v6, v[1:4]
	s_waitcnt lgkmcnt(0)
	s_waitcnt_vscnt null, 0x0
	s_barrier
	buffer_gl0_inv
	v_cmpx_gt_u32_e32 30, v0
	s_cbranch_execz .LBB40_559
; %bb.552:
	ds_read_b128 v[1:4], v6
	v_cmp_ne_u32_e32 vcc_lo, 1, v7
	s_cbranch_vccnz .LBB40_554
; %bb.553:
	s_clause 0x3
	buffer_load_dword v8, v5, s[0:3], 0 offen offset:8
	buffer_load_dword v9, v5, s[0:3], 0 offen offset:12
	buffer_load_dword v10, v5, s[0:3], 0 offen
	buffer_load_dword v11, v5, s[0:3], 0 offen offset:4
	s_waitcnt vmcnt(2) lgkmcnt(0)
	v_mul_f64 v[12:13], v[3:4], v[8:9]
	v_mul_f64 v[8:9], v[1:2], v[8:9]
	s_waitcnt vmcnt(0)
	v_fma_f64 v[1:2], v[1:2], v[10:11], -v[12:13]
	v_fma_f64 v[3:4], v[3:4], v[10:11], v[8:9]
.LBB40_554:
	s_mov_b32 s8, exec_lo
	v_cmpx_ne_u32_e32 29, v0
	s_cbranch_execz .LBB40_558
; %bb.555:
	v_add_nc_u32_e32 v8, 0x2a0, v103
	v_add3_u32 v9, 0, v103, 16
	v_mov_b32_e32 v10, v0
	s_mov_b32 s48, 0
	.p2align	6
.LBB40_556:                             ; =>This Inner Loop Header: Depth=1
	s_clause 0x3
	buffer_load_dword v15, v9, s[0:3], 0 offen offset:8
	buffer_load_dword v16, v9, s[0:3], 0 offen offset:12
	buffer_load_dword v17, v9, s[0:3], 0 offen
	buffer_load_dword v18, v9, s[0:3], 0 offen offset:4
	ds_read_b128 v[11:14], v8
	v_add_nc_u32_e32 v10, 1, v10
	v_add_nc_u32_e32 v8, 16, v8
	;; [unrolled: 1-line block ×3, first 2 shown]
	v_cmp_lt_u32_e32 vcc_lo, 28, v10
	s_or_b32 s48, vcc_lo, s48
	s_waitcnt vmcnt(2) lgkmcnt(0)
	v_mul_f64 v[19:20], v[13:14], v[15:16]
	v_mul_f64 v[15:16], v[11:12], v[15:16]
	s_waitcnt vmcnt(0)
	v_fma_f64 v[11:12], v[11:12], v[17:18], -v[19:20]
	v_fma_f64 v[13:14], v[13:14], v[17:18], v[15:16]
	v_add_f64 v[1:2], v[1:2], v[11:12]
	v_add_f64 v[3:4], v[3:4], v[13:14]
	s_andn2_b32 exec_lo, exec_lo, s48
	s_cbranch_execnz .LBB40_556
; %bb.557:
	s_or_b32 exec_lo, exec_lo, s48
.LBB40_558:
	s_or_b32 exec_lo, exec_lo, s8
	v_mov_b32_e32 v8, 0
	ds_read_b128 v[8:11], v8 offset:480
	s_waitcnt lgkmcnt(0)
	v_mul_f64 v[12:13], v[3:4], v[10:11]
	v_mul_f64 v[10:11], v[1:2], v[10:11]
	v_fma_f64 v[1:2], v[1:2], v[8:9], -v[12:13]
	v_fma_f64 v[3:4], v[3:4], v[8:9], v[10:11]
	buffer_store_dword v2, off, s[0:3], 0 offset:484
	buffer_store_dword v1, off, s[0:3], 0 offset:480
	;; [unrolled: 1-line block ×4, first 2 shown]
.LBB40_559:
	s_or_b32 exec_lo, exec_lo, s4
	v_mov_b32_e32 v4, s16
	s_mov_b32 s4, exec_lo
	s_clause 0x3
	buffer_load_dword v1, v4, s[0:3], 0 offen
	buffer_load_dword v2, v4, s[0:3], 0 offen offset:4
	buffer_load_dword v3, v4, s[0:3], 0 offen offset:8
	;; [unrolled: 1-line block ×3, first 2 shown]
	s_waitcnt vmcnt(0)
	ds_write_b128 v6, v[1:4]
	s_waitcnt lgkmcnt(0)
	s_waitcnt_vscnt null, 0x0
	s_barrier
	buffer_gl0_inv
	v_cmpx_gt_u32_e32 31, v0
	s_cbranch_execz .LBB40_567
; %bb.560:
	ds_read_b128 v[1:4], v6
	v_cmp_ne_u32_e32 vcc_lo, 1, v7
	s_cbranch_vccnz .LBB40_562
; %bb.561:
	s_clause 0x3
	buffer_load_dword v8, v5, s[0:3], 0 offen offset:8
	buffer_load_dword v9, v5, s[0:3], 0 offen offset:12
	buffer_load_dword v10, v5, s[0:3], 0 offen
	buffer_load_dword v11, v5, s[0:3], 0 offen offset:4
	s_waitcnt vmcnt(2) lgkmcnt(0)
	v_mul_f64 v[12:13], v[3:4], v[8:9]
	v_mul_f64 v[8:9], v[1:2], v[8:9]
	s_waitcnt vmcnt(0)
	v_fma_f64 v[1:2], v[1:2], v[10:11], -v[12:13]
	v_fma_f64 v[3:4], v[3:4], v[10:11], v[8:9]
.LBB40_562:
	s_mov_b32 s8, exec_lo
	v_cmpx_ne_u32_e32 30, v0
	s_cbranch_execz .LBB40_566
; %bb.563:
	v_add_nc_u32_e32 v8, 0x2a0, v103
	v_add3_u32 v9, 0, v103, 16
	v_mov_b32_e32 v10, v0
	s_mov_b32 s48, 0
	.p2align	6
.LBB40_564:                             ; =>This Inner Loop Header: Depth=1
	s_clause 0x3
	buffer_load_dword v15, v9, s[0:3], 0 offen offset:8
	buffer_load_dword v16, v9, s[0:3], 0 offen offset:12
	buffer_load_dword v17, v9, s[0:3], 0 offen
	buffer_load_dword v18, v9, s[0:3], 0 offen offset:4
	ds_read_b128 v[11:14], v8
	v_add_nc_u32_e32 v10, 1, v10
	v_add_nc_u32_e32 v8, 16, v8
	;; [unrolled: 1-line block ×3, first 2 shown]
	v_cmp_lt_u32_e32 vcc_lo, 29, v10
	s_or_b32 s48, vcc_lo, s48
	s_waitcnt vmcnt(2) lgkmcnt(0)
	v_mul_f64 v[19:20], v[13:14], v[15:16]
	v_mul_f64 v[15:16], v[11:12], v[15:16]
	s_waitcnt vmcnt(0)
	v_fma_f64 v[11:12], v[11:12], v[17:18], -v[19:20]
	v_fma_f64 v[13:14], v[13:14], v[17:18], v[15:16]
	v_add_f64 v[1:2], v[1:2], v[11:12]
	v_add_f64 v[3:4], v[3:4], v[13:14]
	s_andn2_b32 exec_lo, exec_lo, s48
	s_cbranch_execnz .LBB40_564
; %bb.565:
	s_or_b32 exec_lo, exec_lo, s48
.LBB40_566:
	s_or_b32 exec_lo, exec_lo, s8
	v_mov_b32_e32 v8, 0
	ds_read_b128 v[8:11], v8 offset:496
	s_waitcnt lgkmcnt(0)
	v_mul_f64 v[12:13], v[3:4], v[10:11]
	v_mul_f64 v[10:11], v[1:2], v[10:11]
	v_fma_f64 v[1:2], v[1:2], v[8:9], -v[12:13]
	v_fma_f64 v[3:4], v[3:4], v[8:9], v[10:11]
	buffer_store_dword v2, off, s[0:3], 0 offset:500
	buffer_store_dword v1, off, s[0:3], 0 offset:496
	buffer_store_dword v4, off, s[0:3], 0 offset:508
	buffer_store_dword v3, off, s[0:3], 0 offset:504
.LBB40_567:
	s_or_b32 exec_lo, exec_lo, s4
	v_mov_b32_e32 v4, s15
	s_mov_b32 s4, exec_lo
	s_clause 0x3
	buffer_load_dword v1, v4, s[0:3], 0 offen
	buffer_load_dword v2, v4, s[0:3], 0 offen offset:4
	buffer_load_dword v3, v4, s[0:3], 0 offen offset:8
	;; [unrolled: 1-line block ×3, first 2 shown]
	s_waitcnt vmcnt(0)
	ds_write_b128 v6, v[1:4]
	s_waitcnt lgkmcnt(0)
	s_waitcnt_vscnt null, 0x0
	s_barrier
	buffer_gl0_inv
	v_cmpx_gt_u32_e32 32, v0
	s_cbranch_execz .LBB40_575
; %bb.568:
	ds_read_b128 v[1:4], v6
	v_cmp_ne_u32_e32 vcc_lo, 1, v7
	s_cbranch_vccnz .LBB40_570
; %bb.569:
	s_clause 0x3
	buffer_load_dword v8, v5, s[0:3], 0 offen offset:8
	buffer_load_dword v9, v5, s[0:3], 0 offen offset:12
	buffer_load_dword v10, v5, s[0:3], 0 offen
	buffer_load_dword v11, v5, s[0:3], 0 offen offset:4
	s_waitcnt vmcnt(2) lgkmcnt(0)
	v_mul_f64 v[12:13], v[3:4], v[8:9]
	v_mul_f64 v[8:9], v[1:2], v[8:9]
	s_waitcnt vmcnt(0)
	v_fma_f64 v[1:2], v[1:2], v[10:11], -v[12:13]
	v_fma_f64 v[3:4], v[3:4], v[10:11], v[8:9]
.LBB40_570:
	s_mov_b32 s8, exec_lo
	v_cmpx_ne_u32_e32 31, v0
	s_cbranch_execz .LBB40_574
; %bb.571:
	v_add_nc_u32_e32 v8, 0x2a0, v103
	v_add3_u32 v9, 0, v103, 16
	v_mov_b32_e32 v10, v0
	s_mov_b32 s48, 0
	.p2align	6
.LBB40_572:                             ; =>This Inner Loop Header: Depth=1
	s_clause 0x3
	buffer_load_dword v15, v9, s[0:3], 0 offen offset:8
	buffer_load_dword v16, v9, s[0:3], 0 offen offset:12
	buffer_load_dword v17, v9, s[0:3], 0 offen
	buffer_load_dword v18, v9, s[0:3], 0 offen offset:4
	ds_read_b128 v[11:14], v8
	v_add_nc_u32_e32 v10, 1, v10
	v_add_nc_u32_e32 v8, 16, v8
	;; [unrolled: 1-line block ×3, first 2 shown]
	v_cmp_lt_u32_e32 vcc_lo, 30, v10
	s_or_b32 s48, vcc_lo, s48
	s_waitcnt vmcnt(2) lgkmcnt(0)
	v_mul_f64 v[19:20], v[13:14], v[15:16]
	v_mul_f64 v[15:16], v[11:12], v[15:16]
	s_waitcnt vmcnt(0)
	v_fma_f64 v[11:12], v[11:12], v[17:18], -v[19:20]
	v_fma_f64 v[13:14], v[13:14], v[17:18], v[15:16]
	v_add_f64 v[1:2], v[1:2], v[11:12]
	v_add_f64 v[3:4], v[3:4], v[13:14]
	s_andn2_b32 exec_lo, exec_lo, s48
	s_cbranch_execnz .LBB40_572
; %bb.573:
	s_or_b32 exec_lo, exec_lo, s48
.LBB40_574:
	s_or_b32 exec_lo, exec_lo, s8
	v_mov_b32_e32 v8, 0
	ds_read_b128 v[8:11], v8 offset:512
	s_waitcnt lgkmcnt(0)
	v_mul_f64 v[12:13], v[3:4], v[10:11]
	v_mul_f64 v[10:11], v[1:2], v[10:11]
	v_fma_f64 v[1:2], v[1:2], v[8:9], -v[12:13]
	v_fma_f64 v[3:4], v[3:4], v[8:9], v[10:11]
	buffer_store_dword v2, off, s[0:3], 0 offset:516
	buffer_store_dword v1, off, s[0:3], 0 offset:512
	;; [unrolled: 1-line block ×4, first 2 shown]
.LBB40_575:
	s_or_b32 exec_lo, exec_lo, s4
	v_mov_b32_e32 v4, s14
	s_mov_b32 s4, exec_lo
	s_clause 0x3
	buffer_load_dword v1, v4, s[0:3], 0 offen
	buffer_load_dword v2, v4, s[0:3], 0 offen offset:4
	buffer_load_dword v3, v4, s[0:3], 0 offen offset:8
	;; [unrolled: 1-line block ×3, first 2 shown]
	s_waitcnt vmcnt(0)
	ds_write_b128 v6, v[1:4]
	s_waitcnt lgkmcnt(0)
	s_waitcnt_vscnt null, 0x0
	s_barrier
	buffer_gl0_inv
	v_cmpx_gt_u32_e32 33, v0
	s_cbranch_execz .LBB40_583
; %bb.576:
	ds_read_b128 v[1:4], v6
	v_cmp_ne_u32_e32 vcc_lo, 1, v7
	s_cbranch_vccnz .LBB40_578
; %bb.577:
	s_clause 0x3
	buffer_load_dword v8, v5, s[0:3], 0 offen offset:8
	buffer_load_dword v9, v5, s[0:3], 0 offen offset:12
	buffer_load_dword v10, v5, s[0:3], 0 offen
	buffer_load_dword v11, v5, s[0:3], 0 offen offset:4
	s_waitcnt vmcnt(2) lgkmcnt(0)
	v_mul_f64 v[12:13], v[3:4], v[8:9]
	v_mul_f64 v[8:9], v[1:2], v[8:9]
	s_waitcnt vmcnt(0)
	v_fma_f64 v[1:2], v[1:2], v[10:11], -v[12:13]
	v_fma_f64 v[3:4], v[3:4], v[10:11], v[8:9]
.LBB40_578:
	s_mov_b32 s8, exec_lo
	v_cmpx_ne_u32_e32 32, v0
	s_cbranch_execz .LBB40_582
; %bb.579:
	v_add_nc_u32_e32 v8, 0x2a0, v103
	v_add3_u32 v9, 0, v103, 16
	v_mov_b32_e32 v10, v0
	s_mov_b32 s48, 0
	.p2align	6
.LBB40_580:                             ; =>This Inner Loop Header: Depth=1
	s_clause 0x3
	buffer_load_dword v15, v9, s[0:3], 0 offen offset:8
	buffer_load_dword v16, v9, s[0:3], 0 offen offset:12
	buffer_load_dword v17, v9, s[0:3], 0 offen
	buffer_load_dword v18, v9, s[0:3], 0 offen offset:4
	ds_read_b128 v[11:14], v8
	v_add_nc_u32_e32 v10, 1, v10
	v_add_nc_u32_e32 v8, 16, v8
	;; [unrolled: 1-line block ×3, first 2 shown]
	v_cmp_lt_u32_e32 vcc_lo, 31, v10
	s_or_b32 s48, vcc_lo, s48
	s_waitcnt vmcnt(2) lgkmcnt(0)
	v_mul_f64 v[19:20], v[13:14], v[15:16]
	v_mul_f64 v[15:16], v[11:12], v[15:16]
	s_waitcnt vmcnt(0)
	v_fma_f64 v[11:12], v[11:12], v[17:18], -v[19:20]
	v_fma_f64 v[13:14], v[13:14], v[17:18], v[15:16]
	v_add_f64 v[1:2], v[1:2], v[11:12]
	v_add_f64 v[3:4], v[3:4], v[13:14]
	s_andn2_b32 exec_lo, exec_lo, s48
	s_cbranch_execnz .LBB40_580
; %bb.581:
	s_or_b32 exec_lo, exec_lo, s48
.LBB40_582:
	s_or_b32 exec_lo, exec_lo, s8
	v_mov_b32_e32 v8, 0
	ds_read_b128 v[8:11], v8 offset:528
	s_waitcnt lgkmcnt(0)
	v_mul_f64 v[12:13], v[3:4], v[10:11]
	v_mul_f64 v[10:11], v[1:2], v[10:11]
	v_fma_f64 v[1:2], v[1:2], v[8:9], -v[12:13]
	v_fma_f64 v[3:4], v[3:4], v[8:9], v[10:11]
	buffer_store_dword v2, off, s[0:3], 0 offset:532
	buffer_store_dword v1, off, s[0:3], 0 offset:528
	;; [unrolled: 1-line block ×4, first 2 shown]
.LBB40_583:
	s_or_b32 exec_lo, exec_lo, s4
	v_mov_b32_e32 v4, s13
	s_mov_b32 s4, exec_lo
	s_clause 0x3
	buffer_load_dword v1, v4, s[0:3], 0 offen
	buffer_load_dword v2, v4, s[0:3], 0 offen offset:4
	buffer_load_dword v3, v4, s[0:3], 0 offen offset:8
	buffer_load_dword v4, v4, s[0:3], 0 offen offset:12
	s_waitcnt vmcnt(0)
	ds_write_b128 v6, v[1:4]
	s_waitcnt lgkmcnt(0)
	s_waitcnt_vscnt null, 0x0
	s_barrier
	buffer_gl0_inv
	v_cmpx_gt_u32_e32 34, v0
	s_cbranch_execz .LBB40_591
; %bb.584:
	ds_read_b128 v[1:4], v6
	v_cmp_ne_u32_e32 vcc_lo, 1, v7
	s_cbranch_vccnz .LBB40_586
; %bb.585:
	s_clause 0x3
	buffer_load_dword v8, v5, s[0:3], 0 offen offset:8
	buffer_load_dword v9, v5, s[0:3], 0 offen offset:12
	buffer_load_dword v10, v5, s[0:3], 0 offen
	buffer_load_dword v11, v5, s[0:3], 0 offen offset:4
	s_waitcnt vmcnt(2) lgkmcnt(0)
	v_mul_f64 v[12:13], v[3:4], v[8:9]
	v_mul_f64 v[8:9], v[1:2], v[8:9]
	s_waitcnt vmcnt(0)
	v_fma_f64 v[1:2], v[1:2], v[10:11], -v[12:13]
	v_fma_f64 v[3:4], v[3:4], v[10:11], v[8:9]
.LBB40_586:
	s_mov_b32 s8, exec_lo
	v_cmpx_ne_u32_e32 33, v0
	s_cbranch_execz .LBB40_590
; %bb.587:
	v_add_nc_u32_e32 v8, 0x2a0, v103
	v_add3_u32 v9, 0, v103, 16
	v_mov_b32_e32 v10, v0
	s_mov_b32 s48, 0
	.p2align	6
.LBB40_588:                             ; =>This Inner Loop Header: Depth=1
	s_clause 0x3
	buffer_load_dword v15, v9, s[0:3], 0 offen offset:8
	buffer_load_dword v16, v9, s[0:3], 0 offen offset:12
	buffer_load_dword v17, v9, s[0:3], 0 offen
	buffer_load_dword v18, v9, s[0:3], 0 offen offset:4
	ds_read_b128 v[11:14], v8
	v_add_nc_u32_e32 v10, 1, v10
	v_add_nc_u32_e32 v8, 16, v8
	v_add_nc_u32_e32 v9, 16, v9
	v_cmp_lt_u32_e32 vcc_lo, 32, v10
	s_or_b32 s48, vcc_lo, s48
	s_waitcnt vmcnt(2) lgkmcnt(0)
	v_mul_f64 v[19:20], v[13:14], v[15:16]
	v_mul_f64 v[15:16], v[11:12], v[15:16]
	s_waitcnt vmcnt(0)
	v_fma_f64 v[11:12], v[11:12], v[17:18], -v[19:20]
	v_fma_f64 v[13:14], v[13:14], v[17:18], v[15:16]
	v_add_f64 v[1:2], v[1:2], v[11:12]
	v_add_f64 v[3:4], v[3:4], v[13:14]
	s_andn2_b32 exec_lo, exec_lo, s48
	s_cbranch_execnz .LBB40_588
; %bb.589:
	s_or_b32 exec_lo, exec_lo, s48
.LBB40_590:
	s_or_b32 exec_lo, exec_lo, s8
	v_mov_b32_e32 v8, 0
	ds_read_b128 v[8:11], v8 offset:544
	s_waitcnt lgkmcnt(0)
	v_mul_f64 v[12:13], v[3:4], v[10:11]
	v_mul_f64 v[10:11], v[1:2], v[10:11]
	v_fma_f64 v[1:2], v[1:2], v[8:9], -v[12:13]
	v_fma_f64 v[3:4], v[3:4], v[8:9], v[10:11]
	buffer_store_dword v2, off, s[0:3], 0 offset:548
	buffer_store_dword v1, off, s[0:3], 0 offset:544
	;; [unrolled: 1-line block ×4, first 2 shown]
.LBB40_591:
	s_or_b32 exec_lo, exec_lo, s4
	v_mov_b32_e32 v4, s12
	s_mov_b32 s4, exec_lo
	s_clause 0x3
	buffer_load_dword v1, v4, s[0:3], 0 offen
	buffer_load_dword v2, v4, s[0:3], 0 offen offset:4
	buffer_load_dword v3, v4, s[0:3], 0 offen offset:8
	;; [unrolled: 1-line block ×3, first 2 shown]
	s_waitcnt vmcnt(0)
	ds_write_b128 v6, v[1:4]
	s_waitcnt lgkmcnt(0)
	s_waitcnt_vscnt null, 0x0
	s_barrier
	buffer_gl0_inv
	v_cmpx_gt_u32_e32 35, v0
	s_cbranch_execz .LBB40_599
; %bb.592:
	ds_read_b128 v[1:4], v6
	v_cmp_ne_u32_e32 vcc_lo, 1, v7
	s_cbranch_vccnz .LBB40_594
; %bb.593:
	s_clause 0x3
	buffer_load_dword v8, v5, s[0:3], 0 offen offset:8
	buffer_load_dword v9, v5, s[0:3], 0 offen offset:12
	buffer_load_dword v10, v5, s[0:3], 0 offen
	buffer_load_dword v11, v5, s[0:3], 0 offen offset:4
	s_waitcnt vmcnt(2) lgkmcnt(0)
	v_mul_f64 v[12:13], v[3:4], v[8:9]
	v_mul_f64 v[8:9], v[1:2], v[8:9]
	s_waitcnt vmcnt(0)
	v_fma_f64 v[1:2], v[1:2], v[10:11], -v[12:13]
	v_fma_f64 v[3:4], v[3:4], v[10:11], v[8:9]
.LBB40_594:
	s_mov_b32 s8, exec_lo
	v_cmpx_ne_u32_e32 34, v0
	s_cbranch_execz .LBB40_598
; %bb.595:
	v_add_nc_u32_e32 v8, 0x2a0, v103
	v_add3_u32 v9, 0, v103, 16
	v_mov_b32_e32 v10, v0
	s_mov_b32 s48, 0
	.p2align	6
.LBB40_596:                             ; =>This Inner Loop Header: Depth=1
	s_clause 0x3
	buffer_load_dword v15, v9, s[0:3], 0 offen offset:8
	buffer_load_dword v16, v9, s[0:3], 0 offen offset:12
	buffer_load_dword v17, v9, s[0:3], 0 offen
	buffer_load_dword v18, v9, s[0:3], 0 offen offset:4
	ds_read_b128 v[11:14], v8
	v_add_nc_u32_e32 v10, 1, v10
	v_add_nc_u32_e32 v8, 16, v8
	;; [unrolled: 1-line block ×3, first 2 shown]
	v_cmp_lt_u32_e32 vcc_lo, 33, v10
	s_or_b32 s48, vcc_lo, s48
	s_waitcnt vmcnt(2) lgkmcnt(0)
	v_mul_f64 v[19:20], v[13:14], v[15:16]
	v_mul_f64 v[15:16], v[11:12], v[15:16]
	s_waitcnt vmcnt(0)
	v_fma_f64 v[11:12], v[11:12], v[17:18], -v[19:20]
	v_fma_f64 v[13:14], v[13:14], v[17:18], v[15:16]
	v_add_f64 v[1:2], v[1:2], v[11:12]
	v_add_f64 v[3:4], v[3:4], v[13:14]
	s_andn2_b32 exec_lo, exec_lo, s48
	s_cbranch_execnz .LBB40_596
; %bb.597:
	s_or_b32 exec_lo, exec_lo, s48
.LBB40_598:
	s_or_b32 exec_lo, exec_lo, s8
	v_mov_b32_e32 v8, 0
	ds_read_b128 v[8:11], v8 offset:560
	s_waitcnt lgkmcnt(0)
	v_mul_f64 v[12:13], v[3:4], v[10:11]
	v_mul_f64 v[10:11], v[1:2], v[10:11]
	v_fma_f64 v[1:2], v[1:2], v[8:9], -v[12:13]
	v_fma_f64 v[3:4], v[3:4], v[8:9], v[10:11]
	buffer_store_dword v2, off, s[0:3], 0 offset:564
	buffer_store_dword v1, off, s[0:3], 0 offset:560
	;; [unrolled: 1-line block ×4, first 2 shown]
.LBB40_599:
	s_or_b32 exec_lo, exec_lo, s4
	v_mov_b32_e32 v4, s11
	s_mov_b32 s4, exec_lo
	s_clause 0x3
	buffer_load_dword v1, v4, s[0:3], 0 offen
	buffer_load_dword v2, v4, s[0:3], 0 offen offset:4
	buffer_load_dword v3, v4, s[0:3], 0 offen offset:8
	;; [unrolled: 1-line block ×3, first 2 shown]
	s_waitcnt vmcnt(0)
	ds_write_b128 v6, v[1:4]
	s_waitcnt lgkmcnt(0)
	s_waitcnt_vscnt null, 0x0
	s_barrier
	buffer_gl0_inv
	v_cmpx_gt_u32_e32 36, v0
	s_cbranch_execz .LBB40_607
; %bb.600:
	ds_read_b128 v[1:4], v6
	v_cmp_ne_u32_e32 vcc_lo, 1, v7
	s_cbranch_vccnz .LBB40_602
; %bb.601:
	s_clause 0x3
	buffer_load_dword v8, v5, s[0:3], 0 offen offset:8
	buffer_load_dword v9, v5, s[0:3], 0 offen offset:12
	buffer_load_dword v10, v5, s[0:3], 0 offen
	buffer_load_dword v11, v5, s[0:3], 0 offen offset:4
	s_waitcnt vmcnt(2) lgkmcnt(0)
	v_mul_f64 v[12:13], v[3:4], v[8:9]
	v_mul_f64 v[8:9], v[1:2], v[8:9]
	s_waitcnt vmcnt(0)
	v_fma_f64 v[1:2], v[1:2], v[10:11], -v[12:13]
	v_fma_f64 v[3:4], v[3:4], v[10:11], v[8:9]
.LBB40_602:
	s_mov_b32 s8, exec_lo
	v_cmpx_ne_u32_e32 35, v0
	s_cbranch_execz .LBB40_606
; %bb.603:
	v_add_nc_u32_e32 v8, 0x2a0, v103
	v_add3_u32 v9, 0, v103, 16
	v_mov_b32_e32 v10, v0
	s_mov_b32 s48, 0
	.p2align	6
.LBB40_604:                             ; =>This Inner Loop Header: Depth=1
	s_clause 0x3
	buffer_load_dword v15, v9, s[0:3], 0 offen offset:8
	buffer_load_dword v16, v9, s[0:3], 0 offen offset:12
	buffer_load_dword v17, v9, s[0:3], 0 offen
	buffer_load_dword v18, v9, s[0:3], 0 offen offset:4
	ds_read_b128 v[11:14], v8
	v_add_nc_u32_e32 v10, 1, v10
	v_add_nc_u32_e32 v8, 16, v8
	;; [unrolled: 1-line block ×3, first 2 shown]
	v_cmp_lt_u32_e32 vcc_lo, 34, v10
	s_or_b32 s48, vcc_lo, s48
	s_waitcnt vmcnt(2) lgkmcnt(0)
	v_mul_f64 v[19:20], v[13:14], v[15:16]
	v_mul_f64 v[15:16], v[11:12], v[15:16]
	s_waitcnt vmcnt(0)
	v_fma_f64 v[11:12], v[11:12], v[17:18], -v[19:20]
	v_fma_f64 v[13:14], v[13:14], v[17:18], v[15:16]
	v_add_f64 v[1:2], v[1:2], v[11:12]
	v_add_f64 v[3:4], v[3:4], v[13:14]
	s_andn2_b32 exec_lo, exec_lo, s48
	s_cbranch_execnz .LBB40_604
; %bb.605:
	s_or_b32 exec_lo, exec_lo, s48
.LBB40_606:
	s_or_b32 exec_lo, exec_lo, s8
	v_mov_b32_e32 v8, 0
	ds_read_b128 v[8:11], v8 offset:576
	s_waitcnt lgkmcnt(0)
	v_mul_f64 v[12:13], v[3:4], v[10:11]
	v_mul_f64 v[10:11], v[1:2], v[10:11]
	v_fma_f64 v[1:2], v[1:2], v[8:9], -v[12:13]
	v_fma_f64 v[3:4], v[3:4], v[8:9], v[10:11]
	buffer_store_dword v2, off, s[0:3], 0 offset:580
	buffer_store_dword v1, off, s[0:3], 0 offset:576
	;; [unrolled: 1-line block ×4, first 2 shown]
.LBB40_607:
	s_or_b32 exec_lo, exec_lo, s4
	v_mov_b32_e32 v4, s10
	s_mov_b32 s4, exec_lo
	s_clause 0x3
	buffer_load_dword v1, v4, s[0:3], 0 offen
	buffer_load_dword v2, v4, s[0:3], 0 offen offset:4
	buffer_load_dword v3, v4, s[0:3], 0 offen offset:8
	;; [unrolled: 1-line block ×3, first 2 shown]
	s_waitcnt vmcnt(0)
	ds_write_b128 v6, v[1:4]
	s_waitcnt lgkmcnt(0)
	s_waitcnt_vscnt null, 0x0
	s_barrier
	buffer_gl0_inv
	v_cmpx_gt_u32_e32 37, v0
	s_cbranch_execz .LBB40_615
; %bb.608:
	ds_read_b128 v[1:4], v6
	v_cmp_ne_u32_e32 vcc_lo, 1, v7
	s_cbranch_vccnz .LBB40_610
; %bb.609:
	s_clause 0x3
	buffer_load_dword v8, v5, s[0:3], 0 offen offset:8
	buffer_load_dword v9, v5, s[0:3], 0 offen offset:12
	buffer_load_dword v10, v5, s[0:3], 0 offen
	buffer_load_dword v11, v5, s[0:3], 0 offen offset:4
	s_waitcnt vmcnt(2) lgkmcnt(0)
	v_mul_f64 v[12:13], v[3:4], v[8:9]
	v_mul_f64 v[8:9], v[1:2], v[8:9]
	s_waitcnt vmcnt(0)
	v_fma_f64 v[1:2], v[1:2], v[10:11], -v[12:13]
	v_fma_f64 v[3:4], v[3:4], v[10:11], v[8:9]
.LBB40_610:
	s_mov_b32 s8, exec_lo
	v_cmpx_ne_u32_e32 36, v0
	s_cbranch_execz .LBB40_614
; %bb.611:
	v_add_nc_u32_e32 v8, 0x2a0, v103
	v_add3_u32 v9, 0, v103, 16
	v_mov_b32_e32 v10, v0
	s_mov_b32 s48, 0
	.p2align	6
.LBB40_612:                             ; =>This Inner Loop Header: Depth=1
	s_clause 0x3
	buffer_load_dword v15, v9, s[0:3], 0 offen offset:8
	buffer_load_dword v16, v9, s[0:3], 0 offen offset:12
	buffer_load_dword v17, v9, s[0:3], 0 offen
	buffer_load_dword v18, v9, s[0:3], 0 offen offset:4
	ds_read_b128 v[11:14], v8
	v_add_nc_u32_e32 v10, 1, v10
	v_add_nc_u32_e32 v8, 16, v8
	;; [unrolled: 1-line block ×3, first 2 shown]
	v_cmp_lt_u32_e32 vcc_lo, 35, v10
	s_or_b32 s48, vcc_lo, s48
	s_waitcnt vmcnt(2) lgkmcnt(0)
	v_mul_f64 v[19:20], v[13:14], v[15:16]
	v_mul_f64 v[15:16], v[11:12], v[15:16]
	s_waitcnt vmcnt(0)
	v_fma_f64 v[11:12], v[11:12], v[17:18], -v[19:20]
	v_fma_f64 v[13:14], v[13:14], v[17:18], v[15:16]
	v_add_f64 v[1:2], v[1:2], v[11:12]
	v_add_f64 v[3:4], v[3:4], v[13:14]
	s_andn2_b32 exec_lo, exec_lo, s48
	s_cbranch_execnz .LBB40_612
; %bb.613:
	s_or_b32 exec_lo, exec_lo, s48
.LBB40_614:
	s_or_b32 exec_lo, exec_lo, s8
	v_mov_b32_e32 v8, 0
	ds_read_b128 v[8:11], v8 offset:592
	s_waitcnt lgkmcnt(0)
	v_mul_f64 v[12:13], v[3:4], v[10:11]
	v_mul_f64 v[10:11], v[1:2], v[10:11]
	v_fma_f64 v[1:2], v[1:2], v[8:9], -v[12:13]
	v_fma_f64 v[3:4], v[3:4], v[8:9], v[10:11]
	buffer_store_dword v2, off, s[0:3], 0 offset:596
	buffer_store_dword v1, off, s[0:3], 0 offset:592
	;; [unrolled: 1-line block ×4, first 2 shown]
.LBB40_615:
	s_or_b32 exec_lo, exec_lo, s4
	v_mov_b32_e32 v4, s9
	s_mov_b32 s4, exec_lo
	s_clause 0x3
	buffer_load_dword v1, v4, s[0:3], 0 offen
	buffer_load_dword v2, v4, s[0:3], 0 offen offset:4
	buffer_load_dword v3, v4, s[0:3], 0 offen offset:8
	;; [unrolled: 1-line block ×3, first 2 shown]
	s_waitcnt vmcnt(0)
	ds_write_b128 v6, v[1:4]
	s_waitcnt lgkmcnt(0)
	s_waitcnt_vscnt null, 0x0
	s_barrier
	buffer_gl0_inv
	v_cmpx_gt_u32_e32 38, v0
	s_cbranch_execz .LBB40_623
; %bb.616:
	ds_read_b128 v[1:4], v6
	v_cmp_ne_u32_e32 vcc_lo, 1, v7
	s_cbranch_vccnz .LBB40_618
; %bb.617:
	s_clause 0x3
	buffer_load_dword v8, v5, s[0:3], 0 offen offset:8
	buffer_load_dword v9, v5, s[0:3], 0 offen offset:12
	buffer_load_dword v10, v5, s[0:3], 0 offen
	buffer_load_dword v11, v5, s[0:3], 0 offen offset:4
	s_waitcnt vmcnt(2) lgkmcnt(0)
	v_mul_f64 v[12:13], v[3:4], v[8:9]
	v_mul_f64 v[8:9], v[1:2], v[8:9]
	s_waitcnt vmcnt(0)
	v_fma_f64 v[1:2], v[1:2], v[10:11], -v[12:13]
	v_fma_f64 v[3:4], v[3:4], v[10:11], v[8:9]
.LBB40_618:
	s_mov_b32 s8, exec_lo
	v_cmpx_ne_u32_e32 37, v0
	s_cbranch_execz .LBB40_622
; %bb.619:
	v_add_nc_u32_e32 v8, 0x2a0, v103
	v_add3_u32 v9, 0, v103, 16
	v_mov_b32_e32 v10, v0
	s_mov_b32 s48, 0
	.p2align	6
.LBB40_620:                             ; =>This Inner Loop Header: Depth=1
	s_clause 0x3
	buffer_load_dword v15, v9, s[0:3], 0 offen offset:8
	buffer_load_dword v16, v9, s[0:3], 0 offen offset:12
	buffer_load_dword v17, v9, s[0:3], 0 offen
	buffer_load_dword v18, v9, s[0:3], 0 offen offset:4
	ds_read_b128 v[11:14], v8
	v_add_nc_u32_e32 v10, 1, v10
	v_add_nc_u32_e32 v8, 16, v8
	;; [unrolled: 1-line block ×3, first 2 shown]
	v_cmp_lt_u32_e32 vcc_lo, 36, v10
	s_or_b32 s48, vcc_lo, s48
	s_waitcnt vmcnt(2) lgkmcnt(0)
	v_mul_f64 v[19:20], v[13:14], v[15:16]
	v_mul_f64 v[15:16], v[11:12], v[15:16]
	s_waitcnt vmcnt(0)
	v_fma_f64 v[11:12], v[11:12], v[17:18], -v[19:20]
	v_fma_f64 v[13:14], v[13:14], v[17:18], v[15:16]
	v_add_f64 v[1:2], v[1:2], v[11:12]
	v_add_f64 v[3:4], v[3:4], v[13:14]
	s_andn2_b32 exec_lo, exec_lo, s48
	s_cbranch_execnz .LBB40_620
; %bb.621:
	s_or_b32 exec_lo, exec_lo, s48
.LBB40_622:
	s_or_b32 exec_lo, exec_lo, s8
	v_mov_b32_e32 v8, 0
	ds_read_b128 v[8:11], v8 offset:608
	s_waitcnt lgkmcnt(0)
	v_mul_f64 v[12:13], v[3:4], v[10:11]
	v_mul_f64 v[10:11], v[1:2], v[10:11]
	v_fma_f64 v[1:2], v[1:2], v[8:9], -v[12:13]
	v_fma_f64 v[3:4], v[3:4], v[8:9], v[10:11]
	buffer_store_dword v2, off, s[0:3], 0 offset:612
	buffer_store_dword v1, off, s[0:3], 0 offset:608
	;; [unrolled: 1-line block ×4, first 2 shown]
.LBB40_623:
	s_or_b32 exec_lo, exec_lo, s4
	v_mov_b32_e32 v4, s7
	v_cmp_gt_u32_e64 s4, 39, v0
	s_clause 0x3
	buffer_load_dword v1, v4, s[0:3], 0 offen
	buffer_load_dword v2, v4, s[0:3], 0 offen offset:4
	buffer_load_dword v3, v4, s[0:3], 0 offen offset:8
	;; [unrolled: 1-line block ×3, first 2 shown]
	s_waitcnt vmcnt(0)
	ds_write_b128 v6, v[1:4]
	s_waitcnt lgkmcnt(0)
	s_waitcnt_vscnt null, 0x0
	s_barrier
	buffer_gl0_inv
	s_and_saveexec_b32 s8, s4
	s_cbranch_execz .LBB40_631
; %bb.624:
	ds_read_b128 v[1:4], v6
	v_cmp_ne_u32_e32 vcc_lo, 1, v7
	s_cbranch_vccnz .LBB40_626
; %bb.625:
	s_clause 0x3
	buffer_load_dword v8, v5, s[0:3], 0 offen offset:8
	buffer_load_dword v9, v5, s[0:3], 0 offen offset:12
	buffer_load_dword v10, v5, s[0:3], 0 offen
	buffer_load_dword v11, v5, s[0:3], 0 offen offset:4
	s_waitcnt vmcnt(2) lgkmcnt(0)
	v_mul_f64 v[12:13], v[3:4], v[8:9]
	v_mul_f64 v[8:9], v[1:2], v[8:9]
	s_waitcnt vmcnt(0)
	v_fma_f64 v[1:2], v[1:2], v[10:11], -v[12:13]
	v_fma_f64 v[3:4], v[3:4], v[10:11], v[8:9]
.LBB40_626:
	s_mov_b32 s48, exec_lo
	v_cmpx_ne_u32_e32 38, v0
	s_cbranch_execz .LBB40_630
; %bb.627:
	v_add_nc_u32_e32 v8, 0x2a0, v103
	v_add3_u32 v9, 0, v103, 16
	v_mov_b32_e32 v10, v0
	s_mov_b32 s49, 0
	.p2align	6
.LBB40_628:                             ; =>This Inner Loop Header: Depth=1
	s_clause 0x3
	buffer_load_dword v15, v9, s[0:3], 0 offen offset:8
	buffer_load_dword v16, v9, s[0:3], 0 offen offset:12
	buffer_load_dword v17, v9, s[0:3], 0 offen
	buffer_load_dword v18, v9, s[0:3], 0 offen offset:4
	ds_read_b128 v[11:14], v8
	v_add_nc_u32_e32 v10, 1, v10
	v_add_nc_u32_e32 v8, 16, v8
	;; [unrolled: 1-line block ×3, first 2 shown]
	v_cmp_lt_u32_e32 vcc_lo, 37, v10
	s_or_b32 s49, vcc_lo, s49
	s_waitcnt vmcnt(2) lgkmcnt(0)
	v_mul_f64 v[19:20], v[13:14], v[15:16]
	v_mul_f64 v[15:16], v[11:12], v[15:16]
	s_waitcnt vmcnt(0)
	v_fma_f64 v[11:12], v[11:12], v[17:18], -v[19:20]
	v_fma_f64 v[13:14], v[13:14], v[17:18], v[15:16]
	v_add_f64 v[1:2], v[1:2], v[11:12]
	v_add_f64 v[3:4], v[3:4], v[13:14]
	s_andn2_b32 exec_lo, exec_lo, s49
	s_cbranch_execnz .LBB40_628
; %bb.629:
	s_or_b32 exec_lo, exec_lo, s49
.LBB40_630:
	s_or_b32 exec_lo, exec_lo, s48
	v_mov_b32_e32 v8, 0
	ds_read_b128 v[8:11], v8 offset:624
	s_waitcnt lgkmcnt(0)
	v_mul_f64 v[12:13], v[3:4], v[10:11]
	v_mul_f64 v[10:11], v[1:2], v[10:11]
	v_fma_f64 v[1:2], v[1:2], v[8:9], -v[12:13]
	v_fma_f64 v[3:4], v[3:4], v[8:9], v[10:11]
	buffer_store_dword v2, off, s[0:3], 0 offset:628
	buffer_store_dword v1, off, s[0:3], 0 offset:624
	;; [unrolled: 1-line block ×4, first 2 shown]
.LBB40_631:
	s_or_b32 exec_lo, exec_lo, s8
	v_mov_b32_e32 v4, s6
	s_mov_b32 s8, exec_lo
                                        ; implicit-def: $sgpr50
	s_clause 0x3
	buffer_load_dword v1, v4, s[0:3], 0 offen
	buffer_load_dword v2, v4, s[0:3], 0 offen offset:4
	buffer_load_dword v3, v4, s[0:3], 0 offen offset:8
	;; [unrolled: 1-line block ×3, first 2 shown]
	s_waitcnt vmcnt(0)
	ds_write_b128 v6, v[1:4]
	s_waitcnt lgkmcnt(0)
	s_waitcnt_vscnt null, 0x0
	s_barrier
	buffer_gl0_inv
                                        ; implicit-def: $vgpr1_vgpr2
	v_cmpx_ne_u32_e32 40, v0
	s_cbranch_execz .LBB40_639
; %bb.632:
	ds_read_b128 v[1:4], v6
	v_cmp_ne_u32_e32 vcc_lo, 1, v7
	s_cbranch_vccnz .LBB40_634
; %bb.633:
	s_clause 0x3
	buffer_load_dword v6, v5, s[0:3], 0 offen offset:8
	buffer_load_dword v7, v5, s[0:3], 0 offen offset:12
	buffer_load_dword v8, v5, s[0:3], 0 offen
	buffer_load_dword v9, v5, s[0:3], 0 offen offset:4
	s_waitcnt vmcnt(2) lgkmcnt(0)
	v_mul_f64 v[10:11], v[3:4], v[6:7]
	v_mul_f64 v[5:6], v[1:2], v[6:7]
	s_waitcnt vmcnt(0)
	v_fma_f64 v[1:2], v[1:2], v[8:9], -v[10:11]
	v_fma_f64 v[3:4], v[3:4], v[8:9], v[5:6]
.LBB40_634:
	s_and_saveexec_b32 s48, s4
	s_cbranch_execz .LBB40_638
; %bb.635:
	v_add_nc_u32_e32 v5, 0x2a0, v103
	v_add3_u32 v6, 0, v103, 16
	s_mov_b32 s4, 0
	.p2align	6
.LBB40_636:                             ; =>This Inner Loop Header: Depth=1
	s_clause 0x3
	buffer_load_dword v11, v6, s[0:3], 0 offen offset:8
	buffer_load_dword v12, v6, s[0:3], 0 offen offset:12
	buffer_load_dword v13, v6, s[0:3], 0 offen
	buffer_load_dword v14, v6, s[0:3], 0 offen offset:4
	ds_read_b128 v[7:10], v5
	v_add_nc_u32_e32 v0, 1, v0
	v_add_nc_u32_e32 v5, 16, v5
	;; [unrolled: 1-line block ×3, first 2 shown]
	v_cmp_lt_u32_e32 vcc_lo, 38, v0
	s_or_b32 s4, vcc_lo, s4
	s_waitcnt vmcnt(2) lgkmcnt(0)
	v_mul_f64 v[15:16], v[9:10], v[11:12]
	v_mul_f64 v[11:12], v[7:8], v[11:12]
	s_waitcnt vmcnt(0)
	v_fma_f64 v[7:8], v[7:8], v[13:14], -v[15:16]
	v_fma_f64 v[9:10], v[9:10], v[13:14], v[11:12]
	v_add_f64 v[1:2], v[1:2], v[7:8]
	v_add_f64 v[3:4], v[3:4], v[9:10]
	s_andn2_b32 exec_lo, exec_lo, s4
	s_cbranch_execnz .LBB40_636
; %bb.637:
	s_or_b32 exec_lo, exec_lo, s4
.LBB40_638:
	s_or_b32 exec_lo, exec_lo, s48
	v_mov_b32_e32 v0, 0
	s_movk_i32 s50, 0x288
	s_or_b32 s5, s5, exec_lo
	ds_read_b128 v[5:8], v0 offset:640
	s_waitcnt lgkmcnt(0)
	v_mul_f64 v[9:10], v[3:4], v[7:8]
	v_mul_f64 v[7:8], v[1:2], v[7:8]
	v_fma_f64 v[9:10], v[1:2], v[5:6], -v[9:10]
	v_fma_f64 v[1:2], v[3:4], v[5:6], v[7:8]
	buffer_store_dword v10, off, s[0:3], 0 offset:644
	buffer_store_dword v9, off, s[0:3], 0 offset:640
.LBB40_639:
	s_or_b32 exec_lo, exec_lo, s8
.LBB40_640:
	s_and_saveexec_b32 s4, s5
	s_cbranch_execz .LBB40_642
; %bb.641:
	v_mov_b32_e32 v0, s50
	buffer_store_dword v2, v0, s[0:3], 0 offen offset:4
	buffer_store_dword v1, v0, s[0:3], 0 offen
.LBB40_642:
	s_or_b32 exec_lo, exec_lo, s4
	s_clause 0x3
	buffer_load_dword v0, off, s[0:3], 0
	buffer_load_dword v1, off, s[0:3], 0 offset:4
	buffer_load_dword v2, off, s[0:3], 0 offset:8
	buffer_load_dword v3, off, s[0:3], 0 offset:12
	v_mov_b32_e32 v7, s47
	v_mov_b32_e32 v11, s46
	;; [unrolled: 1-line block ×4, first 2 shown]
	s_clause 0xb
	buffer_load_dword v4, v7, s[0:3], 0 offen
	buffer_load_dword v5, v7, s[0:3], 0 offen offset:4
	buffer_load_dword v6, v7, s[0:3], 0 offen offset:8
	buffer_load_dword v7, v7, s[0:3], 0 offen offset:12
	buffer_load_dword v8, v11, s[0:3], 0 offen
	buffer_load_dword v9, v11, s[0:3], 0 offen offset:4
	buffer_load_dword v10, v11, s[0:3], 0 offen offset:8
	buffer_load_dword v11, v11, s[0:3], 0 offen offset:12
	;; [unrolled: 4-line block ×3, first 2 shown]
	v_mov_b32_e32 v20, s43
	s_clause 0x7
	buffer_load_dword v16, v19, s[0:3], 0 offen
	buffer_load_dword v17, v19, s[0:3], 0 offen offset:4
	buffer_load_dword v18, v19, s[0:3], 0 offen offset:8
	;; [unrolled: 1-line block ×3, first 2 shown]
	buffer_load_dword v103, v20, s[0:3], 0 offen
	buffer_load_dword v104, v20, s[0:3], 0 offen offset:4
	buffer_load_dword v105, v20, s[0:3], 0 offen offset:8
	;; [unrolled: 1-line block ×3, first 2 shown]
	v_mov_b32_e32 v20, s42
	v_mov_b32_e32 v116, s11
	v_mov_b32_e32 v118, s9
	v_mov_b32_e32 v115, s12
	v_mov_b32_e32 v117, s10
	v_mov_b32_e32 v119, s7
	v_mov_b32_e32 v120, s6
	s_waitcnt vmcnt(20)
	global_store_dwordx4 v[23:24], v[0:3], off
	s_clause 0x3
	buffer_load_dword v0, v20, s[0:3], 0 offen
	buffer_load_dword v1, v20, s[0:3], 0 offen offset:4
	buffer_load_dword v2, v20, s[0:3], 0 offen offset:8
	;; [unrolled: 1-line block ×3, first 2 shown]
	v_mov_b32_e32 v20, s41
	v_mov_b32_e32 v23, s38
	;; [unrolled: 1-line block ×3, first 2 shown]
	s_clause 0x3
	buffer_load_dword v107, v20, s[0:3], 0 offen
	buffer_load_dword v108, v20, s[0:3], 0 offen offset:4
	buffer_load_dword v109, v20, s[0:3], 0 offen offset:8
	;; [unrolled: 1-line block ×3, first 2 shown]
	s_waitcnt vmcnt(24)
	global_store_dwordx4 v[25:26], v[4:7], off
	v_mov_b32_e32 v7, s40
	v_mov_b32_e32 v20, s39
	s_clause 0x3
	buffer_load_dword v4, v7, s[0:3], 0 offen
	buffer_load_dword v5, v7, s[0:3], 0 offen offset:4
	buffer_load_dword v6, v7, s[0:3], 0 offen offset:8
	buffer_load_dword v7, v7, s[0:3], 0 offen offset:12
	s_waitcnt vmcnt(24)
	global_store_dwordx4 v[21:22], v[8:11], off
	s_clause 0x7
	buffer_load_dword v8, v20, s[0:3], 0 offen
	buffer_load_dword v9, v20, s[0:3], 0 offen offset:4
	buffer_load_dword v10, v20, s[0:3], 0 offen offset:8
	;; [unrolled: 1-line block ×3, first 2 shown]
	buffer_load_dword v20, v23, s[0:3], 0 offen
	buffer_load_dword v21, v23, s[0:3], 0 offen offset:4
	buffer_load_dword v22, v23, s[0:3], 0 offen offset:8
	;; [unrolled: 1-line block ×3, first 2 shown]
	s_waitcnt vmcnt(28)
	global_store_dwordx4 v[81:82], v[12:15], off
	v_mov_b32_e32 v15, s37
	v_mov_b32_e32 v25, s35
	s_clause 0x3
	buffer_load_dword v12, v15, s[0:3], 0 offen
	buffer_load_dword v13, v15, s[0:3], 0 offen offset:4
	buffer_load_dword v14, v15, s[0:3], 0 offen offset:8
	buffer_load_dword v15, v15, s[0:3], 0 offen offset:12
	s_waitcnt vmcnt(28)
	global_store_dwordx4 v[75:76], v[16:19], off
	s_clause 0x3
	buffer_load_dword v16, v24, s[0:3], 0 offen
	buffer_load_dword v17, v24, s[0:3], 0 offen offset:4
	buffer_load_dword v18, v24, s[0:3], 0 offen offset:8
	buffer_load_dword v19, v24, s[0:3], 0 offen offset:12
	v_mov_b32_e32 v24, s34
	s_waitcnt vmcnt(28)
	global_store_dwordx4 v[77:78], v[103:106], off
	s_clause 0x3
	buffer_load_dword v75, v25, s[0:3], 0 offen
	buffer_load_dword v76, v25, s[0:3], 0 offen offset:4
	buffer_load_dword v77, v25, s[0:3], 0 offen offset:8
	;; [unrolled: 1-line block ×3, first 2 shown]
	v_mov_b32_e32 v25, s33
	s_clause 0x3
	buffer_load_dword v103, v24, s[0:3], 0 offen
	buffer_load_dword v104, v24, s[0:3], 0 offen offset:4
	buffer_load_dword v105, v24, s[0:3], 0 offen offset:8
	;; [unrolled: 1-line block ×3, first 2 shown]
	v_mov_b32_e32 v24, s31
	v_mov_b32_e32 v26, s21
	;; [unrolled: 1-line block ×4, first 2 shown]
	s_waitcnt vmcnt(32)
	global_store_dwordx4 v[71:72], v[0:3], off
	s_clause 0x7
	buffer_load_dword v0, v25, s[0:3], 0 offen
	buffer_load_dword v1, v25, s[0:3], 0 offen offset:4
	buffer_load_dword v2, v25, s[0:3], 0 offen offset:8
	;; [unrolled: 1-line block ×3, first 2 shown]
	buffer_load_dword v111, v24, s[0:3], 0 offen
	buffer_load_dword v112, v24, s[0:3], 0 offen offset:4
	buffer_load_dword v113, v24, s[0:3], 0 offen offset:8
	;; [unrolled: 1-line block ×3, first 2 shown]
	v_mov_b32_e32 v24, s30
	v_mov_b32_e32 v25, s28
	s_waitcnt vmcnt(36)
	global_store_dwordx4 v[69:70], v[107:110], off
	s_clause 0x3
	buffer_load_dword v69, v24, s[0:3], 0 offen
	buffer_load_dword v70, v24, s[0:3], 0 offen offset:4
	buffer_load_dword v71, v24, s[0:3], 0 offen offset:8
	;; [unrolled: 1-line block ×3, first 2 shown]
	v_mov_b32_e32 v24, s29
	s_waitcnt vmcnt(36)
	global_store_dwordx4 v[65:66], v[4:7], off
	s_clause 0x7
	buffer_load_dword v4, v24, s[0:3], 0 offen
	buffer_load_dword v5, v24, s[0:3], 0 offen offset:4
	buffer_load_dword v6, v24, s[0:3], 0 offen offset:8
	;; [unrolled: 1-line block ×3, first 2 shown]
	buffer_load_dword v107, v25, s[0:3], 0 offen
	buffer_load_dword v108, v25, s[0:3], 0 offen offset:4
	buffer_load_dword v109, v25, s[0:3], 0 offen offset:8
	;; [unrolled: 1-line block ×3, first 2 shown]
	s_waitcnt vmcnt(40)
	global_store_dwordx4 v[63:64], v[8:11], off
	v_mov_b32_e32 v11, s27
	v_mov_b32_e32 v24, s26
	s_clause 0x3
	buffer_load_dword v8, v11, s[0:3], 0 offen
	buffer_load_dword v9, v11, s[0:3], 0 offen offset:4
	buffer_load_dword v10, v11, s[0:3], 0 offen offset:8
	;; [unrolled: 1-line block ×3, first 2 shown]
	s_waitcnt vmcnt(40)
	global_store_dwordx4 v[59:60], v[20:23], off
	s_clause 0x3
	buffer_load_dword v20, v24, s[0:3], 0 offen
	buffer_load_dword v21, v24, s[0:3], 0 offen offset:4
	buffer_load_dword v22, v24, s[0:3], 0 offen offset:8
	;; [unrolled: 1-line block ×3, first 2 shown]
	v_mov_b32_e32 v24, s25
	s_clause 0x3
	buffer_load_dword v63, v24, s[0:3], 0 offen
	buffer_load_dword v64, v24, s[0:3], 0 offen offset:4
	buffer_load_dword v65, v24, s[0:3], 0 offen offset:8
	buffer_load_dword v66, v24, s[0:3], 0 offen offset:12
	s_waitcnt vmcnt(44)
	global_store_dwordx4 v[55:56], v[12:15], off
	v_mov_b32_e32 v15, s24
	v_mov_b32_e32 v24, s23
	;; [unrolled: 1-line block ×3, first 2 shown]
	s_waitcnt vmcnt(40)
	global_store_dwordx4 v[49:50], v[16:19], off
	v_mov_b32_e32 v50, s17
	s_waitcnt vmcnt(36)
	global_store_dwordx4 v[41:42], v[75:78], off
	s_waitcnt vmcnt(32)
	global_store_dwordx4 v[37:38], v[103:106], off
	v_mov_b32_e32 v25, s22
	v_mov_b32_e32 v60, s15
	s_clause 0x3
	buffer_load_dword v12, v15, s[0:3], 0 offen
	buffer_load_dword v13, v15, s[0:3], 0 offen offset:4
	buffer_load_dword v14, v15, s[0:3], 0 offen offset:8
	;; [unrolled: 1-line block ×3, first 2 shown]
	v_mov_b32_e32 v55, s20
	v_mov_b32_e32 v49, s18
	;; [unrolled: 1-line block ×3, first 2 shown]
	s_waitcnt vmcnt(32)
	global_store_dwordx4 v[39:40], v[0:3], off
	s_clause 0x7
	buffer_load_dword v0, v24, s[0:3], 0 offen
	buffer_load_dword v1, v24, s[0:3], 0 offen offset:4
	buffer_load_dword v2, v24, s[0:3], 0 offen offset:8
	buffer_load_dword v3, v24, s[0:3], 0 offen offset:12
	buffer_load_dword v16, v25, s[0:3], 0 offen
	buffer_load_dword v17, v25, s[0:3], 0 offen offset:4
	buffer_load_dword v18, v25, s[0:3], 0 offen offset:8
	buffer_load_dword v19, v25, s[0:3], 0 offen offset:12
	s_waitcnt vmcnt(36)
	global_store_dwordx4 v[35:36], v[111:114], off
	s_clause 0x7
	buffer_load_dword v35, v26, s[0:3], 0 offen
	buffer_load_dword v36, v26, s[0:3], 0 offen offset:4
	buffer_load_dword v37, v26, s[0:3], 0 offen offset:8
	buffer_load_dword v38, v26, s[0:3], 0 offen offset:12
	buffer_load_dword v39, v55, s[0:3], 0 offen
	buffer_load_dword v40, v55, s[0:3], 0 offen offset:4
	buffer_load_dword v41, v55, s[0:3], 0 offen offset:8
	buffer_load_dword v42, v55, s[0:3], 0 offen offset:12
	;; [unrolled: 11-line block ×8, first 2 shown]
	buffer_load_dword v115, v120, s[0:3], 0 offen
	buffer_load_dword v116, v120, s[0:3], 0 offen offset:4
	buffer_load_dword v117, v120, s[0:3], 0 offen offset:8
	;; [unrolled: 1-line block ×3, first 2 shown]
	s_waitcnt vmcnt(62)
	global_store_dwordx4 v[47:48], v[12:15], off
	global_store_dwordx4 v[51:52], v[0:3], off
	s_waitcnt vmcnt(60)
	global_store_dwordx4 v[53:54], v[16:19], off
	s_waitcnt vmcnt(56)
	;; [unrolled: 2-line block ×16, first 2 shown]
	global_store_dwordx4 v[99:100], v[115:118], off
.LBB40_643:
	s_endpgm
	.section	.rodata,"a",@progbits
	.p2align	6, 0x0
	.amdhsa_kernel _ZN9rocsolver6v33100L18trti2_kernel_smallILi41E19rocblas_complex_numIdEPS3_EEv13rocblas_fill_17rocblas_diagonal_T1_iil
		.amdhsa_group_segment_fixed_size 1312
		.amdhsa_private_segment_fixed_size 672
		.amdhsa_kernarg_size 32
		.amdhsa_user_sgpr_count 6
		.amdhsa_user_sgpr_private_segment_buffer 1
		.amdhsa_user_sgpr_dispatch_ptr 0
		.amdhsa_user_sgpr_queue_ptr 0
		.amdhsa_user_sgpr_kernarg_segment_ptr 1
		.amdhsa_user_sgpr_dispatch_id 0
		.amdhsa_user_sgpr_flat_scratch_init 0
		.amdhsa_user_sgpr_private_segment_size 0
		.amdhsa_wavefront_size32 1
		.amdhsa_uses_dynamic_stack 0
		.amdhsa_system_sgpr_private_segment_wavefront_offset 1
		.amdhsa_system_sgpr_workgroup_id_x 1
		.amdhsa_system_sgpr_workgroup_id_y 0
		.amdhsa_system_sgpr_workgroup_id_z 0
		.amdhsa_system_sgpr_workgroup_info 0
		.amdhsa_system_vgpr_workitem_id 0
		.amdhsa_next_free_vgpr 121
		.amdhsa_next_free_sgpr 66
		.amdhsa_reserve_vcc 1
		.amdhsa_reserve_flat_scratch 0
		.amdhsa_float_round_mode_32 0
		.amdhsa_float_round_mode_16_64 0
		.amdhsa_float_denorm_mode_32 3
		.amdhsa_float_denorm_mode_16_64 3
		.amdhsa_dx10_clamp 1
		.amdhsa_ieee_mode 1
		.amdhsa_fp16_overflow 0
		.amdhsa_workgroup_processor_mode 1
		.amdhsa_memory_ordered 1
		.amdhsa_forward_progress 1
		.amdhsa_shared_vgpr_count 0
		.amdhsa_exception_fp_ieee_invalid_op 0
		.amdhsa_exception_fp_denorm_src 0
		.amdhsa_exception_fp_ieee_div_zero 0
		.amdhsa_exception_fp_ieee_overflow 0
		.amdhsa_exception_fp_ieee_underflow 0
		.amdhsa_exception_fp_ieee_inexact 0
		.amdhsa_exception_int_div_zero 0
	.end_amdhsa_kernel
	.section	.text._ZN9rocsolver6v33100L18trti2_kernel_smallILi41E19rocblas_complex_numIdEPS3_EEv13rocblas_fill_17rocblas_diagonal_T1_iil,"axG",@progbits,_ZN9rocsolver6v33100L18trti2_kernel_smallILi41E19rocblas_complex_numIdEPS3_EEv13rocblas_fill_17rocblas_diagonal_T1_iil,comdat
.Lfunc_end40:
	.size	_ZN9rocsolver6v33100L18trti2_kernel_smallILi41E19rocblas_complex_numIdEPS3_EEv13rocblas_fill_17rocblas_diagonal_T1_iil, .Lfunc_end40-_ZN9rocsolver6v33100L18trti2_kernel_smallILi41E19rocblas_complex_numIdEPS3_EEv13rocblas_fill_17rocblas_diagonal_T1_iil
                                        ; -- End function
	.set _ZN9rocsolver6v33100L18trti2_kernel_smallILi41E19rocblas_complex_numIdEPS3_EEv13rocblas_fill_17rocblas_diagonal_T1_iil.num_vgpr, 121
	.set _ZN9rocsolver6v33100L18trti2_kernel_smallILi41E19rocblas_complex_numIdEPS3_EEv13rocblas_fill_17rocblas_diagonal_T1_iil.num_agpr, 0
	.set _ZN9rocsolver6v33100L18trti2_kernel_smallILi41E19rocblas_complex_numIdEPS3_EEv13rocblas_fill_17rocblas_diagonal_T1_iil.numbered_sgpr, 66
	.set _ZN9rocsolver6v33100L18trti2_kernel_smallILi41E19rocblas_complex_numIdEPS3_EEv13rocblas_fill_17rocblas_diagonal_T1_iil.num_named_barrier, 0
	.set _ZN9rocsolver6v33100L18trti2_kernel_smallILi41E19rocblas_complex_numIdEPS3_EEv13rocblas_fill_17rocblas_diagonal_T1_iil.private_seg_size, 672
	.set _ZN9rocsolver6v33100L18trti2_kernel_smallILi41E19rocblas_complex_numIdEPS3_EEv13rocblas_fill_17rocblas_diagonal_T1_iil.uses_vcc, 1
	.set _ZN9rocsolver6v33100L18trti2_kernel_smallILi41E19rocblas_complex_numIdEPS3_EEv13rocblas_fill_17rocblas_diagonal_T1_iil.uses_flat_scratch, 0
	.set _ZN9rocsolver6v33100L18trti2_kernel_smallILi41E19rocblas_complex_numIdEPS3_EEv13rocblas_fill_17rocblas_diagonal_T1_iil.has_dyn_sized_stack, 0
	.set _ZN9rocsolver6v33100L18trti2_kernel_smallILi41E19rocblas_complex_numIdEPS3_EEv13rocblas_fill_17rocblas_diagonal_T1_iil.has_recursion, 0
	.set _ZN9rocsolver6v33100L18trti2_kernel_smallILi41E19rocblas_complex_numIdEPS3_EEv13rocblas_fill_17rocblas_diagonal_T1_iil.has_indirect_call, 0
	.section	.AMDGPU.csdata,"",@progbits
; Kernel info:
; codeLenInByte = 41608
; TotalNumSgprs: 68
; NumVgprs: 121
; ScratchSize: 672
; MemoryBound: 0
; FloatMode: 240
; IeeeMode: 1
; LDSByteSize: 1312 bytes/workgroup (compile time only)
; SGPRBlocks: 0
; VGPRBlocks: 15
; NumSGPRsForWavesPerEU: 68
; NumVGPRsForWavesPerEU: 121
; Occupancy: 8
; WaveLimiterHint : 0
; COMPUTE_PGM_RSRC2:SCRATCH_EN: 1
; COMPUTE_PGM_RSRC2:USER_SGPR: 6
; COMPUTE_PGM_RSRC2:TRAP_HANDLER: 0
; COMPUTE_PGM_RSRC2:TGID_X_EN: 1
; COMPUTE_PGM_RSRC2:TGID_Y_EN: 0
; COMPUTE_PGM_RSRC2:TGID_Z_EN: 0
; COMPUTE_PGM_RSRC2:TIDIG_COMP_CNT: 0
	.section	.text._ZN9rocsolver6v33100L18trti2_kernel_smallILi42E19rocblas_complex_numIdEPS3_EEv13rocblas_fill_17rocblas_diagonal_T1_iil,"axG",@progbits,_ZN9rocsolver6v33100L18trti2_kernel_smallILi42E19rocblas_complex_numIdEPS3_EEv13rocblas_fill_17rocblas_diagonal_T1_iil,comdat
	.globl	_ZN9rocsolver6v33100L18trti2_kernel_smallILi42E19rocblas_complex_numIdEPS3_EEv13rocblas_fill_17rocblas_diagonal_T1_iil ; -- Begin function _ZN9rocsolver6v33100L18trti2_kernel_smallILi42E19rocblas_complex_numIdEPS3_EEv13rocblas_fill_17rocblas_diagonal_T1_iil
	.p2align	8
	.type	_ZN9rocsolver6v33100L18trti2_kernel_smallILi42E19rocblas_complex_numIdEPS3_EEv13rocblas_fill_17rocblas_diagonal_T1_iil,@function
_ZN9rocsolver6v33100L18trti2_kernel_smallILi42E19rocblas_complex_numIdEPS3_EEv13rocblas_fill_17rocblas_diagonal_T1_iil: ; @_ZN9rocsolver6v33100L18trti2_kernel_smallILi42E19rocblas_complex_numIdEPS3_EEv13rocblas_fill_17rocblas_diagonal_T1_iil
; %bb.0:
	s_add_u32 s0, s0, s7
	s_addc_u32 s1, s1, 0
	s_mov_b32 s7, exec_lo
	v_cmpx_gt_u32_e32 42, v0
	s_cbranch_execz .LBB41_659
; %bb.1:
	s_load_dwordx8 s[8:15], s[4:5], 0x0
	s_ashr_i32 s4, s6, 31
	v_lshlrev_b32_e32 v95, 4, v0
	s_movk_i32 s16, 0xf0
	s_movk_i32 s17, 0x100
	;; [unrolled: 1-line block ×17, first 2 shown]
	s_waitcnt lgkmcnt(0)
	s_mul_hi_u32 s5, s14, s6
	s_mul_i32 s4, s14, s4
	s_mul_i32 s7, s15, s6
	s_add_i32 s5, s5, s4
	s_mul_i32 s4, s14, s6
	s_add_i32 s5, s5, s7
	s_ashr_i32 s7, s12, 31
	s_lshl_b64 s[4:5], s[4:5], 4
	s_mov_b32 s6, s12
	s_add_u32 s10, s10, s4
	s_addc_u32 s11, s11, s5
	s_lshl_b64 s[4:5], s[6:7], 4
	v_add3_u32 v5, s13, s13, v0
	s_add_u32 s4, s10, s4
	s_addc_u32 s5, s11, s5
	v_add_co_u32 v75, s10, s4, v95
	global_load_dwordx4 v[1:4], v95, s[4:5]
	v_add_nc_u32_e32 v8, s13, v5
	v_ashrrev_i32_e32 v6, 31, v5
	s_mov_b32 s6, s13
	s_ashr_i32 s7, s13, 31
	v_add_co_ci_u32_e64 v76, null, s5, 0, s10
	v_add_nc_u32_e32 v7, s13, v8
	v_lshlrev_b64 v[5:6], 4, v[5:6]
	v_ashrrev_i32_e32 v9, 31, v8
	s_lshl_b64 s[6:7], s[6:7], 4
	s_cmpk_lg_i32 s9, 0x84
	v_add_nc_u32_e32 v11, s13, v7
	v_add_co_u32 v81, vcc_lo, v75, s6
	v_add_co_ci_u32_e64 v82, null, s7, v76, vcc_lo
	v_add_nc_u32_e32 v13, s13, v11
	v_lshlrev_b64 v[9:10], 4, v[8:9]
	v_add_co_u32 v91, vcc_lo, s4, v5
	v_ashrrev_i32_e32 v8, 31, v7
	v_add_nc_u32_e32 v15, s13, v13
	v_add_co_ci_u32_e64 v92, null, s5, v6, vcc_lo
	global_load_dwordx4 v[66:69], v[81:82], off
	v_add_co_u32 v87, vcc_lo, s4, v9
	v_add_nc_u32_e32 v17, s13, v15
	v_lshlrev_b64 v[7:8], 4, v[7:8]
	global_load_dwordx4 v[70:73], v[91:92], off
	v_add_co_ci_u32_e64 v88, null, s5, v10, vcc_lo
	v_add_nc_u32_e32 v19, s13, v17
	v_ashrrev_i32_e32 v12, 31, v11
	v_ashrrev_i32_e32 v14, 31, v13
	global_load_dwordx4 v[96:99], v[87:88], off
	v_ashrrev_i32_e32 v16, 31, v15
	v_add_nc_u32_e32 v21, s13, v19
	v_lshlrev_b64 v[11:12], 4, v[11:12]
	v_ashrrev_i32_e32 v18, 31, v17
	v_ashrrev_i32_e32 v20, 31, v19
	v_lshlrev_b64 v[15:16], 4, v[15:16]
	v_add_nc_u32_e32 v23, s13, v21
	v_ashrrev_i32_e32 v22, 31, v21
	s_movk_i32 s6, 0x70
	v_lshlrev_b64 v[19:20], 4, v[19:20]
	s_movk_i32 s7, 0x80
	v_add_nc_u32_e32 v25, s13, v23
	v_lshlrev_b64 v[21:22], 4, v[21:22]
	v_ashrrev_i32_e32 v24, 31, v23
	s_movk_i32 s10, 0x90
	s_movk_i32 s11, 0xa0
	v_add_nc_u32_e32 v27, s13, v25
	v_ashrrev_i32_e32 v26, 31, v25
	v_lshlrev_b64 v[23:24], 4, v[23:24]
	s_movk_i32 s12, 0xb0
	s_movk_i32 s14, 0xd0
	v_add_nc_u32_e32 v29, s13, v27
	v_lshlrev_b64 v[25:26], 4, v[25:26]
	v_ashrrev_i32_e32 v28, 31, v27
	s_movk_i32 s15, 0xe0
	s_movk_i32 s58, 0x200
	v_add_nc_u32_e32 v31, s13, v29
	v_ashrrev_i32_e32 v30, 31, v29
	s_movk_i32 s59, 0x210
	s_movk_i32 s60, 0x220
	s_movk_i32 s61, 0x230
	v_add_nc_u32_e32 v33, s13, v31
	v_ashrrev_i32_e32 v32, 31, v31
	s_movk_i32 s62, 0x240
	;; [unrolled: 5-line block ×3, first 2 shown]
	s_movk_i32 s66, 0x280
	s_movk_i32 s67, 0x290
	v_add_nc_u32_e32 v37, s13, v35
	v_ashrrev_i32_e32 v36, 31, v35
	s_cselect_b32 s50, -1, 0
	s_cmpk_eq_i32 s9, 0x84
	v_add_nc_u32_e32 v39, s13, v37
	v_ashrrev_i32_e32 v38, 31, v37
	v_add_nc_u32_e32 v41, s13, v39
	v_ashrrev_i32_e32 v40, 31, v39
	v_add_nc_u32_e32 v45, s13, v41
	v_add_nc_u32_e32 v47, s13, v45
	v_ashrrev_i32_e32 v46, 31, v45
	v_add_nc_u32_e32 v49, s13, v47
	v_ashrrev_i32_e32 v48, 31, v47
	;; [unrolled: 2-line block ×9, first 2 shown]
	v_add_nc_u32_e32 v93, s13, v65
	v_add_nc_u32_e32 v100, s13, v93
	v_ashrrev_i32_e32 v94, 31, v93
	v_add_nc_u32_e32 v102, s13, v100
	v_ashrrev_i32_e32 v101, 31, v100
	v_lshlrev_b64 v[93:94], 4, v[93:94]
	v_add_nc_u32_e32 v104, s13, v102
	v_ashrrev_i32_e32 v103, 31, v102
	v_add_nc_u32_e32 v106, s13, v104
	v_ashrrev_i32_e32 v105, 31, v104
	;; [unrolled: 2-line block ×8, first 2 shown]
	s_movk_i32 s13, 0xc0
	v_ashrrev_i32_e32 v43, 31, v42
	v_lshlrev_b64 v[5:6], 4, v[42:43]
	v_lshlrev_b64 v[42:43], 4, v[13:14]
	v_add_co_u32 v9, vcc_lo, s4, v5
	v_add_co_ci_u32_e64 v10, null, s5, v6, vcc_lo
	v_add_co_u32 v89, vcc_lo, s4, v7
	v_add_co_ci_u32_e64 v90, null, s5, v8, vcc_lo
	global_load_dwordx4 v[5:8], v[9:10], off
	v_add_co_u32 v85, vcc_lo, s4, v11
	v_add_co_ci_u32_e64 v86, null, s5, v12, vcc_lo
	v_add_co_u32 v83, vcc_lo, s4, v42
	v_add_co_ci_u32_e64 v84, null, s5, v43, vcc_lo
	v_lshlrev_b64 v[42:43], 4, v[17:18]
	v_add_co_u32 v79, vcc_lo, s4, v15
	v_add_co_ci_u32_e64 v80, null, s5, v16, vcc_lo
	s_waitcnt vmcnt(4)
	buffer_store_dword v4, off, s[0:3], 0 offset:12
	buffer_store_dword v3, off, s[0:3], 0 offset:8
	;; [unrolled: 1-line block ×3, first 2 shown]
	buffer_store_dword v1, off, s[0:3], 0
	global_load_dwordx4 v[1:4], v[89:90], off
	v_add_co_u32 v77, vcc_lo, s4, v42
	v_add_co_ci_u32_e64 v78, null, s5, v43, vcc_lo
	v_ashrrev_i32_e32 v42, 31, v41
	s_waitcnt vmcnt(4)
	buffer_store_dword v69, off, s[0:3], 0 offset:28
	buffer_store_dword v68, off, s[0:3], 0 offset:24
	buffer_store_dword v67, off, s[0:3], 0 offset:20
	buffer_store_dword v66, off, s[0:3], 0 offset:16
	global_load_dwordx4 v[11:14], v[85:86], off
	s_waitcnt vmcnt(4)
	buffer_store_dword v73, off, s[0:3], 0 offset:44
	buffer_store_dword v72, off, s[0:3], 0 offset:40
	buffer_store_dword v71, off, s[0:3], 0 offset:36
	buffer_store_dword v70, off, s[0:3], 0 offset:32
	global_load_dwordx4 v[66:69], v[83:84], off
	;; [unrolled: 6-line block ×3, first 2 shown]
	v_add_co_u32 v71, vcc_lo, s4, v19
	v_add_co_ci_u32_e64 v72, null, s5, v20, vcc_lo
	v_add_co_u32 v73, vcc_lo, s4, v21
	v_add_co_ci_u32_e64 v74, null, s5, v22, vcc_lo
	s_waitcnt vmcnt(3)
	buffer_store_dword v4, off, s[0:3], 0 offset:76
	buffer_store_dword v3, off, s[0:3], 0 offset:72
	;; [unrolled: 1-line block ×4, first 2 shown]
	global_load_dwordx4 v[1:4], v[77:78], off
	s_waitcnt vmcnt(3)
	buffer_store_dword v14, off, s[0:3], 0 offset:92
	buffer_store_dword v13, off, s[0:3], 0 offset:88
	;; [unrolled: 1-line block ×4, first 2 shown]
	global_load_dwordx4 v[11:14], v[71:72], off
	s_waitcnt vmcnt(3)
	buffer_store_dword v69, off, s[0:3], 0 offset:108
	buffer_store_dword v68, off, s[0:3], 0 offset:104
	buffer_store_dword v67, off, s[0:3], 0 offset:100
	buffer_store_dword v66, off, s[0:3], 0 offset:96
	v_add_co_u32 v69, vcc_lo, s4, v23
	global_load_dwordx4 v[19:22], v[73:74], off
	v_add_co_ci_u32_e64 v70, null, s5, v24, vcc_lo
	s_waitcnt vmcnt(3)
	buffer_store_dword v18, off, s[0:3], 0 offset:124
	buffer_store_dword v17, off, s[0:3], 0 offset:120
	;; [unrolled: 1-line block ×4, first 2 shown]
	v_add_co_u32 v67, vcc_lo, s4, v25
	global_load_dwordx4 v[15:18], v[69:70], off
	v_add_co_ci_u32_e64 v68, null, s5, v26, vcc_lo
	v_lshlrev_b64 v[23:24], 4, v[27:28]
	v_lshlrev_b64 v[25:26], 4, v[29:30]
	v_lshlrev_b64 v[27:28], 4, v[37:38]
	v_ashrrev_i32_e32 v66, 31, v65
	s_waitcnt vmcnt(3)
	buffer_store_dword v4, off, s[0:3], 0 offset:140
	buffer_store_dword v3, off, s[0:3], 0 offset:136
	;; [unrolled: 1-line block ×4, first 2 shown]
	global_load_dwordx4 v[1:4], v[67:68], off
	v_add_co_u32 v57, vcc_lo, s4, v23
	v_add_co_ci_u32_e64 v58, null, s5, v24, vcc_lo
	v_lshlrev_b64 v[23:24], 4, v[31:32]
	v_add_co_u32 v43, vcc_lo, s4, v25
	v_add_co_ci_u32_e64 v44, null, s5, v26, vcc_lo
	s_waitcnt vmcnt(3)
	buffer_store_dword v11, off, s[0:3], 0 offset:144
	buffer_store_dword v12, off, s[0:3], 0 offset:148
	;; [unrolled: 1-line block ×4, first 2 shown]
	global_load_dwordx4 v[11:14], v[57:58], off
	s_waitcnt vmcnt(3)
	buffer_store_dword v19, off, s[0:3], 0 offset:160
	buffer_store_dword v20, off, s[0:3], 0 offset:164
	;; [unrolled: 1-line block ×4, first 2 shown]
	v_lshlrev_b64 v[25:26], 4, v[33:34]
	v_add_co_u32 v21, vcc_lo, s4, v23
	global_load_dwordx4 v[29:32], v[43:44], off
	v_add_co_ci_u32_e64 v22, null, s5, v24, vcc_lo
	s_waitcnt vmcnt(3)
	buffer_store_dword v15, off, s[0:3], 0 offset:176
	buffer_store_dword v16, off, s[0:3], 0 offset:180
	;; [unrolled: 1-line block ×4, first 2 shown]
	v_add_co_u32 v15, vcc_lo, s4, v25
	global_load_dwordx4 v[17:20], v[21:22], off
	v_add_co_ci_u32_e64 v16, null, s5, v26, vcc_lo
	v_lshlrev_b64 v[23:24], 4, v[35:36]
	s_waitcnt vmcnt(3)
	buffer_store_dword v4, off, s[0:3], 0 offset:204
	buffer_store_dword v3, off, s[0:3], 0 offset:200
	;; [unrolled: 1-line block ×4, first 2 shown]
	global_load_dwordx4 v[1:4], v[15:16], off
	v_add_co_u32 v25, vcc_lo, s4, v23
	v_add_co_ci_u32_e64 v26, null, s5, v24, vcc_lo
	v_lshlrev_b64 v[23:24], 4, v[39:40]
	v_add_co_u32 v27, vcc_lo, s4, v27
	s_waitcnt vmcnt(3)
	buffer_store_dword v14, off, s[0:3], 0 offset:220
	buffer_store_dword v13, off, s[0:3], 0 offset:216
	;; [unrolled: 1-line block ×4, first 2 shown]
	global_load_dwordx4 v[11:14], v[25:26], off
	v_add_co_ci_u32_e64 v28, null, s5, v28, vcc_lo
	s_waitcnt vmcnt(3)
	buffer_store_dword v32, off, s[0:3], 0 offset:236
	buffer_store_dword v31, off, s[0:3], 0 offset:232
	;; [unrolled: 1-line block ×4, first 2 shown]
	v_lshlrev_b64 v[29:30], 4, v[41:42]
	v_add_co_u32 v23, vcc_lo, s4, v23
	v_add_co_ci_u32_e64 v24, null, s5, v24, vcc_lo
	global_load_dwordx4 v[33:36], v[27:28], off
	s_waitcnt vmcnt(3)
	buffer_store_dword v20, off, s[0:3], 0 offset:252
	buffer_store_dword v19, off, s[0:3], 0 offset:248
	;; [unrolled: 1-line block ×4, first 2 shown]
	v_add_co_u32 v17, vcc_lo, s4, v29
	global_load_dwordx4 v[37:40], v[23:24], off
	v_add_co_ci_u32_e64 v18, null, s5, v30, vcc_lo
	v_lshlrev_b64 v[19:20], 4, v[45:46]
	v_lshlrev_b64 v[31:32], 4, v[47:48]
	;; [unrolled: 1-line block ×3, first 2 shown]
	s_waitcnt vmcnt(3)
	buffer_store_dword v4, off, s[0:3], 0 offset:268
	buffer_store_dword v3, off, s[0:3], 0 offset:264
	buffer_store_dword v2, off, s[0:3], 0 offset:260
	buffer_store_dword v1, off, s[0:3], 0 offset:256
	global_load_dwordx4 v[1:4], v[17:18], off
	v_add_co_u32 v29, vcc_lo, s4, v19
	v_add_co_ci_u32_e64 v30, null, s5, v20, vcc_lo
	v_lshlrev_b64 v[19:20], 4, v[49:50]
	v_add_co_u32 v31, vcc_lo, s4, v31
	s_waitcnt vmcnt(3)
	buffer_store_dword v14, off, s[0:3], 0 offset:284
	buffer_store_dword v13, off, s[0:3], 0 offset:280
	;; [unrolled: 1-line block ×4, first 2 shown]
	v_add_co_ci_u32_e64 v32, null, s5, v32, vcc_lo
	v_lshlrev_b64 v[11:12], 4, v[51:52]
	v_add_co_u32 v13, vcc_lo, s4, v19
	global_load_dwordx4 v[45:48], v[29:30], off
	v_add_co_ci_u32_e64 v14, null, s5, v20, vcc_lo
	s_waitcnt vmcnt(3)
	buffer_store_dword v36, off, s[0:3], 0 offset:300
	buffer_store_dword v35, off, s[0:3], 0 offset:296
	;; [unrolled: 1-line block ×4, first 2 shown]
	global_load_dwordx4 v[96:99], v[31:32], off
	s_waitcnt vmcnt(3)
	buffer_store_dword v40, off, s[0:3], 0 offset:316
	buffer_store_dword v39, off, s[0:3], 0 offset:312
	;; [unrolled: 1-line block ×4, first 2 shown]
	v_add_co_u32 v11, vcc_lo, s4, v11
	global_load_dwordx4 v[37:40], v[13:14], off
	v_add_co_ci_u32_e64 v12, null, s5, v12, vcc_lo
	v_lshlrev_b64 v[19:20], 4, v[53:54]
	v_lshlrev_b64 v[33:34], 4, v[55:56]
	;; [unrolled: 1-line block ×3, first 2 shown]
	s_waitcnt vmcnt(3)
	buffer_store_dword v4, off, s[0:3], 0 offset:332
	buffer_store_dword v3, off, s[0:3], 0 offset:328
	;; [unrolled: 1-line block ×4, first 2 shown]
	global_load_dwordx4 v[1:4], v[11:12], off
	v_add_co_u32 v19, vcc_lo, s4, v19
	v_add_co_ci_u32_e64 v20, null, s5, v20, vcc_lo
	v_add_co_u32 v33, vcc_lo, s4, v33
	s_waitcnt vmcnt(3)
	buffer_store_dword v48, off, s[0:3], 0 offset:348
	buffer_store_dword v47, off, s[0:3], 0 offset:344
	;; [unrolled: 1-line block ×4, first 2 shown]
	v_add_co_ci_u32_e64 v34, null, s5, v34, vcc_lo
	global_load_dwordx4 v[45:48], v[19:20], off
	v_add_co_u32 v35, vcc_lo, s4, v35
	s_waitcnt vmcnt(3)
	buffer_store_dword v99, off, s[0:3], 0 offset:364
	buffer_store_dword v98, off, s[0:3], 0 offset:360
	buffer_store_dword v97, off, s[0:3], 0 offset:356
	buffer_store_dword v96, off, s[0:3], 0 offset:352
	v_add_co_ci_u32_e64 v36, null, s5, v36, vcc_lo
	global_load_dwordx4 v[49:52], v[33:34], off
	s_waitcnt vmcnt(3)
	buffer_store_dword v40, off, s[0:3], 0 offset:380
	buffer_store_dword v39, off, s[0:3], 0 offset:376
	;; [unrolled: 1-line block ×4, first 2 shown]
	v_add_co_u32 v37, vcc_lo, s4, v41
	v_add_co_ci_u32_e64 v38, null, s5, v42, vcc_lo
	global_load_dwordx4 v[53:56], v[35:36], off
	v_lshlrev_b64 v[39:40], 4, v[63:64]
	v_lshlrev_b64 v[41:42], 4, v[65:66]
	s_waitcnt vmcnt(3)
	buffer_store_dword v4, off, s[0:3], 0 offset:396
	buffer_store_dword v3, off, s[0:3], 0 offset:392
	;; [unrolled: 1-line block ×4, first 2 shown]
	global_load_dwordx4 v[1:4], v[37:38], off
	v_add_co_u32 v39, vcc_lo, s4, v39
	v_add_co_ci_u32_e64 v40, null, s5, v40, vcc_lo
	v_add_co_u32 v41, vcc_lo, s4, v41
	s_waitcnt vmcnt(3)
	buffer_store_dword v48, off, s[0:3], 0 offset:412
	buffer_store_dword v47, off, s[0:3], 0 offset:408
	;; [unrolled: 1-line block ×4, first 2 shown]
	v_add_co_ci_u32_e64 v42, null, s5, v42, vcc_lo
	v_lshlrev_b64 v[47:48], 4, v[100:101]
	global_load_dwordx4 v[59:62], v[39:40], off
	v_add_co_u32 v45, vcc_lo, s4, v93
	s_waitcnt vmcnt(3)
	buffer_store_dword v52, off, s[0:3], 0 offset:428
	buffer_store_dword v51, off, s[0:3], 0 offset:424
	;; [unrolled: 1-line block ×4, first 2 shown]
	v_add_co_ci_u32_e64 v46, null, s5, v94, vcc_lo
	global_load_dwordx4 v[63:66], v[41:42], off
	v_add_co_u32 v47, vcc_lo, s4, v47
	s_waitcnt vmcnt(3)
	buffer_store_dword v56, off, s[0:3], 0 offset:444
	buffer_store_dword v55, off, s[0:3], 0 offset:440
	;; [unrolled: 1-line block ×4, first 2 shown]
	v_add_co_ci_u32_e64 v48, null, s5, v48, vcc_lo
	global_load_dwordx4 v[96:99], v[45:46], off
	v_lshlrev_b64 v[49:50], 4, v[102:103]
	v_lshlrev_b64 v[51:52], 4, v[104:105]
	;; [unrolled: 1-line block ×6, first 2 shown]
	v_add_co_u32 v49, vcc_lo, s4, v49
	v_add_co_ci_u32_e64 v50, null, s5, v50, vcc_lo
	v_add_co_u32 v51, vcc_lo, s4, v51
	v_add_co_ci_u32_e64 v52, null, s5, v52, vcc_lo
	;; [unrolled: 2-line block ×4, first 2 shown]
	s_waitcnt vmcnt(3)
	buffer_store_dword v4, off, s[0:3], 0 offset:460
	buffer_store_dword v3, off, s[0:3], 0 offset:456
	buffer_store_dword v2, off, s[0:3], 0 offset:452
	buffer_store_dword v1, off, s[0:3], 0 offset:448
	global_load_dwordx4 v[1:4], v[47:48], off
	s_waitcnt vmcnt(3)
	buffer_store_dword v62, off, s[0:3], 0 offset:476
	buffer_store_dword v61, off, s[0:3], 0 offset:472
	buffer_store_dword v60, off, s[0:3], 0 offset:468
	buffer_store_dword v59, off, s[0:3], 0 offset:464
	global_load_dwordx4 v[100:103], v[49:50], off
	;; [unrolled: 6-line block ×4, first 2 shown]
	v_lshlrev_b64 v[59:60], 4, v[110:111]
	v_lshlrev_b64 v[61:62], 4, v[112:113]
	s_waitcnt vmcnt(3)
	buffer_store_dword v4, off, s[0:3], 0 offset:524
	buffer_store_dword v3, off, s[0:3], 0 offset:520
	;; [unrolled: 1-line block ×4, first 2 shown]
	global_load_dwordx4 v[1:4], v[55:56], off
	v_add_co_u32 v59, vcc_lo, s4, v59
	v_add_co_ci_u32_e64 v60, null, s5, v60, vcc_lo
	v_add_co_u32 v61, vcc_lo, s4, v61
	v_add_co_ci_u32_e64 v62, null, s5, v62, vcc_lo
	s_waitcnt vmcnt(3)
	buffer_store_dword v103, off, s[0:3], 0 offset:540
	buffer_store_dword v102, off, s[0:3], 0 offset:536
	;; [unrolled: 1-line block ×4, first 2 shown]
	s_waitcnt vmcnt(2)
	buffer_store_dword v66, off, s[0:3], 0 offset:556
	buffer_store_dword v65, off, s[0:3], 0 offset:552
	;; [unrolled: 1-line block ×4, first 2 shown]
	s_clause 0x1
	global_load_dwordx4 v[100:103], v[59:60], off
	global_load_dwordx4 v[104:107], v[61:62], off
	v_add_co_u32 v63, vcc_lo, s4, v93
	v_add_co_ci_u32_e64 v64, null, s5, v94, vcc_lo
	v_add_co_u32 v65, vcc_lo, s4, v108
	s_waitcnt vmcnt(3)
	buffer_store_dword v99, off, s[0:3], 0 offset:572
	buffer_store_dword v98, off, s[0:3], 0 offset:568
	;; [unrolled: 1-line block ×4, first 2 shown]
	v_add_co_ci_u32_e64 v66, null, s5, v109, vcc_lo
	global_load_dwordx4 v[96:99], v[63:64], off
	s_movk_i32 s4, 0x50
	s_movk_i32 s5, 0x60
	s_waitcnt vmcnt(3)
	buffer_store_dword v4, off, s[0:3], 0 offset:588
	buffer_store_dword v3, off, s[0:3], 0 offset:584
	;; [unrolled: 1-line block ×4, first 2 shown]
	global_load_dwordx4 v[1:4], v[65:66], off
	s_waitcnt vmcnt(3)
	buffer_store_dword v103, off, s[0:3], 0 offset:604
	buffer_store_dword v102, off, s[0:3], 0 offset:600
	buffer_store_dword v101, off, s[0:3], 0 offset:596
	buffer_store_dword v100, off, s[0:3], 0 offset:592
	s_waitcnt vmcnt(2)
	buffer_store_dword v107, off, s[0:3], 0 offset:620
	buffer_store_dword v106, off, s[0:3], 0 offset:616
	buffer_store_dword v105, off, s[0:3], 0 offset:612
	buffer_store_dword v104, off, s[0:3], 0 offset:608
	;; [unrolled: 5-line block ×4, first 2 shown]
	buffer_store_dword v8, off, s[0:3], 0 offset:668
	buffer_store_dword v7, off, s[0:3], 0 offset:664
	;; [unrolled: 1-line block ×4, first 2 shown]
	s_cbranch_scc1 .LBB41_7
; %bb.2:
	v_lshl_add_u32 v96, v0, 4, 0
                                        ; implicit-def: $vgpr7_vgpr8
                                        ; implicit-def: $vgpr3_vgpr4
	s_clause 0x3
	buffer_load_dword v5, v96, s[0:3], 0 offen
	buffer_load_dword v6, v96, s[0:3], 0 offen offset:4
	buffer_load_dword v93, v96, s[0:3], 0 offen offset:8
	;; [unrolled: 1-line block ×3, first 2 shown]
	s_waitcnt vmcnt(0)
	v_cmp_ngt_f64_e64 s9, |v[5:6]|, |v[93:94]|
	s_and_saveexec_b32 s26, s9
	s_xor_b32 s9, exec_lo, s26
	s_cbranch_execz .LBB41_4
; %bb.3:
	v_div_scale_f64 v[1:2], null, v[93:94], v[93:94], v[5:6]
	v_div_scale_f64 v[97:98], vcc_lo, v[5:6], v[93:94], v[5:6]
	v_rcp_f64_e32 v[3:4], v[1:2]
	v_fma_f64 v[7:8], -v[1:2], v[3:4], 1.0
	v_fma_f64 v[3:4], v[3:4], v[7:8], v[3:4]
	v_fma_f64 v[7:8], -v[1:2], v[3:4], 1.0
	v_fma_f64 v[3:4], v[3:4], v[7:8], v[3:4]
	v_mul_f64 v[7:8], v[97:98], v[3:4]
	v_fma_f64 v[1:2], -v[1:2], v[7:8], v[97:98]
	v_div_fmas_f64 v[1:2], v[1:2], v[3:4], v[7:8]
	v_div_fixup_f64 v[1:2], v[1:2], v[93:94], v[5:6]
	v_fma_f64 v[3:4], v[5:6], v[1:2], v[93:94]
	v_div_scale_f64 v[5:6], null, v[3:4], v[3:4], 1.0
	v_div_scale_f64 v[97:98], vcc_lo, 1.0, v[3:4], 1.0
	v_rcp_f64_e32 v[7:8], v[5:6]
	v_fma_f64 v[93:94], -v[5:6], v[7:8], 1.0
	v_fma_f64 v[7:8], v[7:8], v[93:94], v[7:8]
	v_fma_f64 v[93:94], -v[5:6], v[7:8], 1.0
	v_fma_f64 v[7:8], v[7:8], v[93:94], v[7:8]
	v_mul_f64 v[93:94], v[97:98], v[7:8]
	v_fma_f64 v[5:6], -v[5:6], v[93:94], v[97:98]
	v_div_fmas_f64 v[5:6], v[5:6], v[7:8], v[93:94]
                                        ; implicit-def: $vgpr93_vgpr94
	v_div_fixup_f64 v[3:4], v[5:6], v[3:4], 1.0
                                        ; implicit-def: $vgpr5_vgpr6
	v_mul_f64 v[7:8], v[1:2], v[3:4]
	v_xor_b32_e32 v4, 0x80000000, v4
	v_xor_b32_e32 v2, 0x80000000, v8
	v_mov_b32_e32 v1, v7
.LBB41_4:
	s_andn2_saveexec_b32 s9, s9
	s_cbranch_execz .LBB41_6
; %bb.5:
	v_div_scale_f64 v[1:2], null, v[5:6], v[5:6], v[93:94]
	v_div_scale_f64 v[97:98], vcc_lo, v[93:94], v[5:6], v[93:94]
	v_rcp_f64_e32 v[3:4], v[1:2]
	v_fma_f64 v[7:8], -v[1:2], v[3:4], 1.0
	v_fma_f64 v[3:4], v[3:4], v[7:8], v[3:4]
	v_fma_f64 v[7:8], -v[1:2], v[3:4], 1.0
	v_fma_f64 v[3:4], v[3:4], v[7:8], v[3:4]
	v_mul_f64 v[7:8], v[97:98], v[3:4]
	v_fma_f64 v[1:2], -v[1:2], v[7:8], v[97:98]
	v_div_fmas_f64 v[1:2], v[1:2], v[3:4], v[7:8]
	v_div_fixup_f64 v[1:2], v[1:2], v[5:6], v[93:94]
	v_fma_f64 v[3:4], v[93:94], v[1:2], v[5:6]
	v_div_scale_f64 v[5:6], null, v[3:4], v[3:4], 1.0
	v_rcp_f64_e32 v[7:8], v[5:6]
	v_fma_f64 v[93:94], -v[5:6], v[7:8], 1.0
	v_fma_f64 v[7:8], v[7:8], v[93:94], v[7:8]
	v_fma_f64 v[93:94], -v[5:6], v[7:8], 1.0
	v_fma_f64 v[7:8], v[7:8], v[93:94], v[7:8]
	v_div_scale_f64 v[93:94], vcc_lo, 1.0, v[3:4], 1.0
	v_mul_f64 v[97:98], v[93:94], v[7:8]
	v_fma_f64 v[5:6], -v[5:6], v[97:98], v[93:94]
	v_div_fmas_f64 v[5:6], v[5:6], v[7:8], v[97:98]
	v_div_fixup_f64 v[7:8], v[5:6], v[3:4], 1.0
	v_mul_f64 v[3:4], v[1:2], -v[7:8]
	v_xor_b32_e32 v2, 0x80000000, v8
	v_mov_b32_e32 v1, v7
.LBB41_6:
	s_or_b32 exec_lo, exec_lo, s9
	buffer_store_dword v4, v96, s[0:3], 0 offen offset:12
	v_xor_b32_e32 v4, 0x80000000, v4
	buffer_store_dword v8, v96, s[0:3], 0 offen offset:4
	buffer_store_dword v7, v96, s[0:3], 0 offen
	buffer_store_dword v3, v96, s[0:3], 0 offen offset:8
	s_branch .LBB41_8
.LBB41_7:
	v_mov_b32_e32 v1, 0
	v_mov_b32_e32 v3, 0
	;; [unrolled: 1-line block ×4, first 2 shown]
.LBB41_8:
	v_add_nc_u32_e32 v6, 0x2a0, v95
	v_mov_b32_e32 v5, v95
	s_mov_b32 s49, 16
	s_mov_b32 s48, 32
	;; [unrolled: 1-line block ×40, first 2 shown]
	s_cmpk_eq_i32 s8, 0x79
	ds_write_b128 v95, v[1:4]
	s_cbranch_scc1 .LBB41_332
; %bb.9:
	v_mov_b32_e32 v4, s9
	v_cmp_eq_u32_e64 s4, 41, v0
	s_clause 0x3
	buffer_load_dword v1, v4, s[0:3], 0 offen
	buffer_load_dword v2, v4, s[0:3], 0 offen offset:4
	buffer_load_dword v3, v4, s[0:3], 0 offen offset:8
	buffer_load_dword v4, v4, s[0:3], 0 offen offset:12
	s_waitcnt vmcnt(0)
	ds_write_b128 v6, v[1:4]
	s_waitcnt lgkmcnt(0)
	s_waitcnt_vscnt null, 0x0
	s_barrier
	buffer_gl0_inv
	s_and_saveexec_b32 s5, s4
	s_cbranch_execz .LBB41_13
; %bb.10:
	ds_read_b128 v[1:4], v6
	s_andn2_b32 vcc_lo, exec_lo, s50
	s_cbranch_vccnz .LBB41_12
; %bb.11:
	s_clause 0x3
	buffer_load_dword v7, v5, s[0:3], 0 offen offset:8
	buffer_load_dword v8, v5, s[0:3], 0 offen offset:12
	buffer_load_dword v93, v5, s[0:3], 0 offen
	buffer_load_dword v94, v5, s[0:3], 0 offen offset:4
	s_waitcnt vmcnt(2) lgkmcnt(0)
	v_mul_f64 v[96:97], v[3:4], v[7:8]
	v_mul_f64 v[7:8], v[1:2], v[7:8]
	s_waitcnt vmcnt(0)
	v_fma_f64 v[1:2], v[1:2], v[93:94], -v[96:97]
	v_fma_f64 v[3:4], v[3:4], v[93:94], v[7:8]
.LBB41_12:
	v_mov_b32_e32 v7, 0
	ds_read_b128 v[96:99], v7 offset:640
	s_waitcnt lgkmcnt(0)
	v_mul_f64 v[7:8], v[3:4], v[98:99]
	v_mul_f64 v[93:94], v[1:2], v[98:99]
	v_fma_f64 v[1:2], v[1:2], v[96:97], -v[7:8]
	v_fma_f64 v[3:4], v[3:4], v[96:97], v[93:94]
	buffer_store_dword v2, off, s[0:3], 0 offset:644
	buffer_store_dword v1, off, s[0:3], 0 offset:640
	;; [unrolled: 1-line block ×4, first 2 shown]
.LBB41_13:
	s_or_b32 exec_lo, exec_lo, s5
	v_mov_b32_e32 v4, s10
	v_cmp_lt_u32_e64 s5, 39, v0
	s_clause 0x3
	buffer_load_dword v1, v4, s[0:3], 0 offen
	buffer_load_dword v2, v4, s[0:3], 0 offen offset:4
	buffer_load_dword v3, v4, s[0:3], 0 offen offset:8
	;; [unrolled: 1-line block ×3, first 2 shown]
	s_waitcnt vmcnt(0)
	ds_write_b128 v6, v[1:4]
	s_waitcnt lgkmcnt(0)
	s_waitcnt_vscnt null, 0x0
	s_barrier
	buffer_gl0_inv
	s_and_saveexec_b32 s6, s5
	s_cbranch_execz .LBB41_19
; %bb.14:
	ds_read_b128 v[1:4], v6
	s_andn2_b32 vcc_lo, exec_lo, s50
	s_cbranch_vccnz .LBB41_16
; %bb.15:
	s_clause 0x3
	buffer_load_dword v7, v5, s[0:3], 0 offen offset:8
	buffer_load_dword v8, v5, s[0:3], 0 offen offset:12
	buffer_load_dword v93, v5, s[0:3], 0 offen
	buffer_load_dword v94, v5, s[0:3], 0 offen offset:4
	s_waitcnt vmcnt(2) lgkmcnt(0)
	v_mul_f64 v[96:97], v[3:4], v[7:8]
	v_mul_f64 v[7:8], v[1:2], v[7:8]
	s_waitcnt vmcnt(0)
	v_fma_f64 v[1:2], v[1:2], v[93:94], -v[96:97]
	v_fma_f64 v[3:4], v[3:4], v[93:94], v[7:8]
.LBB41_16:
	s_and_saveexec_b32 s8, s4
	s_cbranch_execz .LBB41_18
; %bb.17:
	s_clause 0x3
	buffer_load_dword v7, off, s[0:3], 0 offset:648
	buffer_load_dword v8, off, s[0:3], 0 offset:652
	;; [unrolled: 1-line block ×4, first 2 shown]
	v_mov_b32_e32 v96, 0
	ds_read_b128 v[96:99], v96 offset:1312
	s_waitcnt vmcnt(2) lgkmcnt(0)
	v_mul_f64 v[100:101], v[96:97], v[7:8]
	v_mul_f64 v[7:8], v[98:99], v[7:8]
	s_waitcnt vmcnt(0)
	v_fma_f64 v[98:99], v[98:99], v[93:94], v[100:101]
	v_fma_f64 v[7:8], v[96:97], v[93:94], -v[7:8]
	v_add_f64 v[3:4], v[3:4], v[98:99]
	v_add_f64 v[1:2], v[1:2], v[7:8]
.LBB41_18:
	s_or_b32 exec_lo, exec_lo, s8
	v_mov_b32_e32 v7, 0
	ds_read_b128 v[96:99], v7 offset:624
	s_waitcnt lgkmcnt(0)
	v_mul_f64 v[7:8], v[3:4], v[98:99]
	v_mul_f64 v[93:94], v[1:2], v[98:99]
	v_fma_f64 v[1:2], v[1:2], v[96:97], -v[7:8]
	v_fma_f64 v[3:4], v[3:4], v[96:97], v[93:94]
	buffer_store_dword v2, off, s[0:3], 0 offset:628
	buffer_store_dword v1, off, s[0:3], 0 offset:624
	;; [unrolled: 1-line block ×4, first 2 shown]
.LBB41_19:
	s_or_b32 exec_lo, exec_lo, s6
	v_mov_b32_e32 v4, s11
	v_cmp_lt_u32_e64 s4, 38, v0
	s_clause 0x3
	buffer_load_dword v1, v4, s[0:3], 0 offen
	buffer_load_dword v2, v4, s[0:3], 0 offen offset:4
	buffer_load_dword v3, v4, s[0:3], 0 offen offset:8
	;; [unrolled: 1-line block ×3, first 2 shown]
	s_waitcnt vmcnt(0)
	ds_write_b128 v6, v[1:4]
	s_waitcnt lgkmcnt(0)
	s_waitcnt_vscnt null, 0x0
	s_barrier
	buffer_gl0_inv
	s_and_saveexec_b32 s6, s4
	s_cbranch_execz .LBB41_27
; %bb.20:
	ds_read_b128 v[1:4], v6
	s_andn2_b32 vcc_lo, exec_lo, s50
	s_cbranch_vccnz .LBB41_22
; %bb.21:
	s_clause 0x3
	buffer_load_dword v7, v5, s[0:3], 0 offen offset:8
	buffer_load_dword v8, v5, s[0:3], 0 offen offset:12
	buffer_load_dword v93, v5, s[0:3], 0 offen
	buffer_load_dword v94, v5, s[0:3], 0 offen offset:4
	s_waitcnt vmcnt(2) lgkmcnt(0)
	v_mul_f64 v[96:97], v[3:4], v[7:8]
	v_mul_f64 v[7:8], v[1:2], v[7:8]
	s_waitcnt vmcnt(0)
	v_fma_f64 v[1:2], v[1:2], v[93:94], -v[96:97]
	v_fma_f64 v[3:4], v[3:4], v[93:94], v[7:8]
.LBB41_22:
	s_and_saveexec_b32 s8, s5
	s_cbranch_execz .LBB41_26
; %bb.23:
	v_subrev_nc_u32_e32 v7, 39, v0
	s_movk_i32 s51, 0x510
	s_mov_b32 s5, 0
	s_mov_b32 s52, s10
	.p2align	6
.LBB41_24:                              ; =>This Inner Loop Header: Depth=1
	v_mov_b32_e32 v8, s52
	v_add_nc_u32_e32 v7, -1, v7
	s_add_i32 s52, s52, 16
	s_clause 0x3
	buffer_load_dword v93, v8, s[0:3], 0 offen offset:8
	buffer_load_dword v94, v8, s[0:3], 0 offen offset:12
	buffer_load_dword v100, v8, s[0:3], 0 offen
	buffer_load_dword v101, v8, s[0:3], 0 offen offset:4
	v_mov_b32_e32 v8, s51
	v_cmp_eq_u32_e32 vcc_lo, 0, v7
	s_add_i32 s51, s51, 16
	ds_read_b128 v[96:99], v8
	s_or_b32 s5, vcc_lo, s5
	s_waitcnt vmcnt(2) lgkmcnt(0)
	v_mul_f64 v[102:103], v[98:99], v[93:94]
	v_mul_f64 v[93:94], v[96:97], v[93:94]
	s_waitcnt vmcnt(0)
	v_fma_f64 v[96:97], v[96:97], v[100:101], -v[102:103]
	v_fma_f64 v[93:94], v[98:99], v[100:101], v[93:94]
	v_add_f64 v[1:2], v[1:2], v[96:97]
	v_add_f64 v[3:4], v[3:4], v[93:94]
	s_andn2_b32 exec_lo, exec_lo, s5
	s_cbranch_execnz .LBB41_24
; %bb.25:
	s_or_b32 exec_lo, exec_lo, s5
.LBB41_26:
	s_or_b32 exec_lo, exec_lo, s8
	v_mov_b32_e32 v7, 0
	ds_read_b128 v[96:99], v7 offset:608
	s_waitcnt lgkmcnt(0)
	v_mul_f64 v[7:8], v[3:4], v[98:99]
	v_mul_f64 v[93:94], v[1:2], v[98:99]
	v_fma_f64 v[1:2], v[1:2], v[96:97], -v[7:8]
	v_fma_f64 v[3:4], v[3:4], v[96:97], v[93:94]
	buffer_store_dword v2, off, s[0:3], 0 offset:612
	buffer_store_dword v1, off, s[0:3], 0 offset:608
	;; [unrolled: 1-line block ×4, first 2 shown]
.LBB41_27:
	s_or_b32 exec_lo, exec_lo, s6
	v_mov_b32_e32 v4, s12
	v_cmp_lt_u32_e64 s5, 37, v0
	s_clause 0x3
	buffer_load_dword v1, v4, s[0:3], 0 offen
	buffer_load_dword v2, v4, s[0:3], 0 offen offset:4
	buffer_load_dword v3, v4, s[0:3], 0 offen offset:8
	;; [unrolled: 1-line block ×3, first 2 shown]
	s_waitcnt vmcnt(0)
	ds_write_b128 v6, v[1:4]
	s_waitcnt lgkmcnt(0)
	s_waitcnt_vscnt null, 0x0
	s_barrier
	buffer_gl0_inv
	s_and_saveexec_b32 s6, s5
	s_cbranch_execz .LBB41_35
; %bb.28:
	ds_read_b128 v[1:4], v6
	s_andn2_b32 vcc_lo, exec_lo, s50
	s_cbranch_vccnz .LBB41_30
; %bb.29:
	s_clause 0x3
	buffer_load_dword v7, v5, s[0:3], 0 offen offset:8
	buffer_load_dword v8, v5, s[0:3], 0 offen offset:12
	buffer_load_dword v93, v5, s[0:3], 0 offen
	buffer_load_dword v94, v5, s[0:3], 0 offen offset:4
	s_waitcnt vmcnt(2) lgkmcnt(0)
	v_mul_f64 v[96:97], v[3:4], v[7:8]
	v_mul_f64 v[7:8], v[1:2], v[7:8]
	s_waitcnt vmcnt(0)
	v_fma_f64 v[1:2], v[1:2], v[93:94], -v[96:97]
	v_fma_f64 v[3:4], v[3:4], v[93:94], v[7:8]
.LBB41_30:
	s_and_saveexec_b32 s8, s4
	s_cbranch_execz .LBB41_34
; %bb.31:
	v_subrev_nc_u32_e32 v7, 38, v0
	s_movk_i32 s51, 0x500
	s_mov_b32 s4, 0
	s_mov_b32 s52, s11
	.p2align	6
.LBB41_32:                              ; =>This Inner Loop Header: Depth=1
	v_mov_b32_e32 v8, s52
	v_add_nc_u32_e32 v7, -1, v7
	s_add_i32 s52, s52, 16
	s_clause 0x3
	buffer_load_dword v93, v8, s[0:3], 0 offen offset:8
	buffer_load_dword v94, v8, s[0:3], 0 offen offset:12
	buffer_load_dword v100, v8, s[0:3], 0 offen
	buffer_load_dword v101, v8, s[0:3], 0 offen offset:4
	v_mov_b32_e32 v8, s51
	v_cmp_eq_u32_e32 vcc_lo, 0, v7
	s_add_i32 s51, s51, 16
	ds_read_b128 v[96:99], v8
	s_or_b32 s4, vcc_lo, s4
	s_waitcnt vmcnt(2) lgkmcnt(0)
	v_mul_f64 v[102:103], v[98:99], v[93:94]
	v_mul_f64 v[93:94], v[96:97], v[93:94]
	s_waitcnt vmcnt(0)
	v_fma_f64 v[96:97], v[96:97], v[100:101], -v[102:103]
	v_fma_f64 v[93:94], v[98:99], v[100:101], v[93:94]
	v_add_f64 v[1:2], v[1:2], v[96:97]
	v_add_f64 v[3:4], v[3:4], v[93:94]
	s_andn2_b32 exec_lo, exec_lo, s4
	s_cbranch_execnz .LBB41_32
; %bb.33:
	s_or_b32 exec_lo, exec_lo, s4
.LBB41_34:
	s_or_b32 exec_lo, exec_lo, s8
	v_mov_b32_e32 v7, 0
	ds_read_b128 v[96:99], v7 offset:592
	s_waitcnt lgkmcnt(0)
	v_mul_f64 v[7:8], v[3:4], v[98:99]
	v_mul_f64 v[93:94], v[1:2], v[98:99]
	v_fma_f64 v[1:2], v[1:2], v[96:97], -v[7:8]
	v_fma_f64 v[3:4], v[3:4], v[96:97], v[93:94]
	buffer_store_dword v2, off, s[0:3], 0 offset:596
	buffer_store_dword v1, off, s[0:3], 0 offset:592
	;; [unrolled: 1-line block ×4, first 2 shown]
.LBB41_35:
	s_or_b32 exec_lo, exec_lo, s6
	v_mov_b32_e32 v4, s13
	v_cmp_lt_u32_e64 s4, 36, v0
	s_clause 0x3
	buffer_load_dword v1, v4, s[0:3], 0 offen
	buffer_load_dword v2, v4, s[0:3], 0 offen offset:4
	buffer_load_dword v3, v4, s[0:3], 0 offen offset:8
	;; [unrolled: 1-line block ×3, first 2 shown]
	s_waitcnt vmcnt(0)
	ds_write_b128 v6, v[1:4]
	s_waitcnt lgkmcnt(0)
	s_waitcnt_vscnt null, 0x0
	s_barrier
	buffer_gl0_inv
	s_and_saveexec_b32 s6, s4
	s_cbranch_execz .LBB41_43
; %bb.36:
	ds_read_b128 v[1:4], v6
	s_andn2_b32 vcc_lo, exec_lo, s50
	s_cbranch_vccnz .LBB41_38
; %bb.37:
	s_clause 0x3
	buffer_load_dword v7, v5, s[0:3], 0 offen offset:8
	buffer_load_dword v8, v5, s[0:3], 0 offen offset:12
	buffer_load_dword v93, v5, s[0:3], 0 offen
	buffer_load_dword v94, v5, s[0:3], 0 offen offset:4
	s_waitcnt vmcnt(2) lgkmcnt(0)
	v_mul_f64 v[96:97], v[3:4], v[7:8]
	v_mul_f64 v[7:8], v[1:2], v[7:8]
	s_waitcnt vmcnt(0)
	v_fma_f64 v[1:2], v[1:2], v[93:94], -v[96:97]
	v_fma_f64 v[3:4], v[3:4], v[93:94], v[7:8]
.LBB41_38:
	s_and_saveexec_b32 s8, s5
	s_cbranch_execz .LBB41_42
; %bb.39:
	v_subrev_nc_u32_e32 v7, 37, v0
	s_movk_i32 s51, 0x4f0
	s_mov_b32 s5, 0
	s_mov_b32 s52, s12
	.p2align	6
.LBB41_40:                              ; =>This Inner Loop Header: Depth=1
	v_mov_b32_e32 v8, s52
	v_add_nc_u32_e32 v7, -1, v7
	s_add_i32 s52, s52, 16
	s_clause 0x3
	buffer_load_dword v93, v8, s[0:3], 0 offen offset:8
	buffer_load_dword v94, v8, s[0:3], 0 offen offset:12
	buffer_load_dword v100, v8, s[0:3], 0 offen
	buffer_load_dword v101, v8, s[0:3], 0 offen offset:4
	v_mov_b32_e32 v8, s51
	v_cmp_eq_u32_e32 vcc_lo, 0, v7
	s_add_i32 s51, s51, 16
	ds_read_b128 v[96:99], v8
	s_or_b32 s5, vcc_lo, s5
	s_waitcnt vmcnt(2) lgkmcnt(0)
	v_mul_f64 v[102:103], v[98:99], v[93:94]
	v_mul_f64 v[93:94], v[96:97], v[93:94]
	s_waitcnt vmcnt(0)
	v_fma_f64 v[96:97], v[96:97], v[100:101], -v[102:103]
	v_fma_f64 v[93:94], v[98:99], v[100:101], v[93:94]
	v_add_f64 v[1:2], v[1:2], v[96:97]
	v_add_f64 v[3:4], v[3:4], v[93:94]
	s_andn2_b32 exec_lo, exec_lo, s5
	s_cbranch_execnz .LBB41_40
; %bb.41:
	s_or_b32 exec_lo, exec_lo, s5
.LBB41_42:
	s_or_b32 exec_lo, exec_lo, s8
	v_mov_b32_e32 v7, 0
	ds_read_b128 v[96:99], v7 offset:576
	s_waitcnt lgkmcnt(0)
	v_mul_f64 v[7:8], v[3:4], v[98:99]
	v_mul_f64 v[93:94], v[1:2], v[98:99]
	v_fma_f64 v[1:2], v[1:2], v[96:97], -v[7:8]
	v_fma_f64 v[3:4], v[3:4], v[96:97], v[93:94]
	buffer_store_dword v2, off, s[0:3], 0 offset:580
	buffer_store_dword v1, off, s[0:3], 0 offset:576
	;; [unrolled: 1-line block ×4, first 2 shown]
.LBB41_43:
	s_or_b32 exec_lo, exec_lo, s6
	v_mov_b32_e32 v4, s14
	v_cmp_lt_u32_e64 s5, 35, v0
	s_clause 0x3
	buffer_load_dword v1, v4, s[0:3], 0 offen
	buffer_load_dword v2, v4, s[0:3], 0 offen offset:4
	buffer_load_dword v3, v4, s[0:3], 0 offen offset:8
	buffer_load_dword v4, v4, s[0:3], 0 offen offset:12
	s_waitcnt vmcnt(0)
	ds_write_b128 v6, v[1:4]
	s_waitcnt lgkmcnt(0)
	s_waitcnt_vscnt null, 0x0
	s_barrier
	buffer_gl0_inv
	s_and_saveexec_b32 s6, s5
	s_cbranch_execz .LBB41_51
; %bb.44:
	ds_read_b128 v[1:4], v6
	s_andn2_b32 vcc_lo, exec_lo, s50
	s_cbranch_vccnz .LBB41_46
; %bb.45:
	s_clause 0x3
	buffer_load_dword v7, v5, s[0:3], 0 offen offset:8
	buffer_load_dword v8, v5, s[0:3], 0 offen offset:12
	buffer_load_dword v93, v5, s[0:3], 0 offen
	buffer_load_dword v94, v5, s[0:3], 0 offen offset:4
	s_waitcnt vmcnt(2) lgkmcnt(0)
	v_mul_f64 v[96:97], v[3:4], v[7:8]
	v_mul_f64 v[7:8], v[1:2], v[7:8]
	s_waitcnt vmcnt(0)
	v_fma_f64 v[1:2], v[1:2], v[93:94], -v[96:97]
	v_fma_f64 v[3:4], v[3:4], v[93:94], v[7:8]
.LBB41_46:
	s_and_saveexec_b32 s8, s4
	s_cbranch_execz .LBB41_50
; %bb.47:
	v_subrev_nc_u32_e32 v7, 36, v0
	s_movk_i32 s51, 0x4e0
	s_mov_b32 s4, 0
	s_mov_b32 s52, s13
	.p2align	6
.LBB41_48:                              ; =>This Inner Loop Header: Depth=1
	v_mov_b32_e32 v8, s52
	v_add_nc_u32_e32 v7, -1, v7
	s_add_i32 s52, s52, 16
	s_clause 0x3
	buffer_load_dword v93, v8, s[0:3], 0 offen offset:8
	buffer_load_dword v94, v8, s[0:3], 0 offen offset:12
	buffer_load_dword v100, v8, s[0:3], 0 offen
	buffer_load_dword v101, v8, s[0:3], 0 offen offset:4
	v_mov_b32_e32 v8, s51
	v_cmp_eq_u32_e32 vcc_lo, 0, v7
	s_add_i32 s51, s51, 16
	ds_read_b128 v[96:99], v8
	s_or_b32 s4, vcc_lo, s4
	s_waitcnt vmcnt(2) lgkmcnt(0)
	v_mul_f64 v[102:103], v[98:99], v[93:94]
	v_mul_f64 v[93:94], v[96:97], v[93:94]
	s_waitcnt vmcnt(0)
	v_fma_f64 v[96:97], v[96:97], v[100:101], -v[102:103]
	v_fma_f64 v[93:94], v[98:99], v[100:101], v[93:94]
	v_add_f64 v[1:2], v[1:2], v[96:97]
	v_add_f64 v[3:4], v[3:4], v[93:94]
	s_andn2_b32 exec_lo, exec_lo, s4
	s_cbranch_execnz .LBB41_48
; %bb.49:
	s_or_b32 exec_lo, exec_lo, s4
.LBB41_50:
	s_or_b32 exec_lo, exec_lo, s8
	v_mov_b32_e32 v7, 0
	ds_read_b128 v[96:99], v7 offset:560
	s_waitcnt lgkmcnt(0)
	v_mul_f64 v[7:8], v[3:4], v[98:99]
	v_mul_f64 v[93:94], v[1:2], v[98:99]
	v_fma_f64 v[1:2], v[1:2], v[96:97], -v[7:8]
	v_fma_f64 v[3:4], v[3:4], v[96:97], v[93:94]
	buffer_store_dword v2, off, s[0:3], 0 offset:564
	buffer_store_dword v1, off, s[0:3], 0 offset:560
	;; [unrolled: 1-line block ×4, first 2 shown]
.LBB41_51:
	s_or_b32 exec_lo, exec_lo, s6
	v_mov_b32_e32 v4, s15
	v_cmp_lt_u32_e64 s4, 34, v0
	s_clause 0x3
	buffer_load_dword v1, v4, s[0:3], 0 offen
	buffer_load_dword v2, v4, s[0:3], 0 offen offset:4
	buffer_load_dword v3, v4, s[0:3], 0 offen offset:8
	;; [unrolled: 1-line block ×3, first 2 shown]
	s_waitcnt vmcnt(0)
	ds_write_b128 v6, v[1:4]
	s_waitcnt lgkmcnt(0)
	s_waitcnt_vscnt null, 0x0
	s_barrier
	buffer_gl0_inv
	s_and_saveexec_b32 s6, s4
	s_cbranch_execz .LBB41_59
; %bb.52:
	ds_read_b128 v[1:4], v6
	s_andn2_b32 vcc_lo, exec_lo, s50
	s_cbranch_vccnz .LBB41_54
; %bb.53:
	s_clause 0x3
	buffer_load_dword v7, v5, s[0:3], 0 offen offset:8
	buffer_load_dword v8, v5, s[0:3], 0 offen offset:12
	buffer_load_dword v93, v5, s[0:3], 0 offen
	buffer_load_dword v94, v5, s[0:3], 0 offen offset:4
	s_waitcnt vmcnt(2) lgkmcnt(0)
	v_mul_f64 v[96:97], v[3:4], v[7:8]
	v_mul_f64 v[7:8], v[1:2], v[7:8]
	s_waitcnt vmcnt(0)
	v_fma_f64 v[1:2], v[1:2], v[93:94], -v[96:97]
	v_fma_f64 v[3:4], v[3:4], v[93:94], v[7:8]
.LBB41_54:
	s_and_saveexec_b32 s8, s5
	s_cbranch_execz .LBB41_58
; %bb.55:
	v_subrev_nc_u32_e32 v7, 35, v0
	s_movk_i32 s51, 0x4d0
	s_mov_b32 s5, 0
	s_mov_b32 s52, s14
	.p2align	6
.LBB41_56:                              ; =>This Inner Loop Header: Depth=1
	v_mov_b32_e32 v8, s52
	v_add_nc_u32_e32 v7, -1, v7
	s_add_i32 s52, s52, 16
	s_clause 0x3
	buffer_load_dword v93, v8, s[0:3], 0 offen offset:8
	buffer_load_dword v94, v8, s[0:3], 0 offen offset:12
	buffer_load_dword v100, v8, s[0:3], 0 offen
	buffer_load_dword v101, v8, s[0:3], 0 offen offset:4
	v_mov_b32_e32 v8, s51
	v_cmp_eq_u32_e32 vcc_lo, 0, v7
	s_add_i32 s51, s51, 16
	ds_read_b128 v[96:99], v8
	s_or_b32 s5, vcc_lo, s5
	s_waitcnt vmcnt(2) lgkmcnt(0)
	v_mul_f64 v[102:103], v[98:99], v[93:94]
	v_mul_f64 v[93:94], v[96:97], v[93:94]
	s_waitcnt vmcnt(0)
	v_fma_f64 v[96:97], v[96:97], v[100:101], -v[102:103]
	v_fma_f64 v[93:94], v[98:99], v[100:101], v[93:94]
	v_add_f64 v[1:2], v[1:2], v[96:97]
	v_add_f64 v[3:4], v[3:4], v[93:94]
	s_andn2_b32 exec_lo, exec_lo, s5
	s_cbranch_execnz .LBB41_56
; %bb.57:
	s_or_b32 exec_lo, exec_lo, s5
.LBB41_58:
	s_or_b32 exec_lo, exec_lo, s8
	v_mov_b32_e32 v7, 0
	ds_read_b128 v[96:99], v7 offset:544
	s_waitcnt lgkmcnt(0)
	v_mul_f64 v[7:8], v[3:4], v[98:99]
	v_mul_f64 v[93:94], v[1:2], v[98:99]
	v_fma_f64 v[1:2], v[1:2], v[96:97], -v[7:8]
	v_fma_f64 v[3:4], v[3:4], v[96:97], v[93:94]
	buffer_store_dword v2, off, s[0:3], 0 offset:548
	buffer_store_dword v1, off, s[0:3], 0 offset:544
	;; [unrolled: 1-line block ×4, first 2 shown]
.LBB41_59:
	s_or_b32 exec_lo, exec_lo, s6
	v_mov_b32_e32 v4, s16
	v_cmp_lt_u32_e64 s5, 33, v0
	s_clause 0x3
	buffer_load_dword v1, v4, s[0:3], 0 offen
	buffer_load_dword v2, v4, s[0:3], 0 offen offset:4
	buffer_load_dword v3, v4, s[0:3], 0 offen offset:8
	buffer_load_dword v4, v4, s[0:3], 0 offen offset:12
	s_waitcnt vmcnt(0)
	ds_write_b128 v6, v[1:4]
	s_waitcnt lgkmcnt(0)
	s_waitcnt_vscnt null, 0x0
	s_barrier
	buffer_gl0_inv
	s_and_saveexec_b32 s6, s5
	s_cbranch_execz .LBB41_67
; %bb.60:
	ds_read_b128 v[1:4], v6
	s_andn2_b32 vcc_lo, exec_lo, s50
	s_cbranch_vccnz .LBB41_62
; %bb.61:
	s_clause 0x3
	buffer_load_dword v7, v5, s[0:3], 0 offen offset:8
	buffer_load_dword v8, v5, s[0:3], 0 offen offset:12
	buffer_load_dword v93, v5, s[0:3], 0 offen
	buffer_load_dword v94, v5, s[0:3], 0 offen offset:4
	s_waitcnt vmcnt(2) lgkmcnt(0)
	v_mul_f64 v[96:97], v[3:4], v[7:8]
	v_mul_f64 v[7:8], v[1:2], v[7:8]
	s_waitcnt vmcnt(0)
	v_fma_f64 v[1:2], v[1:2], v[93:94], -v[96:97]
	v_fma_f64 v[3:4], v[3:4], v[93:94], v[7:8]
.LBB41_62:
	s_and_saveexec_b32 s8, s4
	s_cbranch_execz .LBB41_66
; %bb.63:
	v_subrev_nc_u32_e32 v7, 34, v0
	s_movk_i32 s51, 0x4c0
	s_mov_b32 s4, 0
	s_mov_b32 s52, s15
	.p2align	6
.LBB41_64:                              ; =>This Inner Loop Header: Depth=1
	v_mov_b32_e32 v8, s52
	v_add_nc_u32_e32 v7, -1, v7
	s_add_i32 s52, s52, 16
	s_clause 0x3
	buffer_load_dword v93, v8, s[0:3], 0 offen offset:8
	buffer_load_dword v94, v8, s[0:3], 0 offen offset:12
	buffer_load_dword v100, v8, s[0:3], 0 offen
	buffer_load_dword v101, v8, s[0:3], 0 offen offset:4
	v_mov_b32_e32 v8, s51
	v_cmp_eq_u32_e32 vcc_lo, 0, v7
	s_add_i32 s51, s51, 16
	ds_read_b128 v[96:99], v8
	s_or_b32 s4, vcc_lo, s4
	s_waitcnt vmcnt(2) lgkmcnt(0)
	v_mul_f64 v[102:103], v[98:99], v[93:94]
	v_mul_f64 v[93:94], v[96:97], v[93:94]
	s_waitcnt vmcnt(0)
	v_fma_f64 v[96:97], v[96:97], v[100:101], -v[102:103]
	v_fma_f64 v[93:94], v[98:99], v[100:101], v[93:94]
	v_add_f64 v[1:2], v[1:2], v[96:97]
	v_add_f64 v[3:4], v[3:4], v[93:94]
	s_andn2_b32 exec_lo, exec_lo, s4
	s_cbranch_execnz .LBB41_64
; %bb.65:
	s_or_b32 exec_lo, exec_lo, s4
.LBB41_66:
	s_or_b32 exec_lo, exec_lo, s8
	v_mov_b32_e32 v7, 0
	ds_read_b128 v[96:99], v7 offset:528
	s_waitcnt lgkmcnt(0)
	v_mul_f64 v[7:8], v[3:4], v[98:99]
	v_mul_f64 v[93:94], v[1:2], v[98:99]
	v_fma_f64 v[1:2], v[1:2], v[96:97], -v[7:8]
	v_fma_f64 v[3:4], v[3:4], v[96:97], v[93:94]
	buffer_store_dword v2, off, s[0:3], 0 offset:532
	buffer_store_dword v1, off, s[0:3], 0 offset:528
	;; [unrolled: 1-line block ×4, first 2 shown]
.LBB41_67:
	s_or_b32 exec_lo, exec_lo, s6
	v_mov_b32_e32 v4, s17
	v_cmp_lt_u32_e64 s4, 32, v0
	s_clause 0x3
	buffer_load_dword v1, v4, s[0:3], 0 offen
	buffer_load_dword v2, v4, s[0:3], 0 offen offset:4
	buffer_load_dword v3, v4, s[0:3], 0 offen offset:8
	;; [unrolled: 1-line block ×3, first 2 shown]
	s_waitcnt vmcnt(0)
	ds_write_b128 v6, v[1:4]
	s_waitcnt lgkmcnt(0)
	s_waitcnt_vscnt null, 0x0
	s_barrier
	buffer_gl0_inv
	s_and_saveexec_b32 s6, s4
	s_cbranch_execz .LBB41_75
; %bb.68:
	ds_read_b128 v[1:4], v6
	s_andn2_b32 vcc_lo, exec_lo, s50
	s_cbranch_vccnz .LBB41_70
; %bb.69:
	s_clause 0x3
	buffer_load_dword v7, v5, s[0:3], 0 offen offset:8
	buffer_load_dword v8, v5, s[0:3], 0 offen offset:12
	buffer_load_dword v93, v5, s[0:3], 0 offen
	buffer_load_dword v94, v5, s[0:3], 0 offen offset:4
	s_waitcnt vmcnt(2) lgkmcnt(0)
	v_mul_f64 v[96:97], v[3:4], v[7:8]
	v_mul_f64 v[7:8], v[1:2], v[7:8]
	s_waitcnt vmcnt(0)
	v_fma_f64 v[1:2], v[1:2], v[93:94], -v[96:97]
	v_fma_f64 v[3:4], v[3:4], v[93:94], v[7:8]
.LBB41_70:
	s_and_saveexec_b32 s8, s5
	s_cbranch_execz .LBB41_74
; %bb.71:
	v_subrev_nc_u32_e32 v7, 33, v0
	s_movk_i32 s51, 0x4b0
	s_mov_b32 s5, 0
	s_mov_b32 s52, s16
	.p2align	6
.LBB41_72:                              ; =>This Inner Loop Header: Depth=1
	v_mov_b32_e32 v8, s52
	v_add_nc_u32_e32 v7, -1, v7
	s_add_i32 s52, s52, 16
	s_clause 0x3
	buffer_load_dword v93, v8, s[0:3], 0 offen offset:8
	buffer_load_dword v94, v8, s[0:3], 0 offen offset:12
	buffer_load_dword v100, v8, s[0:3], 0 offen
	buffer_load_dword v101, v8, s[0:3], 0 offen offset:4
	v_mov_b32_e32 v8, s51
	v_cmp_eq_u32_e32 vcc_lo, 0, v7
	s_add_i32 s51, s51, 16
	ds_read_b128 v[96:99], v8
	s_or_b32 s5, vcc_lo, s5
	s_waitcnt vmcnt(2) lgkmcnt(0)
	v_mul_f64 v[102:103], v[98:99], v[93:94]
	v_mul_f64 v[93:94], v[96:97], v[93:94]
	s_waitcnt vmcnt(0)
	v_fma_f64 v[96:97], v[96:97], v[100:101], -v[102:103]
	v_fma_f64 v[93:94], v[98:99], v[100:101], v[93:94]
	v_add_f64 v[1:2], v[1:2], v[96:97]
	v_add_f64 v[3:4], v[3:4], v[93:94]
	s_andn2_b32 exec_lo, exec_lo, s5
	s_cbranch_execnz .LBB41_72
; %bb.73:
	s_or_b32 exec_lo, exec_lo, s5
.LBB41_74:
	s_or_b32 exec_lo, exec_lo, s8
	v_mov_b32_e32 v7, 0
	ds_read_b128 v[96:99], v7 offset:512
	s_waitcnt lgkmcnt(0)
	v_mul_f64 v[7:8], v[3:4], v[98:99]
	v_mul_f64 v[93:94], v[1:2], v[98:99]
	v_fma_f64 v[1:2], v[1:2], v[96:97], -v[7:8]
	v_fma_f64 v[3:4], v[3:4], v[96:97], v[93:94]
	buffer_store_dword v2, off, s[0:3], 0 offset:516
	buffer_store_dword v1, off, s[0:3], 0 offset:512
	;; [unrolled: 1-line block ×4, first 2 shown]
.LBB41_75:
	s_or_b32 exec_lo, exec_lo, s6
	v_mov_b32_e32 v4, s18
	v_cmp_lt_u32_e64 s5, 31, v0
	s_clause 0x3
	buffer_load_dword v1, v4, s[0:3], 0 offen
	buffer_load_dword v2, v4, s[0:3], 0 offen offset:4
	buffer_load_dword v3, v4, s[0:3], 0 offen offset:8
	;; [unrolled: 1-line block ×3, first 2 shown]
	s_waitcnt vmcnt(0)
	ds_write_b128 v6, v[1:4]
	s_waitcnt lgkmcnt(0)
	s_waitcnt_vscnt null, 0x0
	s_barrier
	buffer_gl0_inv
	s_and_saveexec_b32 s6, s5
	s_cbranch_execz .LBB41_83
; %bb.76:
	ds_read_b128 v[1:4], v6
	s_andn2_b32 vcc_lo, exec_lo, s50
	s_cbranch_vccnz .LBB41_78
; %bb.77:
	s_clause 0x3
	buffer_load_dword v7, v5, s[0:3], 0 offen offset:8
	buffer_load_dword v8, v5, s[0:3], 0 offen offset:12
	buffer_load_dword v93, v5, s[0:3], 0 offen
	buffer_load_dword v94, v5, s[0:3], 0 offen offset:4
	s_waitcnt vmcnt(2) lgkmcnt(0)
	v_mul_f64 v[96:97], v[3:4], v[7:8]
	v_mul_f64 v[7:8], v[1:2], v[7:8]
	s_waitcnt vmcnt(0)
	v_fma_f64 v[1:2], v[1:2], v[93:94], -v[96:97]
	v_fma_f64 v[3:4], v[3:4], v[93:94], v[7:8]
.LBB41_78:
	s_and_saveexec_b32 s8, s4
	s_cbranch_execz .LBB41_82
; %bb.79:
	v_subrev_nc_u32_e32 v7, 32, v0
	s_movk_i32 s51, 0x4a0
	s_mov_b32 s4, 0
	s_mov_b32 s52, s17
	.p2align	6
.LBB41_80:                              ; =>This Inner Loop Header: Depth=1
	v_mov_b32_e32 v8, s52
	v_add_nc_u32_e32 v7, -1, v7
	s_add_i32 s52, s52, 16
	s_clause 0x3
	buffer_load_dword v93, v8, s[0:3], 0 offen offset:8
	buffer_load_dword v94, v8, s[0:3], 0 offen offset:12
	buffer_load_dword v100, v8, s[0:3], 0 offen
	buffer_load_dword v101, v8, s[0:3], 0 offen offset:4
	v_mov_b32_e32 v8, s51
	v_cmp_eq_u32_e32 vcc_lo, 0, v7
	s_add_i32 s51, s51, 16
	ds_read_b128 v[96:99], v8
	s_or_b32 s4, vcc_lo, s4
	s_waitcnt vmcnt(2) lgkmcnt(0)
	v_mul_f64 v[102:103], v[98:99], v[93:94]
	v_mul_f64 v[93:94], v[96:97], v[93:94]
	s_waitcnt vmcnt(0)
	v_fma_f64 v[96:97], v[96:97], v[100:101], -v[102:103]
	v_fma_f64 v[93:94], v[98:99], v[100:101], v[93:94]
	v_add_f64 v[1:2], v[1:2], v[96:97]
	v_add_f64 v[3:4], v[3:4], v[93:94]
	s_andn2_b32 exec_lo, exec_lo, s4
	s_cbranch_execnz .LBB41_80
; %bb.81:
	s_or_b32 exec_lo, exec_lo, s4
.LBB41_82:
	s_or_b32 exec_lo, exec_lo, s8
	v_mov_b32_e32 v7, 0
	ds_read_b128 v[96:99], v7 offset:496
	s_waitcnt lgkmcnt(0)
	v_mul_f64 v[7:8], v[3:4], v[98:99]
	v_mul_f64 v[93:94], v[1:2], v[98:99]
	v_fma_f64 v[1:2], v[1:2], v[96:97], -v[7:8]
	v_fma_f64 v[3:4], v[3:4], v[96:97], v[93:94]
	buffer_store_dword v2, off, s[0:3], 0 offset:500
	buffer_store_dword v1, off, s[0:3], 0 offset:496
	;; [unrolled: 1-line block ×4, first 2 shown]
.LBB41_83:
	s_or_b32 exec_lo, exec_lo, s6
	v_mov_b32_e32 v4, s19
	v_cmp_lt_u32_e64 s4, 30, v0
	s_clause 0x3
	buffer_load_dword v1, v4, s[0:3], 0 offen
	buffer_load_dword v2, v4, s[0:3], 0 offen offset:4
	buffer_load_dword v3, v4, s[0:3], 0 offen offset:8
	;; [unrolled: 1-line block ×3, first 2 shown]
	s_waitcnt vmcnt(0)
	ds_write_b128 v6, v[1:4]
	s_waitcnt lgkmcnt(0)
	s_waitcnt_vscnt null, 0x0
	s_barrier
	buffer_gl0_inv
	s_and_saveexec_b32 s6, s4
	s_cbranch_execz .LBB41_91
; %bb.84:
	ds_read_b128 v[1:4], v6
	s_andn2_b32 vcc_lo, exec_lo, s50
	s_cbranch_vccnz .LBB41_86
; %bb.85:
	s_clause 0x3
	buffer_load_dword v7, v5, s[0:3], 0 offen offset:8
	buffer_load_dword v8, v5, s[0:3], 0 offen offset:12
	buffer_load_dword v93, v5, s[0:3], 0 offen
	buffer_load_dword v94, v5, s[0:3], 0 offen offset:4
	s_waitcnt vmcnt(2) lgkmcnt(0)
	v_mul_f64 v[96:97], v[3:4], v[7:8]
	v_mul_f64 v[7:8], v[1:2], v[7:8]
	s_waitcnt vmcnt(0)
	v_fma_f64 v[1:2], v[1:2], v[93:94], -v[96:97]
	v_fma_f64 v[3:4], v[3:4], v[93:94], v[7:8]
.LBB41_86:
	s_and_saveexec_b32 s8, s5
	s_cbranch_execz .LBB41_90
; %bb.87:
	v_subrev_nc_u32_e32 v7, 31, v0
	s_movk_i32 s51, 0x490
	s_mov_b32 s5, 0
	s_mov_b32 s52, s18
	.p2align	6
.LBB41_88:                              ; =>This Inner Loop Header: Depth=1
	v_mov_b32_e32 v8, s52
	v_add_nc_u32_e32 v7, -1, v7
	s_add_i32 s52, s52, 16
	s_clause 0x3
	buffer_load_dword v93, v8, s[0:3], 0 offen offset:8
	buffer_load_dword v94, v8, s[0:3], 0 offen offset:12
	buffer_load_dword v100, v8, s[0:3], 0 offen
	buffer_load_dword v101, v8, s[0:3], 0 offen offset:4
	v_mov_b32_e32 v8, s51
	v_cmp_eq_u32_e32 vcc_lo, 0, v7
	s_add_i32 s51, s51, 16
	ds_read_b128 v[96:99], v8
	s_or_b32 s5, vcc_lo, s5
	s_waitcnt vmcnt(2) lgkmcnt(0)
	v_mul_f64 v[102:103], v[98:99], v[93:94]
	v_mul_f64 v[93:94], v[96:97], v[93:94]
	s_waitcnt vmcnt(0)
	v_fma_f64 v[96:97], v[96:97], v[100:101], -v[102:103]
	v_fma_f64 v[93:94], v[98:99], v[100:101], v[93:94]
	v_add_f64 v[1:2], v[1:2], v[96:97]
	v_add_f64 v[3:4], v[3:4], v[93:94]
	s_andn2_b32 exec_lo, exec_lo, s5
	s_cbranch_execnz .LBB41_88
; %bb.89:
	s_or_b32 exec_lo, exec_lo, s5
.LBB41_90:
	s_or_b32 exec_lo, exec_lo, s8
	v_mov_b32_e32 v7, 0
	ds_read_b128 v[96:99], v7 offset:480
	s_waitcnt lgkmcnt(0)
	v_mul_f64 v[7:8], v[3:4], v[98:99]
	v_mul_f64 v[93:94], v[1:2], v[98:99]
	v_fma_f64 v[1:2], v[1:2], v[96:97], -v[7:8]
	v_fma_f64 v[3:4], v[3:4], v[96:97], v[93:94]
	buffer_store_dword v2, off, s[0:3], 0 offset:484
	buffer_store_dword v1, off, s[0:3], 0 offset:480
	;; [unrolled: 1-line block ×4, first 2 shown]
.LBB41_91:
	s_or_b32 exec_lo, exec_lo, s6
	v_mov_b32_e32 v4, s20
	v_cmp_lt_u32_e64 s5, 29, v0
	s_clause 0x3
	buffer_load_dword v1, v4, s[0:3], 0 offen
	buffer_load_dword v2, v4, s[0:3], 0 offen offset:4
	buffer_load_dword v3, v4, s[0:3], 0 offen offset:8
	;; [unrolled: 1-line block ×3, first 2 shown]
	s_waitcnt vmcnt(0)
	ds_write_b128 v6, v[1:4]
	s_waitcnt lgkmcnt(0)
	s_waitcnt_vscnt null, 0x0
	s_barrier
	buffer_gl0_inv
	s_and_saveexec_b32 s6, s5
	s_cbranch_execz .LBB41_99
; %bb.92:
	ds_read_b128 v[1:4], v6
	s_andn2_b32 vcc_lo, exec_lo, s50
	s_cbranch_vccnz .LBB41_94
; %bb.93:
	s_clause 0x3
	buffer_load_dword v7, v5, s[0:3], 0 offen offset:8
	buffer_load_dword v8, v5, s[0:3], 0 offen offset:12
	buffer_load_dword v93, v5, s[0:3], 0 offen
	buffer_load_dword v94, v5, s[0:3], 0 offen offset:4
	s_waitcnt vmcnt(2) lgkmcnt(0)
	v_mul_f64 v[96:97], v[3:4], v[7:8]
	v_mul_f64 v[7:8], v[1:2], v[7:8]
	s_waitcnt vmcnt(0)
	v_fma_f64 v[1:2], v[1:2], v[93:94], -v[96:97]
	v_fma_f64 v[3:4], v[3:4], v[93:94], v[7:8]
.LBB41_94:
	s_and_saveexec_b32 s8, s4
	s_cbranch_execz .LBB41_98
; %bb.95:
	v_subrev_nc_u32_e32 v7, 30, v0
	s_movk_i32 s51, 0x480
	s_mov_b32 s4, 0
	s_mov_b32 s52, s19
	.p2align	6
.LBB41_96:                              ; =>This Inner Loop Header: Depth=1
	v_mov_b32_e32 v8, s52
	v_add_nc_u32_e32 v7, -1, v7
	s_add_i32 s52, s52, 16
	s_clause 0x3
	buffer_load_dword v93, v8, s[0:3], 0 offen offset:8
	buffer_load_dword v94, v8, s[0:3], 0 offen offset:12
	buffer_load_dword v100, v8, s[0:3], 0 offen
	buffer_load_dword v101, v8, s[0:3], 0 offen offset:4
	v_mov_b32_e32 v8, s51
	v_cmp_eq_u32_e32 vcc_lo, 0, v7
	s_add_i32 s51, s51, 16
	ds_read_b128 v[96:99], v8
	s_or_b32 s4, vcc_lo, s4
	s_waitcnt vmcnt(2) lgkmcnt(0)
	v_mul_f64 v[102:103], v[98:99], v[93:94]
	v_mul_f64 v[93:94], v[96:97], v[93:94]
	s_waitcnt vmcnt(0)
	v_fma_f64 v[96:97], v[96:97], v[100:101], -v[102:103]
	v_fma_f64 v[93:94], v[98:99], v[100:101], v[93:94]
	v_add_f64 v[1:2], v[1:2], v[96:97]
	v_add_f64 v[3:4], v[3:4], v[93:94]
	s_andn2_b32 exec_lo, exec_lo, s4
	s_cbranch_execnz .LBB41_96
; %bb.97:
	s_or_b32 exec_lo, exec_lo, s4
.LBB41_98:
	s_or_b32 exec_lo, exec_lo, s8
	v_mov_b32_e32 v7, 0
	ds_read_b128 v[96:99], v7 offset:464
	s_waitcnt lgkmcnt(0)
	v_mul_f64 v[7:8], v[3:4], v[98:99]
	v_mul_f64 v[93:94], v[1:2], v[98:99]
	v_fma_f64 v[1:2], v[1:2], v[96:97], -v[7:8]
	v_fma_f64 v[3:4], v[3:4], v[96:97], v[93:94]
	buffer_store_dword v2, off, s[0:3], 0 offset:468
	buffer_store_dword v1, off, s[0:3], 0 offset:464
	;; [unrolled: 1-line block ×4, first 2 shown]
.LBB41_99:
	s_or_b32 exec_lo, exec_lo, s6
	v_mov_b32_e32 v4, s21
	v_cmp_lt_u32_e64 s4, 28, v0
	s_clause 0x3
	buffer_load_dword v1, v4, s[0:3], 0 offen
	buffer_load_dword v2, v4, s[0:3], 0 offen offset:4
	buffer_load_dword v3, v4, s[0:3], 0 offen offset:8
	buffer_load_dword v4, v4, s[0:3], 0 offen offset:12
	s_waitcnt vmcnt(0)
	ds_write_b128 v6, v[1:4]
	s_waitcnt lgkmcnt(0)
	s_waitcnt_vscnt null, 0x0
	s_barrier
	buffer_gl0_inv
	s_and_saveexec_b32 s6, s4
	s_cbranch_execz .LBB41_107
; %bb.100:
	ds_read_b128 v[1:4], v6
	s_andn2_b32 vcc_lo, exec_lo, s50
	s_cbranch_vccnz .LBB41_102
; %bb.101:
	s_clause 0x3
	buffer_load_dword v7, v5, s[0:3], 0 offen offset:8
	buffer_load_dword v8, v5, s[0:3], 0 offen offset:12
	buffer_load_dword v93, v5, s[0:3], 0 offen
	buffer_load_dword v94, v5, s[0:3], 0 offen offset:4
	s_waitcnt vmcnt(2) lgkmcnt(0)
	v_mul_f64 v[96:97], v[3:4], v[7:8]
	v_mul_f64 v[7:8], v[1:2], v[7:8]
	s_waitcnt vmcnt(0)
	v_fma_f64 v[1:2], v[1:2], v[93:94], -v[96:97]
	v_fma_f64 v[3:4], v[3:4], v[93:94], v[7:8]
.LBB41_102:
	s_and_saveexec_b32 s8, s5
	s_cbranch_execz .LBB41_106
; %bb.103:
	v_subrev_nc_u32_e32 v7, 29, v0
	s_movk_i32 s51, 0x470
	s_mov_b32 s5, 0
	s_mov_b32 s52, s20
	.p2align	6
.LBB41_104:                             ; =>This Inner Loop Header: Depth=1
	v_mov_b32_e32 v8, s52
	v_add_nc_u32_e32 v7, -1, v7
	s_add_i32 s52, s52, 16
	s_clause 0x3
	buffer_load_dword v93, v8, s[0:3], 0 offen offset:8
	buffer_load_dword v94, v8, s[0:3], 0 offen offset:12
	buffer_load_dword v100, v8, s[0:3], 0 offen
	buffer_load_dword v101, v8, s[0:3], 0 offen offset:4
	v_mov_b32_e32 v8, s51
	v_cmp_eq_u32_e32 vcc_lo, 0, v7
	s_add_i32 s51, s51, 16
	ds_read_b128 v[96:99], v8
	s_or_b32 s5, vcc_lo, s5
	s_waitcnt vmcnt(2) lgkmcnt(0)
	v_mul_f64 v[102:103], v[98:99], v[93:94]
	v_mul_f64 v[93:94], v[96:97], v[93:94]
	s_waitcnt vmcnt(0)
	v_fma_f64 v[96:97], v[96:97], v[100:101], -v[102:103]
	v_fma_f64 v[93:94], v[98:99], v[100:101], v[93:94]
	v_add_f64 v[1:2], v[1:2], v[96:97]
	v_add_f64 v[3:4], v[3:4], v[93:94]
	s_andn2_b32 exec_lo, exec_lo, s5
	s_cbranch_execnz .LBB41_104
; %bb.105:
	s_or_b32 exec_lo, exec_lo, s5
.LBB41_106:
	s_or_b32 exec_lo, exec_lo, s8
	v_mov_b32_e32 v7, 0
	ds_read_b128 v[96:99], v7 offset:448
	s_waitcnt lgkmcnt(0)
	v_mul_f64 v[7:8], v[3:4], v[98:99]
	v_mul_f64 v[93:94], v[1:2], v[98:99]
	v_fma_f64 v[1:2], v[1:2], v[96:97], -v[7:8]
	v_fma_f64 v[3:4], v[3:4], v[96:97], v[93:94]
	buffer_store_dword v2, off, s[0:3], 0 offset:452
	buffer_store_dword v1, off, s[0:3], 0 offset:448
	;; [unrolled: 1-line block ×4, first 2 shown]
.LBB41_107:
	s_or_b32 exec_lo, exec_lo, s6
	v_mov_b32_e32 v4, s22
	v_cmp_lt_u32_e64 s5, 27, v0
	s_clause 0x3
	buffer_load_dword v1, v4, s[0:3], 0 offen
	buffer_load_dword v2, v4, s[0:3], 0 offen offset:4
	buffer_load_dword v3, v4, s[0:3], 0 offen offset:8
	;; [unrolled: 1-line block ×3, first 2 shown]
	s_waitcnt vmcnt(0)
	ds_write_b128 v6, v[1:4]
	s_waitcnt lgkmcnt(0)
	s_waitcnt_vscnt null, 0x0
	s_barrier
	buffer_gl0_inv
	s_and_saveexec_b32 s6, s5
	s_cbranch_execz .LBB41_115
; %bb.108:
	ds_read_b128 v[1:4], v6
	s_andn2_b32 vcc_lo, exec_lo, s50
	s_cbranch_vccnz .LBB41_110
; %bb.109:
	s_clause 0x3
	buffer_load_dword v7, v5, s[0:3], 0 offen offset:8
	buffer_load_dword v8, v5, s[0:3], 0 offen offset:12
	buffer_load_dword v93, v5, s[0:3], 0 offen
	buffer_load_dword v94, v5, s[0:3], 0 offen offset:4
	s_waitcnt vmcnt(2) lgkmcnt(0)
	v_mul_f64 v[96:97], v[3:4], v[7:8]
	v_mul_f64 v[7:8], v[1:2], v[7:8]
	s_waitcnt vmcnt(0)
	v_fma_f64 v[1:2], v[1:2], v[93:94], -v[96:97]
	v_fma_f64 v[3:4], v[3:4], v[93:94], v[7:8]
.LBB41_110:
	s_and_saveexec_b32 s8, s4
	s_cbranch_execz .LBB41_114
; %bb.111:
	v_subrev_nc_u32_e32 v7, 28, v0
	s_movk_i32 s51, 0x460
	s_mov_b32 s4, 0
	s_mov_b32 s52, s21
	.p2align	6
.LBB41_112:                             ; =>This Inner Loop Header: Depth=1
	v_mov_b32_e32 v8, s52
	v_add_nc_u32_e32 v7, -1, v7
	s_add_i32 s52, s52, 16
	s_clause 0x3
	buffer_load_dword v93, v8, s[0:3], 0 offen offset:8
	buffer_load_dword v94, v8, s[0:3], 0 offen offset:12
	buffer_load_dword v100, v8, s[0:3], 0 offen
	buffer_load_dword v101, v8, s[0:3], 0 offen offset:4
	v_mov_b32_e32 v8, s51
	v_cmp_eq_u32_e32 vcc_lo, 0, v7
	s_add_i32 s51, s51, 16
	ds_read_b128 v[96:99], v8
	s_or_b32 s4, vcc_lo, s4
	s_waitcnt vmcnt(2) lgkmcnt(0)
	v_mul_f64 v[102:103], v[98:99], v[93:94]
	v_mul_f64 v[93:94], v[96:97], v[93:94]
	s_waitcnt vmcnt(0)
	v_fma_f64 v[96:97], v[96:97], v[100:101], -v[102:103]
	v_fma_f64 v[93:94], v[98:99], v[100:101], v[93:94]
	v_add_f64 v[1:2], v[1:2], v[96:97]
	v_add_f64 v[3:4], v[3:4], v[93:94]
	s_andn2_b32 exec_lo, exec_lo, s4
	s_cbranch_execnz .LBB41_112
; %bb.113:
	s_or_b32 exec_lo, exec_lo, s4
.LBB41_114:
	s_or_b32 exec_lo, exec_lo, s8
	v_mov_b32_e32 v7, 0
	ds_read_b128 v[96:99], v7 offset:432
	s_waitcnt lgkmcnt(0)
	v_mul_f64 v[7:8], v[3:4], v[98:99]
	v_mul_f64 v[93:94], v[1:2], v[98:99]
	v_fma_f64 v[1:2], v[1:2], v[96:97], -v[7:8]
	v_fma_f64 v[3:4], v[3:4], v[96:97], v[93:94]
	buffer_store_dword v2, off, s[0:3], 0 offset:436
	buffer_store_dword v1, off, s[0:3], 0 offset:432
	;; [unrolled: 1-line block ×4, first 2 shown]
.LBB41_115:
	s_or_b32 exec_lo, exec_lo, s6
	v_mov_b32_e32 v4, s23
	v_cmp_lt_u32_e64 s4, 26, v0
	s_clause 0x3
	buffer_load_dword v1, v4, s[0:3], 0 offen
	buffer_load_dword v2, v4, s[0:3], 0 offen offset:4
	buffer_load_dword v3, v4, s[0:3], 0 offen offset:8
	;; [unrolled: 1-line block ×3, first 2 shown]
	s_waitcnt vmcnt(0)
	ds_write_b128 v6, v[1:4]
	s_waitcnt lgkmcnt(0)
	s_waitcnt_vscnt null, 0x0
	s_barrier
	buffer_gl0_inv
	s_and_saveexec_b32 s6, s4
	s_cbranch_execz .LBB41_123
; %bb.116:
	ds_read_b128 v[1:4], v6
	s_andn2_b32 vcc_lo, exec_lo, s50
	s_cbranch_vccnz .LBB41_118
; %bb.117:
	s_clause 0x3
	buffer_load_dword v7, v5, s[0:3], 0 offen offset:8
	buffer_load_dword v8, v5, s[0:3], 0 offen offset:12
	buffer_load_dword v93, v5, s[0:3], 0 offen
	buffer_load_dword v94, v5, s[0:3], 0 offen offset:4
	s_waitcnt vmcnt(2) lgkmcnt(0)
	v_mul_f64 v[96:97], v[3:4], v[7:8]
	v_mul_f64 v[7:8], v[1:2], v[7:8]
	s_waitcnt vmcnt(0)
	v_fma_f64 v[1:2], v[1:2], v[93:94], -v[96:97]
	v_fma_f64 v[3:4], v[3:4], v[93:94], v[7:8]
.LBB41_118:
	s_and_saveexec_b32 s8, s5
	s_cbranch_execz .LBB41_122
; %bb.119:
	v_subrev_nc_u32_e32 v7, 27, v0
	s_movk_i32 s51, 0x450
	s_mov_b32 s5, 0
	s_mov_b32 s52, s22
	.p2align	6
.LBB41_120:                             ; =>This Inner Loop Header: Depth=1
	v_mov_b32_e32 v8, s52
	v_add_nc_u32_e32 v7, -1, v7
	s_add_i32 s52, s52, 16
	s_clause 0x3
	buffer_load_dword v93, v8, s[0:3], 0 offen offset:8
	buffer_load_dword v94, v8, s[0:3], 0 offen offset:12
	buffer_load_dword v100, v8, s[0:3], 0 offen
	buffer_load_dword v101, v8, s[0:3], 0 offen offset:4
	v_mov_b32_e32 v8, s51
	v_cmp_eq_u32_e32 vcc_lo, 0, v7
	s_add_i32 s51, s51, 16
	ds_read_b128 v[96:99], v8
	s_or_b32 s5, vcc_lo, s5
	s_waitcnt vmcnt(2) lgkmcnt(0)
	v_mul_f64 v[102:103], v[98:99], v[93:94]
	v_mul_f64 v[93:94], v[96:97], v[93:94]
	s_waitcnt vmcnt(0)
	v_fma_f64 v[96:97], v[96:97], v[100:101], -v[102:103]
	v_fma_f64 v[93:94], v[98:99], v[100:101], v[93:94]
	v_add_f64 v[1:2], v[1:2], v[96:97]
	v_add_f64 v[3:4], v[3:4], v[93:94]
	s_andn2_b32 exec_lo, exec_lo, s5
	s_cbranch_execnz .LBB41_120
; %bb.121:
	s_or_b32 exec_lo, exec_lo, s5
.LBB41_122:
	s_or_b32 exec_lo, exec_lo, s8
	v_mov_b32_e32 v7, 0
	ds_read_b128 v[96:99], v7 offset:416
	s_waitcnt lgkmcnt(0)
	v_mul_f64 v[7:8], v[3:4], v[98:99]
	v_mul_f64 v[93:94], v[1:2], v[98:99]
	v_fma_f64 v[1:2], v[1:2], v[96:97], -v[7:8]
	v_fma_f64 v[3:4], v[3:4], v[96:97], v[93:94]
	buffer_store_dword v2, off, s[0:3], 0 offset:420
	buffer_store_dword v1, off, s[0:3], 0 offset:416
	;; [unrolled: 1-line block ×4, first 2 shown]
.LBB41_123:
	s_or_b32 exec_lo, exec_lo, s6
	v_mov_b32_e32 v4, s24
	v_cmp_lt_u32_e64 s5, 25, v0
	s_clause 0x3
	buffer_load_dword v1, v4, s[0:3], 0 offen
	buffer_load_dword v2, v4, s[0:3], 0 offen offset:4
	buffer_load_dword v3, v4, s[0:3], 0 offen offset:8
	;; [unrolled: 1-line block ×3, first 2 shown]
	s_waitcnt vmcnt(0)
	ds_write_b128 v6, v[1:4]
	s_waitcnt lgkmcnt(0)
	s_waitcnt_vscnt null, 0x0
	s_barrier
	buffer_gl0_inv
	s_and_saveexec_b32 s6, s5
	s_cbranch_execz .LBB41_131
; %bb.124:
	ds_read_b128 v[1:4], v6
	s_andn2_b32 vcc_lo, exec_lo, s50
	s_cbranch_vccnz .LBB41_126
; %bb.125:
	s_clause 0x3
	buffer_load_dword v7, v5, s[0:3], 0 offen offset:8
	buffer_load_dword v8, v5, s[0:3], 0 offen offset:12
	buffer_load_dword v93, v5, s[0:3], 0 offen
	buffer_load_dword v94, v5, s[0:3], 0 offen offset:4
	s_waitcnt vmcnt(2) lgkmcnt(0)
	v_mul_f64 v[96:97], v[3:4], v[7:8]
	v_mul_f64 v[7:8], v[1:2], v[7:8]
	s_waitcnt vmcnt(0)
	v_fma_f64 v[1:2], v[1:2], v[93:94], -v[96:97]
	v_fma_f64 v[3:4], v[3:4], v[93:94], v[7:8]
.LBB41_126:
	s_and_saveexec_b32 s8, s4
	s_cbranch_execz .LBB41_130
; %bb.127:
	v_subrev_nc_u32_e32 v7, 26, v0
	s_movk_i32 s51, 0x440
	s_mov_b32 s4, 0
	s_mov_b32 s52, s23
	.p2align	6
.LBB41_128:                             ; =>This Inner Loop Header: Depth=1
	v_mov_b32_e32 v8, s52
	v_add_nc_u32_e32 v7, -1, v7
	s_add_i32 s52, s52, 16
	s_clause 0x3
	buffer_load_dword v93, v8, s[0:3], 0 offen offset:8
	buffer_load_dword v94, v8, s[0:3], 0 offen offset:12
	buffer_load_dword v100, v8, s[0:3], 0 offen
	buffer_load_dword v101, v8, s[0:3], 0 offen offset:4
	v_mov_b32_e32 v8, s51
	v_cmp_eq_u32_e32 vcc_lo, 0, v7
	s_add_i32 s51, s51, 16
	ds_read_b128 v[96:99], v8
	s_or_b32 s4, vcc_lo, s4
	s_waitcnt vmcnt(2) lgkmcnt(0)
	v_mul_f64 v[102:103], v[98:99], v[93:94]
	v_mul_f64 v[93:94], v[96:97], v[93:94]
	s_waitcnt vmcnt(0)
	v_fma_f64 v[96:97], v[96:97], v[100:101], -v[102:103]
	v_fma_f64 v[93:94], v[98:99], v[100:101], v[93:94]
	v_add_f64 v[1:2], v[1:2], v[96:97]
	v_add_f64 v[3:4], v[3:4], v[93:94]
	s_andn2_b32 exec_lo, exec_lo, s4
	s_cbranch_execnz .LBB41_128
; %bb.129:
	s_or_b32 exec_lo, exec_lo, s4
.LBB41_130:
	s_or_b32 exec_lo, exec_lo, s8
	v_mov_b32_e32 v7, 0
	ds_read_b128 v[96:99], v7 offset:400
	s_waitcnt lgkmcnt(0)
	v_mul_f64 v[7:8], v[3:4], v[98:99]
	v_mul_f64 v[93:94], v[1:2], v[98:99]
	v_fma_f64 v[1:2], v[1:2], v[96:97], -v[7:8]
	v_fma_f64 v[3:4], v[3:4], v[96:97], v[93:94]
	buffer_store_dword v2, off, s[0:3], 0 offset:404
	buffer_store_dword v1, off, s[0:3], 0 offset:400
	;; [unrolled: 1-line block ×4, first 2 shown]
.LBB41_131:
	s_or_b32 exec_lo, exec_lo, s6
	v_mov_b32_e32 v4, s25
	v_cmp_lt_u32_e64 s4, 24, v0
	s_clause 0x3
	buffer_load_dword v1, v4, s[0:3], 0 offen
	buffer_load_dword v2, v4, s[0:3], 0 offen offset:4
	buffer_load_dword v3, v4, s[0:3], 0 offen offset:8
	;; [unrolled: 1-line block ×3, first 2 shown]
	s_waitcnt vmcnt(0)
	ds_write_b128 v6, v[1:4]
	s_waitcnt lgkmcnt(0)
	s_waitcnt_vscnt null, 0x0
	s_barrier
	buffer_gl0_inv
	s_and_saveexec_b32 s6, s4
	s_cbranch_execz .LBB41_139
; %bb.132:
	ds_read_b128 v[1:4], v6
	s_andn2_b32 vcc_lo, exec_lo, s50
	s_cbranch_vccnz .LBB41_134
; %bb.133:
	s_clause 0x3
	buffer_load_dword v7, v5, s[0:3], 0 offen offset:8
	buffer_load_dword v8, v5, s[0:3], 0 offen offset:12
	buffer_load_dword v93, v5, s[0:3], 0 offen
	buffer_load_dword v94, v5, s[0:3], 0 offen offset:4
	s_waitcnt vmcnt(2) lgkmcnt(0)
	v_mul_f64 v[96:97], v[3:4], v[7:8]
	v_mul_f64 v[7:8], v[1:2], v[7:8]
	s_waitcnt vmcnt(0)
	v_fma_f64 v[1:2], v[1:2], v[93:94], -v[96:97]
	v_fma_f64 v[3:4], v[3:4], v[93:94], v[7:8]
.LBB41_134:
	s_and_saveexec_b32 s8, s5
	s_cbranch_execz .LBB41_138
; %bb.135:
	v_subrev_nc_u32_e32 v7, 25, v0
	s_movk_i32 s51, 0x430
	s_mov_b32 s5, 0
	s_mov_b32 s52, s24
	.p2align	6
.LBB41_136:                             ; =>This Inner Loop Header: Depth=1
	v_mov_b32_e32 v8, s52
	v_add_nc_u32_e32 v7, -1, v7
	s_add_i32 s52, s52, 16
	s_clause 0x3
	buffer_load_dword v93, v8, s[0:3], 0 offen offset:8
	buffer_load_dword v94, v8, s[0:3], 0 offen offset:12
	buffer_load_dword v100, v8, s[0:3], 0 offen
	buffer_load_dword v101, v8, s[0:3], 0 offen offset:4
	v_mov_b32_e32 v8, s51
	v_cmp_eq_u32_e32 vcc_lo, 0, v7
	s_add_i32 s51, s51, 16
	ds_read_b128 v[96:99], v8
	s_or_b32 s5, vcc_lo, s5
	s_waitcnt vmcnt(2) lgkmcnt(0)
	v_mul_f64 v[102:103], v[98:99], v[93:94]
	v_mul_f64 v[93:94], v[96:97], v[93:94]
	s_waitcnt vmcnt(0)
	v_fma_f64 v[96:97], v[96:97], v[100:101], -v[102:103]
	v_fma_f64 v[93:94], v[98:99], v[100:101], v[93:94]
	v_add_f64 v[1:2], v[1:2], v[96:97]
	v_add_f64 v[3:4], v[3:4], v[93:94]
	s_andn2_b32 exec_lo, exec_lo, s5
	s_cbranch_execnz .LBB41_136
; %bb.137:
	s_or_b32 exec_lo, exec_lo, s5
.LBB41_138:
	s_or_b32 exec_lo, exec_lo, s8
	v_mov_b32_e32 v7, 0
	ds_read_b128 v[96:99], v7 offset:384
	s_waitcnt lgkmcnt(0)
	v_mul_f64 v[7:8], v[3:4], v[98:99]
	v_mul_f64 v[93:94], v[1:2], v[98:99]
	v_fma_f64 v[1:2], v[1:2], v[96:97], -v[7:8]
	v_fma_f64 v[3:4], v[3:4], v[96:97], v[93:94]
	buffer_store_dword v2, off, s[0:3], 0 offset:388
	buffer_store_dword v1, off, s[0:3], 0 offset:384
	;; [unrolled: 1-line block ×4, first 2 shown]
.LBB41_139:
	s_or_b32 exec_lo, exec_lo, s6
	v_mov_b32_e32 v4, s26
	v_cmp_lt_u32_e64 s5, 23, v0
	s_clause 0x3
	buffer_load_dword v1, v4, s[0:3], 0 offen
	buffer_load_dword v2, v4, s[0:3], 0 offen offset:4
	buffer_load_dword v3, v4, s[0:3], 0 offen offset:8
	;; [unrolled: 1-line block ×3, first 2 shown]
	s_waitcnt vmcnt(0)
	ds_write_b128 v6, v[1:4]
	s_waitcnt lgkmcnt(0)
	s_waitcnt_vscnt null, 0x0
	s_barrier
	buffer_gl0_inv
	s_and_saveexec_b32 s6, s5
	s_cbranch_execz .LBB41_147
; %bb.140:
	ds_read_b128 v[1:4], v6
	s_andn2_b32 vcc_lo, exec_lo, s50
	s_cbranch_vccnz .LBB41_142
; %bb.141:
	s_clause 0x3
	buffer_load_dword v7, v5, s[0:3], 0 offen offset:8
	buffer_load_dword v8, v5, s[0:3], 0 offen offset:12
	buffer_load_dword v93, v5, s[0:3], 0 offen
	buffer_load_dword v94, v5, s[0:3], 0 offen offset:4
	s_waitcnt vmcnt(2) lgkmcnt(0)
	v_mul_f64 v[96:97], v[3:4], v[7:8]
	v_mul_f64 v[7:8], v[1:2], v[7:8]
	s_waitcnt vmcnt(0)
	v_fma_f64 v[1:2], v[1:2], v[93:94], -v[96:97]
	v_fma_f64 v[3:4], v[3:4], v[93:94], v[7:8]
.LBB41_142:
	s_and_saveexec_b32 s8, s4
	s_cbranch_execz .LBB41_146
; %bb.143:
	v_subrev_nc_u32_e32 v7, 24, v0
	s_movk_i32 s51, 0x420
	s_mov_b32 s4, 0
	s_mov_b32 s52, s25
	.p2align	6
.LBB41_144:                             ; =>This Inner Loop Header: Depth=1
	v_mov_b32_e32 v8, s52
	v_add_nc_u32_e32 v7, -1, v7
	s_add_i32 s52, s52, 16
	s_clause 0x3
	buffer_load_dword v93, v8, s[0:3], 0 offen offset:8
	buffer_load_dword v94, v8, s[0:3], 0 offen offset:12
	buffer_load_dword v100, v8, s[0:3], 0 offen
	buffer_load_dword v101, v8, s[0:3], 0 offen offset:4
	v_mov_b32_e32 v8, s51
	v_cmp_eq_u32_e32 vcc_lo, 0, v7
	s_add_i32 s51, s51, 16
	ds_read_b128 v[96:99], v8
	s_or_b32 s4, vcc_lo, s4
	s_waitcnt vmcnt(2) lgkmcnt(0)
	v_mul_f64 v[102:103], v[98:99], v[93:94]
	v_mul_f64 v[93:94], v[96:97], v[93:94]
	s_waitcnt vmcnt(0)
	v_fma_f64 v[96:97], v[96:97], v[100:101], -v[102:103]
	v_fma_f64 v[93:94], v[98:99], v[100:101], v[93:94]
	v_add_f64 v[1:2], v[1:2], v[96:97]
	v_add_f64 v[3:4], v[3:4], v[93:94]
	s_andn2_b32 exec_lo, exec_lo, s4
	s_cbranch_execnz .LBB41_144
; %bb.145:
	s_or_b32 exec_lo, exec_lo, s4
.LBB41_146:
	s_or_b32 exec_lo, exec_lo, s8
	v_mov_b32_e32 v7, 0
	ds_read_b128 v[96:99], v7 offset:368
	s_waitcnt lgkmcnt(0)
	v_mul_f64 v[7:8], v[3:4], v[98:99]
	v_mul_f64 v[93:94], v[1:2], v[98:99]
	v_fma_f64 v[1:2], v[1:2], v[96:97], -v[7:8]
	v_fma_f64 v[3:4], v[3:4], v[96:97], v[93:94]
	buffer_store_dword v2, off, s[0:3], 0 offset:372
	buffer_store_dword v1, off, s[0:3], 0 offset:368
	;; [unrolled: 1-line block ×4, first 2 shown]
.LBB41_147:
	s_or_b32 exec_lo, exec_lo, s6
	v_mov_b32_e32 v4, s27
	v_cmp_lt_u32_e64 s4, 22, v0
	s_clause 0x3
	buffer_load_dword v1, v4, s[0:3], 0 offen
	buffer_load_dword v2, v4, s[0:3], 0 offen offset:4
	buffer_load_dword v3, v4, s[0:3], 0 offen offset:8
	;; [unrolled: 1-line block ×3, first 2 shown]
	s_waitcnt vmcnt(0)
	ds_write_b128 v6, v[1:4]
	s_waitcnt lgkmcnt(0)
	s_waitcnt_vscnt null, 0x0
	s_barrier
	buffer_gl0_inv
	s_and_saveexec_b32 s6, s4
	s_cbranch_execz .LBB41_155
; %bb.148:
	ds_read_b128 v[1:4], v6
	s_andn2_b32 vcc_lo, exec_lo, s50
	s_cbranch_vccnz .LBB41_150
; %bb.149:
	s_clause 0x3
	buffer_load_dword v7, v5, s[0:3], 0 offen offset:8
	buffer_load_dword v8, v5, s[0:3], 0 offen offset:12
	buffer_load_dword v93, v5, s[0:3], 0 offen
	buffer_load_dword v94, v5, s[0:3], 0 offen offset:4
	s_waitcnt vmcnt(2) lgkmcnt(0)
	v_mul_f64 v[96:97], v[3:4], v[7:8]
	v_mul_f64 v[7:8], v[1:2], v[7:8]
	s_waitcnt vmcnt(0)
	v_fma_f64 v[1:2], v[1:2], v[93:94], -v[96:97]
	v_fma_f64 v[3:4], v[3:4], v[93:94], v[7:8]
.LBB41_150:
	s_and_saveexec_b32 s8, s5
	s_cbranch_execz .LBB41_154
; %bb.151:
	v_subrev_nc_u32_e32 v7, 23, v0
	s_movk_i32 s51, 0x410
	s_mov_b32 s5, 0
	s_mov_b32 s52, s26
	.p2align	6
.LBB41_152:                             ; =>This Inner Loop Header: Depth=1
	v_mov_b32_e32 v8, s52
	v_add_nc_u32_e32 v7, -1, v7
	s_add_i32 s52, s52, 16
	s_clause 0x3
	buffer_load_dword v93, v8, s[0:3], 0 offen offset:8
	buffer_load_dword v94, v8, s[0:3], 0 offen offset:12
	buffer_load_dword v100, v8, s[0:3], 0 offen
	buffer_load_dword v101, v8, s[0:3], 0 offen offset:4
	v_mov_b32_e32 v8, s51
	v_cmp_eq_u32_e32 vcc_lo, 0, v7
	s_add_i32 s51, s51, 16
	ds_read_b128 v[96:99], v8
	s_or_b32 s5, vcc_lo, s5
	s_waitcnt vmcnt(2) lgkmcnt(0)
	v_mul_f64 v[102:103], v[98:99], v[93:94]
	v_mul_f64 v[93:94], v[96:97], v[93:94]
	s_waitcnt vmcnt(0)
	v_fma_f64 v[96:97], v[96:97], v[100:101], -v[102:103]
	v_fma_f64 v[93:94], v[98:99], v[100:101], v[93:94]
	v_add_f64 v[1:2], v[1:2], v[96:97]
	v_add_f64 v[3:4], v[3:4], v[93:94]
	s_andn2_b32 exec_lo, exec_lo, s5
	s_cbranch_execnz .LBB41_152
; %bb.153:
	s_or_b32 exec_lo, exec_lo, s5
.LBB41_154:
	s_or_b32 exec_lo, exec_lo, s8
	v_mov_b32_e32 v7, 0
	ds_read_b128 v[96:99], v7 offset:352
	s_waitcnt lgkmcnt(0)
	v_mul_f64 v[7:8], v[3:4], v[98:99]
	v_mul_f64 v[93:94], v[1:2], v[98:99]
	v_fma_f64 v[1:2], v[1:2], v[96:97], -v[7:8]
	v_fma_f64 v[3:4], v[3:4], v[96:97], v[93:94]
	buffer_store_dword v2, off, s[0:3], 0 offset:356
	buffer_store_dword v1, off, s[0:3], 0 offset:352
	;; [unrolled: 1-line block ×4, first 2 shown]
.LBB41_155:
	s_or_b32 exec_lo, exec_lo, s6
	v_mov_b32_e32 v4, s28
	v_cmp_lt_u32_e64 s5, 21, v0
	s_clause 0x3
	buffer_load_dword v1, v4, s[0:3], 0 offen
	buffer_load_dword v2, v4, s[0:3], 0 offen offset:4
	buffer_load_dword v3, v4, s[0:3], 0 offen offset:8
	;; [unrolled: 1-line block ×3, first 2 shown]
	s_waitcnt vmcnt(0)
	ds_write_b128 v6, v[1:4]
	s_waitcnt lgkmcnt(0)
	s_waitcnt_vscnt null, 0x0
	s_barrier
	buffer_gl0_inv
	s_and_saveexec_b32 s6, s5
	s_cbranch_execz .LBB41_163
; %bb.156:
	ds_read_b128 v[1:4], v6
	s_andn2_b32 vcc_lo, exec_lo, s50
	s_cbranch_vccnz .LBB41_158
; %bb.157:
	s_clause 0x3
	buffer_load_dword v7, v5, s[0:3], 0 offen offset:8
	buffer_load_dword v8, v5, s[0:3], 0 offen offset:12
	buffer_load_dword v93, v5, s[0:3], 0 offen
	buffer_load_dword v94, v5, s[0:3], 0 offen offset:4
	s_waitcnt vmcnt(2) lgkmcnt(0)
	v_mul_f64 v[96:97], v[3:4], v[7:8]
	v_mul_f64 v[7:8], v[1:2], v[7:8]
	s_waitcnt vmcnt(0)
	v_fma_f64 v[1:2], v[1:2], v[93:94], -v[96:97]
	v_fma_f64 v[3:4], v[3:4], v[93:94], v[7:8]
.LBB41_158:
	s_and_saveexec_b32 s8, s4
	s_cbranch_execz .LBB41_162
; %bb.159:
	v_subrev_nc_u32_e32 v7, 22, v0
	s_movk_i32 s51, 0x400
	s_mov_b32 s4, 0
	s_mov_b32 s52, s27
	.p2align	6
.LBB41_160:                             ; =>This Inner Loop Header: Depth=1
	v_mov_b32_e32 v8, s52
	v_add_nc_u32_e32 v7, -1, v7
	s_add_i32 s52, s52, 16
	s_clause 0x3
	buffer_load_dword v93, v8, s[0:3], 0 offen offset:8
	buffer_load_dword v94, v8, s[0:3], 0 offen offset:12
	buffer_load_dword v100, v8, s[0:3], 0 offen
	buffer_load_dword v101, v8, s[0:3], 0 offen offset:4
	v_mov_b32_e32 v8, s51
	v_cmp_eq_u32_e32 vcc_lo, 0, v7
	s_add_i32 s51, s51, 16
	ds_read_b128 v[96:99], v8
	s_or_b32 s4, vcc_lo, s4
	s_waitcnt vmcnt(2) lgkmcnt(0)
	v_mul_f64 v[102:103], v[98:99], v[93:94]
	v_mul_f64 v[93:94], v[96:97], v[93:94]
	s_waitcnt vmcnt(0)
	v_fma_f64 v[96:97], v[96:97], v[100:101], -v[102:103]
	v_fma_f64 v[93:94], v[98:99], v[100:101], v[93:94]
	v_add_f64 v[1:2], v[1:2], v[96:97]
	v_add_f64 v[3:4], v[3:4], v[93:94]
	s_andn2_b32 exec_lo, exec_lo, s4
	s_cbranch_execnz .LBB41_160
; %bb.161:
	s_or_b32 exec_lo, exec_lo, s4
.LBB41_162:
	s_or_b32 exec_lo, exec_lo, s8
	v_mov_b32_e32 v7, 0
	ds_read_b128 v[96:99], v7 offset:336
	s_waitcnt lgkmcnt(0)
	v_mul_f64 v[7:8], v[3:4], v[98:99]
	v_mul_f64 v[93:94], v[1:2], v[98:99]
	v_fma_f64 v[1:2], v[1:2], v[96:97], -v[7:8]
	v_fma_f64 v[3:4], v[3:4], v[96:97], v[93:94]
	buffer_store_dword v2, off, s[0:3], 0 offset:340
	buffer_store_dword v1, off, s[0:3], 0 offset:336
	buffer_store_dword v4, off, s[0:3], 0 offset:348
	buffer_store_dword v3, off, s[0:3], 0 offset:344
.LBB41_163:
	s_or_b32 exec_lo, exec_lo, s6
	v_mov_b32_e32 v4, s29
	v_cmp_lt_u32_e64 s4, 20, v0
	s_clause 0x3
	buffer_load_dword v1, v4, s[0:3], 0 offen
	buffer_load_dword v2, v4, s[0:3], 0 offen offset:4
	buffer_load_dword v3, v4, s[0:3], 0 offen offset:8
	;; [unrolled: 1-line block ×3, first 2 shown]
	s_waitcnt vmcnt(0)
	ds_write_b128 v6, v[1:4]
	s_waitcnt lgkmcnt(0)
	s_waitcnt_vscnt null, 0x0
	s_barrier
	buffer_gl0_inv
	s_and_saveexec_b32 s6, s4
	s_cbranch_execz .LBB41_171
; %bb.164:
	ds_read_b128 v[1:4], v6
	s_andn2_b32 vcc_lo, exec_lo, s50
	s_cbranch_vccnz .LBB41_166
; %bb.165:
	s_clause 0x3
	buffer_load_dword v7, v5, s[0:3], 0 offen offset:8
	buffer_load_dword v8, v5, s[0:3], 0 offen offset:12
	buffer_load_dword v93, v5, s[0:3], 0 offen
	buffer_load_dword v94, v5, s[0:3], 0 offen offset:4
	s_waitcnt vmcnt(2) lgkmcnt(0)
	v_mul_f64 v[96:97], v[3:4], v[7:8]
	v_mul_f64 v[7:8], v[1:2], v[7:8]
	s_waitcnt vmcnt(0)
	v_fma_f64 v[1:2], v[1:2], v[93:94], -v[96:97]
	v_fma_f64 v[3:4], v[3:4], v[93:94], v[7:8]
.LBB41_166:
	s_and_saveexec_b32 s8, s5
	s_cbranch_execz .LBB41_170
; %bb.167:
	v_subrev_nc_u32_e32 v7, 21, v0
	s_movk_i32 s51, 0x3f0
	s_mov_b32 s5, 0
	s_mov_b32 s52, s28
	.p2align	6
.LBB41_168:                             ; =>This Inner Loop Header: Depth=1
	v_mov_b32_e32 v8, s52
	v_add_nc_u32_e32 v7, -1, v7
	s_add_i32 s52, s52, 16
	s_clause 0x3
	buffer_load_dword v93, v8, s[0:3], 0 offen offset:8
	buffer_load_dword v94, v8, s[0:3], 0 offen offset:12
	buffer_load_dword v100, v8, s[0:3], 0 offen
	buffer_load_dword v101, v8, s[0:3], 0 offen offset:4
	v_mov_b32_e32 v8, s51
	v_cmp_eq_u32_e32 vcc_lo, 0, v7
	s_add_i32 s51, s51, 16
	ds_read_b128 v[96:99], v8
	s_or_b32 s5, vcc_lo, s5
	s_waitcnt vmcnt(2) lgkmcnt(0)
	v_mul_f64 v[102:103], v[98:99], v[93:94]
	v_mul_f64 v[93:94], v[96:97], v[93:94]
	s_waitcnt vmcnt(0)
	v_fma_f64 v[96:97], v[96:97], v[100:101], -v[102:103]
	v_fma_f64 v[93:94], v[98:99], v[100:101], v[93:94]
	v_add_f64 v[1:2], v[1:2], v[96:97]
	v_add_f64 v[3:4], v[3:4], v[93:94]
	s_andn2_b32 exec_lo, exec_lo, s5
	s_cbranch_execnz .LBB41_168
; %bb.169:
	s_or_b32 exec_lo, exec_lo, s5
.LBB41_170:
	s_or_b32 exec_lo, exec_lo, s8
	v_mov_b32_e32 v7, 0
	ds_read_b128 v[96:99], v7 offset:320
	s_waitcnt lgkmcnt(0)
	v_mul_f64 v[7:8], v[3:4], v[98:99]
	v_mul_f64 v[93:94], v[1:2], v[98:99]
	v_fma_f64 v[1:2], v[1:2], v[96:97], -v[7:8]
	v_fma_f64 v[3:4], v[3:4], v[96:97], v[93:94]
	buffer_store_dword v2, off, s[0:3], 0 offset:324
	buffer_store_dword v1, off, s[0:3], 0 offset:320
	buffer_store_dword v4, off, s[0:3], 0 offset:332
	buffer_store_dword v3, off, s[0:3], 0 offset:328
.LBB41_171:
	s_or_b32 exec_lo, exec_lo, s6
	v_mov_b32_e32 v4, s30
	v_cmp_lt_u32_e64 s5, 19, v0
	s_clause 0x3
	buffer_load_dword v1, v4, s[0:3], 0 offen
	buffer_load_dword v2, v4, s[0:3], 0 offen offset:4
	buffer_load_dword v3, v4, s[0:3], 0 offen offset:8
	;; [unrolled: 1-line block ×3, first 2 shown]
	s_waitcnt vmcnt(0)
	ds_write_b128 v6, v[1:4]
	s_waitcnt lgkmcnt(0)
	s_waitcnt_vscnt null, 0x0
	s_barrier
	buffer_gl0_inv
	s_and_saveexec_b32 s6, s5
	s_cbranch_execz .LBB41_179
; %bb.172:
	ds_read_b128 v[1:4], v6
	s_andn2_b32 vcc_lo, exec_lo, s50
	s_cbranch_vccnz .LBB41_174
; %bb.173:
	s_clause 0x3
	buffer_load_dword v7, v5, s[0:3], 0 offen offset:8
	buffer_load_dword v8, v5, s[0:3], 0 offen offset:12
	buffer_load_dword v93, v5, s[0:3], 0 offen
	buffer_load_dword v94, v5, s[0:3], 0 offen offset:4
	s_waitcnt vmcnt(2) lgkmcnt(0)
	v_mul_f64 v[96:97], v[3:4], v[7:8]
	v_mul_f64 v[7:8], v[1:2], v[7:8]
	s_waitcnt vmcnt(0)
	v_fma_f64 v[1:2], v[1:2], v[93:94], -v[96:97]
	v_fma_f64 v[3:4], v[3:4], v[93:94], v[7:8]
.LBB41_174:
	s_and_saveexec_b32 s8, s4
	s_cbranch_execz .LBB41_178
; %bb.175:
	v_subrev_nc_u32_e32 v7, 20, v0
	s_movk_i32 s51, 0x3e0
	s_mov_b32 s4, 0
	s_mov_b32 s52, s29
	.p2align	6
.LBB41_176:                             ; =>This Inner Loop Header: Depth=1
	v_mov_b32_e32 v8, s52
	v_add_nc_u32_e32 v7, -1, v7
	s_add_i32 s52, s52, 16
	s_clause 0x3
	buffer_load_dword v93, v8, s[0:3], 0 offen offset:8
	buffer_load_dword v94, v8, s[0:3], 0 offen offset:12
	buffer_load_dword v100, v8, s[0:3], 0 offen
	buffer_load_dword v101, v8, s[0:3], 0 offen offset:4
	v_mov_b32_e32 v8, s51
	v_cmp_eq_u32_e32 vcc_lo, 0, v7
	s_add_i32 s51, s51, 16
	ds_read_b128 v[96:99], v8
	s_or_b32 s4, vcc_lo, s4
	s_waitcnt vmcnt(2) lgkmcnt(0)
	v_mul_f64 v[102:103], v[98:99], v[93:94]
	v_mul_f64 v[93:94], v[96:97], v[93:94]
	s_waitcnt vmcnt(0)
	v_fma_f64 v[96:97], v[96:97], v[100:101], -v[102:103]
	v_fma_f64 v[93:94], v[98:99], v[100:101], v[93:94]
	v_add_f64 v[1:2], v[1:2], v[96:97]
	v_add_f64 v[3:4], v[3:4], v[93:94]
	s_andn2_b32 exec_lo, exec_lo, s4
	s_cbranch_execnz .LBB41_176
; %bb.177:
	s_or_b32 exec_lo, exec_lo, s4
.LBB41_178:
	s_or_b32 exec_lo, exec_lo, s8
	v_mov_b32_e32 v7, 0
	ds_read_b128 v[96:99], v7 offset:304
	s_waitcnt lgkmcnt(0)
	v_mul_f64 v[7:8], v[3:4], v[98:99]
	v_mul_f64 v[93:94], v[1:2], v[98:99]
	v_fma_f64 v[1:2], v[1:2], v[96:97], -v[7:8]
	v_fma_f64 v[3:4], v[3:4], v[96:97], v[93:94]
	buffer_store_dword v2, off, s[0:3], 0 offset:308
	buffer_store_dword v1, off, s[0:3], 0 offset:304
	;; [unrolled: 1-line block ×4, first 2 shown]
.LBB41_179:
	s_or_b32 exec_lo, exec_lo, s6
	v_mov_b32_e32 v4, s31
	v_cmp_lt_u32_e64 s4, 18, v0
	s_clause 0x3
	buffer_load_dword v1, v4, s[0:3], 0 offen
	buffer_load_dword v2, v4, s[0:3], 0 offen offset:4
	buffer_load_dword v3, v4, s[0:3], 0 offen offset:8
	;; [unrolled: 1-line block ×3, first 2 shown]
	s_waitcnt vmcnt(0)
	ds_write_b128 v6, v[1:4]
	s_waitcnt lgkmcnt(0)
	s_waitcnt_vscnt null, 0x0
	s_barrier
	buffer_gl0_inv
	s_and_saveexec_b32 s6, s4
	s_cbranch_execz .LBB41_187
; %bb.180:
	ds_read_b128 v[1:4], v6
	s_andn2_b32 vcc_lo, exec_lo, s50
	s_cbranch_vccnz .LBB41_182
; %bb.181:
	s_clause 0x3
	buffer_load_dword v7, v5, s[0:3], 0 offen offset:8
	buffer_load_dword v8, v5, s[0:3], 0 offen offset:12
	buffer_load_dword v93, v5, s[0:3], 0 offen
	buffer_load_dword v94, v5, s[0:3], 0 offen offset:4
	s_waitcnt vmcnt(2) lgkmcnt(0)
	v_mul_f64 v[96:97], v[3:4], v[7:8]
	v_mul_f64 v[7:8], v[1:2], v[7:8]
	s_waitcnt vmcnt(0)
	v_fma_f64 v[1:2], v[1:2], v[93:94], -v[96:97]
	v_fma_f64 v[3:4], v[3:4], v[93:94], v[7:8]
.LBB41_182:
	s_and_saveexec_b32 s8, s5
	s_cbranch_execz .LBB41_186
; %bb.183:
	v_subrev_nc_u32_e32 v7, 19, v0
	s_movk_i32 s51, 0x3d0
	s_mov_b32 s5, 0
	s_mov_b32 s52, s30
	.p2align	6
.LBB41_184:                             ; =>This Inner Loop Header: Depth=1
	v_mov_b32_e32 v8, s52
	v_add_nc_u32_e32 v7, -1, v7
	s_add_i32 s52, s52, 16
	s_clause 0x3
	buffer_load_dword v93, v8, s[0:3], 0 offen offset:8
	buffer_load_dword v94, v8, s[0:3], 0 offen offset:12
	buffer_load_dword v100, v8, s[0:3], 0 offen
	buffer_load_dword v101, v8, s[0:3], 0 offen offset:4
	v_mov_b32_e32 v8, s51
	v_cmp_eq_u32_e32 vcc_lo, 0, v7
	s_add_i32 s51, s51, 16
	ds_read_b128 v[96:99], v8
	s_or_b32 s5, vcc_lo, s5
	s_waitcnt vmcnt(2) lgkmcnt(0)
	v_mul_f64 v[102:103], v[98:99], v[93:94]
	v_mul_f64 v[93:94], v[96:97], v[93:94]
	s_waitcnt vmcnt(0)
	v_fma_f64 v[96:97], v[96:97], v[100:101], -v[102:103]
	v_fma_f64 v[93:94], v[98:99], v[100:101], v[93:94]
	v_add_f64 v[1:2], v[1:2], v[96:97]
	v_add_f64 v[3:4], v[3:4], v[93:94]
	s_andn2_b32 exec_lo, exec_lo, s5
	s_cbranch_execnz .LBB41_184
; %bb.185:
	s_or_b32 exec_lo, exec_lo, s5
.LBB41_186:
	s_or_b32 exec_lo, exec_lo, s8
	v_mov_b32_e32 v7, 0
	ds_read_b128 v[96:99], v7 offset:288
	s_waitcnt lgkmcnt(0)
	v_mul_f64 v[7:8], v[3:4], v[98:99]
	v_mul_f64 v[93:94], v[1:2], v[98:99]
	v_fma_f64 v[1:2], v[1:2], v[96:97], -v[7:8]
	v_fma_f64 v[3:4], v[3:4], v[96:97], v[93:94]
	buffer_store_dword v2, off, s[0:3], 0 offset:292
	buffer_store_dword v1, off, s[0:3], 0 offset:288
	;; [unrolled: 1-line block ×4, first 2 shown]
.LBB41_187:
	s_or_b32 exec_lo, exec_lo, s6
	v_mov_b32_e32 v4, s33
	v_cmp_lt_u32_e64 s5, 17, v0
	s_clause 0x3
	buffer_load_dword v1, v4, s[0:3], 0 offen
	buffer_load_dword v2, v4, s[0:3], 0 offen offset:4
	buffer_load_dword v3, v4, s[0:3], 0 offen offset:8
	;; [unrolled: 1-line block ×3, first 2 shown]
	s_waitcnt vmcnt(0)
	ds_write_b128 v6, v[1:4]
	s_waitcnt lgkmcnt(0)
	s_waitcnt_vscnt null, 0x0
	s_barrier
	buffer_gl0_inv
	s_and_saveexec_b32 s6, s5
	s_cbranch_execz .LBB41_195
; %bb.188:
	ds_read_b128 v[1:4], v6
	s_andn2_b32 vcc_lo, exec_lo, s50
	s_cbranch_vccnz .LBB41_190
; %bb.189:
	s_clause 0x3
	buffer_load_dword v7, v5, s[0:3], 0 offen offset:8
	buffer_load_dword v8, v5, s[0:3], 0 offen offset:12
	buffer_load_dword v93, v5, s[0:3], 0 offen
	buffer_load_dword v94, v5, s[0:3], 0 offen offset:4
	s_waitcnt vmcnt(2) lgkmcnt(0)
	v_mul_f64 v[96:97], v[3:4], v[7:8]
	v_mul_f64 v[7:8], v[1:2], v[7:8]
	s_waitcnt vmcnt(0)
	v_fma_f64 v[1:2], v[1:2], v[93:94], -v[96:97]
	v_fma_f64 v[3:4], v[3:4], v[93:94], v[7:8]
.LBB41_190:
	s_and_saveexec_b32 s8, s4
	s_cbranch_execz .LBB41_194
; %bb.191:
	v_subrev_nc_u32_e32 v7, 18, v0
	s_movk_i32 s51, 0x3c0
	s_mov_b32 s4, 0
	s_mov_b32 s52, s31
	.p2align	6
.LBB41_192:                             ; =>This Inner Loop Header: Depth=1
	v_mov_b32_e32 v8, s52
	v_add_nc_u32_e32 v7, -1, v7
	s_add_i32 s52, s52, 16
	s_clause 0x3
	buffer_load_dword v93, v8, s[0:3], 0 offen offset:8
	buffer_load_dword v94, v8, s[0:3], 0 offen offset:12
	buffer_load_dword v100, v8, s[0:3], 0 offen
	buffer_load_dword v101, v8, s[0:3], 0 offen offset:4
	v_mov_b32_e32 v8, s51
	v_cmp_eq_u32_e32 vcc_lo, 0, v7
	s_add_i32 s51, s51, 16
	ds_read_b128 v[96:99], v8
	s_or_b32 s4, vcc_lo, s4
	s_waitcnt vmcnt(2) lgkmcnt(0)
	v_mul_f64 v[102:103], v[98:99], v[93:94]
	v_mul_f64 v[93:94], v[96:97], v[93:94]
	s_waitcnt vmcnt(0)
	v_fma_f64 v[96:97], v[96:97], v[100:101], -v[102:103]
	v_fma_f64 v[93:94], v[98:99], v[100:101], v[93:94]
	v_add_f64 v[1:2], v[1:2], v[96:97]
	v_add_f64 v[3:4], v[3:4], v[93:94]
	s_andn2_b32 exec_lo, exec_lo, s4
	s_cbranch_execnz .LBB41_192
; %bb.193:
	s_or_b32 exec_lo, exec_lo, s4
.LBB41_194:
	s_or_b32 exec_lo, exec_lo, s8
	v_mov_b32_e32 v7, 0
	ds_read_b128 v[96:99], v7 offset:272
	s_waitcnt lgkmcnt(0)
	v_mul_f64 v[7:8], v[3:4], v[98:99]
	v_mul_f64 v[93:94], v[1:2], v[98:99]
	v_fma_f64 v[1:2], v[1:2], v[96:97], -v[7:8]
	v_fma_f64 v[3:4], v[3:4], v[96:97], v[93:94]
	buffer_store_dword v2, off, s[0:3], 0 offset:276
	buffer_store_dword v1, off, s[0:3], 0 offset:272
	;; [unrolled: 1-line block ×4, first 2 shown]
.LBB41_195:
	s_or_b32 exec_lo, exec_lo, s6
	v_mov_b32_e32 v4, s34
	v_cmp_lt_u32_e64 s4, 16, v0
	s_clause 0x3
	buffer_load_dword v1, v4, s[0:3], 0 offen
	buffer_load_dword v2, v4, s[0:3], 0 offen offset:4
	buffer_load_dword v3, v4, s[0:3], 0 offen offset:8
	;; [unrolled: 1-line block ×3, first 2 shown]
	s_waitcnt vmcnt(0)
	ds_write_b128 v6, v[1:4]
	s_waitcnt lgkmcnt(0)
	s_waitcnt_vscnt null, 0x0
	s_barrier
	buffer_gl0_inv
	s_and_saveexec_b32 s6, s4
	s_cbranch_execz .LBB41_203
; %bb.196:
	ds_read_b128 v[1:4], v6
	s_andn2_b32 vcc_lo, exec_lo, s50
	s_cbranch_vccnz .LBB41_198
; %bb.197:
	s_clause 0x3
	buffer_load_dword v7, v5, s[0:3], 0 offen offset:8
	buffer_load_dword v8, v5, s[0:3], 0 offen offset:12
	buffer_load_dword v93, v5, s[0:3], 0 offen
	buffer_load_dword v94, v5, s[0:3], 0 offen offset:4
	s_waitcnt vmcnt(2) lgkmcnt(0)
	v_mul_f64 v[96:97], v[3:4], v[7:8]
	v_mul_f64 v[7:8], v[1:2], v[7:8]
	s_waitcnt vmcnt(0)
	v_fma_f64 v[1:2], v[1:2], v[93:94], -v[96:97]
	v_fma_f64 v[3:4], v[3:4], v[93:94], v[7:8]
.LBB41_198:
	s_and_saveexec_b32 s8, s5
	s_cbranch_execz .LBB41_202
; %bb.199:
	v_subrev_nc_u32_e32 v7, 17, v0
	s_movk_i32 s51, 0x3b0
	s_mov_b32 s5, 0
	s_mov_b32 s52, s33
	.p2align	6
.LBB41_200:                             ; =>This Inner Loop Header: Depth=1
	v_mov_b32_e32 v8, s52
	v_add_nc_u32_e32 v7, -1, v7
	s_add_i32 s52, s52, 16
	s_clause 0x3
	buffer_load_dword v93, v8, s[0:3], 0 offen offset:8
	buffer_load_dword v94, v8, s[0:3], 0 offen offset:12
	buffer_load_dword v100, v8, s[0:3], 0 offen
	buffer_load_dword v101, v8, s[0:3], 0 offen offset:4
	v_mov_b32_e32 v8, s51
	v_cmp_eq_u32_e32 vcc_lo, 0, v7
	s_add_i32 s51, s51, 16
	ds_read_b128 v[96:99], v8
	s_or_b32 s5, vcc_lo, s5
	s_waitcnt vmcnt(2) lgkmcnt(0)
	v_mul_f64 v[102:103], v[98:99], v[93:94]
	v_mul_f64 v[93:94], v[96:97], v[93:94]
	s_waitcnt vmcnt(0)
	v_fma_f64 v[96:97], v[96:97], v[100:101], -v[102:103]
	v_fma_f64 v[93:94], v[98:99], v[100:101], v[93:94]
	v_add_f64 v[1:2], v[1:2], v[96:97]
	v_add_f64 v[3:4], v[3:4], v[93:94]
	s_andn2_b32 exec_lo, exec_lo, s5
	s_cbranch_execnz .LBB41_200
; %bb.201:
	s_or_b32 exec_lo, exec_lo, s5
.LBB41_202:
	s_or_b32 exec_lo, exec_lo, s8
	v_mov_b32_e32 v7, 0
	ds_read_b128 v[96:99], v7 offset:256
	s_waitcnt lgkmcnt(0)
	v_mul_f64 v[7:8], v[3:4], v[98:99]
	v_mul_f64 v[93:94], v[1:2], v[98:99]
	v_fma_f64 v[1:2], v[1:2], v[96:97], -v[7:8]
	v_fma_f64 v[3:4], v[3:4], v[96:97], v[93:94]
	buffer_store_dword v2, off, s[0:3], 0 offset:260
	buffer_store_dword v1, off, s[0:3], 0 offset:256
	;; [unrolled: 1-line block ×4, first 2 shown]
.LBB41_203:
	s_or_b32 exec_lo, exec_lo, s6
	v_mov_b32_e32 v4, s35
	v_cmp_lt_u32_e64 s5, 15, v0
	s_clause 0x3
	buffer_load_dword v1, v4, s[0:3], 0 offen
	buffer_load_dword v2, v4, s[0:3], 0 offen offset:4
	buffer_load_dword v3, v4, s[0:3], 0 offen offset:8
	;; [unrolled: 1-line block ×3, first 2 shown]
	s_waitcnt vmcnt(0)
	ds_write_b128 v6, v[1:4]
	s_waitcnt lgkmcnt(0)
	s_waitcnt_vscnt null, 0x0
	s_barrier
	buffer_gl0_inv
	s_and_saveexec_b32 s6, s5
	s_cbranch_execz .LBB41_211
; %bb.204:
	ds_read_b128 v[1:4], v6
	s_andn2_b32 vcc_lo, exec_lo, s50
	s_cbranch_vccnz .LBB41_206
; %bb.205:
	s_clause 0x3
	buffer_load_dword v7, v5, s[0:3], 0 offen offset:8
	buffer_load_dword v8, v5, s[0:3], 0 offen offset:12
	buffer_load_dword v93, v5, s[0:3], 0 offen
	buffer_load_dword v94, v5, s[0:3], 0 offen offset:4
	s_waitcnt vmcnt(2) lgkmcnt(0)
	v_mul_f64 v[96:97], v[3:4], v[7:8]
	v_mul_f64 v[7:8], v[1:2], v[7:8]
	s_waitcnt vmcnt(0)
	v_fma_f64 v[1:2], v[1:2], v[93:94], -v[96:97]
	v_fma_f64 v[3:4], v[3:4], v[93:94], v[7:8]
.LBB41_206:
	s_and_saveexec_b32 s8, s4
	s_cbranch_execz .LBB41_210
; %bb.207:
	v_add_nc_u32_e32 v7, -16, v0
	s_movk_i32 s51, 0x3a0
	s_mov_b32 s4, 0
	s_mov_b32 s52, s34
	.p2align	6
.LBB41_208:                             ; =>This Inner Loop Header: Depth=1
	v_mov_b32_e32 v8, s52
	v_add_nc_u32_e32 v7, -1, v7
	s_add_i32 s52, s52, 16
	s_clause 0x3
	buffer_load_dword v93, v8, s[0:3], 0 offen offset:8
	buffer_load_dword v94, v8, s[0:3], 0 offen offset:12
	buffer_load_dword v100, v8, s[0:3], 0 offen
	buffer_load_dword v101, v8, s[0:3], 0 offen offset:4
	v_mov_b32_e32 v8, s51
	v_cmp_eq_u32_e32 vcc_lo, 0, v7
	s_add_i32 s51, s51, 16
	ds_read_b128 v[96:99], v8
	s_or_b32 s4, vcc_lo, s4
	s_waitcnt vmcnt(2) lgkmcnt(0)
	v_mul_f64 v[102:103], v[98:99], v[93:94]
	v_mul_f64 v[93:94], v[96:97], v[93:94]
	s_waitcnt vmcnt(0)
	v_fma_f64 v[96:97], v[96:97], v[100:101], -v[102:103]
	v_fma_f64 v[93:94], v[98:99], v[100:101], v[93:94]
	v_add_f64 v[1:2], v[1:2], v[96:97]
	v_add_f64 v[3:4], v[3:4], v[93:94]
	s_andn2_b32 exec_lo, exec_lo, s4
	s_cbranch_execnz .LBB41_208
; %bb.209:
	s_or_b32 exec_lo, exec_lo, s4
.LBB41_210:
	s_or_b32 exec_lo, exec_lo, s8
	v_mov_b32_e32 v7, 0
	ds_read_b128 v[96:99], v7 offset:240
	s_waitcnt lgkmcnt(0)
	v_mul_f64 v[7:8], v[3:4], v[98:99]
	v_mul_f64 v[93:94], v[1:2], v[98:99]
	v_fma_f64 v[1:2], v[1:2], v[96:97], -v[7:8]
	v_fma_f64 v[3:4], v[3:4], v[96:97], v[93:94]
	buffer_store_dword v2, off, s[0:3], 0 offset:244
	buffer_store_dword v1, off, s[0:3], 0 offset:240
	;; [unrolled: 1-line block ×4, first 2 shown]
.LBB41_211:
	s_or_b32 exec_lo, exec_lo, s6
	v_mov_b32_e32 v4, s36
	v_cmp_lt_u32_e64 s4, 14, v0
	s_clause 0x3
	buffer_load_dword v1, v4, s[0:3], 0 offen
	buffer_load_dword v2, v4, s[0:3], 0 offen offset:4
	buffer_load_dword v3, v4, s[0:3], 0 offen offset:8
	;; [unrolled: 1-line block ×3, first 2 shown]
	s_waitcnt vmcnt(0)
	ds_write_b128 v6, v[1:4]
	s_waitcnt lgkmcnt(0)
	s_waitcnt_vscnt null, 0x0
	s_barrier
	buffer_gl0_inv
	s_and_saveexec_b32 s6, s4
	s_cbranch_execz .LBB41_219
; %bb.212:
	ds_read_b128 v[1:4], v6
	s_andn2_b32 vcc_lo, exec_lo, s50
	s_cbranch_vccnz .LBB41_214
; %bb.213:
	s_clause 0x3
	buffer_load_dword v7, v5, s[0:3], 0 offen offset:8
	buffer_load_dword v8, v5, s[0:3], 0 offen offset:12
	buffer_load_dword v93, v5, s[0:3], 0 offen
	buffer_load_dword v94, v5, s[0:3], 0 offen offset:4
	s_waitcnt vmcnt(2) lgkmcnt(0)
	v_mul_f64 v[96:97], v[3:4], v[7:8]
	v_mul_f64 v[7:8], v[1:2], v[7:8]
	s_waitcnt vmcnt(0)
	v_fma_f64 v[1:2], v[1:2], v[93:94], -v[96:97]
	v_fma_f64 v[3:4], v[3:4], v[93:94], v[7:8]
.LBB41_214:
	s_and_saveexec_b32 s8, s5
	s_cbranch_execz .LBB41_218
; %bb.215:
	v_add_nc_u32_e32 v7, -15, v0
	s_movk_i32 s51, 0x390
	s_mov_b32 s5, 0
	s_mov_b32 s52, s35
	.p2align	6
.LBB41_216:                             ; =>This Inner Loop Header: Depth=1
	v_mov_b32_e32 v8, s52
	v_add_nc_u32_e32 v7, -1, v7
	s_add_i32 s52, s52, 16
	s_clause 0x3
	buffer_load_dword v93, v8, s[0:3], 0 offen offset:8
	buffer_load_dword v94, v8, s[0:3], 0 offen offset:12
	buffer_load_dword v100, v8, s[0:3], 0 offen
	buffer_load_dword v101, v8, s[0:3], 0 offen offset:4
	v_mov_b32_e32 v8, s51
	v_cmp_eq_u32_e32 vcc_lo, 0, v7
	s_add_i32 s51, s51, 16
	ds_read_b128 v[96:99], v8
	s_or_b32 s5, vcc_lo, s5
	s_waitcnt vmcnt(2) lgkmcnt(0)
	v_mul_f64 v[102:103], v[98:99], v[93:94]
	v_mul_f64 v[93:94], v[96:97], v[93:94]
	s_waitcnt vmcnt(0)
	v_fma_f64 v[96:97], v[96:97], v[100:101], -v[102:103]
	v_fma_f64 v[93:94], v[98:99], v[100:101], v[93:94]
	v_add_f64 v[1:2], v[1:2], v[96:97]
	v_add_f64 v[3:4], v[3:4], v[93:94]
	s_andn2_b32 exec_lo, exec_lo, s5
	s_cbranch_execnz .LBB41_216
; %bb.217:
	s_or_b32 exec_lo, exec_lo, s5
.LBB41_218:
	s_or_b32 exec_lo, exec_lo, s8
	v_mov_b32_e32 v7, 0
	ds_read_b128 v[96:99], v7 offset:224
	s_waitcnt lgkmcnt(0)
	v_mul_f64 v[7:8], v[3:4], v[98:99]
	v_mul_f64 v[93:94], v[1:2], v[98:99]
	v_fma_f64 v[1:2], v[1:2], v[96:97], -v[7:8]
	v_fma_f64 v[3:4], v[3:4], v[96:97], v[93:94]
	buffer_store_dword v2, off, s[0:3], 0 offset:228
	buffer_store_dword v1, off, s[0:3], 0 offset:224
	;; [unrolled: 1-line block ×4, first 2 shown]
.LBB41_219:
	s_or_b32 exec_lo, exec_lo, s6
	v_mov_b32_e32 v4, s37
	v_cmp_lt_u32_e64 s5, 13, v0
	s_clause 0x3
	buffer_load_dword v1, v4, s[0:3], 0 offen
	buffer_load_dword v2, v4, s[0:3], 0 offen offset:4
	buffer_load_dword v3, v4, s[0:3], 0 offen offset:8
	;; [unrolled: 1-line block ×3, first 2 shown]
	s_waitcnt vmcnt(0)
	ds_write_b128 v6, v[1:4]
	s_waitcnt lgkmcnt(0)
	s_waitcnt_vscnt null, 0x0
	s_barrier
	buffer_gl0_inv
	s_and_saveexec_b32 s6, s5
	s_cbranch_execz .LBB41_227
; %bb.220:
	ds_read_b128 v[1:4], v6
	s_andn2_b32 vcc_lo, exec_lo, s50
	s_cbranch_vccnz .LBB41_222
; %bb.221:
	s_clause 0x3
	buffer_load_dword v7, v5, s[0:3], 0 offen offset:8
	buffer_load_dword v8, v5, s[0:3], 0 offen offset:12
	buffer_load_dword v93, v5, s[0:3], 0 offen
	buffer_load_dword v94, v5, s[0:3], 0 offen offset:4
	s_waitcnt vmcnt(2) lgkmcnt(0)
	v_mul_f64 v[96:97], v[3:4], v[7:8]
	v_mul_f64 v[7:8], v[1:2], v[7:8]
	s_waitcnt vmcnt(0)
	v_fma_f64 v[1:2], v[1:2], v[93:94], -v[96:97]
	v_fma_f64 v[3:4], v[3:4], v[93:94], v[7:8]
.LBB41_222:
	s_and_saveexec_b32 s8, s4
	s_cbranch_execz .LBB41_226
; %bb.223:
	v_add_nc_u32_e32 v7, -14, v0
	s_movk_i32 s51, 0x380
	s_mov_b32 s4, 0
	s_mov_b32 s52, s36
	.p2align	6
.LBB41_224:                             ; =>This Inner Loop Header: Depth=1
	v_mov_b32_e32 v8, s52
	v_add_nc_u32_e32 v7, -1, v7
	s_add_i32 s52, s52, 16
	s_clause 0x3
	buffer_load_dword v93, v8, s[0:3], 0 offen offset:8
	buffer_load_dword v94, v8, s[0:3], 0 offen offset:12
	buffer_load_dword v100, v8, s[0:3], 0 offen
	buffer_load_dword v101, v8, s[0:3], 0 offen offset:4
	v_mov_b32_e32 v8, s51
	v_cmp_eq_u32_e32 vcc_lo, 0, v7
	s_add_i32 s51, s51, 16
	ds_read_b128 v[96:99], v8
	s_or_b32 s4, vcc_lo, s4
	s_waitcnt vmcnt(2) lgkmcnt(0)
	v_mul_f64 v[102:103], v[98:99], v[93:94]
	v_mul_f64 v[93:94], v[96:97], v[93:94]
	s_waitcnt vmcnt(0)
	v_fma_f64 v[96:97], v[96:97], v[100:101], -v[102:103]
	v_fma_f64 v[93:94], v[98:99], v[100:101], v[93:94]
	v_add_f64 v[1:2], v[1:2], v[96:97]
	v_add_f64 v[3:4], v[3:4], v[93:94]
	s_andn2_b32 exec_lo, exec_lo, s4
	s_cbranch_execnz .LBB41_224
; %bb.225:
	s_or_b32 exec_lo, exec_lo, s4
.LBB41_226:
	s_or_b32 exec_lo, exec_lo, s8
	v_mov_b32_e32 v7, 0
	ds_read_b128 v[96:99], v7 offset:208
	s_waitcnt lgkmcnt(0)
	v_mul_f64 v[7:8], v[3:4], v[98:99]
	v_mul_f64 v[93:94], v[1:2], v[98:99]
	v_fma_f64 v[1:2], v[1:2], v[96:97], -v[7:8]
	v_fma_f64 v[3:4], v[3:4], v[96:97], v[93:94]
	buffer_store_dword v2, off, s[0:3], 0 offset:212
	buffer_store_dword v1, off, s[0:3], 0 offset:208
	;; [unrolled: 1-line block ×4, first 2 shown]
.LBB41_227:
	s_or_b32 exec_lo, exec_lo, s6
	v_mov_b32_e32 v4, s38
	v_cmp_lt_u32_e64 s4, 12, v0
	s_clause 0x3
	buffer_load_dword v1, v4, s[0:3], 0 offen
	buffer_load_dword v2, v4, s[0:3], 0 offen offset:4
	buffer_load_dword v3, v4, s[0:3], 0 offen offset:8
	;; [unrolled: 1-line block ×3, first 2 shown]
	s_waitcnt vmcnt(0)
	ds_write_b128 v6, v[1:4]
	s_waitcnt lgkmcnt(0)
	s_waitcnt_vscnt null, 0x0
	s_barrier
	buffer_gl0_inv
	s_and_saveexec_b32 s6, s4
	s_cbranch_execz .LBB41_235
; %bb.228:
	ds_read_b128 v[1:4], v6
	s_andn2_b32 vcc_lo, exec_lo, s50
	s_cbranch_vccnz .LBB41_230
; %bb.229:
	s_clause 0x3
	buffer_load_dword v7, v5, s[0:3], 0 offen offset:8
	buffer_load_dword v8, v5, s[0:3], 0 offen offset:12
	buffer_load_dword v93, v5, s[0:3], 0 offen
	buffer_load_dword v94, v5, s[0:3], 0 offen offset:4
	s_waitcnt vmcnt(2) lgkmcnt(0)
	v_mul_f64 v[96:97], v[3:4], v[7:8]
	v_mul_f64 v[7:8], v[1:2], v[7:8]
	s_waitcnt vmcnt(0)
	v_fma_f64 v[1:2], v[1:2], v[93:94], -v[96:97]
	v_fma_f64 v[3:4], v[3:4], v[93:94], v[7:8]
.LBB41_230:
	s_and_saveexec_b32 s8, s5
	s_cbranch_execz .LBB41_234
; %bb.231:
	v_add_nc_u32_e32 v7, -13, v0
	s_movk_i32 s51, 0x370
	s_mov_b32 s5, 0
	s_mov_b32 s52, s37
	.p2align	6
.LBB41_232:                             ; =>This Inner Loop Header: Depth=1
	v_mov_b32_e32 v8, s52
	v_add_nc_u32_e32 v7, -1, v7
	s_add_i32 s52, s52, 16
	s_clause 0x3
	buffer_load_dword v93, v8, s[0:3], 0 offen offset:8
	buffer_load_dword v94, v8, s[0:3], 0 offen offset:12
	buffer_load_dword v100, v8, s[0:3], 0 offen
	buffer_load_dword v101, v8, s[0:3], 0 offen offset:4
	v_mov_b32_e32 v8, s51
	v_cmp_eq_u32_e32 vcc_lo, 0, v7
	s_add_i32 s51, s51, 16
	ds_read_b128 v[96:99], v8
	s_or_b32 s5, vcc_lo, s5
	s_waitcnt vmcnt(2) lgkmcnt(0)
	v_mul_f64 v[102:103], v[98:99], v[93:94]
	v_mul_f64 v[93:94], v[96:97], v[93:94]
	s_waitcnt vmcnt(0)
	v_fma_f64 v[96:97], v[96:97], v[100:101], -v[102:103]
	v_fma_f64 v[93:94], v[98:99], v[100:101], v[93:94]
	v_add_f64 v[1:2], v[1:2], v[96:97]
	v_add_f64 v[3:4], v[3:4], v[93:94]
	s_andn2_b32 exec_lo, exec_lo, s5
	s_cbranch_execnz .LBB41_232
; %bb.233:
	s_or_b32 exec_lo, exec_lo, s5
.LBB41_234:
	s_or_b32 exec_lo, exec_lo, s8
	v_mov_b32_e32 v7, 0
	ds_read_b128 v[96:99], v7 offset:192
	s_waitcnt lgkmcnt(0)
	v_mul_f64 v[7:8], v[3:4], v[98:99]
	v_mul_f64 v[93:94], v[1:2], v[98:99]
	v_fma_f64 v[1:2], v[1:2], v[96:97], -v[7:8]
	v_fma_f64 v[3:4], v[3:4], v[96:97], v[93:94]
	buffer_store_dword v2, off, s[0:3], 0 offset:196
	buffer_store_dword v1, off, s[0:3], 0 offset:192
	;; [unrolled: 1-line block ×4, first 2 shown]
.LBB41_235:
	s_or_b32 exec_lo, exec_lo, s6
	v_mov_b32_e32 v4, s39
	v_cmp_lt_u32_e64 s5, 11, v0
	s_clause 0x3
	buffer_load_dword v1, v4, s[0:3], 0 offen
	buffer_load_dword v2, v4, s[0:3], 0 offen offset:4
	buffer_load_dword v3, v4, s[0:3], 0 offen offset:8
	;; [unrolled: 1-line block ×3, first 2 shown]
	s_waitcnt vmcnt(0)
	ds_write_b128 v6, v[1:4]
	s_waitcnt lgkmcnt(0)
	s_waitcnt_vscnt null, 0x0
	s_barrier
	buffer_gl0_inv
	s_and_saveexec_b32 s6, s5
	s_cbranch_execz .LBB41_243
; %bb.236:
	ds_read_b128 v[1:4], v6
	s_andn2_b32 vcc_lo, exec_lo, s50
	s_cbranch_vccnz .LBB41_238
; %bb.237:
	s_clause 0x3
	buffer_load_dword v7, v5, s[0:3], 0 offen offset:8
	buffer_load_dword v8, v5, s[0:3], 0 offen offset:12
	buffer_load_dword v93, v5, s[0:3], 0 offen
	buffer_load_dword v94, v5, s[0:3], 0 offen offset:4
	s_waitcnt vmcnt(2) lgkmcnt(0)
	v_mul_f64 v[96:97], v[3:4], v[7:8]
	v_mul_f64 v[7:8], v[1:2], v[7:8]
	s_waitcnt vmcnt(0)
	v_fma_f64 v[1:2], v[1:2], v[93:94], -v[96:97]
	v_fma_f64 v[3:4], v[3:4], v[93:94], v[7:8]
.LBB41_238:
	s_and_saveexec_b32 s8, s4
	s_cbranch_execz .LBB41_242
; %bb.239:
	v_add_nc_u32_e32 v7, -12, v0
	s_movk_i32 s51, 0x360
	s_mov_b32 s4, 0
	s_mov_b32 s52, s38
	.p2align	6
.LBB41_240:                             ; =>This Inner Loop Header: Depth=1
	v_mov_b32_e32 v8, s52
	v_add_nc_u32_e32 v7, -1, v7
	s_add_i32 s52, s52, 16
	s_clause 0x3
	buffer_load_dword v93, v8, s[0:3], 0 offen offset:8
	buffer_load_dword v94, v8, s[0:3], 0 offen offset:12
	buffer_load_dword v100, v8, s[0:3], 0 offen
	buffer_load_dword v101, v8, s[0:3], 0 offen offset:4
	v_mov_b32_e32 v8, s51
	v_cmp_eq_u32_e32 vcc_lo, 0, v7
	s_add_i32 s51, s51, 16
	ds_read_b128 v[96:99], v8
	s_or_b32 s4, vcc_lo, s4
	s_waitcnt vmcnt(2) lgkmcnt(0)
	v_mul_f64 v[102:103], v[98:99], v[93:94]
	v_mul_f64 v[93:94], v[96:97], v[93:94]
	s_waitcnt vmcnt(0)
	v_fma_f64 v[96:97], v[96:97], v[100:101], -v[102:103]
	v_fma_f64 v[93:94], v[98:99], v[100:101], v[93:94]
	v_add_f64 v[1:2], v[1:2], v[96:97]
	v_add_f64 v[3:4], v[3:4], v[93:94]
	s_andn2_b32 exec_lo, exec_lo, s4
	s_cbranch_execnz .LBB41_240
; %bb.241:
	s_or_b32 exec_lo, exec_lo, s4
.LBB41_242:
	s_or_b32 exec_lo, exec_lo, s8
	v_mov_b32_e32 v7, 0
	ds_read_b128 v[96:99], v7 offset:176
	s_waitcnt lgkmcnt(0)
	v_mul_f64 v[7:8], v[3:4], v[98:99]
	v_mul_f64 v[93:94], v[1:2], v[98:99]
	v_fma_f64 v[1:2], v[1:2], v[96:97], -v[7:8]
	v_fma_f64 v[3:4], v[3:4], v[96:97], v[93:94]
	buffer_store_dword v2, off, s[0:3], 0 offset:180
	buffer_store_dword v1, off, s[0:3], 0 offset:176
	buffer_store_dword v4, off, s[0:3], 0 offset:188
	buffer_store_dword v3, off, s[0:3], 0 offset:184
.LBB41_243:
	s_or_b32 exec_lo, exec_lo, s6
	v_mov_b32_e32 v4, s40
	v_cmp_lt_u32_e64 s4, 10, v0
	s_clause 0x3
	buffer_load_dword v1, v4, s[0:3], 0 offen
	buffer_load_dword v2, v4, s[0:3], 0 offen offset:4
	buffer_load_dword v3, v4, s[0:3], 0 offen offset:8
	;; [unrolled: 1-line block ×3, first 2 shown]
	s_waitcnt vmcnt(0)
	ds_write_b128 v6, v[1:4]
	s_waitcnt lgkmcnt(0)
	s_waitcnt_vscnt null, 0x0
	s_barrier
	buffer_gl0_inv
	s_and_saveexec_b32 s6, s4
	s_cbranch_execz .LBB41_251
; %bb.244:
	ds_read_b128 v[1:4], v6
	s_andn2_b32 vcc_lo, exec_lo, s50
	s_cbranch_vccnz .LBB41_246
; %bb.245:
	s_clause 0x3
	buffer_load_dword v7, v5, s[0:3], 0 offen offset:8
	buffer_load_dword v8, v5, s[0:3], 0 offen offset:12
	buffer_load_dword v93, v5, s[0:3], 0 offen
	buffer_load_dword v94, v5, s[0:3], 0 offen offset:4
	s_waitcnt vmcnt(2) lgkmcnt(0)
	v_mul_f64 v[96:97], v[3:4], v[7:8]
	v_mul_f64 v[7:8], v[1:2], v[7:8]
	s_waitcnt vmcnt(0)
	v_fma_f64 v[1:2], v[1:2], v[93:94], -v[96:97]
	v_fma_f64 v[3:4], v[3:4], v[93:94], v[7:8]
.LBB41_246:
	s_and_saveexec_b32 s8, s5
	s_cbranch_execz .LBB41_250
; %bb.247:
	v_add_nc_u32_e32 v7, -11, v0
	s_movk_i32 s51, 0x350
	s_mov_b32 s5, 0
	s_mov_b32 s52, s39
	.p2align	6
.LBB41_248:                             ; =>This Inner Loop Header: Depth=1
	v_mov_b32_e32 v8, s52
	v_add_nc_u32_e32 v7, -1, v7
	s_add_i32 s52, s52, 16
	s_clause 0x3
	buffer_load_dword v93, v8, s[0:3], 0 offen offset:8
	buffer_load_dword v94, v8, s[0:3], 0 offen offset:12
	buffer_load_dword v100, v8, s[0:3], 0 offen
	buffer_load_dword v101, v8, s[0:3], 0 offen offset:4
	v_mov_b32_e32 v8, s51
	v_cmp_eq_u32_e32 vcc_lo, 0, v7
	s_add_i32 s51, s51, 16
	ds_read_b128 v[96:99], v8
	s_or_b32 s5, vcc_lo, s5
	s_waitcnt vmcnt(2) lgkmcnt(0)
	v_mul_f64 v[102:103], v[98:99], v[93:94]
	v_mul_f64 v[93:94], v[96:97], v[93:94]
	s_waitcnt vmcnt(0)
	v_fma_f64 v[96:97], v[96:97], v[100:101], -v[102:103]
	v_fma_f64 v[93:94], v[98:99], v[100:101], v[93:94]
	v_add_f64 v[1:2], v[1:2], v[96:97]
	v_add_f64 v[3:4], v[3:4], v[93:94]
	s_andn2_b32 exec_lo, exec_lo, s5
	s_cbranch_execnz .LBB41_248
; %bb.249:
	s_or_b32 exec_lo, exec_lo, s5
.LBB41_250:
	s_or_b32 exec_lo, exec_lo, s8
	v_mov_b32_e32 v7, 0
	ds_read_b128 v[96:99], v7 offset:160
	s_waitcnt lgkmcnt(0)
	v_mul_f64 v[7:8], v[3:4], v[98:99]
	v_mul_f64 v[93:94], v[1:2], v[98:99]
	v_fma_f64 v[1:2], v[1:2], v[96:97], -v[7:8]
	v_fma_f64 v[3:4], v[3:4], v[96:97], v[93:94]
	buffer_store_dword v2, off, s[0:3], 0 offset:164
	buffer_store_dword v1, off, s[0:3], 0 offset:160
	;; [unrolled: 1-line block ×4, first 2 shown]
.LBB41_251:
	s_or_b32 exec_lo, exec_lo, s6
	v_mov_b32_e32 v4, s41
	v_cmp_lt_u32_e64 s5, 9, v0
	s_clause 0x3
	buffer_load_dword v1, v4, s[0:3], 0 offen
	buffer_load_dword v2, v4, s[0:3], 0 offen offset:4
	buffer_load_dword v3, v4, s[0:3], 0 offen offset:8
	;; [unrolled: 1-line block ×3, first 2 shown]
	s_waitcnt vmcnt(0)
	ds_write_b128 v6, v[1:4]
	s_waitcnt lgkmcnt(0)
	s_waitcnt_vscnt null, 0x0
	s_barrier
	buffer_gl0_inv
	s_and_saveexec_b32 s6, s5
	s_cbranch_execz .LBB41_259
; %bb.252:
	ds_read_b128 v[1:4], v6
	s_andn2_b32 vcc_lo, exec_lo, s50
	s_cbranch_vccnz .LBB41_254
; %bb.253:
	s_clause 0x3
	buffer_load_dword v7, v5, s[0:3], 0 offen offset:8
	buffer_load_dword v8, v5, s[0:3], 0 offen offset:12
	buffer_load_dword v93, v5, s[0:3], 0 offen
	buffer_load_dword v94, v5, s[0:3], 0 offen offset:4
	s_waitcnt vmcnt(2) lgkmcnt(0)
	v_mul_f64 v[96:97], v[3:4], v[7:8]
	v_mul_f64 v[7:8], v[1:2], v[7:8]
	s_waitcnt vmcnt(0)
	v_fma_f64 v[1:2], v[1:2], v[93:94], -v[96:97]
	v_fma_f64 v[3:4], v[3:4], v[93:94], v[7:8]
.LBB41_254:
	s_and_saveexec_b32 s8, s4
	s_cbranch_execz .LBB41_258
; %bb.255:
	v_add_nc_u32_e32 v7, -10, v0
	s_movk_i32 s51, 0x340
	s_mov_b32 s4, 0
	s_mov_b32 s52, s40
	.p2align	6
.LBB41_256:                             ; =>This Inner Loop Header: Depth=1
	v_mov_b32_e32 v8, s52
	v_add_nc_u32_e32 v7, -1, v7
	s_add_i32 s52, s52, 16
	s_clause 0x3
	buffer_load_dword v93, v8, s[0:3], 0 offen offset:8
	buffer_load_dword v94, v8, s[0:3], 0 offen offset:12
	buffer_load_dword v100, v8, s[0:3], 0 offen
	buffer_load_dword v101, v8, s[0:3], 0 offen offset:4
	v_mov_b32_e32 v8, s51
	v_cmp_eq_u32_e32 vcc_lo, 0, v7
	s_add_i32 s51, s51, 16
	ds_read_b128 v[96:99], v8
	s_or_b32 s4, vcc_lo, s4
	s_waitcnt vmcnt(2) lgkmcnt(0)
	v_mul_f64 v[102:103], v[98:99], v[93:94]
	v_mul_f64 v[93:94], v[96:97], v[93:94]
	s_waitcnt vmcnt(0)
	v_fma_f64 v[96:97], v[96:97], v[100:101], -v[102:103]
	v_fma_f64 v[93:94], v[98:99], v[100:101], v[93:94]
	v_add_f64 v[1:2], v[1:2], v[96:97]
	v_add_f64 v[3:4], v[3:4], v[93:94]
	s_andn2_b32 exec_lo, exec_lo, s4
	s_cbranch_execnz .LBB41_256
; %bb.257:
	s_or_b32 exec_lo, exec_lo, s4
.LBB41_258:
	s_or_b32 exec_lo, exec_lo, s8
	v_mov_b32_e32 v7, 0
	ds_read_b128 v[96:99], v7 offset:144
	s_waitcnt lgkmcnt(0)
	v_mul_f64 v[7:8], v[3:4], v[98:99]
	v_mul_f64 v[93:94], v[1:2], v[98:99]
	v_fma_f64 v[1:2], v[1:2], v[96:97], -v[7:8]
	v_fma_f64 v[3:4], v[3:4], v[96:97], v[93:94]
	buffer_store_dword v2, off, s[0:3], 0 offset:148
	buffer_store_dword v1, off, s[0:3], 0 offset:144
	;; [unrolled: 1-line block ×4, first 2 shown]
.LBB41_259:
	s_or_b32 exec_lo, exec_lo, s6
	v_mov_b32_e32 v4, s42
	v_cmp_lt_u32_e64 s4, 8, v0
	s_clause 0x3
	buffer_load_dword v1, v4, s[0:3], 0 offen
	buffer_load_dword v2, v4, s[0:3], 0 offen offset:4
	buffer_load_dword v3, v4, s[0:3], 0 offen offset:8
	;; [unrolled: 1-line block ×3, first 2 shown]
	s_waitcnt vmcnt(0)
	ds_write_b128 v6, v[1:4]
	s_waitcnt lgkmcnt(0)
	s_waitcnt_vscnt null, 0x0
	s_barrier
	buffer_gl0_inv
	s_and_saveexec_b32 s6, s4
	s_cbranch_execz .LBB41_267
; %bb.260:
	ds_read_b128 v[1:4], v6
	s_andn2_b32 vcc_lo, exec_lo, s50
	s_cbranch_vccnz .LBB41_262
; %bb.261:
	s_clause 0x3
	buffer_load_dword v7, v5, s[0:3], 0 offen offset:8
	buffer_load_dword v8, v5, s[0:3], 0 offen offset:12
	buffer_load_dword v93, v5, s[0:3], 0 offen
	buffer_load_dword v94, v5, s[0:3], 0 offen offset:4
	s_waitcnt vmcnt(2) lgkmcnt(0)
	v_mul_f64 v[96:97], v[3:4], v[7:8]
	v_mul_f64 v[7:8], v[1:2], v[7:8]
	s_waitcnt vmcnt(0)
	v_fma_f64 v[1:2], v[1:2], v[93:94], -v[96:97]
	v_fma_f64 v[3:4], v[3:4], v[93:94], v[7:8]
.LBB41_262:
	s_and_saveexec_b32 s8, s5
	s_cbranch_execz .LBB41_266
; %bb.263:
	v_add_nc_u32_e32 v7, -9, v0
	s_movk_i32 s51, 0x330
	s_mov_b32 s5, 0
	s_mov_b32 s52, s41
	.p2align	6
.LBB41_264:                             ; =>This Inner Loop Header: Depth=1
	v_mov_b32_e32 v8, s52
	v_add_nc_u32_e32 v7, -1, v7
	s_add_i32 s52, s52, 16
	s_clause 0x3
	buffer_load_dword v93, v8, s[0:3], 0 offen offset:8
	buffer_load_dword v94, v8, s[0:3], 0 offen offset:12
	buffer_load_dword v100, v8, s[0:3], 0 offen
	buffer_load_dword v101, v8, s[0:3], 0 offen offset:4
	v_mov_b32_e32 v8, s51
	v_cmp_eq_u32_e32 vcc_lo, 0, v7
	s_add_i32 s51, s51, 16
	ds_read_b128 v[96:99], v8
	s_or_b32 s5, vcc_lo, s5
	s_waitcnt vmcnt(2) lgkmcnt(0)
	v_mul_f64 v[102:103], v[98:99], v[93:94]
	v_mul_f64 v[93:94], v[96:97], v[93:94]
	s_waitcnt vmcnt(0)
	v_fma_f64 v[96:97], v[96:97], v[100:101], -v[102:103]
	v_fma_f64 v[93:94], v[98:99], v[100:101], v[93:94]
	v_add_f64 v[1:2], v[1:2], v[96:97]
	v_add_f64 v[3:4], v[3:4], v[93:94]
	s_andn2_b32 exec_lo, exec_lo, s5
	s_cbranch_execnz .LBB41_264
; %bb.265:
	s_or_b32 exec_lo, exec_lo, s5
.LBB41_266:
	s_or_b32 exec_lo, exec_lo, s8
	v_mov_b32_e32 v7, 0
	ds_read_b128 v[96:99], v7 offset:128
	s_waitcnt lgkmcnt(0)
	v_mul_f64 v[7:8], v[3:4], v[98:99]
	v_mul_f64 v[93:94], v[1:2], v[98:99]
	v_fma_f64 v[1:2], v[1:2], v[96:97], -v[7:8]
	v_fma_f64 v[3:4], v[3:4], v[96:97], v[93:94]
	buffer_store_dword v2, off, s[0:3], 0 offset:132
	buffer_store_dword v1, off, s[0:3], 0 offset:128
	;; [unrolled: 1-line block ×4, first 2 shown]
.LBB41_267:
	s_or_b32 exec_lo, exec_lo, s6
	v_mov_b32_e32 v4, s43
	v_cmp_lt_u32_e64 s5, 7, v0
	s_clause 0x3
	buffer_load_dword v1, v4, s[0:3], 0 offen
	buffer_load_dword v2, v4, s[0:3], 0 offen offset:4
	buffer_load_dword v3, v4, s[0:3], 0 offen offset:8
	buffer_load_dword v4, v4, s[0:3], 0 offen offset:12
	s_waitcnt vmcnt(0)
	ds_write_b128 v6, v[1:4]
	s_waitcnt lgkmcnt(0)
	s_waitcnt_vscnt null, 0x0
	s_barrier
	buffer_gl0_inv
	s_and_saveexec_b32 s6, s5
	s_cbranch_execz .LBB41_275
; %bb.268:
	ds_read_b128 v[1:4], v6
	s_andn2_b32 vcc_lo, exec_lo, s50
	s_cbranch_vccnz .LBB41_270
; %bb.269:
	s_clause 0x3
	buffer_load_dword v7, v5, s[0:3], 0 offen offset:8
	buffer_load_dword v8, v5, s[0:3], 0 offen offset:12
	buffer_load_dword v93, v5, s[0:3], 0 offen
	buffer_load_dword v94, v5, s[0:3], 0 offen offset:4
	s_waitcnt vmcnt(2) lgkmcnt(0)
	v_mul_f64 v[96:97], v[3:4], v[7:8]
	v_mul_f64 v[7:8], v[1:2], v[7:8]
	s_waitcnt vmcnt(0)
	v_fma_f64 v[1:2], v[1:2], v[93:94], -v[96:97]
	v_fma_f64 v[3:4], v[3:4], v[93:94], v[7:8]
.LBB41_270:
	s_and_saveexec_b32 s8, s4
	s_cbranch_execz .LBB41_274
; %bb.271:
	v_add_nc_u32_e32 v7, -8, v0
	s_movk_i32 s51, 0x320
	s_mov_b32 s4, 0
	s_mov_b32 s52, s42
	.p2align	6
.LBB41_272:                             ; =>This Inner Loop Header: Depth=1
	v_mov_b32_e32 v8, s52
	v_add_nc_u32_e32 v7, -1, v7
	s_add_i32 s52, s52, 16
	s_clause 0x3
	buffer_load_dword v93, v8, s[0:3], 0 offen offset:8
	buffer_load_dword v94, v8, s[0:3], 0 offen offset:12
	buffer_load_dword v100, v8, s[0:3], 0 offen
	buffer_load_dword v101, v8, s[0:3], 0 offen offset:4
	v_mov_b32_e32 v8, s51
	v_cmp_eq_u32_e32 vcc_lo, 0, v7
	s_add_i32 s51, s51, 16
	ds_read_b128 v[96:99], v8
	s_or_b32 s4, vcc_lo, s4
	s_waitcnt vmcnt(2) lgkmcnt(0)
	v_mul_f64 v[102:103], v[98:99], v[93:94]
	v_mul_f64 v[93:94], v[96:97], v[93:94]
	s_waitcnt vmcnt(0)
	v_fma_f64 v[96:97], v[96:97], v[100:101], -v[102:103]
	v_fma_f64 v[93:94], v[98:99], v[100:101], v[93:94]
	v_add_f64 v[1:2], v[1:2], v[96:97]
	v_add_f64 v[3:4], v[3:4], v[93:94]
	s_andn2_b32 exec_lo, exec_lo, s4
	s_cbranch_execnz .LBB41_272
; %bb.273:
	s_or_b32 exec_lo, exec_lo, s4
.LBB41_274:
	s_or_b32 exec_lo, exec_lo, s8
	v_mov_b32_e32 v7, 0
	ds_read_b128 v[96:99], v7 offset:112
	s_waitcnt lgkmcnt(0)
	v_mul_f64 v[7:8], v[3:4], v[98:99]
	v_mul_f64 v[93:94], v[1:2], v[98:99]
	v_fma_f64 v[1:2], v[1:2], v[96:97], -v[7:8]
	v_fma_f64 v[3:4], v[3:4], v[96:97], v[93:94]
	buffer_store_dword v2, off, s[0:3], 0 offset:116
	buffer_store_dword v1, off, s[0:3], 0 offset:112
	;; [unrolled: 1-line block ×4, first 2 shown]
.LBB41_275:
	s_or_b32 exec_lo, exec_lo, s6
	v_mov_b32_e32 v4, s44
	v_cmp_lt_u32_e64 s4, 6, v0
	s_clause 0x3
	buffer_load_dword v1, v4, s[0:3], 0 offen
	buffer_load_dword v2, v4, s[0:3], 0 offen offset:4
	buffer_load_dword v3, v4, s[0:3], 0 offen offset:8
	buffer_load_dword v4, v4, s[0:3], 0 offen offset:12
	s_waitcnt vmcnt(0)
	ds_write_b128 v6, v[1:4]
	s_waitcnt lgkmcnt(0)
	s_waitcnt_vscnt null, 0x0
	s_barrier
	buffer_gl0_inv
	s_and_saveexec_b32 s6, s4
	s_cbranch_execz .LBB41_283
; %bb.276:
	ds_read_b128 v[1:4], v6
	s_andn2_b32 vcc_lo, exec_lo, s50
	s_cbranch_vccnz .LBB41_278
; %bb.277:
	s_clause 0x3
	buffer_load_dword v7, v5, s[0:3], 0 offen offset:8
	buffer_load_dword v8, v5, s[0:3], 0 offen offset:12
	buffer_load_dword v93, v5, s[0:3], 0 offen
	buffer_load_dword v94, v5, s[0:3], 0 offen offset:4
	s_waitcnt vmcnt(2) lgkmcnt(0)
	v_mul_f64 v[96:97], v[3:4], v[7:8]
	v_mul_f64 v[7:8], v[1:2], v[7:8]
	s_waitcnt vmcnt(0)
	v_fma_f64 v[1:2], v[1:2], v[93:94], -v[96:97]
	v_fma_f64 v[3:4], v[3:4], v[93:94], v[7:8]
.LBB41_278:
	s_and_saveexec_b32 s8, s5
	s_cbranch_execz .LBB41_282
; %bb.279:
	v_add_nc_u32_e32 v7, -7, v0
	s_movk_i32 s51, 0x310
	s_mov_b32 s5, 0
	s_mov_b32 s52, s43
	.p2align	6
.LBB41_280:                             ; =>This Inner Loop Header: Depth=1
	v_mov_b32_e32 v8, s52
	v_add_nc_u32_e32 v7, -1, v7
	s_add_i32 s52, s52, 16
	s_clause 0x3
	buffer_load_dword v93, v8, s[0:3], 0 offen offset:8
	buffer_load_dword v94, v8, s[0:3], 0 offen offset:12
	buffer_load_dword v100, v8, s[0:3], 0 offen
	buffer_load_dword v101, v8, s[0:3], 0 offen offset:4
	v_mov_b32_e32 v8, s51
	v_cmp_eq_u32_e32 vcc_lo, 0, v7
	s_add_i32 s51, s51, 16
	ds_read_b128 v[96:99], v8
	s_or_b32 s5, vcc_lo, s5
	s_waitcnt vmcnt(2) lgkmcnt(0)
	v_mul_f64 v[102:103], v[98:99], v[93:94]
	v_mul_f64 v[93:94], v[96:97], v[93:94]
	s_waitcnt vmcnt(0)
	v_fma_f64 v[96:97], v[96:97], v[100:101], -v[102:103]
	v_fma_f64 v[93:94], v[98:99], v[100:101], v[93:94]
	v_add_f64 v[1:2], v[1:2], v[96:97]
	v_add_f64 v[3:4], v[3:4], v[93:94]
	s_andn2_b32 exec_lo, exec_lo, s5
	s_cbranch_execnz .LBB41_280
; %bb.281:
	s_or_b32 exec_lo, exec_lo, s5
.LBB41_282:
	s_or_b32 exec_lo, exec_lo, s8
	v_mov_b32_e32 v7, 0
	ds_read_b128 v[96:99], v7 offset:96
	s_waitcnt lgkmcnt(0)
	v_mul_f64 v[7:8], v[3:4], v[98:99]
	v_mul_f64 v[93:94], v[1:2], v[98:99]
	v_fma_f64 v[1:2], v[1:2], v[96:97], -v[7:8]
	v_fma_f64 v[3:4], v[3:4], v[96:97], v[93:94]
	buffer_store_dword v2, off, s[0:3], 0 offset:100
	buffer_store_dword v1, off, s[0:3], 0 offset:96
	;; [unrolled: 1-line block ×4, first 2 shown]
.LBB41_283:
	s_or_b32 exec_lo, exec_lo, s6
	v_mov_b32_e32 v4, s45
	v_cmp_lt_u32_e64 s5, 5, v0
	s_clause 0x3
	buffer_load_dword v1, v4, s[0:3], 0 offen
	buffer_load_dword v2, v4, s[0:3], 0 offen offset:4
	buffer_load_dword v3, v4, s[0:3], 0 offen offset:8
	;; [unrolled: 1-line block ×3, first 2 shown]
	s_waitcnt vmcnt(0)
	ds_write_b128 v6, v[1:4]
	s_waitcnt lgkmcnt(0)
	s_waitcnt_vscnt null, 0x0
	s_barrier
	buffer_gl0_inv
	s_and_saveexec_b32 s6, s5
	s_cbranch_execz .LBB41_291
; %bb.284:
	ds_read_b128 v[1:4], v6
	s_andn2_b32 vcc_lo, exec_lo, s50
	s_cbranch_vccnz .LBB41_286
; %bb.285:
	s_clause 0x3
	buffer_load_dword v7, v5, s[0:3], 0 offen offset:8
	buffer_load_dword v8, v5, s[0:3], 0 offen offset:12
	buffer_load_dword v93, v5, s[0:3], 0 offen
	buffer_load_dword v94, v5, s[0:3], 0 offen offset:4
	s_waitcnt vmcnt(2) lgkmcnt(0)
	v_mul_f64 v[96:97], v[3:4], v[7:8]
	v_mul_f64 v[7:8], v[1:2], v[7:8]
	s_waitcnt vmcnt(0)
	v_fma_f64 v[1:2], v[1:2], v[93:94], -v[96:97]
	v_fma_f64 v[3:4], v[3:4], v[93:94], v[7:8]
.LBB41_286:
	s_and_saveexec_b32 s8, s4
	s_cbranch_execz .LBB41_290
; %bb.287:
	v_add_nc_u32_e32 v7, -6, v0
	s_movk_i32 s51, 0x300
	s_mov_b32 s4, 0
	s_mov_b32 s52, s44
	.p2align	6
.LBB41_288:                             ; =>This Inner Loop Header: Depth=1
	v_mov_b32_e32 v8, s52
	v_add_nc_u32_e32 v7, -1, v7
	s_add_i32 s52, s52, 16
	s_clause 0x3
	buffer_load_dword v93, v8, s[0:3], 0 offen offset:8
	buffer_load_dword v94, v8, s[0:3], 0 offen offset:12
	buffer_load_dword v100, v8, s[0:3], 0 offen
	buffer_load_dword v101, v8, s[0:3], 0 offen offset:4
	v_mov_b32_e32 v8, s51
	v_cmp_eq_u32_e32 vcc_lo, 0, v7
	s_add_i32 s51, s51, 16
	ds_read_b128 v[96:99], v8
	s_or_b32 s4, vcc_lo, s4
	s_waitcnt vmcnt(2) lgkmcnt(0)
	v_mul_f64 v[102:103], v[98:99], v[93:94]
	v_mul_f64 v[93:94], v[96:97], v[93:94]
	s_waitcnt vmcnt(0)
	v_fma_f64 v[96:97], v[96:97], v[100:101], -v[102:103]
	v_fma_f64 v[93:94], v[98:99], v[100:101], v[93:94]
	v_add_f64 v[1:2], v[1:2], v[96:97]
	v_add_f64 v[3:4], v[3:4], v[93:94]
	s_andn2_b32 exec_lo, exec_lo, s4
	s_cbranch_execnz .LBB41_288
; %bb.289:
	s_or_b32 exec_lo, exec_lo, s4
.LBB41_290:
	s_or_b32 exec_lo, exec_lo, s8
	v_mov_b32_e32 v7, 0
	ds_read_b128 v[96:99], v7 offset:80
	s_waitcnt lgkmcnt(0)
	v_mul_f64 v[7:8], v[3:4], v[98:99]
	v_mul_f64 v[93:94], v[1:2], v[98:99]
	v_fma_f64 v[1:2], v[1:2], v[96:97], -v[7:8]
	v_fma_f64 v[3:4], v[3:4], v[96:97], v[93:94]
	buffer_store_dword v2, off, s[0:3], 0 offset:84
	buffer_store_dword v1, off, s[0:3], 0 offset:80
	;; [unrolled: 1-line block ×4, first 2 shown]
.LBB41_291:
	s_or_b32 exec_lo, exec_lo, s6
	v_mov_b32_e32 v4, s46
	v_cmp_lt_u32_e64 s4, 4, v0
	s_clause 0x3
	buffer_load_dword v1, v4, s[0:3], 0 offen
	buffer_load_dword v2, v4, s[0:3], 0 offen offset:4
	buffer_load_dword v3, v4, s[0:3], 0 offen offset:8
	;; [unrolled: 1-line block ×3, first 2 shown]
	s_waitcnt vmcnt(0)
	ds_write_b128 v6, v[1:4]
	s_waitcnt lgkmcnt(0)
	s_waitcnt_vscnt null, 0x0
	s_barrier
	buffer_gl0_inv
	s_and_saveexec_b32 s6, s4
	s_cbranch_execz .LBB41_299
; %bb.292:
	ds_read_b128 v[1:4], v6
	s_andn2_b32 vcc_lo, exec_lo, s50
	s_cbranch_vccnz .LBB41_294
; %bb.293:
	s_clause 0x3
	buffer_load_dword v7, v5, s[0:3], 0 offen offset:8
	buffer_load_dword v8, v5, s[0:3], 0 offen offset:12
	buffer_load_dword v93, v5, s[0:3], 0 offen
	buffer_load_dword v94, v5, s[0:3], 0 offen offset:4
	s_waitcnt vmcnt(2) lgkmcnt(0)
	v_mul_f64 v[96:97], v[3:4], v[7:8]
	v_mul_f64 v[7:8], v[1:2], v[7:8]
	s_waitcnt vmcnt(0)
	v_fma_f64 v[1:2], v[1:2], v[93:94], -v[96:97]
	v_fma_f64 v[3:4], v[3:4], v[93:94], v[7:8]
.LBB41_294:
	s_and_saveexec_b32 s8, s5
	s_cbranch_execz .LBB41_298
; %bb.295:
	v_add_nc_u32_e32 v7, -5, v0
	s_movk_i32 s51, 0x2f0
	s_mov_b32 s5, 0
	s_mov_b32 s52, s45
	.p2align	6
.LBB41_296:                             ; =>This Inner Loop Header: Depth=1
	v_mov_b32_e32 v8, s52
	v_add_nc_u32_e32 v7, -1, v7
	s_add_i32 s52, s52, 16
	s_clause 0x3
	buffer_load_dword v93, v8, s[0:3], 0 offen offset:8
	buffer_load_dword v94, v8, s[0:3], 0 offen offset:12
	buffer_load_dword v100, v8, s[0:3], 0 offen
	buffer_load_dword v101, v8, s[0:3], 0 offen offset:4
	v_mov_b32_e32 v8, s51
	v_cmp_eq_u32_e32 vcc_lo, 0, v7
	s_add_i32 s51, s51, 16
	ds_read_b128 v[96:99], v8
	s_or_b32 s5, vcc_lo, s5
	s_waitcnt vmcnt(2) lgkmcnt(0)
	v_mul_f64 v[102:103], v[98:99], v[93:94]
	v_mul_f64 v[93:94], v[96:97], v[93:94]
	s_waitcnt vmcnt(0)
	v_fma_f64 v[96:97], v[96:97], v[100:101], -v[102:103]
	v_fma_f64 v[93:94], v[98:99], v[100:101], v[93:94]
	v_add_f64 v[1:2], v[1:2], v[96:97]
	v_add_f64 v[3:4], v[3:4], v[93:94]
	s_andn2_b32 exec_lo, exec_lo, s5
	s_cbranch_execnz .LBB41_296
; %bb.297:
	s_or_b32 exec_lo, exec_lo, s5
.LBB41_298:
	s_or_b32 exec_lo, exec_lo, s8
	v_mov_b32_e32 v7, 0
	ds_read_b128 v[96:99], v7 offset:64
	s_waitcnt lgkmcnt(0)
	v_mul_f64 v[7:8], v[3:4], v[98:99]
	v_mul_f64 v[93:94], v[1:2], v[98:99]
	v_fma_f64 v[1:2], v[1:2], v[96:97], -v[7:8]
	v_fma_f64 v[3:4], v[3:4], v[96:97], v[93:94]
	buffer_store_dword v2, off, s[0:3], 0 offset:68
	buffer_store_dword v1, off, s[0:3], 0 offset:64
	;; [unrolled: 1-line block ×4, first 2 shown]
.LBB41_299:
	s_or_b32 exec_lo, exec_lo, s6
	v_mov_b32_e32 v4, s47
	v_cmp_lt_u32_e64 s5, 3, v0
	s_clause 0x3
	buffer_load_dword v1, v4, s[0:3], 0 offen
	buffer_load_dword v2, v4, s[0:3], 0 offen offset:4
	buffer_load_dword v3, v4, s[0:3], 0 offen offset:8
	;; [unrolled: 1-line block ×3, first 2 shown]
	s_waitcnt vmcnt(0)
	ds_write_b128 v6, v[1:4]
	s_waitcnt lgkmcnt(0)
	s_waitcnt_vscnt null, 0x0
	s_barrier
	buffer_gl0_inv
	s_and_saveexec_b32 s6, s5
	s_cbranch_execz .LBB41_307
; %bb.300:
	ds_read_b128 v[1:4], v6
	s_andn2_b32 vcc_lo, exec_lo, s50
	s_cbranch_vccnz .LBB41_302
; %bb.301:
	s_clause 0x3
	buffer_load_dword v7, v5, s[0:3], 0 offen offset:8
	buffer_load_dword v8, v5, s[0:3], 0 offen offset:12
	buffer_load_dword v93, v5, s[0:3], 0 offen
	buffer_load_dword v94, v5, s[0:3], 0 offen offset:4
	s_waitcnt vmcnt(2) lgkmcnt(0)
	v_mul_f64 v[96:97], v[3:4], v[7:8]
	v_mul_f64 v[7:8], v[1:2], v[7:8]
	s_waitcnt vmcnt(0)
	v_fma_f64 v[1:2], v[1:2], v[93:94], -v[96:97]
	v_fma_f64 v[3:4], v[3:4], v[93:94], v[7:8]
.LBB41_302:
	s_and_saveexec_b32 s8, s4
	s_cbranch_execz .LBB41_306
; %bb.303:
	v_add_nc_u32_e32 v7, -4, v0
	s_movk_i32 s51, 0x2e0
	s_mov_b32 s4, 0
	s_mov_b32 s52, s46
	.p2align	6
.LBB41_304:                             ; =>This Inner Loop Header: Depth=1
	v_mov_b32_e32 v8, s52
	v_add_nc_u32_e32 v7, -1, v7
	s_add_i32 s52, s52, 16
	s_clause 0x3
	buffer_load_dword v93, v8, s[0:3], 0 offen offset:8
	buffer_load_dword v94, v8, s[0:3], 0 offen offset:12
	buffer_load_dword v100, v8, s[0:3], 0 offen
	buffer_load_dword v101, v8, s[0:3], 0 offen offset:4
	v_mov_b32_e32 v8, s51
	v_cmp_eq_u32_e32 vcc_lo, 0, v7
	s_add_i32 s51, s51, 16
	ds_read_b128 v[96:99], v8
	s_or_b32 s4, vcc_lo, s4
	s_waitcnt vmcnt(2) lgkmcnt(0)
	v_mul_f64 v[102:103], v[98:99], v[93:94]
	v_mul_f64 v[93:94], v[96:97], v[93:94]
	s_waitcnt vmcnt(0)
	v_fma_f64 v[96:97], v[96:97], v[100:101], -v[102:103]
	v_fma_f64 v[93:94], v[98:99], v[100:101], v[93:94]
	v_add_f64 v[1:2], v[1:2], v[96:97]
	v_add_f64 v[3:4], v[3:4], v[93:94]
	s_andn2_b32 exec_lo, exec_lo, s4
	s_cbranch_execnz .LBB41_304
; %bb.305:
	s_or_b32 exec_lo, exec_lo, s4
.LBB41_306:
	s_or_b32 exec_lo, exec_lo, s8
	v_mov_b32_e32 v7, 0
	ds_read_b128 v[96:99], v7 offset:48
	s_waitcnt lgkmcnt(0)
	v_mul_f64 v[7:8], v[3:4], v[98:99]
	v_mul_f64 v[93:94], v[1:2], v[98:99]
	v_fma_f64 v[1:2], v[1:2], v[96:97], -v[7:8]
	v_fma_f64 v[3:4], v[3:4], v[96:97], v[93:94]
	buffer_store_dword v2, off, s[0:3], 0 offset:52
	buffer_store_dword v1, off, s[0:3], 0 offset:48
	;; [unrolled: 1-line block ×4, first 2 shown]
.LBB41_307:
	s_or_b32 exec_lo, exec_lo, s6
	v_mov_b32_e32 v4, s48
	v_cmp_lt_u32_e64 s6, 2, v0
	s_clause 0x3
	buffer_load_dword v1, v4, s[0:3], 0 offen
	buffer_load_dword v2, v4, s[0:3], 0 offen offset:4
	buffer_load_dword v3, v4, s[0:3], 0 offen offset:8
	;; [unrolled: 1-line block ×3, first 2 shown]
	s_waitcnt vmcnt(0)
	ds_write_b128 v6, v[1:4]
	s_waitcnt lgkmcnt(0)
	s_waitcnt_vscnt null, 0x0
	s_barrier
	buffer_gl0_inv
	s_and_saveexec_b32 s4, s6
	s_cbranch_execz .LBB41_315
; %bb.308:
	ds_read_b128 v[1:4], v6
	s_andn2_b32 vcc_lo, exec_lo, s50
	s_cbranch_vccnz .LBB41_310
; %bb.309:
	s_clause 0x3
	buffer_load_dword v7, v5, s[0:3], 0 offen offset:8
	buffer_load_dword v8, v5, s[0:3], 0 offen offset:12
	buffer_load_dword v93, v5, s[0:3], 0 offen
	buffer_load_dword v94, v5, s[0:3], 0 offen offset:4
	s_waitcnt vmcnt(2) lgkmcnt(0)
	v_mul_f64 v[96:97], v[3:4], v[7:8]
	v_mul_f64 v[7:8], v[1:2], v[7:8]
	s_waitcnt vmcnt(0)
	v_fma_f64 v[1:2], v[1:2], v[93:94], -v[96:97]
	v_fma_f64 v[3:4], v[3:4], v[93:94], v[7:8]
.LBB41_310:
	s_and_saveexec_b32 s8, s5
	s_cbranch_execz .LBB41_314
; %bb.311:
	v_add_nc_u32_e32 v7, -3, v0
	s_movk_i32 s51, 0x2d0
	s_mov_b32 s5, 0
	s_mov_b32 s52, s47
	.p2align	6
.LBB41_312:                             ; =>This Inner Loop Header: Depth=1
	v_mov_b32_e32 v8, s52
	v_add_nc_u32_e32 v7, -1, v7
	s_add_i32 s52, s52, 16
	s_clause 0x3
	buffer_load_dword v93, v8, s[0:3], 0 offen offset:8
	buffer_load_dword v94, v8, s[0:3], 0 offen offset:12
	buffer_load_dword v100, v8, s[0:3], 0 offen
	buffer_load_dword v101, v8, s[0:3], 0 offen offset:4
	v_mov_b32_e32 v8, s51
	v_cmp_eq_u32_e32 vcc_lo, 0, v7
	s_add_i32 s51, s51, 16
	ds_read_b128 v[96:99], v8
	s_or_b32 s5, vcc_lo, s5
	s_waitcnt vmcnt(2) lgkmcnt(0)
	v_mul_f64 v[102:103], v[98:99], v[93:94]
	v_mul_f64 v[93:94], v[96:97], v[93:94]
	s_waitcnt vmcnt(0)
	v_fma_f64 v[96:97], v[96:97], v[100:101], -v[102:103]
	v_fma_f64 v[93:94], v[98:99], v[100:101], v[93:94]
	v_add_f64 v[1:2], v[1:2], v[96:97]
	v_add_f64 v[3:4], v[3:4], v[93:94]
	s_andn2_b32 exec_lo, exec_lo, s5
	s_cbranch_execnz .LBB41_312
; %bb.313:
	s_or_b32 exec_lo, exec_lo, s5
.LBB41_314:
	s_or_b32 exec_lo, exec_lo, s8
	v_mov_b32_e32 v7, 0
	ds_read_b128 v[96:99], v7 offset:32
	s_waitcnt lgkmcnt(0)
	v_mul_f64 v[7:8], v[3:4], v[98:99]
	v_mul_f64 v[93:94], v[1:2], v[98:99]
	v_fma_f64 v[1:2], v[1:2], v[96:97], -v[7:8]
	v_fma_f64 v[3:4], v[3:4], v[96:97], v[93:94]
	buffer_store_dword v2, off, s[0:3], 0 offset:36
	buffer_store_dword v1, off, s[0:3], 0 offset:32
	;; [unrolled: 1-line block ×4, first 2 shown]
.LBB41_315:
	s_or_b32 exec_lo, exec_lo, s4
	v_mov_b32_e32 v4, s49
	v_cmp_lt_u32_e64 s4, 1, v0
	s_clause 0x3
	buffer_load_dword v1, v4, s[0:3], 0 offen
	buffer_load_dword v2, v4, s[0:3], 0 offen offset:4
	buffer_load_dword v3, v4, s[0:3], 0 offen offset:8
	;; [unrolled: 1-line block ×3, first 2 shown]
	s_waitcnt vmcnt(0)
	ds_write_b128 v6, v[1:4]
	s_waitcnt lgkmcnt(0)
	s_waitcnt_vscnt null, 0x0
	s_barrier
	buffer_gl0_inv
	s_and_saveexec_b32 s5, s4
	s_cbranch_execz .LBB41_323
; %bb.316:
	ds_read_b128 v[1:4], v6
	s_andn2_b32 vcc_lo, exec_lo, s50
	s_cbranch_vccnz .LBB41_318
; %bb.317:
	s_clause 0x3
	buffer_load_dword v7, v5, s[0:3], 0 offen offset:8
	buffer_load_dword v8, v5, s[0:3], 0 offen offset:12
	buffer_load_dword v93, v5, s[0:3], 0 offen
	buffer_load_dword v94, v5, s[0:3], 0 offen offset:4
	s_waitcnt vmcnt(2) lgkmcnt(0)
	v_mul_f64 v[96:97], v[3:4], v[7:8]
	v_mul_f64 v[7:8], v[1:2], v[7:8]
	s_waitcnt vmcnt(0)
	v_fma_f64 v[1:2], v[1:2], v[93:94], -v[96:97]
	v_fma_f64 v[3:4], v[3:4], v[93:94], v[7:8]
.LBB41_318:
	s_and_saveexec_b32 s8, s6
	s_cbranch_execz .LBB41_322
; %bb.319:
	v_add_nc_u32_e32 v7, -2, v0
	s_movk_i32 s51, 0x2c0
	s_mov_b32 s6, 0
	s_mov_b32 s52, s48
	.p2align	6
.LBB41_320:                             ; =>This Inner Loop Header: Depth=1
	v_mov_b32_e32 v8, s52
	v_add_nc_u32_e32 v7, -1, v7
	s_add_i32 s52, s52, 16
	s_clause 0x3
	buffer_load_dword v93, v8, s[0:3], 0 offen offset:8
	buffer_load_dword v94, v8, s[0:3], 0 offen offset:12
	buffer_load_dword v100, v8, s[0:3], 0 offen
	buffer_load_dword v101, v8, s[0:3], 0 offen offset:4
	v_mov_b32_e32 v8, s51
	v_cmp_eq_u32_e32 vcc_lo, 0, v7
	s_add_i32 s51, s51, 16
	ds_read_b128 v[96:99], v8
	s_or_b32 s6, vcc_lo, s6
	s_waitcnt vmcnt(2) lgkmcnt(0)
	v_mul_f64 v[102:103], v[98:99], v[93:94]
	v_mul_f64 v[93:94], v[96:97], v[93:94]
	s_waitcnt vmcnt(0)
	v_fma_f64 v[96:97], v[96:97], v[100:101], -v[102:103]
	v_fma_f64 v[93:94], v[98:99], v[100:101], v[93:94]
	v_add_f64 v[1:2], v[1:2], v[96:97]
	v_add_f64 v[3:4], v[3:4], v[93:94]
	s_andn2_b32 exec_lo, exec_lo, s6
	s_cbranch_execnz .LBB41_320
; %bb.321:
	s_or_b32 exec_lo, exec_lo, s6
.LBB41_322:
	s_or_b32 exec_lo, exec_lo, s8
	v_mov_b32_e32 v7, 0
	ds_read_b128 v[96:99], v7 offset:16
	s_waitcnt lgkmcnt(0)
	v_mul_f64 v[7:8], v[3:4], v[98:99]
	v_mul_f64 v[93:94], v[1:2], v[98:99]
	v_fma_f64 v[1:2], v[1:2], v[96:97], -v[7:8]
	v_fma_f64 v[3:4], v[3:4], v[96:97], v[93:94]
	buffer_store_dword v2, off, s[0:3], 0 offset:20
	buffer_store_dword v1, off, s[0:3], 0 offset:16
	;; [unrolled: 1-line block ×4, first 2 shown]
.LBB41_323:
	s_or_b32 exec_lo, exec_lo, s5
	s_clause 0x3
	buffer_load_dword v1, off, s[0:3], 0
	buffer_load_dword v2, off, s[0:3], 0 offset:4
	buffer_load_dword v3, off, s[0:3], 0 offset:8
	;; [unrolled: 1-line block ×3, first 2 shown]
	s_mov_b32 s6, 0
	s_mov_b32 s5, 0
	s_mov_b32 s8, exec_lo
                                        ; implicit-def: $sgpr51
	s_waitcnt vmcnt(0)
	ds_write_b128 v6, v[1:4]
	s_waitcnt lgkmcnt(0)
	s_waitcnt_vscnt null, 0x0
	s_barrier
	buffer_gl0_inv
                                        ; implicit-def: $vgpr1_vgpr2
	v_cmpx_ne_u32_e32 0, v0
	s_cbranch_execz .LBB41_331
; %bb.324:
	ds_read_b128 v[1:4], v6
	s_andn2_b32 vcc_lo, exec_lo, s50
	s_cbranch_vccnz .LBB41_326
; %bb.325:
	s_clause 0x3
	buffer_load_dword v7, v5, s[0:3], 0 offen offset:8
	buffer_load_dword v8, v5, s[0:3], 0 offen offset:12
	buffer_load_dword v93, v5, s[0:3], 0 offen
	buffer_load_dword v94, v5, s[0:3], 0 offen offset:4
	s_waitcnt vmcnt(2) lgkmcnt(0)
	v_mul_f64 v[96:97], v[3:4], v[7:8]
	v_mul_f64 v[7:8], v[1:2], v[7:8]
	s_waitcnt vmcnt(0)
	v_fma_f64 v[1:2], v[1:2], v[93:94], -v[96:97]
	v_fma_f64 v[3:4], v[3:4], v[93:94], v[7:8]
.LBB41_326:
	s_and_saveexec_b32 s5, s4
	s_cbranch_execz .LBB41_330
; %bb.327:
	v_add_nc_u32_e32 v7, -1, v0
	s_movk_i32 s51, 0x2b0
	s_mov_b32 s4, 0
	s_mov_b32 s52, s49
	.p2align	6
.LBB41_328:                             ; =>This Inner Loop Header: Depth=1
	v_mov_b32_e32 v8, s52
	v_add_nc_u32_e32 v7, -1, v7
	s_add_i32 s52, s52, 16
	s_clause 0x3
	buffer_load_dword v93, v8, s[0:3], 0 offen offset:8
	buffer_load_dword v94, v8, s[0:3], 0 offen offset:12
	buffer_load_dword v100, v8, s[0:3], 0 offen
	buffer_load_dword v101, v8, s[0:3], 0 offen offset:4
	v_mov_b32_e32 v8, s51
	v_cmp_eq_u32_e32 vcc_lo, 0, v7
	s_add_i32 s51, s51, 16
	ds_read_b128 v[96:99], v8
	s_or_b32 s4, vcc_lo, s4
	s_waitcnt vmcnt(2) lgkmcnt(0)
	v_mul_f64 v[102:103], v[98:99], v[93:94]
	v_mul_f64 v[93:94], v[96:97], v[93:94]
	s_waitcnt vmcnt(0)
	v_fma_f64 v[96:97], v[96:97], v[100:101], -v[102:103]
	v_fma_f64 v[93:94], v[98:99], v[100:101], v[93:94]
	v_add_f64 v[1:2], v[1:2], v[96:97]
	v_add_f64 v[3:4], v[3:4], v[93:94]
	s_andn2_b32 exec_lo, exec_lo, s4
	s_cbranch_execnz .LBB41_328
; %bb.329:
	s_or_b32 exec_lo, exec_lo, s4
.LBB41_330:
	s_or_b32 exec_lo, exec_lo, s5
	v_mov_b32_e32 v7, 0
	s_mov_b32 s5, exec_lo
	s_or_b32 s51, 0, 8
	ds_read_b128 v[96:99], v7
	s_waitcnt lgkmcnt(0)
	v_mul_f64 v[7:8], v[3:4], v[98:99]
	v_mul_f64 v[93:94], v[1:2], v[98:99]
	v_fma_f64 v[7:8], v[1:2], v[96:97], -v[7:8]
	v_fma_f64 v[1:2], v[3:4], v[96:97], v[93:94]
	buffer_store_dword v8, off, s[0:3], 0 offset:4
	buffer_store_dword v7, off, s[0:3], 0
.LBB41_331:
	s_or_b32 exec_lo, exec_lo, s8
	s_and_b32 vcc_lo, exec_lo, s6
	s_cbranch_vccnz .LBB41_333
	s_branch .LBB41_656
.LBB41_332:
	s_mov_b32 s5, 0
                                        ; implicit-def: $vgpr1_vgpr2
                                        ; implicit-def: $sgpr51
	s_cbranch_execz .LBB41_656
.LBB41_333:
	v_mov_b32_e32 v4, s49
	v_cmp_eq_u32_e64 s4, 0, v0
	v_cndmask_b32_e64 v7, 0, 1, s50
	s_clause 0x3
	buffer_load_dword v1, v4, s[0:3], 0 offen
	buffer_load_dword v2, v4, s[0:3], 0 offen offset:4
	buffer_load_dword v3, v4, s[0:3], 0 offen offset:8
	;; [unrolled: 1-line block ×3, first 2 shown]
	s_waitcnt vmcnt(0)
	ds_write_b128 v6, v[1:4]
	s_waitcnt lgkmcnt(0)
	s_waitcnt_vscnt null, 0x0
	s_barrier
	buffer_gl0_inv
	s_and_saveexec_b32 s6, s4
	s_cbranch_execz .LBB41_337
; %bb.334:
	ds_read_b128 v[1:4], v6
	s_andn2_b32 vcc_lo, exec_lo, s50
	s_cbranch_vccnz .LBB41_336
; %bb.335:
	s_clause 0x3
	buffer_load_dword v93, v5, s[0:3], 0 offen offset:8
	buffer_load_dword v94, v5, s[0:3], 0 offen offset:12
	buffer_load_dword v96, v5, s[0:3], 0 offen
	buffer_load_dword v97, v5, s[0:3], 0 offen offset:4
	s_waitcnt vmcnt(2) lgkmcnt(0)
	v_mul_f64 v[98:99], v[3:4], v[93:94]
	v_mul_f64 v[93:94], v[1:2], v[93:94]
	s_waitcnt vmcnt(0)
	v_fma_f64 v[1:2], v[1:2], v[96:97], -v[98:99]
	v_fma_f64 v[3:4], v[3:4], v[96:97], v[93:94]
.LBB41_336:
	v_mov_b32_e32 v8, 0
	ds_read_b128 v[96:99], v8 offset:16
	s_waitcnt lgkmcnt(0)
	v_mul_f64 v[93:94], v[3:4], v[98:99]
	v_mul_f64 v[98:99], v[1:2], v[98:99]
	v_fma_f64 v[1:2], v[1:2], v[96:97], -v[93:94]
	v_fma_f64 v[3:4], v[3:4], v[96:97], v[98:99]
	buffer_store_dword v2, off, s[0:3], 0 offset:20
	buffer_store_dword v1, off, s[0:3], 0 offset:16
	;; [unrolled: 1-line block ×4, first 2 shown]
.LBB41_337:
	s_or_b32 exec_lo, exec_lo, s6
	v_mov_b32_e32 v4, s48
	s_mov_b32 s6, exec_lo
	s_clause 0x3
	buffer_load_dword v1, v4, s[0:3], 0 offen
	buffer_load_dword v2, v4, s[0:3], 0 offen offset:4
	buffer_load_dword v3, v4, s[0:3], 0 offen offset:8
	;; [unrolled: 1-line block ×3, first 2 shown]
	s_waitcnt vmcnt(0)
	ds_write_b128 v6, v[1:4]
	s_waitcnt lgkmcnt(0)
	s_waitcnt_vscnt null, 0x0
	s_barrier
	buffer_gl0_inv
	v_cmpx_gt_u32_e32 2, v0
	s_cbranch_execz .LBB41_343
; %bb.338:
	ds_read_b128 v[1:4], v6
	v_cmp_ne_u32_e32 vcc_lo, 1, v7
	s_cbranch_vccnz .LBB41_340
; %bb.339:
	s_clause 0x3
	buffer_load_dword v93, v5, s[0:3], 0 offen offset:8
	buffer_load_dword v94, v5, s[0:3], 0 offen offset:12
	buffer_load_dword v96, v5, s[0:3], 0 offen
	buffer_load_dword v97, v5, s[0:3], 0 offen offset:4
	s_waitcnt vmcnt(2) lgkmcnt(0)
	v_mul_f64 v[98:99], v[3:4], v[93:94]
	v_mul_f64 v[93:94], v[1:2], v[93:94]
	s_waitcnt vmcnt(0)
	v_fma_f64 v[1:2], v[1:2], v[96:97], -v[98:99]
	v_fma_f64 v[3:4], v[3:4], v[96:97], v[93:94]
.LBB41_340:
	s_and_saveexec_b32 s8, s4
	s_cbranch_execz .LBB41_342
; %bb.341:
	s_clause 0x3
	buffer_load_dword v93, off, s[0:3], 0 offset:24
	buffer_load_dword v94, off, s[0:3], 0 offset:28
	;; [unrolled: 1-line block ×4, first 2 shown]
	v_mov_b32_e32 v8, 0
	ds_read_b128 v[96:99], v8 offset:688
	s_waitcnt vmcnt(2) lgkmcnt(0)
	v_mul_f64 v[102:103], v[98:99], v[93:94]
	v_mul_f64 v[93:94], v[96:97], v[93:94]
	s_waitcnt vmcnt(0)
	v_fma_f64 v[96:97], v[96:97], v[100:101], -v[102:103]
	v_fma_f64 v[93:94], v[98:99], v[100:101], v[93:94]
	v_add_f64 v[1:2], v[1:2], v[96:97]
	v_add_f64 v[3:4], v[3:4], v[93:94]
.LBB41_342:
	s_or_b32 exec_lo, exec_lo, s8
	v_mov_b32_e32 v8, 0
	ds_read_b128 v[96:99], v8 offset:32
	s_waitcnt lgkmcnt(0)
	v_mul_f64 v[93:94], v[3:4], v[98:99]
	v_mul_f64 v[98:99], v[1:2], v[98:99]
	v_fma_f64 v[1:2], v[1:2], v[96:97], -v[93:94]
	v_fma_f64 v[3:4], v[3:4], v[96:97], v[98:99]
	buffer_store_dword v2, off, s[0:3], 0 offset:36
	buffer_store_dword v1, off, s[0:3], 0 offset:32
	;; [unrolled: 1-line block ×4, first 2 shown]
.LBB41_343:
	s_or_b32 exec_lo, exec_lo, s6
	v_mov_b32_e32 v4, s47
	s_mov_b32 s6, exec_lo
	s_clause 0x3
	buffer_load_dword v1, v4, s[0:3], 0 offen
	buffer_load_dword v2, v4, s[0:3], 0 offen offset:4
	buffer_load_dword v3, v4, s[0:3], 0 offen offset:8
	;; [unrolled: 1-line block ×3, first 2 shown]
	s_waitcnt vmcnt(0)
	ds_write_b128 v6, v[1:4]
	s_waitcnt lgkmcnt(0)
	s_waitcnt_vscnt null, 0x0
	s_barrier
	buffer_gl0_inv
	v_cmpx_gt_u32_e32 3, v0
	s_cbranch_execz .LBB41_351
; %bb.344:
	ds_read_b128 v[1:4], v6
	v_cmp_ne_u32_e32 vcc_lo, 1, v7
	s_cbranch_vccnz .LBB41_346
; %bb.345:
	s_clause 0x3
	buffer_load_dword v93, v5, s[0:3], 0 offen offset:8
	buffer_load_dword v94, v5, s[0:3], 0 offen offset:12
	buffer_load_dword v96, v5, s[0:3], 0 offen
	buffer_load_dword v97, v5, s[0:3], 0 offen offset:4
	s_waitcnt vmcnt(2) lgkmcnt(0)
	v_mul_f64 v[98:99], v[3:4], v[93:94]
	v_mul_f64 v[93:94], v[1:2], v[93:94]
	s_waitcnt vmcnt(0)
	v_fma_f64 v[1:2], v[1:2], v[96:97], -v[98:99]
	v_fma_f64 v[3:4], v[3:4], v[96:97], v[93:94]
.LBB41_346:
	s_mov_b32 s8, exec_lo
	v_cmpx_ne_u32_e32 2, v0
	s_cbranch_execz .LBB41_350
; %bb.347:
	s_clause 0x3
	buffer_load_dword v93, v5, s[0:3], 0 offen offset:24
	buffer_load_dword v94, v5, s[0:3], 0 offen offset:28
	;; [unrolled: 1-line block ×4, first 2 shown]
	ds_read_b128 v[96:99], v6 offset:16
	s_waitcnt vmcnt(2) lgkmcnt(0)
	v_mul_f64 v[102:103], v[98:99], v[93:94]
	v_mul_f64 v[93:94], v[96:97], v[93:94]
	s_waitcnt vmcnt(0)
	v_fma_f64 v[96:97], v[96:97], v[100:101], -v[102:103]
	v_fma_f64 v[93:94], v[98:99], v[100:101], v[93:94]
	v_add_f64 v[1:2], v[1:2], v[96:97]
	v_add_f64 v[3:4], v[3:4], v[93:94]
	s_and_saveexec_b32 s50, s4
	s_cbranch_execz .LBB41_349
; %bb.348:
	s_clause 0x3
	buffer_load_dword v93, off, s[0:3], 0 offset:40
	buffer_load_dword v94, off, s[0:3], 0 offset:44
	;; [unrolled: 1-line block ×4, first 2 shown]
	v_mov_b32_e32 v8, 0
	ds_read_b128 v[96:99], v8 offset:704
	s_waitcnt vmcnt(2) lgkmcnt(0)
	v_mul_f64 v[102:103], v[96:97], v[93:94]
	v_mul_f64 v[93:94], v[98:99], v[93:94]
	s_waitcnt vmcnt(0)
	v_fma_f64 v[98:99], v[98:99], v[100:101], v[102:103]
	v_fma_f64 v[93:94], v[96:97], v[100:101], -v[93:94]
	v_add_f64 v[3:4], v[3:4], v[98:99]
	v_add_f64 v[1:2], v[1:2], v[93:94]
.LBB41_349:
	s_or_b32 exec_lo, exec_lo, s50
.LBB41_350:
	s_or_b32 exec_lo, exec_lo, s8
	v_mov_b32_e32 v8, 0
	ds_read_b128 v[96:99], v8 offset:48
	s_waitcnt lgkmcnt(0)
	v_mul_f64 v[93:94], v[3:4], v[98:99]
	v_mul_f64 v[98:99], v[1:2], v[98:99]
	v_fma_f64 v[1:2], v[1:2], v[96:97], -v[93:94]
	v_fma_f64 v[3:4], v[3:4], v[96:97], v[98:99]
	buffer_store_dword v2, off, s[0:3], 0 offset:52
	buffer_store_dword v1, off, s[0:3], 0 offset:48
	;; [unrolled: 1-line block ×4, first 2 shown]
.LBB41_351:
	s_or_b32 exec_lo, exec_lo, s6
	v_mov_b32_e32 v4, s46
	s_mov_b32 s4, exec_lo
	s_clause 0x3
	buffer_load_dword v1, v4, s[0:3], 0 offen
	buffer_load_dword v2, v4, s[0:3], 0 offen offset:4
	buffer_load_dword v3, v4, s[0:3], 0 offen offset:8
	;; [unrolled: 1-line block ×3, first 2 shown]
	s_waitcnt vmcnt(0)
	ds_write_b128 v6, v[1:4]
	s_waitcnt lgkmcnt(0)
	s_waitcnt_vscnt null, 0x0
	s_barrier
	buffer_gl0_inv
	v_cmpx_gt_u32_e32 4, v0
	s_cbranch_execz .LBB41_359
; %bb.352:
	ds_read_b128 v[1:4], v6
	v_cmp_ne_u32_e32 vcc_lo, 1, v7
	s_cbranch_vccnz .LBB41_354
; %bb.353:
	s_clause 0x3
	buffer_load_dword v93, v5, s[0:3], 0 offen offset:8
	buffer_load_dword v94, v5, s[0:3], 0 offen offset:12
	buffer_load_dword v96, v5, s[0:3], 0 offen
	buffer_load_dword v97, v5, s[0:3], 0 offen offset:4
	s_waitcnt vmcnt(2) lgkmcnt(0)
	v_mul_f64 v[98:99], v[3:4], v[93:94]
	v_mul_f64 v[93:94], v[1:2], v[93:94]
	s_waitcnt vmcnt(0)
	v_fma_f64 v[1:2], v[1:2], v[96:97], -v[98:99]
	v_fma_f64 v[3:4], v[3:4], v[96:97], v[93:94]
.LBB41_354:
	s_mov_b32 s6, exec_lo
	v_cmpx_ne_u32_e32 3, v0
	s_cbranch_execz .LBB41_358
; %bb.355:
	v_add_nc_u32_e32 v8, 0x2b0, v95
	v_add3_u32 v93, 0, v95, 16
	v_mov_b32_e32 v94, v0
	s_mov_b32 s8, 0
	.p2align	6
.LBB41_356:                             ; =>This Inner Loop Header: Depth=1
	s_clause 0x3
	buffer_load_dword v100, v93, s[0:3], 0 offen offset:8
	buffer_load_dword v101, v93, s[0:3], 0 offen offset:12
	buffer_load_dword v102, v93, s[0:3], 0 offen
	buffer_load_dword v103, v93, s[0:3], 0 offen offset:4
	ds_read_b128 v[96:99], v8
	v_add_nc_u32_e32 v94, 1, v94
	v_add_nc_u32_e32 v8, 16, v8
	;; [unrolled: 1-line block ×3, first 2 shown]
	v_cmp_lt_u32_e32 vcc_lo, 2, v94
	s_or_b32 s8, vcc_lo, s8
	s_waitcnt vmcnt(2) lgkmcnt(0)
	v_mul_f64 v[104:105], v[98:99], v[100:101]
	v_mul_f64 v[100:101], v[96:97], v[100:101]
	s_waitcnt vmcnt(0)
	v_fma_f64 v[96:97], v[96:97], v[102:103], -v[104:105]
	v_fma_f64 v[98:99], v[98:99], v[102:103], v[100:101]
	v_add_f64 v[1:2], v[1:2], v[96:97]
	v_add_f64 v[3:4], v[3:4], v[98:99]
	s_andn2_b32 exec_lo, exec_lo, s8
	s_cbranch_execnz .LBB41_356
; %bb.357:
	s_or_b32 exec_lo, exec_lo, s8
.LBB41_358:
	s_or_b32 exec_lo, exec_lo, s6
	v_mov_b32_e32 v8, 0
	ds_read_b128 v[96:99], v8 offset:64
	s_waitcnt lgkmcnt(0)
	v_mul_f64 v[93:94], v[3:4], v[98:99]
	v_mul_f64 v[98:99], v[1:2], v[98:99]
	v_fma_f64 v[1:2], v[1:2], v[96:97], -v[93:94]
	v_fma_f64 v[3:4], v[3:4], v[96:97], v[98:99]
	buffer_store_dword v2, off, s[0:3], 0 offset:68
	buffer_store_dword v1, off, s[0:3], 0 offset:64
	;; [unrolled: 1-line block ×4, first 2 shown]
.LBB41_359:
	s_or_b32 exec_lo, exec_lo, s4
	v_mov_b32_e32 v4, s45
	s_mov_b32 s4, exec_lo
	s_clause 0x3
	buffer_load_dword v1, v4, s[0:3], 0 offen
	buffer_load_dword v2, v4, s[0:3], 0 offen offset:4
	buffer_load_dword v3, v4, s[0:3], 0 offen offset:8
	;; [unrolled: 1-line block ×3, first 2 shown]
	s_waitcnt vmcnt(0)
	ds_write_b128 v6, v[1:4]
	s_waitcnt lgkmcnt(0)
	s_waitcnt_vscnt null, 0x0
	s_barrier
	buffer_gl0_inv
	v_cmpx_gt_u32_e32 5, v0
	s_cbranch_execz .LBB41_367
; %bb.360:
	ds_read_b128 v[1:4], v6
	v_cmp_ne_u32_e32 vcc_lo, 1, v7
	s_cbranch_vccnz .LBB41_362
; %bb.361:
	s_clause 0x3
	buffer_load_dword v93, v5, s[0:3], 0 offen offset:8
	buffer_load_dword v94, v5, s[0:3], 0 offen offset:12
	buffer_load_dword v96, v5, s[0:3], 0 offen
	buffer_load_dword v97, v5, s[0:3], 0 offen offset:4
	s_waitcnt vmcnt(2) lgkmcnt(0)
	v_mul_f64 v[98:99], v[3:4], v[93:94]
	v_mul_f64 v[93:94], v[1:2], v[93:94]
	s_waitcnt vmcnt(0)
	v_fma_f64 v[1:2], v[1:2], v[96:97], -v[98:99]
	v_fma_f64 v[3:4], v[3:4], v[96:97], v[93:94]
.LBB41_362:
	s_mov_b32 s6, exec_lo
	v_cmpx_ne_u32_e32 4, v0
	s_cbranch_execz .LBB41_366
; %bb.363:
	v_add_nc_u32_e32 v8, 0x2b0, v95
	v_add3_u32 v93, 0, v95, 16
	v_mov_b32_e32 v94, v0
	s_mov_b32 s8, 0
	.p2align	6
.LBB41_364:                             ; =>This Inner Loop Header: Depth=1
	s_clause 0x3
	buffer_load_dword v100, v93, s[0:3], 0 offen offset:8
	buffer_load_dword v101, v93, s[0:3], 0 offen offset:12
	buffer_load_dword v102, v93, s[0:3], 0 offen
	buffer_load_dword v103, v93, s[0:3], 0 offen offset:4
	ds_read_b128 v[96:99], v8
	v_add_nc_u32_e32 v94, 1, v94
	v_add_nc_u32_e32 v8, 16, v8
	;; [unrolled: 1-line block ×3, first 2 shown]
	v_cmp_lt_u32_e32 vcc_lo, 3, v94
	s_or_b32 s8, vcc_lo, s8
	s_waitcnt vmcnt(2) lgkmcnt(0)
	v_mul_f64 v[104:105], v[98:99], v[100:101]
	v_mul_f64 v[100:101], v[96:97], v[100:101]
	s_waitcnt vmcnt(0)
	v_fma_f64 v[96:97], v[96:97], v[102:103], -v[104:105]
	v_fma_f64 v[98:99], v[98:99], v[102:103], v[100:101]
	v_add_f64 v[1:2], v[1:2], v[96:97]
	v_add_f64 v[3:4], v[3:4], v[98:99]
	s_andn2_b32 exec_lo, exec_lo, s8
	s_cbranch_execnz .LBB41_364
; %bb.365:
	s_or_b32 exec_lo, exec_lo, s8
.LBB41_366:
	s_or_b32 exec_lo, exec_lo, s6
	v_mov_b32_e32 v8, 0
	ds_read_b128 v[96:99], v8 offset:80
	s_waitcnt lgkmcnt(0)
	v_mul_f64 v[93:94], v[3:4], v[98:99]
	v_mul_f64 v[98:99], v[1:2], v[98:99]
	v_fma_f64 v[1:2], v[1:2], v[96:97], -v[93:94]
	v_fma_f64 v[3:4], v[3:4], v[96:97], v[98:99]
	buffer_store_dword v2, off, s[0:3], 0 offset:84
	buffer_store_dword v1, off, s[0:3], 0 offset:80
	;; [unrolled: 1-line block ×4, first 2 shown]
.LBB41_367:
	s_or_b32 exec_lo, exec_lo, s4
	v_mov_b32_e32 v4, s44
	s_mov_b32 s4, exec_lo
	s_clause 0x3
	buffer_load_dword v1, v4, s[0:3], 0 offen
	buffer_load_dword v2, v4, s[0:3], 0 offen offset:4
	buffer_load_dword v3, v4, s[0:3], 0 offen offset:8
	;; [unrolled: 1-line block ×3, first 2 shown]
	s_waitcnt vmcnt(0)
	ds_write_b128 v6, v[1:4]
	s_waitcnt lgkmcnt(0)
	s_waitcnt_vscnt null, 0x0
	s_barrier
	buffer_gl0_inv
	v_cmpx_gt_u32_e32 6, v0
	s_cbranch_execz .LBB41_375
; %bb.368:
	ds_read_b128 v[1:4], v6
	v_cmp_ne_u32_e32 vcc_lo, 1, v7
	s_cbranch_vccnz .LBB41_370
; %bb.369:
	s_clause 0x3
	buffer_load_dword v93, v5, s[0:3], 0 offen offset:8
	buffer_load_dword v94, v5, s[0:3], 0 offen offset:12
	buffer_load_dword v96, v5, s[0:3], 0 offen
	buffer_load_dword v97, v5, s[0:3], 0 offen offset:4
	s_waitcnt vmcnt(2) lgkmcnt(0)
	v_mul_f64 v[98:99], v[3:4], v[93:94]
	v_mul_f64 v[93:94], v[1:2], v[93:94]
	s_waitcnt vmcnt(0)
	v_fma_f64 v[1:2], v[1:2], v[96:97], -v[98:99]
	v_fma_f64 v[3:4], v[3:4], v[96:97], v[93:94]
.LBB41_370:
	s_mov_b32 s6, exec_lo
	v_cmpx_ne_u32_e32 5, v0
	s_cbranch_execz .LBB41_374
; %bb.371:
	v_add_nc_u32_e32 v8, 0x2b0, v95
	v_add3_u32 v93, 0, v95, 16
	v_mov_b32_e32 v94, v0
	s_mov_b32 s8, 0
	.p2align	6
.LBB41_372:                             ; =>This Inner Loop Header: Depth=1
	s_clause 0x3
	buffer_load_dword v100, v93, s[0:3], 0 offen offset:8
	buffer_load_dword v101, v93, s[0:3], 0 offen offset:12
	buffer_load_dword v102, v93, s[0:3], 0 offen
	buffer_load_dword v103, v93, s[0:3], 0 offen offset:4
	ds_read_b128 v[96:99], v8
	v_add_nc_u32_e32 v94, 1, v94
	v_add_nc_u32_e32 v8, 16, v8
	;; [unrolled: 1-line block ×3, first 2 shown]
	v_cmp_lt_u32_e32 vcc_lo, 4, v94
	s_or_b32 s8, vcc_lo, s8
	s_waitcnt vmcnt(2) lgkmcnt(0)
	v_mul_f64 v[104:105], v[98:99], v[100:101]
	v_mul_f64 v[100:101], v[96:97], v[100:101]
	s_waitcnt vmcnt(0)
	v_fma_f64 v[96:97], v[96:97], v[102:103], -v[104:105]
	v_fma_f64 v[98:99], v[98:99], v[102:103], v[100:101]
	v_add_f64 v[1:2], v[1:2], v[96:97]
	v_add_f64 v[3:4], v[3:4], v[98:99]
	s_andn2_b32 exec_lo, exec_lo, s8
	s_cbranch_execnz .LBB41_372
; %bb.373:
	s_or_b32 exec_lo, exec_lo, s8
.LBB41_374:
	s_or_b32 exec_lo, exec_lo, s6
	v_mov_b32_e32 v8, 0
	ds_read_b128 v[96:99], v8 offset:96
	s_waitcnt lgkmcnt(0)
	v_mul_f64 v[93:94], v[3:4], v[98:99]
	v_mul_f64 v[98:99], v[1:2], v[98:99]
	v_fma_f64 v[1:2], v[1:2], v[96:97], -v[93:94]
	v_fma_f64 v[3:4], v[3:4], v[96:97], v[98:99]
	buffer_store_dword v2, off, s[0:3], 0 offset:100
	buffer_store_dword v1, off, s[0:3], 0 offset:96
	;; [unrolled: 1-line block ×4, first 2 shown]
.LBB41_375:
	s_or_b32 exec_lo, exec_lo, s4
	v_mov_b32_e32 v4, s43
	s_mov_b32 s4, exec_lo
	s_clause 0x3
	buffer_load_dword v1, v4, s[0:3], 0 offen
	buffer_load_dword v2, v4, s[0:3], 0 offen offset:4
	buffer_load_dword v3, v4, s[0:3], 0 offen offset:8
	;; [unrolled: 1-line block ×3, first 2 shown]
	s_waitcnt vmcnt(0)
	ds_write_b128 v6, v[1:4]
	s_waitcnt lgkmcnt(0)
	s_waitcnt_vscnt null, 0x0
	s_barrier
	buffer_gl0_inv
	v_cmpx_gt_u32_e32 7, v0
	s_cbranch_execz .LBB41_383
; %bb.376:
	ds_read_b128 v[1:4], v6
	v_cmp_ne_u32_e32 vcc_lo, 1, v7
	s_cbranch_vccnz .LBB41_378
; %bb.377:
	s_clause 0x3
	buffer_load_dword v93, v5, s[0:3], 0 offen offset:8
	buffer_load_dword v94, v5, s[0:3], 0 offen offset:12
	buffer_load_dword v96, v5, s[0:3], 0 offen
	buffer_load_dword v97, v5, s[0:3], 0 offen offset:4
	s_waitcnt vmcnt(2) lgkmcnt(0)
	v_mul_f64 v[98:99], v[3:4], v[93:94]
	v_mul_f64 v[93:94], v[1:2], v[93:94]
	s_waitcnt vmcnt(0)
	v_fma_f64 v[1:2], v[1:2], v[96:97], -v[98:99]
	v_fma_f64 v[3:4], v[3:4], v[96:97], v[93:94]
.LBB41_378:
	s_mov_b32 s6, exec_lo
	v_cmpx_ne_u32_e32 6, v0
	s_cbranch_execz .LBB41_382
; %bb.379:
	v_add_nc_u32_e32 v8, 0x2b0, v95
	v_add3_u32 v93, 0, v95, 16
	v_mov_b32_e32 v94, v0
	s_mov_b32 s8, 0
	.p2align	6
.LBB41_380:                             ; =>This Inner Loop Header: Depth=1
	s_clause 0x3
	buffer_load_dword v100, v93, s[0:3], 0 offen offset:8
	buffer_load_dword v101, v93, s[0:3], 0 offen offset:12
	buffer_load_dword v102, v93, s[0:3], 0 offen
	buffer_load_dword v103, v93, s[0:3], 0 offen offset:4
	ds_read_b128 v[96:99], v8
	v_add_nc_u32_e32 v94, 1, v94
	v_add_nc_u32_e32 v8, 16, v8
	v_add_nc_u32_e32 v93, 16, v93
	v_cmp_lt_u32_e32 vcc_lo, 5, v94
	s_or_b32 s8, vcc_lo, s8
	s_waitcnt vmcnt(2) lgkmcnt(0)
	v_mul_f64 v[104:105], v[98:99], v[100:101]
	v_mul_f64 v[100:101], v[96:97], v[100:101]
	s_waitcnt vmcnt(0)
	v_fma_f64 v[96:97], v[96:97], v[102:103], -v[104:105]
	v_fma_f64 v[98:99], v[98:99], v[102:103], v[100:101]
	v_add_f64 v[1:2], v[1:2], v[96:97]
	v_add_f64 v[3:4], v[3:4], v[98:99]
	s_andn2_b32 exec_lo, exec_lo, s8
	s_cbranch_execnz .LBB41_380
; %bb.381:
	s_or_b32 exec_lo, exec_lo, s8
.LBB41_382:
	s_or_b32 exec_lo, exec_lo, s6
	v_mov_b32_e32 v8, 0
	ds_read_b128 v[96:99], v8 offset:112
	s_waitcnt lgkmcnt(0)
	v_mul_f64 v[93:94], v[3:4], v[98:99]
	v_mul_f64 v[98:99], v[1:2], v[98:99]
	v_fma_f64 v[1:2], v[1:2], v[96:97], -v[93:94]
	v_fma_f64 v[3:4], v[3:4], v[96:97], v[98:99]
	buffer_store_dword v2, off, s[0:3], 0 offset:116
	buffer_store_dword v1, off, s[0:3], 0 offset:112
	;; [unrolled: 1-line block ×4, first 2 shown]
.LBB41_383:
	s_or_b32 exec_lo, exec_lo, s4
	v_mov_b32_e32 v4, s42
	s_mov_b32 s4, exec_lo
	s_clause 0x3
	buffer_load_dword v1, v4, s[0:3], 0 offen
	buffer_load_dword v2, v4, s[0:3], 0 offen offset:4
	buffer_load_dword v3, v4, s[0:3], 0 offen offset:8
	;; [unrolled: 1-line block ×3, first 2 shown]
	s_waitcnt vmcnt(0)
	ds_write_b128 v6, v[1:4]
	s_waitcnt lgkmcnt(0)
	s_waitcnt_vscnt null, 0x0
	s_barrier
	buffer_gl0_inv
	v_cmpx_gt_u32_e32 8, v0
	s_cbranch_execz .LBB41_391
; %bb.384:
	ds_read_b128 v[1:4], v6
	v_cmp_ne_u32_e32 vcc_lo, 1, v7
	s_cbranch_vccnz .LBB41_386
; %bb.385:
	s_clause 0x3
	buffer_load_dword v93, v5, s[0:3], 0 offen offset:8
	buffer_load_dword v94, v5, s[0:3], 0 offen offset:12
	buffer_load_dword v96, v5, s[0:3], 0 offen
	buffer_load_dword v97, v5, s[0:3], 0 offen offset:4
	s_waitcnt vmcnt(2) lgkmcnt(0)
	v_mul_f64 v[98:99], v[3:4], v[93:94]
	v_mul_f64 v[93:94], v[1:2], v[93:94]
	s_waitcnt vmcnt(0)
	v_fma_f64 v[1:2], v[1:2], v[96:97], -v[98:99]
	v_fma_f64 v[3:4], v[3:4], v[96:97], v[93:94]
.LBB41_386:
	s_mov_b32 s6, exec_lo
	v_cmpx_ne_u32_e32 7, v0
	s_cbranch_execz .LBB41_390
; %bb.387:
	v_add_nc_u32_e32 v8, 0x2b0, v95
	v_add3_u32 v93, 0, v95, 16
	v_mov_b32_e32 v94, v0
	s_mov_b32 s8, 0
	.p2align	6
.LBB41_388:                             ; =>This Inner Loop Header: Depth=1
	s_clause 0x3
	buffer_load_dword v100, v93, s[0:3], 0 offen offset:8
	buffer_load_dword v101, v93, s[0:3], 0 offen offset:12
	buffer_load_dword v102, v93, s[0:3], 0 offen
	buffer_load_dword v103, v93, s[0:3], 0 offen offset:4
	ds_read_b128 v[96:99], v8
	v_add_nc_u32_e32 v94, 1, v94
	v_add_nc_u32_e32 v8, 16, v8
	;; [unrolled: 1-line block ×3, first 2 shown]
	v_cmp_lt_u32_e32 vcc_lo, 6, v94
	s_or_b32 s8, vcc_lo, s8
	s_waitcnt vmcnt(2) lgkmcnt(0)
	v_mul_f64 v[104:105], v[98:99], v[100:101]
	v_mul_f64 v[100:101], v[96:97], v[100:101]
	s_waitcnt vmcnt(0)
	v_fma_f64 v[96:97], v[96:97], v[102:103], -v[104:105]
	v_fma_f64 v[98:99], v[98:99], v[102:103], v[100:101]
	v_add_f64 v[1:2], v[1:2], v[96:97]
	v_add_f64 v[3:4], v[3:4], v[98:99]
	s_andn2_b32 exec_lo, exec_lo, s8
	s_cbranch_execnz .LBB41_388
; %bb.389:
	s_or_b32 exec_lo, exec_lo, s8
.LBB41_390:
	s_or_b32 exec_lo, exec_lo, s6
	v_mov_b32_e32 v8, 0
	ds_read_b128 v[96:99], v8 offset:128
	s_waitcnt lgkmcnt(0)
	v_mul_f64 v[93:94], v[3:4], v[98:99]
	v_mul_f64 v[98:99], v[1:2], v[98:99]
	v_fma_f64 v[1:2], v[1:2], v[96:97], -v[93:94]
	v_fma_f64 v[3:4], v[3:4], v[96:97], v[98:99]
	buffer_store_dword v2, off, s[0:3], 0 offset:132
	buffer_store_dword v1, off, s[0:3], 0 offset:128
	;; [unrolled: 1-line block ×4, first 2 shown]
.LBB41_391:
	s_or_b32 exec_lo, exec_lo, s4
	v_mov_b32_e32 v4, s41
	s_mov_b32 s4, exec_lo
	s_clause 0x3
	buffer_load_dword v1, v4, s[0:3], 0 offen
	buffer_load_dword v2, v4, s[0:3], 0 offen offset:4
	buffer_load_dword v3, v4, s[0:3], 0 offen offset:8
	;; [unrolled: 1-line block ×3, first 2 shown]
	s_waitcnt vmcnt(0)
	ds_write_b128 v6, v[1:4]
	s_waitcnt lgkmcnt(0)
	s_waitcnt_vscnt null, 0x0
	s_barrier
	buffer_gl0_inv
	v_cmpx_gt_u32_e32 9, v0
	s_cbranch_execz .LBB41_399
; %bb.392:
	ds_read_b128 v[1:4], v6
	v_cmp_ne_u32_e32 vcc_lo, 1, v7
	s_cbranch_vccnz .LBB41_394
; %bb.393:
	s_clause 0x3
	buffer_load_dword v93, v5, s[0:3], 0 offen offset:8
	buffer_load_dword v94, v5, s[0:3], 0 offen offset:12
	buffer_load_dword v96, v5, s[0:3], 0 offen
	buffer_load_dword v97, v5, s[0:3], 0 offen offset:4
	s_waitcnt vmcnt(2) lgkmcnt(0)
	v_mul_f64 v[98:99], v[3:4], v[93:94]
	v_mul_f64 v[93:94], v[1:2], v[93:94]
	s_waitcnt vmcnt(0)
	v_fma_f64 v[1:2], v[1:2], v[96:97], -v[98:99]
	v_fma_f64 v[3:4], v[3:4], v[96:97], v[93:94]
.LBB41_394:
	s_mov_b32 s6, exec_lo
	v_cmpx_ne_u32_e32 8, v0
	s_cbranch_execz .LBB41_398
; %bb.395:
	v_add_nc_u32_e32 v8, 0x2b0, v95
	v_add3_u32 v93, 0, v95, 16
	v_mov_b32_e32 v94, v0
	s_mov_b32 s8, 0
	.p2align	6
.LBB41_396:                             ; =>This Inner Loop Header: Depth=1
	s_clause 0x3
	buffer_load_dword v100, v93, s[0:3], 0 offen offset:8
	buffer_load_dword v101, v93, s[0:3], 0 offen offset:12
	buffer_load_dword v102, v93, s[0:3], 0 offen
	buffer_load_dword v103, v93, s[0:3], 0 offen offset:4
	ds_read_b128 v[96:99], v8
	v_add_nc_u32_e32 v94, 1, v94
	v_add_nc_u32_e32 v8, 16, v8
	v_add_nc_u32_e32 v93, 16, v93
	v_cmp_lt_u32_e32 vcc_lo, 7, v94
	s_or_b32 s8, vcc_lo, s8
	s_waitcnt vmcnt(2) lgkmcnt(0)
	v_mul_f64 v[104:105], v[98:99], v[100:101]
	v_mul_f64 v[100:101], v[96:97], v[100:101]
	s_waitcnt vmcnt(0)
	v_fma_f64 v[96:97], v[96:97], v[102:103], -v[104:105]
	v_fma_f64 v[98:99], v[98:99], v[102:103], v[100:101]
	v_add_f64 v[1:2], v[1:2], v[96:97]
	v_add_f64 v[3:4], v[3:4], v[98:99]
	s_andn2_b32 exec_lo, exec_lo, s8
	s_cbranch_execnz .LBB41_396
; %bb.397:
	s_or_b32 exec_lo, exec_lo, s8
.LBB41_398:
	s_or_b32 exec_lo, exec_lo, s6
	v_mov_b32_e32 v8, 0
	ds_read_b128 v[96:99], v8 offset:144
	s_waitcnt lgkmcnt(0)
	v_mul_f64 v[93:94], v[3:4], v[98:99]
	v_mul_f64 v[98:99], v[1:2], v[98:99]
	v_fma_f64 v[1:2], v[1:2], v[96:97], -v[93:94]
	v_fma_f64 v[3:4], v[3:4], v[96:97], v[98:99]
	buffer_store_dword v2, off, s[0:3], 0 offset:148
	buffer_store_dword v1, off, s[0:3], 0 offset:144
	;; [unrolled: 1-line block ×4, first 2 shown]
.LBB41_399:
	s_or_b32 exec_lo, exec_lo, s4
	v_mov_b32_e32 v4, s40
	s_mov_b32 s4, exec_lo
	s_clause 0x3
	buffer_load_dword v1, v4, s[0:3], 0 offen
	buffer_load_dword v2, v4, s[0:3], 0 offen offset:4
	buffer_load_dword v3, v4, s[0:3], 0 offen offset:8
	;; [unrolled: 1-line block ×3, first 2 shown]
	s_waitcnt vmcnt(0)
	ds_write_b128 v6, v[1:4]
	s_waitcnt lgkmcnt(0)
	s_waitcnt_vscnt null, 0x0
	s_barrier
	buffer_gl0_inv
	v_cmpx_gt_u32_e32 10, v0
	s_cbranch_execz .LBB41_407
; %bb.400:
	ds_read_b128 v[1:4], v6
	v_cmp_ne_u32_e32 vcc_lo, 1, v7
	s_cbranch_vccnz .LBB41_402
; %bb.401:
	s_clause 0x3
	buffer_load_dword v93, v5, s[0:3], 0 offen offset:8
	buffer_load_dword v94, v5, s[0:3], 0 offen offset:12
	buffer_load_dword v96, v5, s[0:3], 0 offen
	buffer_load_dword v97, v5, s[0:3], 0 offen offset:4
	s_waitcnt vmcnt(2) lgkmcnt(0)
	v_mul_f64 v[98:99], v[3:4], v[93:94]
	v_mul_f64 v[93:94], v[1:2], v[93:94]
	s_waitcnt vmcnt(0)
	v_fma_f64 v[1:2], v[1:2], v[96:97], -v[98:99]
	v_fma_f64 v[3:4], v[3:4], v[96:97], v[93:94]
.LBB41_402:
	s_mov_b32 s6, exec_lo
	v_cmpx_ne_u32_e32 9, v0
	s_cbranch_execz .LBB41_406
; %bb.403:
	v_add_nc_u32_e32 v8, 0x2b0, v95
	v_add3_u32 v93, 0, v95, 16
	v_mov_b32_e32 v94, v0
	s_mov_b32 s8, 0
	.p2align	6
.LBB41_404:                             ; =>This Inner Loop Header: Depth=1
	s_clause 0x3
	buffer_load_dword v100, v93, s[0:3], 0 offen offset:8
	buffer_load_dword v101, v93, s[0:3], 0 offen offset:12
	buffer_load_dword v102, v93, s[0:3], 0 offen
	buffer_load_dword v103, v93, s[0:3], 0 offen offset:4
	ds_read_b128 v[96:99], v8
	v_add_nc_u32_e32 v94, 1, v94
	v_add_nc_u32_e32 v8, 16, v8
	;; [unrolled: 1-line block ×3, first 2 shown]
	v_cmp_lt_u32_e32 vcc_lo, 8, v94
	s_or_b32 s8, vcc_lo, s8
	s_waitcnt vmcnt(2) lgkmcnt(0)
	v_mul_f64 v[104:105], v[98:99], v[100:101]
	v_mul_f64 v[100:101], v[96:97], v[100:101]
	s_waitcnt vmcnt(0)
	v_fma_f64 v[96:97], v[96:97], v[102:103], -v[104:105]
	v_fma_f64 v[98:99], v[98:99], v[102:103], v[100:101]
	v_add_f64 v[1:2], v[1:2], v[96:97]
	v_add_f64 v[3:4], v[3:4], v[98:99]
	s_andn2_b32 exec_lo, exec_lo, s8
	s_cbranch_execnz .LBB41_404
; %bb.405:
	s_or_b32 exec_lo, exec_lo, s8
.LBB41_406:
	s_or_b32 exec_lo, exec_lo, s6
	v_mov_b32_e32 v8, 0
	ds_read_b128 v[96:99], v8 offset:160
	s_waitcnt lgkmcnt(0)
	v_mul_f64 v[93:94], v[3:4], v[98:99]
	v_mul_f64 v[98:99], v[1:2], v[98:99]
	v_fma_f64 v[1:2], v[1:2], v[96:97], -v[93:94]
	v_fma_f64 v[3:4], v[3:4], v[96:97], v[98:99]
	buffer_store_dword v2, off, s[0:3], 0 offset:164
	buffer_store_dword v1, off, s[0:3], 0 offset:160
	;; [unrolled: 1-line block ×4, first 2 shown]
.LBB41_407:
	s_or_b32 exec_lo, exec_lo, s4
	v_mov_b32_e32 v4, s39
	s_mov_b32 s4, exec_lo
	s_clause 0x3
	buffer_load_dword v1, v4, s[0:3], 0 offen
	buffer_load_dword v2, v4, s[0:3], 0 offen offset:4
	buffer_load_dword v3, v4, s[0:3], 0 offen offset:8
	;; [unrolled: 1-line block ×3, first 2 shown]
	s_waitcnt vmcnt(0)
	ds_write_b128 v6, v[1:4]
	s_waitcnt lgkmcnt(0)
	s_waitcnt_vscnt null, 0x0
	s_barrier
	buffer_gl0_inv
	v_cmpx_gt_u32_e32 11, v0
	s_cbranch_execz .LBB41_415
; %bb.408:
	ds_read_b128 v[1:4], v6
	v_cmp_ne_u32_e32 vcc_lo, 1, v7
	s_cbranch_vccnz .LBB41_410
; %bb.409:
	s_clause 0x3
	buffer_load_dword v93, v5, s[0:3], 0 offen offset:8
	buffer_load_dword v94, v5, s[0:3], 0 offen offset:12
	buffer_load_dword v96, v5, s[0:3], 0 offen
	buffer_load_dword v97, v5, s[0:3], 0 offen offset:4
	s_waitcnt vmcnt(2) lgkmcnt(0)
	v_mul_f64 v[98:99], v[3:4], v[93:94]
	v_mul_f64 v[93:94], v[1:2], v[93:94]
	s_waitcnt vmcnt(0)
	v_fma_f64 v[1:2], v[1:2], v[96:97], -v[98:99]
	v_fma_f64 v[3:4], v[3:4], v[96:97], v[93:94]
.LBB41_410:
	s_mov_b32 s6, exec_lo
	v_cmpx_ne_u32_e32 10, v0
	s_cbranch_execz .LBB41_414
; %bb.411:
	v_add_nc_u32_e32 v8, 0x2b0, v95
	v_add3_u32 v93, 0, v95, 16
	v_mov_b32_e32 v94, v0
	s_mov_b32 s8, 0
	.p2align	6
.LBB41_412:                             ; =>This Inner Loop Header: Depth=1
	s_clause 0x3
	buffer_load_dword v100, v93, s[0:3], 0 offen offset:8
	buffer_load_dword v101, v93, s[0:3], 0 offen offset:12
	buffer_load_dword v102, v93, s[0:3], 0 offen
	buffer_load_dword v103, v93, s[0:3], 0 offen offset:4
	ds_read_b128 v[96:99], v8
	v_add_nc_u32_e32 v94, 1, v94
	v_add_nc_u32_e32 v8, 16, v8
	;; [unrolled: 1-line block ×3, first 2 shown]
	v_cmp_lt_u32_e32 vcc_lo, 9, v94
	s_or_b32 s8, vcc_lo, s8
	s_waitcnt vmcnt(2) lgkmcnt(0)
	v_mul_f64 v[104:105], v[98:99], v[100:101]
	v_mul_f64 v[100:101], v[96:97], v[100:101]
	s_waitcnt vmcnt(0)
	v_fma_f64 v[96:97], v[96:97], v[102:103], -v[104:105]
	v_fma_f64 v[98:99], v[98:99], v[102:103], v[100:101]
	v_add_f64 v[1:2], v[1:2], v[96:97]
	v_add_f64 v[3:4], v[3:4], v[98:99]
	s_andn2_b32 exec_lo, exec_lo, s8
	s_cbranch_execnz .LBB41_412
; %bb.413:
	s_or_b32 exec_lo, exec_lo, s8
.LBB41_414:
	s_or_b32 exec_lo, exec_lo, s6
	v_mov_b32_e32 v8, 0
	ds_read_b128 v[96:99], v8 offset:176
	s_waitcnt lgkmcnt(0)
	v_mul_f64 v[93:94], v[3:4], v[98:99]
	v_mul_f64 v[98:99], v[1:2], v[98:99]
	v_fma_f64 v[1:2], v[1:2], v[96:97], -v[93:94]
	v_fma_f64 v[3:4], v[3:4], v[96:97], v[98:99]
	buffer_store_dword v2, off, s[0:3], 0 offset:180
	buffer_store_dword v1, off, s[0:3], 0 offset:176
	;; [unrolled: 1-line block ×4, first 2 shown]
.LBB41_415:
	s_or_b32 exec_lo, exec_lo, s4
	v_mov_b32_e32 v4, s38
	s_mov_b32 s4, exec_lo
	s_clause 0x3
	buffer_load_dword v1, v4, s[0:3], 0 offen
	buffer_load_dword v2, v4, s[0:3], 0 offen offset:4
	buffer_load_dword v3, v4, s[0:3], 0 offen offset:8
	buffer_load_dword v4, v4, s[0:3], 0 offen offset:12
	s_waitcnt vmcnt(0)
	ds_write_b128 v6, v[1:4]
	s_waitcnt lgkmcnt(0)
	s_waitcnt_vscnt null, 0x0
	s_barrier
	buffer_gl0_inv
	v_cmpx_gt_u32_e32 12, v0
	s_cbranch_execz .LBB41_423
; %bb.416:
	ds_read_b128 v[1:4], v6
	v_cmp_ne_u32_e32 vcc_lo, 1, v7
	s_cbranch_vccnz .LBB41_418
; %bb.417:
	s_clause 0x3
	buffer_load_dword v93, v5, s[0:3], 0 offen offset:8
	buffer_load_dword v94, v5, s[0:3], 0 offen offset:12
	buffer_load_dword v96, v5, s[0:3], 0 offen
	buffer_load_dword v97, v5, s[0:3], 0 offen offset:4
	s_waitcnt vmcnt(2) lgkmcnt(0)
	v_mul_f64 v[98:99], v[3:4], v[93:94]
	v_mul_f64 v[93:94], v[1:2], v[93:94]
	s_waitcnt vmcnt(0)
	v_fma_f64 v[1:2], v[1:2], v[96:97], -v[98:99]
	v_fma_f64 v[3:4], v[3:4], v[96:97], v[93:94]
.LBB41_418:
	s_mov_b32 s6, exec_lo
	v_cmpx_ne_u32_e32 11, v0
	s_cbranch_execz .LBB41_422
; %bb.419:
	v_add_nc_u32_e32 v8, 0x2b0, v95
	v_add3_u32 v93, 0, v95, 16
	v_mov_b32_e32 v94, v0
	s_mov_b32 s8, 0
	.p2align	6
.LBB41_420:                             ; =>This Inner Loop Header: Depth=1
	s_clause 0x3
	buffer_load_dword v100, v93, s[0:3], 0 offen offset:8
	buffer_load_dword v101, v93, s[0:3], 0 offen offset:12
	buffer_load_dword v102, v93, s[0:3], 0 offen
	buffer_load_dword v103, v93, s[0:3], 0 offen offset:4
	ds_read_b128 v[96:99], v8
	v_add_nc_u32_e32 v94, 1, v94
	v_add_nc_u32_e32 v8, 16, v8
	;; [unrolled: 1-line block ×3, first 2 shown]
	v_cmp_lt_u32_e32 vcc_lo, 10, v94
	s_or_b32 s8, vcc_lo, s8
	s_waitcnt vmcnt(2) lgkmcnt(0)
	v_mul_f64 v[104:105], v[98:99], v[100:101]
	v_mul_f64 v[100:101], v[96:97], v[100:101]
	s_waitcnt vmcnt(0)
	v_fma_f64 v[96:97], v[96:97], v[102:103], -v[104:105]
	v_fma_f64 v[98:99], v[98:99], v[102:103], v[100:101]
	v_add_f64 v[1:2], v[1:2], v[96:97]
	v_add_f64 v[3:4], v[3:4], v[98:99]
	s_andn2_b32 exec_lo, exec_lo, s8
	s_cbranch_execnz .LBB41_420
; %bb.421:
	s_or_b32 exec_lo, exec_lo, s8
.LBB41_422:
	s_or_b32 exec_lo, exec_lo, s6
	v_mov_b32_e32 v8, 0
	ds_read_b128 v[96:99], v8 offset:192
	s_waitcnt lgkmcnt(0)
	v_mul_f64 v[93:94], v[3:4], v[98:99]
	v_mul_f64 v[98:99], v[1:2], v[98:99]
	v_fma_f64 v[1:2], v[1:2], v[96:97], -v[93:94]
	v_fma_f64 v[3:4], v[3:4], v[96:97], v[98:99]
	buffer_store_dword v2, off, s[0:3], 0 offset:196
	buffer_store_dword v1, off, s[0:3], 0 offset:192
	;; [unrolled: 1-line block ×4, first 2 shown]
.LBB41_423:
	s_or_b32 exec_lo, exec_lo, s4
	v_mov_b32_e32 v4, s37
	s_mov_b32 s4, exec_lo
	s_clause 0x3
	buffer_load_dword v1, v4, s[0:3], 0 offen
	buffer_load_dword v2, v4, s[0:3], 0 offen offset:4
	buffer_load_dword v3, v4, s[0:3], 0 offen offset:8
	;; [unrolled: 1-line block ×3, first 2 shown]
	s_waitcnt vmcnt(0)
	ds_write_b128 v6, v[1:4]
	s_waitcnt lgkmcnt(0)
	s_waitcnt_vscnt null, 0x0
	s_barrier
	buffer_gl0_inv
	v_cmpx_gt_u32_e32 13, v0
	s_cbranch_execz .LBB41_431
; %bb.424:
	ds_read_b128 v[1:4], v6
	v_cmp_ne_u32_e32 vcc_lo, 1, v7
	s_cbranch_vccnz .LBB41_426
; %bb.425:
	s_clause 0x3
	buffer_load_dword v93, v5, s[0:3], 0 offen offset:8
	buffer_load_dword v94, v5, s[0:3], 0 offen offset:12
	buffer_load_dword v96, v5, s[0:3], 0 offen
	buffer_load_dword v97, v5, s[0:3], 0 offen offset:4
	s_waitcnt vmcnt(2) lgkmcnt(0)
	v_mul_f64 v[98:99], v[3:4], v[93:94]
	v_mul_f64 v[93:94], v[1:2], v[93:94]
	s_waitcnt vmcnt(0)
	v_fma_f64 v[1:2], v[1:2], v[96:97], -v[98:99]
	v_fma_f64 v[3:4], v[3:4], v[96:97], v[93:94]
.LBB41_426:
	s_mov_b32 s6, exec_lo
	v_cmpx_ne_u32_e32 12, v0
	s_cbranch_execz .LBB41_430
; %bb.427:
	v_add_nc_u32_e32 v8, 0x2b0, v95
	v_add3_u32 v93, 0, v95, 16
	v_mov_b32_e32 v94, v0
	s_mov_b32 s8, 0
	.p2align	6
.LBB41_428:                             ; =>This Inner Loop Header: Depth=1
	s_clause 0x3
	buffer_load_dword v100, v93, s[0:3], 0 offen offset:8
	buffer_load_dword v101, v93, s[0:3], 0 offen offset:12
	buffer_load_dword v102, v93, s[0:3], 0 offen
	buffer_load_dword v103, v93, s[0:3], 0 offen offset:4
	ds_read_b128 v[96:99], v8
	v_add_nc_u32_e32 v94, 1, v94
	v_add_nc_u32_e32 v8, 16, v8
	;; [unrolled: 1-line block ×3, first 2 shown]
	v_cmp_lt_u32_e32 vcc_lo, 11, v94
	s_or_b32 s8, vcc_lo, s8
	s_waitcnt vmcnt(2) lgkmcnt(0)
	v_mul_f64 v[104:105], v[98:99], v[100:101]
	v_mul_f64 v[100:101], v[96:97], v[100:101]
	s_waitcnt vmcnt(0)
	v_fma_f64 v[96:97], v[96:97], v[102:103], -v[104:105]
	v_fma_f64 v[98:99], v[98:99], v[102:103], v[100:101]
	v_add_f64 v[1:2], v[1:2], v[96:97]
	v_add_f64 v[3:4], v[3:4], v[98:99]
	s_andn2_b32 exec_lo, exec_lo, s8
	s_cbranch_execnz .LBB41_428
; %bb.429:
	s_or_b32 exec_lo, exec_lo, s8
.LBB41_430:
	s_or_b32 exec_lo, exec_lo, s6
	v_mov_b32_e32 v8, 0
	ds_read_b128 v[96:99], v8 offset:208
	s_waitcnt lgkmcnt(0)
	v_mul_f64 v[93:94], v[3:4], v[98:99]
	v_mul_f64 v[98:99], v[1:2], v[98:99]
	v_fma_f64 v[1:2], v[1:2], v[96:97], -v[93:94]
	v_fma_f64 v[3:4], v[3:4], v[96:97], v[98:99]
	buffer_store_dword v2, off, s[0:3], 0 offset:212
	buffer_store_dword v1, off, s[0:3], 0 offset:208
	;; [unrolled: 1-line block ×4, first 2 shown]
.LBB41_431:
	s_or_b32 exec_lo, exec_lo, s4
	v_mov_b32_e32 v4, s36
	s_mov_b32 s4, exec_lo
	s_clause 0x3
	buffer_load_dword v1, v4, s[0:3], 0 offen
	buffer_load_dword v2, v4, s[0:3], 0 offen offset:4
	buffer_load_dword v3, v4, s[0:3], 0 offen offset:8
	;; [unrolled: 1-line block ×3, first 2 shown]
	s_waitcnt vmcnt(0)
	ds_write_b128 v6, v[1:4]
	s_waitcnt lgkmcnt(0)
	s_waitcnt_vscnt null, 0x0
	s_barrier
	buffer_gl0_inv
	v_cmpx_gt_u32_e32 14, v0
	s_cbranch_execz .LBB41_439
; %bb.432:
	ds_read_b128 v[1:4], v6
	v_cmp_ne_u32_e32 vcc_lo, 1, v7
	s_cbranch_vccnz .LBB41_434
; %bb.433:
	s_clause 0x3
	buffer_load_dword v93, v5, s[0:3], 0 offen offset:8
	buffer_load_dword v94, v5, s[0:3], 0 offen offset:12
	buffer_load_dword v96, v5, s[0:3], 0 offen
	buffer_load_dword v97, v5, s[0:3], 0 offen offset:4
	s_waitcnt vmcnt(2) lgkmcnt(0)
	v_mul_f64 v[98:99], v[3:4], v[93:94]
	v_mul_f64 v[93:94], v[1:2], v[93:94]
	s_waitcnt vmcnt(0)
	v_fma_f64 v[1:2], v[1:2], v[96:97], -v[98:99]
	v_fma_f64 v[3:4], v[3:4], v[96:97], v[93:94]
.LBB41_434:
	s_mov_b32 s6, exec_lo
	v_cmpx_ne_u32_e32 13, v0
	s_cbranch_execz .LBB41_438
; %bb.435:
	v_add_nc_u32_e32 v8, 0x2b0, v95
	v_add3_u32 v93, 0, v95, 16
	v_mov_b32_e32 v94, v0
	s_mov_b32 s8, 0
	.p2align	6
.LBB41_436:                             ; =>This Inner Loop Header: Depth=1
	s_clause 0x3
	buffer_load_dword v100, v93, s[0:3], 0 offen offset:8
	buffer_load_dword v101, v93, s[0:3], 0 offen offset:12
	buffer_load_dword v102, v93, s[0:3], 0 offen
	buffer_load_dword v103, v93, s[0:3], 0 offen offset:4
	ds_read_b128 v[96:99], v8
	v_add_nc_u32_e32 v94, 1, v94
	v_add_nc_u32_e32 v8, 16, v8
	;; [unrolled: 1-line block ×3, first 2 shown]
	v_cmp_lt_u32_e32 vcc_lo, 12, v94
	s_or_b32 s8, vcc_lo, s8
	s_waitcnt vmcnt(2) lgkmcnt(0)
	v_mul_f64 v[104:105], v[98:99], v[100:101]
	v_mul_f64 v[100:101], v[96:97], v[100:101]
	s_waitcnt vmcnt(0)
	v_fma_f64 v[96:97], v[96:97], v[102:103], -v[104:105]
	v_fma_f64 v[98:99], v[98:99], v[102:103], v[100:101]
	v_add_f64 v[1:2], v[1:2], v[96:97]
	v_add_f64 v[3:4], v[3:4], v[98:99]
	s_andn2_b32 exec_lo, exec_lo, s8
	s_cbranch_execnz .LBB41_436
; %bb.437:
	s_or_b32 exec_lo, exec_lo, s8
.LBB41_438:
	s_or_b32 exec_lo, exec_lo, s6
	v_mov_b32_e32 v8, 0
	ds_read_b128 v[96:99], v8 offset:224
	s_waitcnt lgkmcnt(0)
	v_mul_f64 v[93:94], v[3:4], v[98:99]
	v_mul_f64 v[98:99], v[1:2], v[98:99]
	v_fma_f64 v[1:2], v[1:2], v[96:97], -v[93:94]
	v_fma_f64 v[3:4], v[3:4], v[96:97], v[98:99]
	buffer_store_dword v2, off, s[0:3], 0 offset:228
	buffer_store_dword v1, off, s[0:3], 0 offset:224
	;; [unrolled: 1-line block ×4, first 2 shown]
.LBB41_439:
	s_or_b32 exec_lo, exec_lo, s4
	v_mov_b32_e32 v4, s35
	s_mov_b32 s4, exec_lo
	s_clause 0x3
	buffer_load_dword v1, v4, s[0:3], 0 offen
	buffer_load_dword v2, v4, s[0:3], 0 offen offset:4
	buffer_load_dword v3, v4, s[0:3], 0 offen offset:8
	;; [unrolled: 1-line block ×3, first 2 shown]
	s_waitcnt vmcnt(0)
	ds_write_b128 v6, v[1:4]
	s_waitcnt lgkmcnt(0)
	s_waitcnt_vscnt null, 0x0
	s_barrier
	buffer_gl0_inv
	v_cmpx_gt_u32_e32 15, v0
	s_cbranch_execz .LBB41_447
; %bb.440:
	ds_read_b128 v[1:4], v6
	v_cmp_ne_u32_e32 vcc_lo, 1, v7
	s_cbranch_vccnz .LBB41_442
; %bb.441:
	s_clause 0x3
	buffer_load_dword v93, v5, s[0:3], 0 offen offset:8
	buffer_load_dword v94, v5, s[0:3], 0 offen offset:12
	buffer_load_dword v96, v5, s[0:3], 0 offen
	buffer_load_dword v97, v5, s[0:3], 0 offen offset:4
	s_waitcnt vmcnt(2) lgkmcnt(0)
	v_mul_f64 v[98:99], v[3:4], v[93:94]
	v_mul_f64 v[93:94], v[1:2], v[93:94]
	s_waitcnt vmcnt(0)
	v_fma_f64 v[1:2], v[1:2], v[96:97], -v[98:99]
	v_fma_f64 v[3:4], v[3:4], v[96:97], v[93:94]
.LBB41_442:
	s_mov_b32 s6, exec_lo
	v_cmpx_ne_u32_e32 14, v0
	s_cbranch_execz .LBB41_446
; %bb.443:
	v_add_nc_u32_e32 v8, 0x2b0, v95
	v_add3_u32 v93, 0, v95, 16
	v_mov_b32_e32 v94, v0
	s_mov_b32 s8, 0
	.p2align	6
.LBB41_444:                             ; =>This Inner Loop Header: Depth=1
	s_clause 0x3
	buffer_load_dword v100, v93, s[0:3], 0 offen offset:8
	buffer_load_dword v101, v93, s[0:3], 0 offen offset:12
	buffer_load_dword v102, v93, s[0:3], 0 offen
	buffer_load_dword v103, v93, s[0:3], 0 offen offset:4
	ds_read_b128 v[96:99], v8
	v_add_nc_u32_e32 v94, 1, v94
	v_add_nc_u32_e32 v8, 16, v8
	;; [unrolled: 1-line block ×3, first 2 shown]
	v_cmp_lt_u32_e32 vcc_lo, 13, v94
	s_or_b32 s8, vcc_lo, s8
	s_waitcnt vmcnt(2) lgkmcnt(0)
	v_mul_f64 v[104:105], v[98:99], v[100:101]
	v_mul_f64 v[100:101], v[96:97], v[100:101]
	s_waitcnt vmcnt(0)
	v_fma_f64 v[96:97], v[96:97], v[102:103], -v[104:105]
	v_fma_f64 v[98:99], v[98:99], v[102:103], v[100:101]
	v_add_f64 v[1:2], v[1:2], v[96:97]
	v_add_f64 v[3:4], v[3:4], v[98:99]
	s_andn2_b32 exec_lo, exec_lo, s8
	s_cbranch_execnz .LBB41_444
; %bb.445:
	s_or_b32 exec_lo, exec_lo, s8
.LBB41_446:
	s_or_b32 exec_lo, exec_lo, s6
	v_mov_b32_e32 v8, 0
	ds_read_b128 v[96:99], v8 offset:240
	s_waitcnt lgkmcnt(0)
	v_mul_f64 v[93:94], v[3:4], v[98:99]
	v_mul_f64 v[98:99], v[1:2], v[98:99]
	v_fma_f64 v[1:2], v[1:2], v[96:97], -v[93:94]
	v_fma_f64 v[3:4], v[3:4], v[96:97], v[98:99]
	buffer_store_dword v2, off, s[0:3], 0 offset:244
	buffer_store_dword v1, off, s[0:3], 0 offset:240
	;; [unrolled: 1-line block ×4, first 2 shown]
.LBB41_447:
	s_or_b32 exec_lo, exec_lo, s4
	v_mov_b32_e32 v4, s34
	s_mov_b32 s4, exec_lo
	s_clause 0x3
	buffer_load_dword v1, v4, s[0:3], 0 offen
	buffer_load_dword v2, v4, s[0:3], 0 offen offset:4
	buffer_load_dword v3, v4, s[0:3], 0 offen offset:8
	buffer_load_dword v4, v4, s[0:3], 0 offen offset:12
	s_waitcnt vmcnt(0)
	ds_write_b128 v6, v[1:4]
	s_waitcnt lgkmcnt(0)
	s_waitcnt_vscnt null, 0x0
	s_barrier
	buffer_gl0_inv
	v_cmpx_gt_u32_e32 16, v0
	s_cbranch_execz .LBB41_455
; %bb.448:
	ds_read_b128 v[1:4], v6
	v_cmp_ne_u32_e32 vcc_lo, 1, v7
	s_cbranch_vccnz .LBB41_450
; %bb.449:
	s_clause 0x3
	buffer_load_dword v93, v5, s[0:3], 0 offen offset:8
	buffer_load_dword v94, v5, s[0:3], 0 offen offset:12
	buffer_load_dword v96, v5, s[0:3], 0 offen
	buffer_load_dword v97, v5, s[0:3], 0 offen offset:4
	s_waitcnt vmcnt(2) lgkmcnt(0)
	v_mul_f64 v[98:99], v[3:4], v[93:94]
	v_mul_f64 v[93:94], v[1:2], v[93:94]
	s_waitcnt vmcnt(0)
	v_fma_f64 v[1:2], v[1:2], v[96:97], -v[98:99]
	v_fma_f64 v[3:4], v[3:4], v[96:97], v[93:94]
.LBB41_450:
	s_mov_b32 s6, exec_lo
	v_cmpx_ne_u32_e32 15, v0
	s_cbranch_execz .LBB41_454
; %bb.451:
	v_add_nc_u32_e32 v8, 0x2b0, v95
	v_add3_u32 v93, 0, v95, 16
	v_mov_b32_e32 v94, v0
	s_mov_b32 s8, 0
	.p2align	6
.LBB41_452:                             ; =>This Inner Loop Header: Depth=1
	s_clause 0x3
	buffer_load_dword v100, v93, s[0:3], 0 offen offset:8
	buffer_load_dword v101, v93, s[0:3], 0 offen offset:12
	buffer_load_dword v102, v93, s[0:3], 0 offen
	buffer_load_dword v103, v93, s[0:3], 0 offen offset:4
	ds_read_b128 v[96:99], v8
	v_add_nc_u32_e32 v94, 1, v94
	v_add_nc_u32_e32 v8, 16, v8
	v_add_nc_u32_e32 v93, 16, v93
	v_cmp_lt_u32_e32 vcc_lo, 14, v94
	s_or_b32 s8, vcc_lo, s8
	s_waitcnt vmcnt(2) lgkmcnt(0)
	v_mul_f64 v[104:105], v[98:99], v[100:101]
	v_mul_f64 v[100:101], v[96:97], v[100:101]
	s_waitcnt vmcnt(0)
	v_fma_f64 v[96:97], v[96:97], v[102:103], -v[104:105]
	v_fma_f64 v[98:99], v[98:99], v[102:103], v[100:101]
	v_add_f64 v[1:2], v[1:2], v[96:97]
	v_add_f64 v[3:4], v[3:4], v[98:99]
	s_andn2_b32 exec_lo, exec_lo, s8
	s_cbranch_execnz .LBB41_452
; %bb.453:
	s_or_b32 exec_lo, exec_lo, s8
.LBB41_454:
	s_or_b32 exec_lo, exec_lo, s6
	v_mov_b32_e32 v8, 0
	ds_read_b128 v[96:99], v8 offset:256
	s_waitcnt lgkmcnt(0)
	v_mul_f64 v[93:94], v[3:4], v[98:99]
	v_mul_f64 v[98:99], v[1:2], v[98:99]
	v_fma_f64 v[1:2], v[1:2], v[96:97], -v[93:94]
	v_fma_f64 v[3:4], v[3:4], v[96:97], v[98:99]
	buffer_store_dword v2, off, s[0:3], 0 offset:260
	buffer_store_dword v1, off, s[0:3], 0 offset:256
	;; [unrolled: 1-line block ×4, first 2 shown]
.LBB41_455:
	s_or_b32 exec_lo, exec_lo, s4
	v_mov_b32_e32 v4, s33
	s_mov_b32 s4, exec_lo
	s_clause 0x3
	buffer_load_dword v1, v4, s[0:3], 0 offen
	buffer_load_dword v2, v4, s[0:3], 0 offen offset:4
	buffer_load_dword v3, v4, s[0:3], 0 offen offset:8
	;; [unrolled: 1-line block ×3, first 2 shown]
	s_waitcnt vmcnt(0)
	ds_write_b128 v6, v[1:4]
	s_waitcnt lgkmcnt(0)
	s_waitcnt_vscnt null, 0x0
	s_barrier
	buffer_gl0_inv
	v_cmpx_gt_u32_e32 17, v0
	s_cbranch_execz .LBB41_463
; %bb.456:
	ds_read_b128 v[1:4], v6
	v_cmp_ne_u32_e32 vcc_lo, 1, v7
	s_cbranch_vccnz .LBB41_458
; %bb.457:
	s_clause 0x3
	buffer_load_dword v93, v5, s[0:3], 0 offen offset:8
	buffer_load_dword v94, v5, s[0:3], 0 offen offset:12
	buffer_load_dword v96, v5, s[0:3], 0 offen
	buffer_load_dword v97, v5, s[0:3], 0 offen offset:4
	s_waitcnt vmcnt(2) lgkmcnt(0)
	v_mul_f64 v[98:99], v[3:4], v[93:94]
	v_mul_f64 v[93:94], v[1:2], v[93:94]
	s_waitcnt vmcnt(0)
	v_fma_f64 v[1:2], v[1:2], v[96:97], -v[98:99]
	v_fma_f64 v[3:4], v[3:4], v[96:97], v[93:94]
.LBB41_458:
	s_mov_b32 s6, exec_lo
	v_cmpx_ne_u32_e32 16, v0
	s_cbranch_execz .LBB41_462
; %bb.459:
	v_add_nc_u32_e32 v8, 0x2b0, v95
	v_add3_u32 v93, 0, v95, 16
	v_mov_b32_e32 v94, v0
	s_mov_b32 s8, 0
	.p2align	6
.LBB41_460:                             ; =>This Inner Loop Header: Depth=1
	s_clause 0x3
	buffer_load_dword v100, v93, s[0:3], 0 offen offset:8
	buffer_load_dword v101, v93, s[0:3], 0 offen offset:12
	buffer_load_dword v102, v93, s[0:3], 0 offen
	buffer_load_dword v103, v93, s[0:3], 0 offen offset:4
	ds_read_b128 v[96:99], v8
	v_add_nc_u32_e32 v94, 1, v94
	v_add_nc_u32_e32 v8, 16, v8
	;; [unrolled: 1-line block ×3, first 2 shown]
	v_cmp_lt_u32_e32 vcc_lo, 15, v94
	s_or_b32 s8, vcc_lo, s8
	s_waitcnt vmcnt(2) lgkmcnt(0)
	v_mul_f64 v[104:105], v[98:99], v[100:101]
	v_mul_f64 v[100:101], v[96:97], v[100:101]
	s_waitcnt vmcnt(0)
	v_fma_f64 v[96:97], v[96:97], v[102:103], -v[104:105]
	v_fma_f64 v[98:99], v[98:99], v[102:103], v[100:101]
	v_add_f64 v[1:2], v[1:2], v[96:97]
	v_add_f64 v[3:4], v[3:4], v[98:99]
	s_andn2_b32 exec_lo, exec_lo, s8
	s_cbranch_execnz .LBB41_460
; %bb.461:
	s_or_b32 exec_lo, exec_lo, s8
.LBB41_462:
	s_or_b32 exec_lo, exec_lo, s6
	v_mov_b32_e32 v8, 0
	ds_read_b128 v[96:99], v8 offset:272
	s_waitcnt lgkmcnt(0)
	v_mul_f64 v[93:94], v[3:4], v[98:99]
	v_mul_f64 v[98:99], v[1:2], v[98:99]
	v_fma_f64 v[1:2], v[1:2], v[96:97], -v[93:94]
	v_fma_f64 v[3:4], v[3:4], v[96:97], v[98:99]
	buffer_store_dword v2, off, s[0:3], 0 offset:276
	buffer_store_dword v1, off, s[0:3], 0 offset:272
	;; [unrolled: 1-line block ×4, first 2 shown]
.LBB41_463:
	s_or_b32 exec_lo, exec_lo, s4
	v_mov_b32_e32 v4, s31
	s_mov_b32 s4, exec_lo
	s_clause 0x3
	buffer_load_dword v1, v4, s[0:3], 0 offen
	buffer_load_dword v2, v4, s[0:3], 0 offen offset:4
	buffer_load_dword v3, v4, s[0:3], 0 offen offset:8
	;; [unrolled: 1-line block ×3, first 2 shown]
	s_waitcnt vmcnt(0)
	ds_write_b128 v6, v[1:4]
	s_waitcnt lgkmcnt(0)
	s_waitcnt_vscnt null, 0x0
	s_barrier
	buffer_gl0_inv
	v_cmpx_gt_u32_e32 18, v0
	s_cbranch_execz .LBB41_471
; %bb.464:
	ds_read_b128 v[1:4], v6
	v_cmp_ne_u32_e32 vcc_lo, 1, v7
	s_cbranch_vccnz .LBB41_466
; %bb.465:
	s_clause 0x3
	buffer_load_dword v93, v5, s[0:3], 0 offen offset:8
	buffer_load_dword v94, v5, s[0:3], 0 offen offset:12
	buffer_load_dword v96, v5, s[0:3], 0 offen
	buffer_load_dword v97, v5, s[0:3], 0 offen offset:4
	s_waitcnt vmcnt(2) lgkmcnt(0)
	v_mul_f64 v[98:99], v[3:4], v[93:94]
	v_mul_f64 v[93:94], v[1:2], v[93:94]
	s_waitcnt vmcnt(0)
	v_fma_f64 v[1:2], v[1:2], v[96:97], -v[98:99]
	v_fma_f64 v[3:4], v[3:4], v[96:97], v[93:94]
.LBB41_466:
	s_mov_b32 s6, exec_lo
	v_cmpx_ne_u32_e32 17, v0
	s_cbranch_execz .LBB41_470
; %bb.467:
	v_add_nc_u32_e32 v8, 0x2b0, v95
	v_add3_u32 v93, 0, v95, 16
	v_mov_b32_e32 v94, v0
	s_mov_b32 s8, 0
	.p2align	6
.LBB41_468:                             ; =>This Inner Loop Header: Depth=1
	s_clause 0x3
	buffer_load_dword v100, v93, s[0:3], 0 offen offset:8
	buffer_load_dword v101, v93, s[0:3], 0 offen offset:12
	buffer_load_dword v102, v93, s[0:3], 0 offen
	buffer_load_dword v103, v93, s[0:3], 0 offen offset:4
	ds_read_b128 v[96:99], v8
	v_add_nc_u32_e32 v94, 1, v94
	v_add_nc_u32_e32 v8, 16, v8
	;; [unrolled: 1-line block ×3, first 2 shown]
	v_cmp_lt_u32_e32 vcc_lo, 16, v94
	s_or_b32 s8, vcc_lo, s8
	s_waitcnt vmcnt(2) lgkmcnt(0)
	v_mul_f64 v[104:105], v[98:99], v[100:101]
	v_mul_f64 v[100:101], v[96:97], v[100:101]
	s_waitcnt vmcnt(0)
	v_fma_f64 v[96:97], v[96:97], v[102:103], -v[104:105]
	v_fma_f64 v[98:99], v[98:99], v[102:103], v[100:101]
	v_add_f64 v[1:2], v[1:2], v[96:97]
	v_add_f64 v[3:4], v[3:4], v[98:99]
	s_andn2_b32 exec_lo, exec_lo, s8
	s_cbranch_execnz .LBB41_468
; %bb.469:
	s_or_b32 exec_lo, exec_lo, s8
.LBB41_470:
	s_or_b32 exec_lo, exec_lo, s6
	v_mov_b32_e32 v8, 0
	ds_read_b128 v[96:99], v8 offset:288
	s_waitcnt lgkmcnt(0)
	v_mul_f64 v[93:94], v[3:4], v[98:99]
	v_mul_f64 v[98:99], v[1:2], v[98:99]
	v_fma_f64 v[1:2], v[1:2], v[96:97], -v[93:94]
	v_fma_f64 v[3:4], v[3:4], v[96:97], v[98:99]
	buffer_store_dword v2, off, s[0:3], 0 offset:292
	buffer_store_dword v1, off, s[0:3], 0 offset:288
	;; [unrolled: 1-line block ×4, first 2 shown]
.LBB41_471:
	s_or_b32 exec_lo, exec_lo, s4
	v_mov_b32_e32 v4, s30
	s_mov_b32 s4, exec_lo
	s_clause 0x3
	buffer_load_dword v1, v4, s[0:3], 0 offen
	buffer_load_dword v2, v4, s[0:3], 0 offen offset:4
	buffer_load_dword v3, v4, s[0:3], 0 offen offset:8
	;; [unrolled: 1-line block ×3, first 2 shown]
	s_waitcnt vmcnt(0)
	ds_write_b128 v6, v[1:4]
	s_waitcnt lgkmcnt(0)
	s_waitcnt_vscnt null, 0x0
	s_barrier
	buffer_gl0_inv
	v_cmpx_gt_u32_e32 19, v0
	s_cbranch_execz .LBB41_479
; %bb.472:
	ds_read_b128 v[1:4], v6
	v_cmp_ne_u32_e32 vcc_lo, 1, v7
	s_cbranch_vccnz .LBB41_474
; %bb.473:
	s_clause 0x3
	buffer_load_dword v93, v5, s[0:3], 0 offen offset:8
	buffer_load_dword v94, v5, s[0:3], 0 offen offset:12
	buffer_load_dword v96, v5, s[0:3], 0 offen
	buffer_load_dword v97, v5, s[0:3], 0 offen offset:4
	s_waitcnt vmcnt(2) lgkmcnt(0)
	v_mul_f64 v[98:99], v[3:4], v[93:94]
	v_mul_f64 v[93:94], v[1:2], v[93:94]
	s_waitcnt vmcnt(0)
	v_fma_f64 v[1:2], v[1:2], v[96:97], -v[98:99]
	v_fma_f64 v[3:4], v[3:4], v[96:97], v[93:94]
.LBB41_474:
	s_mov_b32 s6, exec_lo
	v_cmpx_ne_u32_e32 18, v0
	s_cbranch_execz .LBB41_478
; %bb.475:
	v_add_nc_u32_e32 v8, 0x2b0, v95
	v_add3_u32 v93, 0, v95, 16
	v_mov_b32_e32 v94, v0
	s_mov_b32 s8, 0
	.p2align	6
.LBB41_476:                             ; =>This Inner Loop Header: Depth=1
	s_clause 0x3
	buffer_load_dword v100, v93, s[0:3], 0 offen offset:8
	buffer_load_dword v101, v93, s[0:3], 0 offen offset:12
	buffer_load_dword v102, v93, s[0:3], 0 offen
	buffer_load_dword v103, v93, s[0:3], 0 offen offset:4
	ds_read_b128 v[96:99], v8
	v_add_nc_u32_e32 v94, 1, v94
	v_add_nc_u32_e32 v8, 16, v8
	;; [unrolled: 1-line block ×3, first 2 shown]
	v_cmp_lt_u32_e32 vcc_lo, 17, v94
	s_or_b32 s8, vcc_lo, s8
	s_waitcnt vmcnt(2) lgkmcnt(0)
	v_mul_f64 v[104:105], v[98:99], v[100:101]
	v_mul_f64 v[100:101], v[96:97], v[100:101]
	s_waitcnt vmcnt(0)
	v_fma_f64 v[96:97], v[96:97], v[102:103], -v[104:105]
	v_fma_f64 v[98:99], v[98:99], v[102:103], v[100:101]
	v_add_f64 v[1:2], v[1:2], v[96:97]
	v_add_f64 v[3:4], v[3:4], v[98:99]
	s_andn2_b32 exec_lo, exec_lo, s8
	s_cbranch_execnz .LBB41_476
; %bb.477:
	s_or_b32 exec_lo, exec_lo, s8
.LBB41_478:
	s_or_b32 exec_lo, exec_lo, s6
	v_mov_b32_e32 v8, 0
	ds_read_b128 v[96:99], v8 offset:304
	s_waitcnt lgkmcnt(0)
	v_mul_f64 v[93:94], v[3:4], v[98:99]
	v_mul_f64 v[98:99], v[1:2], v[98:99]
	v_fma_f64 v[1:2], v[1:2], v[96:97], -v[93:94]
	v_fma_f64 v[3:4], v[3:4], v[96:97], v[98:99]
	buffer_store_dword v2, off, s[0:3], 0 offset:308
	buffer_store_dword v1, off, s[0:3], 0 offset:304
	;; [unrolled: 1-line block ×4, first 2 shown]
.LBB41_479:
	s_or_b32 exec_lo, exec_lo, s4
	v_mov_b32_e32 v4, s29
	s_mov_b32 s4, exec_lo
	s_clause 0x3
	buffer_load_dword v1, v4, s[0:3], 0 offen
	buffer_load_dword v2, v4, s[0:3], 0 offen offset:4
	buffer_load_dword v3, v4, s[0:3], 0 offen offset:8
	buffer_load_dword v4, v4, s[0:3], 0 offen offset:12
	s_waitcnt vmcnt(0)
	ds_write_b128 v6, v[1:4]
	s_waitcnt lgkmcnt(0)
	s_waitcnt_vscnt null, 0x0
	s_barrier
	buffer_gl0_inv
	v_cmpx_gt_u32_e32 20, v0
	s_cbranch_execz .LBB41_487
; %bb.480:
	ds_read_b128 v[1:4], v6
	v_cmp_ne_u32_e32 vcc_lo, 1, v7
	s_cbranch_vccnz .LBB41_482
; %bb.481:
	s_clause 0x3
	buffer_load_dword v93, v5, s[0:3], 0 offen offset:8
	buffer_load_dword v94, v5, s[0:3], 0 offen offset:12
	buffer_load_dword v96, v5, s[0:3], 0 offen
	buffer_load_dword v97, v5, s[0:3], 0 offen offset:4
	s_waitcnt vmcnt(2) lgkmcnt(0)
	v_mul_f64 v[98:99], v[3:4], v[93:94]
	v_mul_f64 v[93:94], v[1:2], v[93:94]
	s_waitcnt vmcnt(0)
	v_fma_f64 v[1:2], v[1:2], v[96:97], -v[98:99]
	v_fma_f64 v[3:4], v[3:4], v[96:97], v[93:94]
.LBB41_482:
	s_mov_b32 s6, exec_lo
	v_cmpx_ne_u32_e32 19, v0
	s_cbranch_execz .LBB41_486
; %bb.483:
	v_add_nc_u32_e32 v8, 0x2b0, v95
	v_add3_u32 v93, 0, v95, 16
	v_mov_b32_e32 v94, v0
	s_mov_b32 s8, 0
	.p2align	6
.LBB41_484:                             ; =>This Inner Loop Header: Depth=1
	s_clause 0x3
	buffer_load_dword v100, v93, s[0:3], 0 offen offset:8
	buffer_load_dword v101, v93, s[0:3], 0 offen offset:12
	buffer_load_dword v102, v93, s[0:3], 0 offen
	buffer_load_dword v103, v93, s[0:3], 0 offen offset:4
	ds_read_b128 v[96:99], v8
	v_add_nc_u32_e32 v94, 1, v94
	v_add_nc_u32_e32 v8, 16, v8
	;; [unrolled: 1-line block ×3, first 2 shown]
	v_cmp_lt_u32_e32 vcc_lo, 18, v94
	s_or_b32 s8, vcc_lo, s8
	s_waitcnt vmcnt(2) lgkmcnt(0)
	v_mul_f64 v[104:105], v[98:99], v[100:101]
	v_mul_f64 v[100:101], v[96:97], v[100:101]
	s_waitcnt vmcnt(0)
	v_fma_f64 v[96:97], v[96:97], v[102:103], -v[104:105]
	v_fma_f64 v[98:99], v[98:99], v[102:103], v[100:101]
	v_add_f64 v[1:2], v[1:2], v[96:97]
	v_add_f64 v[3:4], v[3:4], v[98:99]
	s_andn2_b32 exec_lo, exec_lo, s8
	s_cbranch_execnz .LBB41_484
; %bb.485:
	s_or_b32 exec_lo, exec_lo, s8
.LBB41_486:
	s_or_b32 exec_lo, exec_lo, s6
	v_mov_b32_e32 v8, 0
	ds_read_b128 v[96:99], v8 offset:320
	s_waitcnt lgkmcnt(0)
	v_mul_f64 v[93:94], v[3:4], v[98:99]
	v_mul_f64 v[98:99], v[1:2], v[98:99]
	v_fma_f64 v[1:2], v[1:2], v[96:97], -v[93:94]
	v_fma_f64 v[3:4], v[3:4], v[96:97], v[98:99]
	buffer_store_dword v2, off, s[0:3], 0 offset:324
	buffer_store_dword v1, off, s[0:3], 0 offset:320
	buffer_store_dword v4, off, s[0:3], 0 offset:332
	buffer_store_dword v3, off, s[0:3], 0 offset:328
.LBB41_487:
	s_or_b32 exec_lo, exec_lo, s4
	v_mov_b32_e32 v4, s28
	s_mov_b32 s4, exec_lo
	s_clause 0x3
	buffer_load_dword v1, v4, s[0:3], 0 offen
	buffer_load_dword v2, v4, s[0:3], 0 offen offset:4
	buffer_load_dword v3, v4, s[0:3], 0 offen offset:8
	;; [unrolled: 1-line block ×3, first 2 shown]
	s_waitcnt vmcnt(0)
	ds_write_b128 v6, v[1:4]
	s_waitcnt lgkmcnt(0)
	s_waitcnt_vscnt null, 0x0
	s_barrier
	buffer_gl0_inv
	v_cmpx_gt_u32_e32 21, v0
	s_cbranch_execz .LBB41_495
; %bb.488:
	ds_read_b128 v[1:4], v6
	v_cmp_ne_u32_e32 vcc_lo, 1, v7
	s_cbranch_vccnz .LBB41_490
; %bb.489:
	s_clause 0x3
	buffer_load_dword v93, v5, s[0:3], 0 offen offset:8
	buffer_load_dword v94, v5, s[0:3], 0 offen offset:12
	buffer_load_dword v96, v5, s[0:3], 0 offen
	buffer_load_dword v97, v5, s[0:3], 0 offen offset:4
	s_waitcnt vmcnt(2) lgkmcnt(0)
	v_mul_f64 v[98:99], v[3:4], v[93:94]
	v_mul_f64 v[93:94], v[1:2], v[93:94]
	s_waitcnt vmcnt(0)
	v_fma_f64 v[1:2], v[1:2], v[96:97], -v[98:99]
	v_fma_f64 v[3:4], v[3:4], v[96:97], v[93:94]
.LBB41_490:
	s_mov_b32 s6, exec_lo
	v_cmpx_ne_u32_e32 20, v0
	s_cbranch_execz .LBB41_494
; %bb.491:
	v_add_nc_u32_e32 v8, 0x2b0, v95
	v_add3_u32 v93, 0, v95, 16
	v_mov_b32_e32 v94, v0
	s_mov_b32 s8, 0
	.p2align	6
.LBB41_492:                             ; =>This Inner Loop Header: Depth=1
	s_clause 0x3
	buffer_load_dword v100, v93, s[0:3], 0 offen offset:8
	buffer_load_dword v101, v93, s[0:3], 0 offen offset:12
	buffer_load_dword v102, v93, s[0:3], 0 offen
	buffer_load_dword v103, v93, s[0:3], 0 offen offset:4
	ds_read_b128 v[96:99], v8
	v_add_nc_u32_e32 v94, 1, v94
	v_add_nc_u32_e32 v8, 16, v8
	v_add_nc_u32_e32 v93, 16, v93
	v_cmp_lt_u32_e32 vcc_lo, 19, v94
	s_or_b32 s8, vcc_lo, s8
	s_waitcnt vmcnt(2) lgkmcnt(0)
	v_mul_f64 v[104:105], v[98:99], v[100:101]
	v_mul_f64 v[100:101], v[96:97], v[100:101]
	s_waitcnt vmcnt(0)
	v_fma_f64 v[96:97], v[96:97], v[102:103], -v[104:105]
	v_fma_f64 v[98:99], v[98:99], v[102:103], v[100:101]
	v_add_f64 v[1:2], v[1:2], v[96:97]
	v_add_f64 v[3:4], v[3:4], v[98:99]
	s_andn2_b32 exec_lo, exec_lo, s8
	s_cbranch_execnz .LBB41_492
; %bb.493:
	s_or_b32 exec_lo, exec_lo, s8
.LBB41_494:
	s_or_b32 exec_lo, exec_lo, s6
	v_mov_b32_e32 v8, 0
	ds_read_b128 v[96:99], v8 offset:336
	s_waitcnt lgkmcnt(0)
	v_mul_f64 v[93:94], v[3:4], v[98:99]
	v_mul_f64 v[98:99], v[1:2], v[98:99]
	v_fma_f64 v[1:2], v[1:2], v[96:97], -v[93:94]
	v_fma_f64 v[3:4], v[3:4], v[96:97], v[98:99]
	buffer_store_dword v2, off, s[0:3], 0 offset:340
	buffer_store_dword v1, off, s[0:3], 0 offset:336
	;; [unrolled: 1-line block ×4, first 2 shown]
.LBB41_495:
	s_or_b32 exec_lo, exec_lo, s4
	v_mov_b32_e32 v4, s27
	s_mov_b32 s4, exec_lo
	s_clause 0x3
	buffer_load_dword v1, v4, s[0:3], 0 offen
	buffer_load_dword v2, v4, s[0:3], 0 offen offset:4
	buffer_load_dword v3, v4, s[0:3], 0 offen offset:8
	;; [unrolled: 1-line block ×3, first 2 shown]
	s_waitcnt vmcnt(0)
	ds_write_b128 v6, v[1:4]
	s_waitcnt lgkmcnt(0)
	s_waitcnt_vscnt null, 0x0
	s_barrier
	buffer_gl0_inv
	v_cmpx_gt_u32_e32 22, v0
	s_cbranch_execz .LBB41_503
; %bb.496:
	ds_read_b128 v[1:4], v6
	v_cmp_ne_u32_e32 vcc_lo, 1, v7
	s_cbranch_vccnz .LBB41_498
; %bb.497:
	s_clause 0x3
	buffer_load_dword v93, v5, s[0:3], 0 offen offset:8
	buffer_load_dword v94, v5, s[0:3], 0 offen offset:12
	buffer_load_dword v96, v5, s[0:3], 0 offen
	buffer_load_dword v97, v5, s[0:3], 0 offen offset:4
	s_waitcnt vmcnt(2) lgkmcnt(0)
	v_mul_f64 v[98:99], v[3:4], v[93:94]
	v_mul_f64 v[93:94], v[1:2], v[93:94]
	s_waitcnt vmcnt(0)
	v_fma_f64 v[1:2], v[1:2], v[96:97], -v[98:99]
	v_fma_f64 v[3:4], v[3:4], v[96:97], v[93:94]
.LBB41_498:
	s_mov_b32 s6, exec_lo
	v_cmpx_ne_u32_e32 21, v0
	s_cbranch_execz .LBB41_502
; %bb.499:
	v_add_nc_u32_e32 v8, 0x2b0, v95
	v_add3_u32 v93, 0, v95, 16
	v_mov_b32_e32 v94, v0
	s_mov_b32 s8, 0
	.p2align	6
.LBB41_500:                             ; =>This Inner Loop Header: Depth=1
	s_clause 0x3
	buffer_load_dword v100, v93, s[0:3], 0 offen offset:8
	buffer_load_dword v101, v93, s[0:3], 0 offen offset:12
	buffer_load_dword v102, v93, s[0:3], 0 offen
	buffer_load_dword v103, v93, s[0:3], 0 offen offset:4
	ds_read_b128 v[96:99], v8
	v_add_nc_u32_e32 v94, 1, v94
	v_add_nc_u32_e32 v8, 16, v8
	;; [unrolled: 1-line block ×3, first 2 shown]
	v_cmp_lt_u32_e32 vcc_lo, 20, v94
	s_or_b32 s8, vcc_lo, s8
	s_waitcnt vmcnt(2) lgkmcnt(0)
	v_mul_f64 v[104:105], v[98:99], v[100:101]
	v_mul_f64 v[100:101], v[96:97], v[100:101]
	s_waitcnt vmcnt(0)
	v_fma_f64 v[96:97], v[96:97], v[102:103], -v[104:105]
	v_fma_f64 v[98:99], v[98:99], v[102:103], v[100:101]
	v_add_f64 v[1:2], v[1:2], v[96:97]
	v_add_f64 v[3:4], v[3:4], v[98:99]
	s_andn2_b32 exec_lo, exec_lo, s8
	s_cbranch_execnz .LBB41_500
; %bb.501:
	s_or_b32 exec_lo, exec_lo, s8
.LBB41_502:
	s_or_b32 exec_lo, exec_lo, s6
	v_mov_b32_e32 v8, 0
	ds_read_b128 v[96:99], v8 offset:352
	s_waitcnt lgkmcnt(0)
	v_mul_f64 v[93:94], v[3:4], v[98:99]
	v_mul_f64 v[98:99], v[1:2], v[98:99]
	v_fma_f64 v[1:2], v[1:2], v[96:97], -v[93:94]
	v_fma_f64 v[3:4], v[3:4], v[96:97], v[98:99]
	buffer_store_dword v2, off, s[0:3], 0 offset:356
	buffer_store_dword v1, off, s[0:3], 0 offset:352
	;; [unrolled: 1-line block ×4, first 2 shown]
.LBB41_503:
	s_or_b32 exec_lo, exec_lo, s4
	v_mov_b32_e32 v4, s26
	s_mov_b32 s4, exec_lo
	s_clause 0x3
	buffer_load_dword v1, v4, s[0:3], 0 offen
	buffer_load_dword v2, v4, s[0:3], 0 offen offset:4
	buffer_load_dword v3, v4, s[0:3], 0 offen offset:8
	;; [unrolled: 1-line block ×3, first 2 shown]
	s_waitcnt vmcnt(0)
	ds_write_b128 v6, v[1:4]
	s_waitcnt lgkmcnt(0)
	s_waitcnt_vscnt null, 0x0
	s_barrier
	buffer_gl0_inv
	v_cmpx_gt_u32_e32 23, v0
	s_cbranch_execz .LBB41_511
; %bb.504:
	ds_read_b128 v[1:4], v6
	v_cmp_ne_u32_e32 vcc_lo, 1, v7
	s_cbranch_vccnz .LBB41_506
; %bb.505:
	s_clause 0x3
	buffer_load_dword v93, v5, s[0:3], 0 offen offset:8
	buffer_load_dword v94, v5, s[0:3], 0 offen offset:12
	buffer_load_dword v96, v5, s[0:3], 0 offen
	buffer_load_dword v97, v5, s[0:3], 0 offen offset:4
	s_waitcnt vmcnt(2) lgkmcnt(0)
	v_mul_f64 v[98:99], v[3:4], v[93:94]
	v_mul_f64 v[93:94], v[1:2], v[93:94]
	s_waitcnt vmcnt(0)
	v_fma_f64 v[1:2], v[1:2], v[96:97], -v[98:99]
	v_fma_f64 v[3:4], v[3:4], v[96:97], v[93:94]
.LBB41_506:
	s_mov_b32 s6, exec_lo
	v_cmpx_ne_u32_e32 22, v0
	s_cbranch_execz .LBB41_510
; %bb.507:
	v_add_nc_u32_e32 v8, 0x2b0, v95
	v_add3_u32 v93, 0, v95, 16
	v_mov_b32_e32 v94, v0
	s_mov_b32 s8, 0
	.p2align	6
.LBB41_508:                             ; =>This Inner Loop Header: Depth=1
	s_clause 0x3
	buffer_load_dword v100, v93, s[0:3], 0 offen offset:8
	buffer_load_dword v101, v93, s[0:3], 0 offen offset:12
	buffer_load_dword v102, v93, s[0:3], 0 offen
	buffer_load_dword v103, v93, s[0:3], 0 offen offset:4
	ds_read_b128 v[96:99], v8
	v_add_nc_u32_e32 v94, 1, v94
	v_add_nc_u32_e32 v8, 16, v8
	;; [unrolled: 1-line block ×3, first 2 shown]
	v_cmp_lt_u32_e32 vcc_lo, 21, v94
	s_or_b32 s8, vcc_lo, s8
	s_waitcnt vmcnt(2) lgkmcnt(0)
	v_mul_f64 v[104:105], v[98:99], v[100:101]
	v_mul_f64 v[100:101], v[96:97], v[100:101]
	s_waitcnt vmcnt(0)
	v_fma_f64 v[96:97], v[96:97], v[102:103], -v[104:105]
	v_fma_f64 v[98:99], v[98:99], v[102:103], v[100:101]
	v_add_f64 v[1:2], v[1:2], v[96:97]
	v_add_f64 v[3:4], v[3:4], v[98:99]
	s_andn2_b32 exec_lo, exec_lo, s8
	s_cbranch_execnz .LBB41_508
; %bb.509:
	s_or_b32 exec_lo, exec_lo, s8
.LBB41_510:
	s_or_b32 exec_lo, exec_lo, s6
	v_mov_b32_e32 v8, 0
	ds_read_b128 v[96:99], v8 offset:368
	s_waitcnt lgkmcnt(0)
	v_mul_f64 v[93:94], v[3:4], v[98:99]
	v_mul_f64 v[98:99], v[1:2], v[98:99]
	v_fma_f64 v[1:2], v[1:2], v[96:97], -v[93:94]
	v_fma_f64 v[3:4], v[3:4], v[96:97], v[98:99]
	buffer_store_dword v2, off, s[0:3], 0 offset:372
	buffer_store_dword v1, off, s[0:3], 0 offset:368
	;; [unrolled: 1-line block ×4, first 2 shown]
.LBB41_511:
	s_or_b32 exec_lo, exec_lo, s4
	v_mov_b32_e32 v4, s25
	s_mov_b32 s4, exec_lo
	s_clause 0x3
	buffer_load_dword v1, v4, s[0:3], 0 offen
	buffer_load_dword v2, v4, s[0:3], 0 offen offset:4
	buffer_load_dword v3, v4, s[0:3], 0 offen offset:8
	;; [unrolled: 1-line block ×3, first 2 shown]
	s_waitcnt vmcnt(0)
	ds_write_b128 v6, v[1:4]
	s_waitcnt lgkmcnt(0)
	s_waitcnt_vscnt null, 0x0
	s_barrier
	buffer_gl0_inv
	v_cmpx_gt_u32_e32 24, v0
	s_cbranch_execz .LBB41_519
; %bb.512:
	ds_read_b128 v[1:4], v6
	v_cmp_ne_u32_e32 vcc_lo, 1, v7
	s_cbranch_vccnz .LBB41_514
; %bb.513:
	s_clause 0x3
	buffer_load_dword v93, v5, s[0:3], 0 offen offset:8
	buffer_load_dword v94, v5, s[0:3], 0 offen offset:12
	buffer_load_dword v96, v5, s[0:3], 0 offen
	buffer_load_dword v97, v5, s[0:3], 0 offen offset:4
	s_waitcnt vmcnt(2) lgkmcnt(0)
	v_mul_f64 v[98:99], v[3:4], v[93:94]
	v_mul_f64 v[93:94], v[1:2], v[93:94]
	s_waitcnt vmcnt(0)
	v_fma_f64 v[1:2], v[1:2], v[96:97], -v[98:99]
	v_fma_f64 v[3:4], v[3:4], v[96:97], v[93:94]
.LBB41_514:
	s_mov_b32 s6, exec_lo
	v_cmpx_ne_u32_e32 23, v0
	s_cbranch_execz .LBB41_518
; %bb.515:
	v_add_nc_u32_e32 v8, 0x2b0, v95
	v_add3_u32 v93, 0, v95, 16
	v_mov_b32_e32 v94, v0
	s_mov_b32 s8, 0
	.p2align	6
.LBB41_516:                             ; =>This Inner Loop Header: Depth=1
	s_clause 0x3
	buffer_load_dword v100, v93, s[0:3], 0 offen offset:8
	buffer_load_dword v101, v93, s[0:3], 0 offen offset:12
	buffer_load_dword v102, v93, s[0:3], 0 offen
	buffer_load_dword v103, v93, s[0:3], 0 offen offset:4
	ds_read_b128 v[96:99], v8
	v_add_nc_u32_e32 v94, 1, v94
	v_add_nc_u32_e32 v8, 16, v8
	;; [unrolled: 1-line block ×3, first 2 shown]
	v_cmp_lt_u32_e32 vcc_lo, 22, v94
	s_or_b32 s8, vcc_lo, s8
	s_waitcnt vmcnt(2) lgkmcnt(0)
	v_mul_f64 v[104:105], v[98:99], v[100:101]
	v_mul_f64 v[100:101], v[96:97], v[100:101]
	s_waitcnt vmcnt(0)
	v_fma_f64 v[96:97], v[96:97], v[102:103], -v[104:105]
	v_fma_f64 v[98:99], v[98:99], v[102:103], v[100:101]
	v_add_f64 v[1:2], v[1:2], v[96:97]
	v_add_f64 v[3:4], v[3:4], v[98:99]
	s_andn2_b32 exec_lo, exec_lo, s8
	s_cbranch_execnz .LBB41_516
; %bb.517:
	s_or_b32 exec_lo, exec_lo, s8
.LBB41_518:
	s_or_b32 exec_lo, exec_lo, s6
	v_mov_b32_e32 v8, 0
	ds_read_b128 v[96:99], v8 offset:384
	s_waitcnt lgkmcnt(0)
	v_mul_f64 v[93:94], v[3:4], v[98:99]
	v_mul_f64 v[98:99], v[1:2], v[98:99]
	v_fma_f64 v[1:2], v[1:2], v[96:97], -v[93:94]
	v_fma_f64 v[3:4], v[3:4], v[96:97], v[98:99]
	buffer_store_dword v2, off, s[0:3], 0 offset:388
	buffer_store_dword v1, off, s[0:3], 0 offset:384
	;; [unrolled: 1-line block ×4, first 2 shown]
.LBB41_519:
	s_or_b32 exec_lo, exec_lo, s4
	v_mov_b32_e32 v4, s24
	s_mov_b32 s4, exec_lo
	s_clause 0x3
	buffer_load_dword v1, v4, s[0:3], 0 offen
	buffer_load_dword v2, v4, s[0:3], 0 offen offset:4
	buffer_load_dword v3, v4, s[0:3], 0 offen offset:8
	;; [unrolled: 1-line block ×3, first 2 shown]
	s_waitcnt vmcnt(0)
	ds_write_b128 v6, v[1:4]
	s_waitcnt lgkmcnt(0)
	s_waitcnt_vscnt null, 0x0
	s_barrier
	buffer_gl0_inv
	v_cmpx_gt_u32_e32 25, v0
	s_cbranch_execz .LBB41_527
; %bb.520:
	ds_read_b128 v[1:4], v6
	v_cmp_ne_u32_e32 vcc_lo, 1, v7
	s_cbranch_vccnz .LBB41_522
; %bb.521:
	s_clause 0x3
	buffer_load_dword v93, v5, s[0:3], 0 offen offset:8
	buffer_load_dword v94, v5, s[0:3], 0 offen offset:12
	buffer_load_dword v96, v5, s[0:3], 0 offen
	buffer_load_dword v97, v5, s[0:3], 0 offen offset:4
	s_waitcnt vmcnt(2) lgkmcnt(0)
	v_mul_f64 v[98:99], v[3:4], v[93:94]
	v_mul_f64 v[93:94], v[1:2], v[93:94]
	s_waitcnt vmcnt(0)
	v_fma_f64 v[1:2], v[1:2], v[96:97], -v[98:99]
	v_fma_f64 v[3:4], v[3:4], v[96:97], v[93:94]
.LBB41_522:
	s_mov_b32 s6, exec_lo
	v_cmpx_ne_u32_e32 24, v0
	s_cbranch_execz .LBB41_526
; %bb.523:
	v_add_nc_u32_e32 v8, 0x2b0, v95
	v_add3_u32 v93, 0, v95, 16
	v_mov_b32_e32 v94, v0
	s_mov_b32 s8, 0
	.p2align	6
.LBB41_524:                             ; =>This Inner Loop Header: Depth=1
	s_clause 0x3
	buffer_load_dword v100, v93, s[0:3], 0 offen offset:8
	buffer_load_dword v101, v93, s[0:3], 0 offen offset:12
	buffer_load_dword v102, v93, s[0:3], 0 offen
	buffer_load_dword v103, v93, s[0:3], 0 offen offset:4
	ds_read_b128 v[96:99], v8
	v_add_nc_u32_e32 v94, 1, v94
	v_add_nc_u32_e32 v8, 16, v8
	;; [unrolled: 1-line block ×3, first 2 shown]
	v_cmp_lt_u32_e32 vcc_lo, 23, v94
	s_or_b32 s8, vcc_lo, s8
	s_waitcnt vmcnt(2) lgkmcnt(0)
	v_mul_f64 v[104:105], v[98:99], v[100:101]
	v_mul_f64 v[100:101], v[96:97], v[100:101]
	s_waitcnt vmcnt(0)
	v_fma_f64 v[96:97], v[96:97], v[102:103], -v[104:105]
	v_fma_f64 v[98:99], v[98:99], v[102:103], v[100:101]
	v_add_f64 v[1:2], v[1:2], v[96:97]
	v_add_f64 v[3:4], v[3:4], v[98:99]
	s_andn2_b32 exec_lo, exec_lo, s8
	s_cbranch_execnz .LBB41_524
; %bb.525:
	s_or_b32 exec_lo, exec_lo, s8
.LBB41_526:
	s_or_b32 exec_lo, exec_lo, s6
	v_mov_b32_e32 v8, 0
	ds_read_b128 v[96:99], v8 offset:400
	s_waitcnt lgkmcnt(0)
	v_mul_f64 v[93:94], v[3:4], v[98:99]
	v_mul_f64 v[98:99], v[1:2], v[98:99]
	v_fma_f64 v[1:2], v[1:2], v[96:97], -v[93:94]
	v_fma_f64 v[3:4], v[3:4], v[96:97], v[98:99]
	buffer_store_dword v2, off, s[0:3], 0 offset:404
	buffer_store_dword v1, off, s[0:3], 0 offset:400
	;; [unrolled: 1-line block ×4, first 2 shown]
.LBB41_527:
	s_or_b32 exec_lo, exec_lo, s4
	v_mov_b32_e32 v4, s23
	s_mov_b32 s4, exec_lo
	s_clause 0x3
	buffer_load_dword v1, v4, s[0:3], 0 offen
	buffer_load_dword v2, v4, s[0:3], 0 offen offset:4
	buffer_load_dword v3, v4, s[0:3], 0 offen offset:8
	;; [unrolled: 1-line block ×3, first 2 shown]
	s_waitcnt vmcnt(0)
	ds_write_b128 v6, v[1:4]
	s_waitcnt lgkmcnt(0)
	s_waitcnt_vscnt null, 0x0
	s_barrier
	buffer_gl0_inv
	v_cmpx_gt_u32_e32 26, v0
	s_cbranch_execz .LBB41_535
; %bb.528:
	ds_read_b128 v[1:4], v6
	v_cmp_ne_u32_e32 vcc_lo, 1, v7
	s_cbranch_vccnz .LBB41_530
; %bb.529:
	s_clause 0x3
	buffer_load_dword v93, v5, s[0:3], 0 offen offset:8
	buffer_load_dword v94, v5, s[0:3], 0 offen offset:12
	buffer_load_dword v96, v5, s[0:3], 0 offen
	buffer_load_dword v97, v5, s[0:3], 0 offen offset:4
	s_waitcnt vmcnt(2) lgkmcnt(0)
	v_mul_f64 v[98:99], v[3:4], v[93:94]
	v_mul_f64 v[93:94], v[1:2], v[93:94]
	s_waitcnt vmcnt(0)
	v_fma_f64 v[1:2], v[1:2], v[96:97], -v[98:99]
	v_fma_f64 v[3:4], v[3:4], v[96:97], v[93:94]
.LBB41_530:
	s_mov_b32 s6, exec_lo
	v_cmpx_ne_u32_e32 25, v0
	s_cbranch_execz .LBB41_534
; %bb.531:
	v_add_nc_u32_e32 v8, 0x2b0, v95
	v_add3_u32 v93, 0, v95, 16
	v_mov_b32_e32 v94, v0
	s_mov_b32 s8, 0
	.p2align	6
.LBB41_532:                             ; =>This Inner Loop Header: Depth=1
	s_clause 0x3
	buffer_load_dword v100, v93, s[0:3], 0 offen offset:8
	buffer_load_dword v101, v93, s[0:3], 0 offen offset:12
	buffer_load_dword v102, v93, s[0:3], 0 offen
	buffer_load_dword v103, v93, s[0:3], 0 offen offset:4
	ds_read_b128 v[96:99], v8
	v_add_nc_u32_e32 v94, 1, v94
	v_add_nc_u32_e32 v8, 16, v8
	v_add_nc_u32_e32 v93, 16, v93
	v_cmp_lt_u32_e32 vcc_lo, 24, v94
	s_or_b32 s8, vcc_lo, s8
	s_waitcnt vmcnt(2) lgkmcnt(0)
	v_mul_f64 v[104:105], v[98:99], v[100:101]
	v_mul_f64 v[100:101], v[96:97], v[100:101]
	s_waitcnt vmcnt(0)
	v_fma_f64 v[96:97], v[96:97], v[102:103], -v[104:105]
	v_fma_f64 v[98:99], v[98:99], v[102:103], v[100:101]
	v_add_f64 v[1:2], v[1:2], v[96:97]
	v_add_f64 v[3:4], v[3:4], v[98:99]
	s_andn2_b32 exec_lo, exec_lo, s8
	s_cbranch_execnz .LBB41_532
; %bb.533:
	s_or_b32 exec_lo, exec_lo, s8
.LBB41_534:
	s_or_b32 exec_lo, exec_lo, s6
	v_mov_b32_e32 v8, 0
	ds_read_b128 v[96:99], v8 offset:416
	s_waitcnt lgkmcnt(0)
	v_mul_f64 v[93:94], v[3:4], v[98:99]
	v_mul_f64 v[98:99], v[1:2], v[98:99]
	v_fma_f64 v[1:2], v[1:2], v[96:97], -v[93:94]
	v_fma_f64 v[3:4], v[3:4], v[96:97], v[98:99]
	buffer_store_dword v2, off, s[0:3], 0 offset:420
	buffer_store_dword v1, off, s[0:3], 0 offset:416
	;; [unrolled: 1-line block ×4, first 2 shown]
.LBB41_535:
	s_or_b32 exec_lo, exec_lo, s4
	v_mov_b32_e32 v4, s22
	s_mov_b32 s4, exec_lo
	s_clause 0x3
	buffer_load_dword v1, v4, s[0:3], 0 offen
	buffer_load_dword v2, v4, s[0:3], 0 offen offset:4
	buffer_load_dword v3, v4, s[0:3], 0 offen offset:8
	;; [unrolled: 1-line block ×3, first 2 shown]
	s_waitcnt vmcnt(0)
	ds_write_b128 v6, v[1:4]
	s_waitcnt lgkmcnt(0)
	s_waitcnt_vscnt null, 0x0
	s_barrier
	buffer_gl0_inv
	v_cmpx_gt_u32_e32 27, v0
	s_cbranch_execz .LBB41_543
; %bb.536:
	ds_read_b128 v[1:4], v6
	v_cmp_ne_u32_e32 vcc_lo, 1, v7
	s_cbranch_vccnz .LBB41_538
; %bb.537:
	s_clause 0x3
	buffer_load_dword v93, v5, s[0:3], 0 offen offset:8
	buffer_load_dword v94, v5, s[0:3], 0 offen offset:12
	buffer_load_dword v96, v5, s[0:3], 0 offen
	buffer_load_dword v97, v5, s[0:3], 0 offen offset:4
	s_waitcnt vmcnt(2) lgkmcnt(0)
	v_mul_f64 v[98:99], v[3:4], v[93:94]
	v_mul_f64 v[93:94], v[1:2], v[93:94]
	s_waitcnt vmcnt(0)
	v_fma_f64 v[1:2], v[1:2], v[96:97], -v[98:99]
	v_fma_f64 v[3:4], v[3:4], v[96:97], v[93:94]
.LBB41_538:
	s_mov_b32 s6, exec_lo
	v_cmpx_ne_u32_e32 26, v0
	s_cbranch_execz .LBB41_542
; %bb.539:
	v_add_nc_u32_e32 v8, 0x2b0, v95
	v_add3_u32 v93, 0, v95, 16
	v_mov_b32_e32 v94, v0
	s_mov_b32 s8, 0
	.p2align	6
.LBB41_540:                             ; =>This Inner Loop Header: Depth=1
	s_clause 0x3
	buffer_load_dword v100, v93, s[0:3], 0 offen offset:8
	buffer_load_dword v101, v93, s[0:3], 0 offen offset:12
	buffer_load_dword v102, v93, s[0:3], 0 offen
	buffer_load_dword v103, v93, s[0:3], 0 offen offset:4
	ds_read_b128 v[96:99], v8
	v_add_nc_u32_e32 v94, 1, v94
	v_add_nc_u32_e32 v8, 16, v8
	;; [unrolled: 1-line block ×3, first 2 shown]
	v_cmp_lt_u32_e32 vcc_lo, 25, v94
	s_or_b32 s8, vcc_lo, s8
	s_waitcnt vmcnt(2) lgkmcnt(0)
	v_mul_f64 v[104:105], v[98:99], v[100:101]
	v_mul_f64 v[100:101], v[96:97], v[100:101]
	s_waitcnt vmcnt(0)
	v_fma_f64 v[96:97], v[96:97], v[102:103], -v[104:105]
	v_fma_f64 v[98:99], v[98:99], v[102:103], v[100:101]
	v_add_f64 v[1:2], v[1:2], v[96:97]
	v_add_f64 v[3:4], v[3:4], v[98:99]
	s_andn2_b32 exec_lo, exec_lo, s8
	s_cbranch_execnz .LBB41_540
; %bb.541:
	s_or_b32 exec_lo, exec_lo, s8
.LBB41_542:
	s_or_b32 exec_lo, exec_lo, s6
	v_mov_b32_e32 v8, 0
	ds_read_b128 v[96:99], v8 offset:432
	s_waitcnt lgkmcnt(0)
	v_mul_f64 v[93:94], v[3:4], v[98:99]
	v_mul_f64 v[98:99], v[1:2], v[98:99]
	v_fma_f64 v[1:2], v[1:2], v[96:97], -v[93:94]
	v_fma_f64 v[3:4], v[3:4], v[96:97], v[98:99]
	buffer_store_dword v2, off, s[0:3], 0 offset:436
	buffer_store_dword v1, off, s[0:3], 0 offset:432
	;; [unrolled: 1-line block ×4, first 2 shown]
.LBB41_543:
	s_or_b32 exec_lo, exec_lo, s4
	v_mov_b32_e32 v4, s21
	s_mov_b32 s4, exec_lo
	s_clause 0x3
	buffer_load_dword v1, v4, s[0:3], 0 offen
	buffer_load_dword v2, v4, s[0:3], 0 offen offset:4
	buffer_load_dword v3, v4, s[0:3], 0 offen offset:8
	;; [unrolled: 1-line block ×3, first 2 shown]
	s_waitcnt vmcnt(0)
	ds_write_b128 v6, v[1:4]
	s_waitcnt lgkmcnt(0)
	s_waitcnt_vscnt null, 0x0
	s_barrier
	buffer_gl0_inv
	v_cmpx_gt_u32_e32 28, v0
	s_cbranch_execz .LBB41_551
; %bb.544:
	ds_read_b128 v[1:4], v6
	v_cmp_ne_u32_e32 vcc_lo, 1, v7
	s_cbranch_vccnz .LBB41_546
; %bb.545:
	s_clause 0x3
	buffer_load_dword v93, v5, s[0:3], 0 offen offset:8
	buffer_load_dword v94, v5, s[0:3], 0 offen offset:12
	buffer_load_dword v96, v5, s[0:3], 0 offen
	buffer_load_dword v97, v5, s[0:3], 0 offen offset:4
	s_waitcnt vmcnt(2) lgkmcnt(0)
	v_mul_f64 v[98:99], v[3:4], v[93:94]
	v_mul_f64 v[93:94], v[1:2], v[93:94]
	s_waitcnt vmcnt(0)
	v_fma_f64 v[1:2], v[1:2], v[96:97], -v[98:99]
	v_fma_f64 v[3:4], v[3:4], v[96:97], v[93:94]
.LBB41_546:
	s_mov_b32 s6, exec_lo
	v_cmpx_ne_u32_e32 27, v0
	s_cbranch_execz .LBB41_550
; %bb.547:
	v_add_nc_u32_e32 v8, 0x2b0, v95
	v_add3_u32 v93, 0, v95, 16
	v_mov_b32_e32 v94, v0
	s_mov_b32 s8, 0
	.p2align	6
.LBB41_548:                             ; =>This Inner Loop Header: Depth=1
	s_clause 0x3
	buffer_load_dword v100, v93, s[0:3], 0 offen offset:8
	buffer_load_dword v101, v93, s[0:3], 0 offen offset:12
	buffer_load_dword v102, v93, s[0:3], 0 offen
	buffer_load_dword v103, v93, s[0:3], 0 offen offset:4
	ds_read_b128 v[96:99], v8
	v_add_nc_u32_e32 v94, 1, v94
	v_add_nc_u32_e32 v8, 16, v8
	;; [unrolled: 1-line block ×3, first 2 shown]
	v_cmp_lt_u32_e32 vcc_lo, 26, v94
	s_or_b32 s8, vcc_lo, s8
	s_waitcnt vmcnt(2) lgkmcnt(0)
	v_mul_f64 v[104:105], v[98:99], v[100:101]
	v_mul_f64 v[100:101], v[96:97], v[100:101]
	s_waitcnt vmcnt(0)
	v_fma_f64 v[96:97], v[96:97], v[102:103], -v[104:105]
	v_fma_f64 v[98:99], v[98:99], v[102:103], v[100:101]
	v_add_f64 v[1:2], v[1:2], v[96:97]
	v_add_f64 v[3:4], v[3:4], v[98:99]
	s_andn2_b32 exec_lo, exec_lo, s8
	s_cbranch_execnz .LBB41_548
; %bb.549:
	s_or_b32 exec_lo, exec_lo, s8
.LBB41_550:
	s_or_b32 exec_lo, exec_lo, s6
	v_mov_b32_e32 v8, 0
	ds_read_b128 v[96:99], v8 offset:448
	s_waitcnt lgkmcnt(0)
	v_mul_f64 v[93:94], v[3:4], v[98:99]
	v_mul_f64 v[98:99], v[1:2], v[98:99]
	v_fma_f64 v[1:2], v[1:2], v[96:97], -v[93:94]
	v_fma_f64 v[3:4], v[3:4], v[96:97], v[98:99]
	buffer_store_dword v2, off, s[0:3], 0 offset:452
	buffer_store_dword v1, off, s[0:3], 0 offset:448
	;; [unrolled: 1-line block ×4, first 2 shown]
.LBB41_551:
	s_or_b32 exec_lo, exec_lo, s4
	v_mov_b32_e32 v4, s20
	s_mov_b32 s4, exec_lo
	s_clause 0x3
	buffer_load_dword v1, v4, s[0:3], 0 offen
	buffer_load_dword v2, v4, s[0:3], 0 offen offset:4
	buffer_load_dword v3, v4, s[0:3], 0 offen offset:8
	buffer_load_dword v4, v4, s[0:3], 0 offen offset:12
	s_waitcnt vmcnt(0)
	ds_write_b128 v6, v[1:4]
	s_waitcnt lgkmcnt(0)
	s_waitcnt_vscnt null, 0x0
	s_barrier
	buffer_gl0_inv
	v_cmpx_gt_u32_e32 29, v0
	s_cbranch_execz .LBB41_559
; %bb.552:
	ds_read_b128 v[1:4], v6
	v_cmp_ne_u32_e32 vcc_lo, 1, v7
	s_cbranch_vccnz .LBB41_554
; %bb.553:
	s_clause 0x3
	buffer_load_dword v93, v5, s[0:3], 0 offen offset:8
	buffer_load_dword v94, v5, s[0:3], 0 offen offset:12
	buffer_load_dword v96, v5, s[0:3], 0 offen
	buffer_load_dword v97, v5, s[0:3], 0 offen offset:4
	s_waitcnt vmcnt(2) lgkmcnt(0)
	v_mul_f64 v[98:99], v[3:4], v[93:94]
	v_mul_f64 v[93:94], v[1:2], v[93:94]
	s_waitcnt vmcnt(0)
	v_fma_f64 v[1:2], v[1:2], v[96:97], -v[98:99]
	v_fma_f64 v[3:4], v[3:4], v[96:97], v[93:94]
.LBB41_554:
	s_mov_b32 s6, exec_lo
	v_cmpx_ne_u32_e32 28, v0
	s_cbranch_execz .LBB41_558
; %bb.555:
	v_add_nc_u32_e32 v8, 0x2b0, v95
	v_add3_u32 v93, 0, v95, 16
	v_mov_b32_e32 v94, v0
	s_mov_b32 s8, 0
	.p2align	6
.LBB41_556:                             ; =>This Inner Loop Header: Depth=1
	s_clause 0x3
	buffer_load_dword v100, v93, s[0:3], 0 offen offset:8
	buffer_load_dword v101, v93, s[0:3], 0 offen offset:12
	buffer_load_dword v102, v93, s[0:3], 0 offen
	buffer_load_dword v103, v93, s[0:3], 0 offen offset:4
	ds_read_b128 v[96:99], v8
	v_add_nc_u32_e32 v94, 1, v94
	v_add_nc_u32_e32 v8, 16, v8
	;; [unrolled: 1-line block ×3, first 2 shown]
	v_cmp_lt_u32_e32 vcc_lo, 27, v94
	s_or_b32 s8, vcc_lo, s8
	s_waitcnt vmcnt(2) lgkmcnt(0)
	v_mul_f64 v[104:105], v[98:99], v[100:101]
	v_mul_f64 v[100:101], v[96:97], v[100:101]
	s_waitcnt vmcnt(0)
	v_fma_f64 v[96:97], v[96:97], v[102:103], -v[104:105]
	v_fma_f64 v[98:99], v[98:99], v[102:103], v[100:101]
	v_add_f64 v[1:2], v[1:2], v[96:97]
	v_add_f64 v[3:4], v[3:4], v[98:99]
	s_andn2_b32 exec_lo, exec_lo, s8
	s_cbranch_execnz .LBB41_556
; %bb.557:
	s_or_b32 exec_lo, exec_lo, s8
.LBB41_558:
	s_or_b32 exec_lo, exec_lo, s6
	v_mov_b32_e32 v8, 0
	ds_read_b128 v[96:99], v8 offset:464
	s_waitcnt lgkmcnt(0)
	v_mul_f64 v[93:94], v[3:4], v[98:99]
	v_mul_f64 v[98:99], v[1:2], v[98:99]
	v_fma_f64 v[1:2], v[1:2], v[96:97], -v[93:94]
	v_fma_f64 v[3:4], v[3:4], v[96:97], v[98:99]
	buffer_store_dword v2, off, s[0:3], 0 offset:468
	buffer_store_dword v1, off, s[0:3], 0 offset:464
	;; [unrolled: 1-line block ×4, first 2 shown]
.LBB41_559:
	s_or_b32 exec_lo, exec_lo, s4
	v_mov_b32_e32 v4, s19
	s_mov_b32 s4, exec_lo
	s_clause 0x3
	buffer_load_dword v1, v4, s[0:3], 0 offen
	buffer_load_dword v2, v4, s[0:3], 0 offen offset:4
	buffer_load_dword v3, v4, s[0:3], 0 offen offset:8
	;; [unrolled: 1-line block ×3, first 2 shown]
	s_waitcnt vmcnt(0)
	ds_write_b128 v6, v[1:4]
	s_waitcnt lgkmcnt(0)
	s_waitcnt_vscnt null, 0x0
	s_barrier
	buffer_gl0_inv
	v_cmpx_gt_u32_e32 30, v0
	s_cbranch_execz .LBB41_567
; %bb.560:
	ds_read_b128 v[1:4], v6
	v_cmp_ne_u32_e32 vcc_lo, 1, v7
	s_cbranch_vccnz .LBB41_562
; %bb.561:
	s_clause 0x3
	buffer_load_dword v93, v5, s[0:3], 0 offen offset:8
	buffer_load_dword v94, v5, s[0:3], 0 offen offset:12
	buffer_load_dword v96, v5, s[0:3], 0 offen
	buffer_load_dword v97, v5, s[0:3], 0 offen offset:4
	s_waitcnt vmcnt(2) lgkmcnt(0)
	v_mul_f64 v[98:99], v[3:4], v[93:94]
	v_mul_f64 v[93:94], v[1:2], v[93:94]
	s_waitcnt vmcnt(0)
	v_fma_f64 v[1:2], v[1:2], v[96:97], -v[98:99]
	v_fma_f64 v[3:4], v[3:4], v[96:97], v[93:94]
.LBB41_562:
	s_mov_b32 s6, exec_lo
	v_cmpx_ne_u32_e32 29, v0
	s_cbranch_execz .LBB41_566
; %bb.563:
	v_add_nc_u32_e32 v8, 0x2b0, v95
	v_add3_u32 v93, 0, v95, 16
	v_mov_b32_e32 v94, v0
	s_mov_b32 s8, 0
	.p2align	6
.LBB41_564:                             ; =>This Inner Loop Header: Depth=1
	s_clause 0x3
	buffer_load_dword v100, v93, s[0:3], 0 offen offset:8
	buffer_load_dword v101, v93, s[0:3], 0 offen offset:12
	buffer_load_dword v102, v93, s[0:3], 0 offen
	buffer_load_dword v103, v93, s[0:3], 0 offen offset:4
	ds_read_b128 v[96:99], v8
	v_add_nc_u32_e32 v94, 1, v94
	v_add_nc_u32_e32 v8, 16, v8
	;; [unrolled: 1-line block ×3, first 2 shown]
	v_cmp_lt_u32_e32 vcc_lo, 28, v94
	s_or_b32 s8, vcc_lo, s8
	s_waitcnt vmcnt(2) lgkmcnt(0)
	v_mul_f64 v[104:105], v[98:99], v[100:101]
	v_mul_f64 v[100:101], v[96:97], v[100:101]
	s_waitcnt vmcnt(0)
	v_fma_f64 v[96:97], v[96:97], v[102:103], -v[104:105]
	v_fma_f64 v[98:99], v[98:99], v[102:103], v[100:101]
	v_add_f64 v[1:2], v[1:2], v[96:97]
	v_add_f64 v[3:4], v[3:4], v[98:99]
	s_andn2_b32 exec_lo, exec_lo, s8
	s_cbranch_execnz .LBB41_564
; %bb.565:
	s_or_b32 exec_lo, exec_lo, s8
.LBB41_566:
	s_or_b32 exec_lo, exec_lo, s6
	v_mov_b32_e32 v8, 0
	ds_read_b128 v[96:99], v8 offset:480
	s_waitcnt lgkmcnt(0)
	v_mul_f64 v[93:94], v[3:4], v[98:99]
	v_mul_f64 v[98:99], v[1:2], v[98:99]
	v_fma_f64 v[1:2], v[1:2], v[96:97], -v[93:94]
	v_fma_f64 v[3:4], v[3:4], v[96:97], v[98:99]
	buffer_store_dword v2, off, s[0:3], 0 offset:484
	buffer_store_dword v1, off, s[0:3], 0 offset:480
	;; [unrolled: 1-line block ×4, first 2 shown]
.LBB41_567:
	s_or_b32 exec_lo, exec_lo, s4
	v_mov_b32_e32 v4, s18
	s_mov_b32 s4, exec_lo
	s_clause 0x3
	buffer_load_dword v1, v4, s[0:3], 0 offen
	buffer_load_dword v2, v4, s[0:3], 0 offen offset:4
	buffer_load_dword v3, v4, s[0:3], 0 offen offset:8
	;; [unrolled: 1-line block ×3, first 2 shown]
	s_waitcnt vmcnt(0)
	ds_write_b128 v6, v[1:4]
	s_waitcnt lgkmcnt(0)
	s_waitcnt_vscnt null, 0x0
	s_barrier
	buffer_gl0_inv
	v_cmpx_gt_u32_e32 31, v0
	s_cbranch_execz .LBB41_575
; %bb.568:
	ds_read_b128 v[1:4], v6
	v_cmp_ne_u32_e32 vcc_lo, 1, v7
	s_cbranch_vccnz .LBB41_570
; %bb.569:
	s_clause 0x3
	buffer_load_dword v93, v5, s[0:3], 0 offen offset:8
	buffer_load_dword v94, v5, s[0:3], 0 offen offset:12
	buffer_load_dword v96, v5, s[0:3], 0 offen
	buffer_load_dword v97, v5, s[0:3], 0 offen offset:4
	s_waitcnt vmcnt(2) lgkmcnt(0)
	v_mul_f64 v[98:99], v[3:4], v[93:94]
	v_mul_f64 v[93:94], v[1:2], v[93:94]
	s_waitcnt vmcnt(0)
	v_fma_f64 v[1:2], v[1:2], v[96:97], -v[98:99]
	v_fma_f64 v[3:4], v[3:4], v[96:97], v[93:94]
.LBB41_570:
	s_mov_b32 s6, exec_lo
	v_cmpx_ne_u32_e32 30, v0
	s_cbranch_execz .LBB41_574
; %bb.571:
	v_add_nc_u32_e32 v8, 0x2b0, v95
	v_add3_u32 v93, 0, v95, 16
	v_mov_b32_e32 v94, v0
	s_mov_b32 s8, 0
	.p2align	6
.LBB41_572:                             ; =>This Inner Loop Header: Depth=1
	s_clause 0x3
	buffer_load_dword v100, v93, s[0:3], 0 offen offset:8
	buffer_load_dword v101, v93, s[0:3], 0 offen offset:12
	buffer_load_dword v102, v93, s[0:3], 0 offen
	buffer_load_dword v103, v93, s[0:3], 0 offen offset:4
	ds_read_b128 v[96:99], v8
	v_add_nc_u32_e32 v94, 1, v94
	v_add_nc_u32_e32 v8, 16, v8
	;; [unrolled: 1-line block ×3, first 2 shown]
	v_cmp_lt_u32_e32 vcc_lo, 29, v94
	s_or_b32 s8, vcc_lo, s8
	s_waitcnt vmcnt(2) lgkmcnt(0)
	v_mul_f64 v[104:105], v[98:99], v[100:101]
	v_mul_f64 v[100:101], v[96:97], v[100:101]
	s_waitcnt vmcnt(0)
	v_fma_f64 v[96:97], v[96:97], v[102:103], -v[104:105]
	v_fma_f64 v[98:99], v[98:99], v[102:103], v[100:101]
	v_add_f64 v[1:2], v[1:2], v[96:97]
	v_add_f64 v[3:4], v[3:4], v[98:99]
	s_andn2_b32 exec_lo, exec_lo, s8
	s_cbranch_execnz .LBB41_572
; %bb.573:
	s_or_b32 exec_lo, exec_lo, s8
.LBB41_574:
	s_or_b32 exec_lo, exec_lo, s6
	v_mov_b32_e32 v8, 0
	ds_read_b128 v[96:99], v8 offset:496
	s_waitcnt lgkmcnt(0)
	v_mul_f64 v[93:94], v[3:4], v[98:99]
	v_mul_f64 v[98:99], v[1:2], v[98:99]
	v_fma_f64 v[1:2], v[1:2], v[96:97], -v[93:94]
	v_fma_f64 v[3:4], v[3:4], v[96:97], v[98:99]
	buffer_store_dword v2, off, s[0:3], 0 offset:500
	buffer_store_dword v1, off, s[0:3], 0 offset:496
	buffer_store_dword v4, off, s[0:3], 0 offset:508
	buffer_store_dword v3, off, s[0:3], 0 offset:504
.LBB41_575:
	s_or_b32 exec_lo, exec_lo, s4
	v_mov_b32_e32 v4, s17
	s_mov_b32 s4, exec_lo
	s_clause 0x3
	buffer_load_dword v1, v4, s[0:3], 0 offen
	buffer_load_dword v2, v4, s[0:3], 0 offen offset:4
	buffer_load_dword v3, v4, s[0:3], 0 offen offset:8
	buffer_load_dword v4, v4, s[0:3], 0 offen offset:12
	s_waitcnt vmcnt(0)
	ds_write_b128 v6, v[1:4]
	s_waitcnt lgkmcnt(0)
	s_waitcnt_vscnt null, 0x0
	s_barrier
	buffer_gl0_inv
	v_cmpx_gt_u32_e32 32, v0
	s_cbranch_execz .LBB41_583
; %bb.576:
	ds_read_b128 v[1:4], v6
	v_cmp_ne_u32_e32 vcc_lo, 1, v7
	s_cbranch_vccnz .LBB41_578
; %bb.577:
	s_clause 0x3
	buffer_load_dword v93, v5, s[0:3], 0 offen offset:8
	buffer_load_dword v94, v5, s[0:3], 0 offen offset:12
	buffer_load_dword v96, v5, s[0:3], 0 offen
	buffer_load_dword v97, v5, s[0:3], 0 offen offset:4
	s_waitcnt vmcnt(2) lgkmcnt(0)
	v_mul_f64 v[98:99], v[3:4], v[93:94]
	v_mul_f64 v[93:94], v[1:2], v[93:94]
	s_waitcnt vmcnt(0)
	v_fma_f64 v[1:2], v[1:2], v[96:97], -v[98:99]
	v_fma_f64 v[3:4], v[3:4], v[96:97], v[93:94]
.LBB41_578:
	s_mov_b32 s6, exec_lo
	v_cmpx_ne_u32_e32 31, v0
	s_cbranch_execz .LBB41_582
; %bb.579:
	v_add_nc_u32_e32 v8, 0x2b0, v95
	v_add3_u32 v93, 0, v95, 16
	v_mov_b32_e32 v94, v0
	s_mov_b32 s8, 0
	.p2align	6
.LBB41_580:                             ; =>This Inner Loop Header: Depth=1
	s_clause 0x3
	buffer_load_dword v100, v93, s[0:3], 0 offen offset:8
	buffer_load_dword v101, v93, s[0:3], 0 offen offset:12
	buffer_load_dword v102, v93, s[0:3], 0 offen
	buffer_load_dword v103, v93, s[0:3], 0 offen offset:4
	ds_read_b128 v[96:99], v8
	v_add_nc_u32_e32 v94, 1, v94
	v_add_nc_u32_e32 v8, 16, v8
	;; [unrolled: 1-line block ×3, first 2 shown]
	v_cmp_lt_u32_e32 vcc_lo, 30, v94
	s_or_b32 s8, vcc_lo, s8
	s_waitcnt vmcnt(2) lgkmcnt(0)
	v_mul_f64 v[104:105], v[98:99], v[100:101]
	v_mul_f64 v[100:101], v[96:97], v[100:101]
	s_waitcnt vmcnt(0)
	v_fma_f64 v[96:97], v[96:97], v[102:103], -v[104:105]
	v_fma_f64 v[98:99], v[98:99], v[102:103], v[100:101]
	v_add_f64 v[1:2], v[1:2], v[96:97]
	v_add_f64 v[3:4], v[3:4], v[98:99]
	s_andn2_b32 exec_lo, exec_lo, s8
	s_cbranch_execnz .LBB41_580
; %bb.581:
	s_or_b32 exec_lo, exec_lo, s8
.LBB41_582:
	s_or_b32 exec_lo, exec_lo, s6
	v_mov_b32_e32 v8, 0
	ds_read_b128 v[96:99], v8 offset:512
	s_waitcnt lgkmcnt(0)
	v_mul_f64 v[93:94], v[3:4], v[98:99]
	v_mul_f64 v[98:99], v[1:2], v[98:99]
	v_fma_f64 v[1:2], v[1:2], v[96:97], -v[93:94]
	v_fma_f64 v[3:4], v[3:4], v[96:97], v[98:99]
	buffer_store_dword v2, off, s[0:3], 0 offset:516
	buffer_store_dword v1, off, s[0:3], 0 offset:512
	;; [unrolled: 1-line block ×4, first 2 shown]
.LBB41_583:
	s_or_b32 exec_lo, exec_lo, s4
	v_mov_b32_e32 v4, s16
	s_mov_b32 s4, exec_lo
	s_clause 0x3
	buffer_load_dword v1, v4, s[0:3], 0 offen
	buffer_load_dword v2, v4, s[0:3], 0 offen offset:4
	buffer_load_dword v3, v4, s[0:3], 0 offen offset:8
	;; [unrolled: 1-line block ×3, first 2 shown]
	s_waitcnt vmcnt(0)
	ds_write_b128 v6, v[1:4]
	s_waitcnt lgkmcnt(0)
	s_waitcnt_vscnt null, 0x0
	s_barrier
	buffer_gl0_inv
	v_cmpx_gt_u32_e32 33, v0
	s_cbranch_execz .LBB41_591
; %bb.584:
	ds_read_b128 v[1:4], v6
	v_cmp_ne_u32_e32 vcc_lo, 1, v7
	s_cbranch_vccnz .LBB41_586
; %bb.585:
	s_clause 0x3
	buffer_load_dword v93, v5, s[0:3], 0 offen offset:8
	buffer_load_dword v94, v5, s[0:3], 0 offen offset:12
	buffer_load_dword v96, v5, s[0:3], 0 offen
	buffer_load_dword v97, v5, s[0:3], 0 offen offset:4
	s_waitcnt vmcnt(2) lgkmcnt(0)
	v_mul_f64 v[98:99], v[3:4], v[93:94]
	v_mul_f64 v[93:94], v[1:2], v[93:94]
	s_waitcnt vmcnt(0)
	v_fma_f64 v[1:2], v[1:2], v[96:97], -v[98:99]
	v_fma_f64 v[3:4], v[3:4], v[96:97], v[93:94]
.LBB41_586:
	s_mov_b32 s6, exec_lo
	v_cmpx_ne_u32_e32 32, v0
	s_cbranch_execz .LBB41_590
; %bb.587:
	v_add_nc_u32_e32 v8, 0x2b0, v95
	v_add3_u32 v93, 0, v95, 16
	v_mov_b32_e32 v94, v0
	s_mov_b32 s8, 0
	.p2align	6
.LBB41_588:                             ; =>This Inner Loop Header: Depth=1
	s_clause 0x3
	buffer_load_dword v100, v93, s[0:3], 0 offen offset:8
	buffer_load_dword v101, v93, s[0:3], 0 offen offset:12
	buffer_load_dword v102, v93, s[0:3], 0 offen
	buffer_load_dword v103, v93, s[0:3], 0 offen offset:4
	ds_read_b128 v[96:99], v8
	v_add_nc_u32_e32 v94, 1, v94
	v_add_nc_u32_e32 v8, 16, v8
	v_add_nc_u32_e32 v93, 16, v93
	v_cmp_lt_u32_e32 vcc_lo, 31, v94
	s_or_b32 s8, vcc_lo, s8
	s_waitcnt vmcnt(2) lgkmcnt(0)
	v_mul_f64 v[104:105], v[98:99], v[100:101]
	v_mul_f64 v[100:101], v[96:97], v[100:101]
	s_waitcnt vmcnt(0)
	v_fma_f64 v[96:97], v[96:97], v[102:103], -v[104:105]
	v_fma_f64 v[98:99], v[98:99], v[102:103], v[100:101]
	v_add_f64 v[1:2], v[1:2], v[96:97]
	v_add_f64 v[3:4], v[3:4], v[98:99]
	s_andn2_b32 exec_lo, exec_lo, s8
	s_cbranch_execnz .LBB41_588
; %bb.589:
	s_or_b32 exec_lo, exec_lo, s8
.LBB41_590:
	s_or_b32 exec_lo, exec_lo, s6
	v_mov_b32_e32 v8, 0
	ds_read_b128 v[96:99], v8 offset:528
	s_waitcnt lgkmcnt(0)
	v_mul_f64 v[93:94], v[3:4], v[98:99]
	v_mul_f64 v[98:99], v[1:2], v[98:99]
	v_fma_f64 v[1:2], v[1:2], v[96:97], -v[93:94]
	v_fma_f64 v[3:4], v[3:4], v[96:97], v[98:99]
	buffer_store_dword v2, off, s[0:3], 0 offset:532
	buffer_store_dword v1, off, s[0:3], 0 offset:528
	;; [unrolled: 1-line block ×4, first 2 shown]
.LBB41_591:
	s_or_b32 exec_lo, exec_lo, s4
	v_mov_b32_e32 v4, s15
	s_mov_b32 s4, exec_lo
	s_clause 0x3
	buffer_load_dword v1, v4, s[0:3], 0 offen
	buffer_load_dword v2, v4, s[0:3], 0 offen offset:4
	buffer_load_dword v3, v4, s[0:3], 0 offen offset:8
	;; [unrolled: 1-line block ×3, first 2 shown]
	s_waitcnt vmcnt(0)
	ds_write_b128 v6, v[1:4]
	s_waitcnt lgkmcnt(0)
	s_waitcnt_vscnt null, 0x0
	s_barrier
	buffer_gl0_inv
	v_cmpx_gt_u32_e32 34, v0
	s_cbranch_execz .LBB41_599
; %bb.592:
	ds_read_b128 v[1:4], v6
	v_cmp_ne_u32_e32 vcc_lo, 1, v7
	s_cbranch_vccnz .LBB41_594
; %bb.593:
	s_clause 0x3
	buffer_load_dword v93, v5, s[0:3], 0 offen offset:8
	buffer_load_dword v94, v5, s[0:3], 0 offen offset:12
	buffer_load_dword v96, v5, s[0:3], 0 offen
	buffer_load_dword v97, v5, s[0:3], 0 offen offset:4
	s_waitcnt vmcnt(2) lgkmcnt(0)
	v_mul_f64 v[98:99], v[3:4], v[93:94]
	v_mul_f64 v[93:94], v[1:2], v[93:94]
	s_waitcnt vmcnt(0)
	v_fma_f64 v[1:2], v[1:2], v[96:97], -v[98:99]
	v_fma_f64 v[3:4], v[3:4], v[96:97], v[93:94]
.LBB41_594:
	s_mov_b32 s6, exec_lo
	v_cmpx_ne_u32_e32 33, v0
	s_cbranch_execz .LBB41_598
; %bb.595:
	v_add_nc_u32_e32 v8, 0x2b0, v95
	v_add3_u32 v93, 0, v95, 16
	v_mov_b32_e32 v94, v0
	s_mov_b32 s8, 0
	.p2align	6
.LBB41_596:                             ; =>This Inner Loop Header: Depth=1
	s_clause 0x3
	buffer_load_dword v100, v93, s[0:3], 0 offen offset:8
	buffer_load_dword v101, v93, s[0:3], 0 offen offset:12
	buffer_load_dword v102, v93, s[0:3], 0 offen
	buffer_load_dword v103, v93, s[0:3], 0 offen offset:4
	ds_read_b128 v[96:99], v8
	v_add_nc_u32_e32 v94, 1, v94
	v_add_nc_u32_e32 v8, 16, v8
	v_add_nc_u32_e32 v93, 16, v93
	v_cmp_lt_u32_e32 vcc_lo, 32, v94
	s_or_b32 s8, vcc_lo, s8
	s_waitcnt vmcnt(2) lgkmcnt(0)
	v_mul_f64 v[104:105], v[98:99], v[100:101]
	v_mul_f64 v[100:101], v[96:97], v[100:101]
	s_waitcnt vmcnt(0)
	v_fma_f64 v[96:97], v[96:97], v[102:103], -v[104:105]
	v_fma_f64 v[98:99], v[98:99], v[102:103], v[100:101]
	v_add_f64 v[1:2], v[1:2], v[96:97]
	v_add_f64 v[3:4], v[3:4], v[98:99]
	s_andn2_b32 exec_lo, exec_lo, s8
	s_cbranch_execnz .LBB41_596
; %bb.597:
	s_or_b32 exec_lo, exec_lo, s8
.LBB41_598:
	s_or_b32 exec_lo, exec_lo, s6
	v_mov_b32_e32 v8, 0
	ds_read_b128 v[96:99], v8 offset:544
	s_waitcnt lgkmcnt(0)
	v_mul_f64 v[93:94], v[3:4], v[98:99]
	v_mul_f64 v[98:99], v[1:2], v[98:99]
	v_fma_f64 v[1:2], v[1:2], v[96:97], -v[93:94]
	v_fma_f64 v[3:4], v[3:4], v[96:97], v[98:99]
	buffer_store_dword v2, off, s[0:3], 0 offset:548
	buffer_store_dword v1, off, s[0:3], 0 offset:544
	buffer_store_dword v4, off, s[0:3], 0 offset:556
	buffer_store_dword v3, off, s[0:3], 0 offset:552
.LBB41_599:
	s_or_b32 exec_lo, exec_lo, s4
	v_mov_b32_e32 v4, s14
	s_mov_b32 s4, exec_lo
	s_clause 0x3
	buffer_load_dword v1, v4, s[0:3], 0 offen
	buffer_load_dword v2, v4, s[0:3], 0 offen offset:4
	buffer_load_dword v3, v4, s[0:3], 0 offen offset:8
	;; [unrolled: 1-line block ×3, first 2 shown]
	s_waitcnt vmcnt(0)
	ds_write_b128 v6, v[1:4]
	s_waitcnt lgkmcnt(0)
	s_waitcnt_vscnt null, 0x0
	s_barrier
	buffer_gl0_inv
	v_cmpx_gt_u32_e32 35, v0
	s_cbranch_execz .LBB41_607
; %bb.600:
	ds_read_b128 v[1:4], v6
	v_cmp_ne_u32_e32 vcc_lo, 1, v7
	s_cbranch_vccnz .LBB41_602
; %bb.601:
	s_clause 0x3
	buffer_load_dword v93, v5, s[0:3], 0 offen offset:8
	buffer_load_dword v94, v5, s[0:3], 0 offen offset:12
	buffer_load_dword v96, v5, s[0:3], 0 offen
	buffer_load_dword v97, v5, s[0:3], 0 offen offset:4
	s_waitcnt vmcnt(2) lgkmcnt(0)
	v_mul_f64 v[98:99], v[3:4], v[93:94]
	v_mul_f64 v[93:94], v[1:2], v[93:94]
	s_waitcnt vmcnt(0)
	v_fma_f64 v[1:2], v[1:2], v[96:97], -v[98:99]
	v_fma_f64 v[3:4], v[3:4], v[96:97], v[93:94]
.LBB41_602:
	s_mov_b32 s6, exec_lo
	v_cmpx_ne_u32_e32 34, v0
	s_cbranch_execz .LBB41_606
; %bb.603:
	v_add_nc_u32_e32 v8, 0x2b0, v95
	v_add3_u32 v93, 0, v95, 16
	v_mov_b32_e32 v94, v0
	s_mov_b32 s8, 0
	.p2align	6
.LBB41_604:                             ; =>This Inner Loop Header: Depth=1
	s_clause 0x3
	buffer_load_dword v100, v93, s[0:3], 0 offen offset:8
	buffer_load_dword v101, v93, s[0:3], 0 offen offset:12
	buffer_load_dword v102, v93, s[0:3], 0 offen
	buffer_load_dword v103, v93, s[0:3], 0 offen offset:4
	ds_read_b128 v[96:99], v8
	v_add_nc_u32_e32 v94, 1, v94
	v_add_nc_u32_e32 v8, 16, v8
	;; [unrolled: 1-line block ×3, first 2 shown]
	v_cmp_lt_u32_e32 vcc_lo, 33, v94
	s_or_b32 s8, vcc_lo, s8
	s_waitcnt vmcnt(2) lgkmcnt(0)
	v_mul_f64 v[104:105], v[98:99], v[100:101]
	v_mul_f64 v[100:101], v[96:97], v[100:101]
	s_waitcnt vmcnt(0)
	v_fma_f64 v[96:97], v[96:97], v[102:103], -v[104:105]
	v_fma_f64 v[98:99], v[98:99], v[102:103], v[100:101]
	v_add_f64 v[1:2], v[1:2], v[96:97]
	v_add_f64 v[3:4], v[3:4], v[98:99]
	s_andn2_b32 exec_lo, exec_lo, s8
	s_cbranch_execnz .LBB41_604
; %bb.605:
	s_or_b32 exec_lo, exec_lo, s8
.LBB41_606:
	s_or_b32 exec_lo, exec_lo, s6
	v_mov_b32_e32 v8, 0
	ds_read_b128 v[96:99], v8 offset:560
	s_waitcnt lgkmcnt(0)
	v_mul_f64 v[93:94], v[3:4], v[98:99]
	v_mul_f64 v[98:99], v[1:2], v[98:99]
	v_fma_f64 v[1:2], v[1:2], v[96:97], -v[93:94]
	v_fma_f64 v[3:4], v[3:4], v[96:97], v[98:99]
	buffer_store_dword v2, off, s[0:3], 0 offset:564
	buffer_store_dword v1, off, s[0:3], 0 offset:560
	;; [unrolled: 1-line block ×4, first 2 shown]
.LBB41_607:
	s_or_b32 exec_lo, exec_lo, s4
	v_mov_b32_e32 v4, s13
	s_mov_b32 s4, exec_lo
	s_clause 0x3
	buffer_load_dword v1, v4, s[0:3], 0 offen
	buffer_load_dword v2, v4, s[0:3], 0 offen offset:4
	buffer_load_dword v3, v4, s[0:3], 0 offen offset:8
	;; [unrolled: 1-line block ×3, first 2 shown]
	s_waitcnt vmcnt(0)
	ds_write_b128 v6, v[1:4]
	s_waitcnt lgkmcnt(0)
	s_waitcnt_vscnt null, 0x0
	s_barrier
	buffer_gl0_inv
	v_cmpx_gt_u32_e32 36, v0
	s_cbranch_execz .LBB41_615
; %bb.608:
	ds_read_b128 v[1:4], v6
	v_cmp_ne_u32_e32 vcc_lo, 1, v7
	s_cbranch_vccnz .LBB41_610
; %bb.609:
	s_clause 0x3
	buffer_load_dword v93, v5, s[0:3], 0 offen offset:8
	buffer_load_dword v94, v5, s[0:3], 0 offen offset:12
	buffer_load_dword v96, v5, s[0:3], 0 offen
	buffer_load_dword v97, v5, s[0:3], 0 offen offset:4
	s_waitcnt vmcnt(2) lgkmcnt(0)
	v_mul_f64 v[98:99], v[3:4], v[93:94]
	v_mul_f64 v[93:94], v[1:2], v[93:94]
	s_waitcnt vmcnt(0)
	v_fma_f64 v[1:2], v[1:2], v[96:97], -v[98:99]
	v_fma_f64 v[3:4], v[3:4], v[96:97], v[93:94]
.LBB41_610:
	s_mov_b32 s6, exec_lo
	v_cmpx_ne_u32_e32 35, v0
	s_cbranch_execz .LBB41_614
; %bb.611:
	v_add_nc_u32_e32 v8, 0x2b0, v95
	v_add3_u32 v93, 0, v95, 16
	v_mov_b32_e32 v94, v0
	s_mov_b32 s8, 0
	.p2align	6
.LBB41_612:                             ; =>This Inner Loop Header: Depth=1
	s_clause 0x3
	buffer_load_dword v100, v93, s[0:3], 0 offen offset:8
	buffer_load_dword v101, v93, s[0:3], 0 offen offset:12
	buffer_load_dword v102, v93, s[0:3], 0 offen
	buffer_load_dword v103, v93, s[0:3], 0 offen offset:4
	ds_read_b128 v[96:99], v8
	v_add_nc_u32_e32 v94, 1, v94
	v_add_nc_u32_e32 v8, 16, v8
	;; [unrolled: 1-line block ×3, first 2 shown]
	v_cmp_lt_u32_e32 vcc_lo, 34, v94
	s_or_b32 s8, vcc_lo, s8
	s_waitcnt vmcnt(2) lgkmcnt(0)
	v_mul_f64 v[104:105], v[98:99], v[100:101]
	v_mul_f64 v[100:101], v[96:97], v[100:101]
	s_waitcnt vmcnt(0)
	v_fma_f64 v[96:97], v[96:97], v[102:103], -v[104:105]
	v_fma_f64 v[98:99], v[98:99], v[102:103], v[100:101]
	v_add_f64 v[1:2], v[1:2], v[96:97]
	v_add_f64 v[3:4], v[3:4], v[98:99]
	s_andn2_b32 exec_lo, exec_lo, s8
	s_cbranch_execnz .LBB41_612
; %bb.613:
	s_or_b32 exec_lo, exec_lo, s8
.LBB41_614:
	s_or_b32 exec_lo, exec_lo, s6
	v_mov_b32_e32 v8, 0
	ds_read_b128 v[96:99], v8 offset:576
	s_waitcnt lgkmcnt(0)
	v_mul_f64 v[93:94], v[3:4], v[98:99]
	v_mul_f64 v[98:99], v[1:2], v[98:99]
	v_fma_f64 v[1:2], v[1:2], v[96:97], -v[93:94]
	v_fma_f64 v[3:4], v[3:4], v[96:97], v[98:99]
	buffer_store_dword v2, off, s[0:3], 0 offset:580
	buffer_store_dword v1, off, s[0:3], 0 offset:576
	;; [unrolled: 1-line block ×4, first 2 shown]
.LBB41_615:
	s_or_b32 exec_lo, exec_lo, s4
	v_mov_b32_e32 v4, s12
	s_mov_b32 s4, exec_lo
	s_clause 0x3
	buffer_load_dword v1, v4, s[0:3], 0 offen
	buffer_load_dword v2, v4, s[0:3], 0 offen offset:4
	buffer_load_dword v3, v4, s[0:3], 0 offen offset:8
	buffer_load_dword v4, v4, s[0:3], 0 offen offset:12
	s_waitcnt vmcnt(0)
	ds_write_b128 v6, v[1:4]
	s_waitcnt lgkmcnt(0)
	s_waitcnt_vscnt null, 0x0
	s_barrier
	buffer_gl0_inv
	v_cmpx_gt_u32_e32 37, v0
	s_cbranch_execz .LBB41_623
; %bb.616:
	ds_read_b128 v[1:4], v6
	v_cmp_ne_u32_e32 vcc_lo, 1, v7
	s_cbranch_vccnz .LBB41_618
; %bb.617:
	s_clause 0x3
	buffer_load_dword v93, v5, s[0:3], 0 offen offset:8
	buffer_load_dword v94, v5, s[0:3], 0 offen offset:12
	buffer_load_dword v96, v5, s[0:3], 0 offen
	buffer_load_dword v97, v5, s[0:3], 0 offen offset:4
	s_waitcnt vmcnt(2) lgkmcnt(0)
	v_mul_f64 v[98:99], v[3:4], v[93:94]
	v_mul_f64 v[93:94], v[1:2], v[93:94]
	s_waitcnt vmcnt(0)
	v_fma_f64 v[1:2], v[1:2], v[96:97], -v[98:99]
	v_fma_f64 v[3:4], v[3:4], v[96:97], v[93:94]
.LBB41_618:
	s_mov_b32 s6, exec_lo
	v_cmpx_ne_u32_e32 36, v0
	s_cbranch_execz .LBB41_622
; %bb.619:
	v_add_nc_u32_e32 v8, 0x2b0, v95
	v_add3_u32 v93, 0, v95, 16
	v_mov_b32_e32 v94, v0
	s_mov_b32 s8, 0
	.p2align	6
.LBB41_620:                             ; =>This Inner Loop Header: Depth=1
	s_clause 0x3
	buffer_load_dword v100, v93, s[0:3], 0 offen offset:8
	buffer_load_dword v101, v93, s[0:3], 0 offen offset:12
	buffer_load_dword v102, v93, s[0:3], 0 offen
	buffer_load_dword v103, v93, s[0:3], 0 offen offset:4
	ds_read_b128 v[96:99], v8
	v_add_nc_u32_e32 v94, 1, v94
	v_add_nc_u32_e32 v8, 16, v8
	;; [unrolled: 1-line block ×3, first 2 shown]
	v_cmp_lt_u32_e32 vcc_lo, 35, v94
	s_or_b32 s8, vcc_lo, s8
	s_waitcnt vmcnt(2) lgkmcnt(0)
	v_mul_f64 v[104:105], v[98:99], v[100:101]
	v_mul_f64 v[100:101], v[96:97], v[100:101]
	s_waitcnt vmcnt(0)
	v_fma_f64 v[96:97], v[96:97], v[102:103], -v[104:105]
	v_fma_f64 v[98:99], v[98:99], v[102:103], v[100:101]
	v_add_f64 v[1:2], v[1:2], v[96:97]
	v_add_f64 v[3:4], v[3:4], v[98:99]
	s_andn2_b32 exec_lo, exec_lo, s8
	s_cbranch_execnz .LBB41_620
; %bb.621:
	s_or_b32 exec_lo, exec_lo, s8
.LBB41_622:
	s_or_b32 exec_lo, exec_lo, s6
	v_mov_b32_e32 v8, 0
	ds_read_b128 v[96:99], v8 offset:592
	s_waitcnt lgkmcnt(0)
	v_mul_f64 v[93:94], v[3:4], v[98:99]
	v_mul_f64 v[98:99], v[1:2], v[98:99]
	v_fma_f64 v[1:2], v[1:2], v[96:97], -v[93:94]
	v_fma_f64 v[3:4], v[3:4], v[96:97], v[98:99]
	buffer_store_dword v2, off, s[0:3], 0 offset:596
	buffer_store_dword v1, off, s[0:3], 0 offset:592
	;; [unrolled: 1-line block ×4, first 2 shown]
.LBB41_623:
	s_or_b32 exec_lo, exec_lo, s4
	v_mov_b32_e32 v4, s11
	s_mov_b32 s4, exec_lo
	s_clause 0x3
	buffer_load_dword v1, v4, s[0:3], 0 offen
	buffer_load_dword v2, v4, s[0:3], 0 offen offset:4
	buffer_load_dword v3, v4, s[0:3], 0 offen offset:8
	buffer_load_dword v4, v4, s[0:3], 0 offen offset:12
	s_waitcnt vmcnt(0)
	ds_write_b128 v6, v[1:4]
	s_waitcnt lgkmcnt(0)
	s_waitcnt_vscnt null, 0x0
	s_barrier
	buffer_gl0_inv
	v_cmpx_gt_u32_e32 38, v0
	s_cbranch_execz .LBB41_631
; %bb.624:
	ds_read_b128 v[1:4], v6
	v_cmp_ne_u32_e32 vcc_lo, 1, v7
	s_cbranch_vccnz .LBB41_626
; %bb.625:
	s_clause 0x3
	buffer_load_dword v93, v5, s[0:3], 0 offen offset:8
	buffer_load_dword v94, v5, s[0:3], 0 offen offset:12
	buffer_load_dword v96, v5, s[0:3], 0 offen
	buffer_load_dword v97, v5, s[0:3], 0 offen offset:4
	s_waitcnt vmcnt(2) lgkmcnt(0)
	v_mul_f64 v[98:99], v[3:4], v[93:94]
	v_mul_f64 v[93:94], v[1:2], v[93:94]
	s_waitcnt vmcnt(0)
	v_fma_f64 v[1:2], v[1:2], v[96:97], -v[98:99]
	v_fma_f64 v[3:4], v[3:4], v[96:97], v[93:94]
.LBB41_626:
	s_mov_b32 s6, exec_lo
	v_cmpx_ne_u32_e32 37, v0
	s_cbranch_execz .LBB41_630
; %bb.627:
	v_add_nc_u32_e32 v8, 0x2b0, v95
	v_add3_u32 v93, 0, v95, 16
	v_mov_b32_e32 v94, v0
	s_mov_b32 s8, 0
	.p2align	6
.LBB41_628:                             ; =>This Inner Loop Header: Depth=1
	s_clause 0x3
	buffer_load_dword v100, v93, s[0:3], 0 offen offset:8
	buffer_load_dword v101, v93, s[0:3], 0 offen offset:12
	buffer_load_dword v102, v93, s[0:3], 0 offen
	buffer_load_dword v103, v93, s[0:3], 0 offen offset:4
	ds_read_b128 v[96:99], v8
	v_add_nc_u32_e32 v94, 1, v94
	v_add_nc_u32_e32 v8, 16, v8
	;; [unrolled: 1-line block ×3, first 2 shown]
	v_cmp_lt_u32_e32 vcc_lo, 36, v94
	s_or_b32 s8, vcc_lo, s8
	s_waitcnt vmcnt(2) lgkmcnt(0)
	v_mul_f64 v[104:105], v[98:99], v[100:101]
	v_mul_f64 v[100:101], v[96:97], v[100:101]
	s_waitcnt vmcnt(0)
	v_fma_f64 v[96:97], v[96:97], v[102:103], -v[104:105]
	v_fma_f64 v[98:99], v[98:99], v[102:103], v[100:101]
	v_add_f64 v[1:2], v[1:2], v[96:97]
	v_add_f64 v[3:4], v[3:4], v[98:99]
	s_andn2_b32 exec_lo, exec_lo, s8
	s_cbranch_execnz .LBB41_628
; %bb.629:
	s_or_b32 exec_lo, exec_lo, s8
.LBB41_630:
	s_or_b32 exec_lo, exec_lo, s6
	v_mov_b32_e32 v8, 0
	ds_read_b128 v[96:99], v8 offset:608
	s_waitcnt lgkmcnt(0)
	v_mul_f64 v[93:94], v[3:4], v[98:99]
	v_mul_f64 v[98:99], v[1:2], v[98:99]
	v_fma_f64 v[1:2], v[1:2], v[96:97], -v[93:94]
	v_fma_f64 v[3:4], v[3:4], v[96:97], v[98:99]
	buffer_store_dword v2, off, s[0:3], 0 offset:612
	buffer_store_dword v1, off, s[0:3], 0 offset:608
	;; [unrolled: 1-line block ×4, first 2 shown]
.LBB41_631:
	s_or_b32 exec_lo, exec_lo, s4
	v_mov_b32_e32 v4, s10
	s_mov_b32 s4, exec_lo
	s_clause 0x3
	buffer_load_dword v1, v4, s[0:3], 0 offen
	buffer_load_dword v2, v4, s[0:3], 0 offen offset:4
	buffer_load_dword v3, v4, s[0:3], 0 offen offset:8
	;; [unrolled: 1-line block ×3, first 2 shown]
	s_waitcnt vmcnt(0)
	ds_write_b128 v6, v[1:4]
	s_waitcnt lgkmcnt(0)
	s_waitcnt_vscnt null, 0x0
	s_barrier
	buffer_gl0_inv
	v_cmpx_gt_u32_e32 39, v0
	s_cbranch_execz .LBB41_639
; %bb.632:
	ds_read_b128 v[1:4], v6
	v_cmp_ne_u32_e32 vcc_lo, 1, v7
	s_cbranch_vccnz .LBB41_634
; %bb.633:
	s_clause 0x3
	buffer_load_dword v93, v5, s[0:3], 0 offen offset:8
	buffer_load_dword v94, v5, s[0:3], 0 offen offset:12
	buffer_load_dword v96, v5, s[0:3], 0 offen
	buffer_load_dword v97, v5, s[0:3], 0 offen offset:4
	s_waitcnt vmcnt(2) lgkmcnt(0)
	v_mul_f64 v[98:99], v[3:4], v[93:94]
	v_mul_f64 v[93:94], v[1:2], v[93:94]
	s_waitcnt vmcnt(0)
	v_fma_f64 v[1:2], v[1:2], v[96:97], -v[98:99]
	v_fma_f64 v[3:4], v[3:4], v[96:97], v[93:94]
.LBB41_634:
	s_mov_b32 s6, exec_lo
	v_cmpx_ne_u32_e32 38, v0
	s_cbranch_execz .LBB41_638
; %bb.635:
	v_add_nc_u32_e32 v8, 0x2b0, v95
	v_add3_u32 v93, 0, v95, 16
	v_mov_b32_e32 v94, v0
	s_mov_b32 s8, 0
	.p2align	6
.LBB41_636:                             ; =>This Inner Loop Header: Depth=1
	s_clause 0x3
	buffer_load_dword v100, v93, s[0:3], 0 offen offset:8
	buffer_load_dword v101, v93, s[0:3], 0 offen offset:12
	buffer_load_dword v102, v93, s[0:3], 0 offen
	buffer_load_dword v103, v93, s[0:3], 0 offen offset:4
	ds_read_b128 v[96:99], v8
	v_add_nc_u32_e32 v94, 1, v94
	v_add_nc_u32_e32 v8, 16, v8
	;; [unrolled: 1-line block ×3, first 2 shown]
	v_cmp_lt_u32_e32 vcc_lo, 37, v94
	s_or_b32 s8, vcc_lo, s8
	s_waitcnt vmcnt(2) lgkmcnt(0)
	v_mul_f64 v[104:105], v[98:99], v[100:101]
	v_mul_f64 v[100:101], v[96:97], v[100:101]
	s_waitcnt vmcnt(0)
	v_fma_f64 v[96:97], v[96:97], v[102:103], -v[104:105]
	v_fma_f64 v[98:99], v[98:99], v[102:103], v[100:101]
	v_add_f64 v[1:2], v[1:2], v[96:97]
	v_add_f64 v[3:4], v[3:4], v[98:99]
	s_andn2_b32 exec_lo, exec_lo, s8
	s_cbranch_execnz .LBB41_636
; %bb.637:
	s_or_b32 exec_lo, exec_lo, s8
.LBB41_638:
	s_or_b32 exec_lo, exec_lo, s6
	v_mov_b32_e32 v8, 0
	ds_read_b128 v[96:99], v8 offset:624
	s_waitcnt lgkmcnt(0)
	v_mul_f64 v[93:94], v[3:4], v[98:99]
	v_mul_f64 v[98:99], v[1:2], v[98:99]
	v_fma_f64 v[1:2], v[1:2], v[96:97], -v[93:94]
	v_fma_f64 v[3:4], v[3:4], v[96:97], v[98:99]
	buffer_store_dword v2, off, s[0:3], 0 offset:628
	buffer_store_dword v1, off, s[0:3], 0 offset:624
	;; [unrolled: 1-line block ×4, first 2 shown]
.LBB41_639:
	s_or_b32 exec_lo, exec_lo, s4
	v_mov_b32_e32 v4, s9
	v_cmp_gt_u32_e64 s4, 40, v0
	s_clause 0x3
	buffer_load_dword v1, v4, s[0:3], 0 offen
	buffer_load_dword v2, v4, s[0:3], 0 offen offset:4
	buffer_load_dword v3, v4, s[0:3], 0 offen offset:8
	;; [unrolled: 1-line block ×3, first 2 shown]
	s_waitcnt vmcnt(0)
	ds_write_b128 v6, v[1:4]
	s_waitcnt lgkmcnt(0)
	s_waitcnt_vscnt null, 0x0
	s_barrier
	buffer_gl0_inv
	s_and_saveexec_b32 s6, s4
	s_cbranch_execz .LBB41_647
; %bb.640:
	ds_read_b128 v[1:4], v6
	v_cmp_ne_u32_e32 vcc_lo, 1, v7
	s_cbranch_vccnz .LBB41_642
; %bb.641:
	s_clause 0x3
	buffer_load_dword v93, v5, s[0:3], 0 offen offset:8
	buffer_load_dword v94, v5, s[0:3], 0 offen offset:12
	buffer_load_dword v96, v5, s[0:3], 0 offen
	buffer_load_dword v97, v5, s[0:3], 0 offen offset:4
	s_waitcnt vmcnt(2) lgkmcnt(0)
	v_mul_f64 v[98:99], v[3:4], v[93:94]
	v_mul_f64 v[93:94], v[1:2], v[93:94]
	s_waitcnt vmcnt(0)
	v_fma_f64 v[1:2], v[1:2], v[96:97], -v[98:99]
	v_fma_f64 v[3:4], v[3:4], v[96:97], v[93:94]
.LBB41_642:
	s_mov_b32 s8, exec_lo
	v_cmpx_ne_u32_e32 39, v0
	s_cbranch_execz .LBB41_646
; %bb.643:
	v_add_nc_u32_e32 v8, 0x2b0, v95
	v_add3_u32 v93, 0, v95, 16
	v_mov_b32_e32 v94, v0
	s_mov_b32 s50, 0
	.p2align	6
.LBB41_644:                             ; =>This Inner Loop Header: Depth=1
	s_clause 0x3
	buffer_load_dword v100, v93, s[0:3], 0 offen offset:8
	buffer_load_dword v101, v93, s[0:3], 0 offen offset:12
	buffer_load_dword v102, v93, s[0:3], 0 offen
	buffer_load_dword v103, v93, s[0:3], 0 offen offset:4
	ds_read_b128 v[96:99], v8
	v_add_nc_u32_e32 v94, 1, v94
	v_add_nc_u32_e32 v8, 16, v8
	;; [unrolled: 1-line block ×3, first 2 shown]
	v_cmp_lt_u32_e32 vcc_lo, 38, v94
	s_or_b32 s50, vcc_lo, s50
	s_waitcnt vmcnt(2) lgkmcnt(0)
	v_mul_f64 v[104:105], v[98:99], v[100:101]
	v_mul_f64 v[100:101], v[96:97], v[100:101]
	s_waitcnt vmcnt(0)
	v_fma_f64 v[96:97], v[96:97], v[102:103], -v[104:105]
	v_fma_f64 v[98:99], v[98:99], v[102:103], v[100:101]
	v_add_f64 v[1:2], v[1:2], v[96:97]
	v_add_f64 v[3:4], v[3:4], v[98:99]
	s_andn2_b32 exec_lo, exec_lo, s50
	s_cbranch_execnz .LBB41_644
; %bb.645:
	s_or_b32 exec_lo, exec_lo, s50
.LBB41_646:
	s_or_b32 exec_lo, exec_lo, s8
	v_mov_b32_e32 v8, 0
	ds_read_b128 v[96:99], v8 offset:640
	s_waitcnt lgkmcnt(0)
	v_mul_f64 v[93:94], v[3:4], v[98:99]
	v_mul_f64 v[98:99], v[1:2], v[98:99]
	v_fma_f64 v[1:2], v[1:2], v[96:97], -v[93:94]
	v_fma_f64 v[3:4], v[3:4], v[96:97], v[98:99]
	buffer_store_dword v2, off, s[0:3], 0 offset:644
	buffer_store_dword v1, off, s[0:3], 0 offset:640
	;; [unrolled: 1-line block ×4, first 2 shown]
.LBB41_647:
	s_or_b32 exec_lo, exec_lo, s6
	v_mov_b32_e32 v4, s7
	s_mov_b32 s6, exec_lo
                                        ; implicit-def: $sgpr51
	s_clause 0x3
	buffer_load_dword v1, v4, s[0:3], 0 offen
	buffer_load_dword v2, v4, s[0:3], 0 offen offset:4
	buffer_load_dword v3, v4, s[0:3], 0 offen offset:8
	;; [unrolled: 1-line block ×3, first 2 shown]
	s_waitcnt vmcnt(0)
	ds_write_b128 v6, v[1:4]
	s_waitcnt lgkmcnt(0)
	s_waitcnt_vscnt null, 0x0
	s_barrier
	buffer_gl0_inv
                                        ; implicit-def: $vgpr1_vgpr2
	v_cmpx_ne_u32_e32 41, v0
	s_cbranch_execz .LBB41_655
; %bb.648:
	ds_read_b128 v[1:4], v6
	v_cmp_ne_u32_e32 vcc_lo, 1, v7
	s_cbranch_vccnz .LBB41_650
; %bb.649:
	s_clause 0x3
	buffer_load_dword v6, v5, s[0:3], 0 offen offset:8
	buffer_load_dword v7, v5, s[0:3], 0 offen offset:12
	buffer_load_dword v93, v5, s[0:3], 0 offen
	buffer_load_dword v94, v5, s[0:3], 0 offen offset:4
	s_waitcnt vmcnt(2) lgkmcnt(0)
	v_mul_f64 v[96:97], v[3:4], v[6:7]
	v_mul_f64 v[5:6], v[1:2], v[6:7]
	s_waitcnt vmcnt(0)
	v_fma_f64 v[1:2], v[1:2], v[93:94], -v[96:97]
	v_fma_f64 v[3:4], v[3:4], v[93:94], v[5:6]
.LBB41_650:
	s_and_saveexec_b32 s8, s4
	s_cbranch_execz .LBB41_654
; %bb.651:
	v_add_nc_u32_e32 v5, 0x2b0, v95
	v_add3_u32 v6, 0, v95, 16
	s_mov_b32 s4, 0
	.p2align	6
.LBB41_652:                             ; =>This Inner Loop Header: Depth=1
	s_clause 0x3
	buffer_load_dword v7, v6, s[0:3], 0 offen offset:8
	buffer_load_dword v8, v6, s[0:3], 0 offen offset:12
	buffer_load_dword v97, v6, s[0:3], 0 offen
	buffer_load_dword v98, v6, s[0:3], 0 offen offset:4
	ds_read_b128 v[93:96], v5
	v_add_nc_u32_e32 v0, 1, v0
	v_add_nc_u32_e32 v5, 16, v5
	;; [unrolled: 1-line block ×3, first 2 shown]
	v_cmp_lt_u32_e32 vcc_lo, 39, v0
	s_or_b32 s4, vcc_lo, s4
	s_waitcnt vmcnt(2) lgkmcnt(0)
	v_mul_f64 v[99:100], v[95:96], v[7:8]
	v_mul_f64 v[7:8], v[93:94], v[7:8]
	s_waitcnt vmcnt(0)
	v_fma_f64 v[93:94], v[93:94], v[97:98], -v[99:100]
	v_fma_f64 v[7:8], v[95:96], v[97:98], v[7:8]
	v_add_f64 v[1:2], v[1:2], v[93:94]
	v_add_f64 v[3:4], v[3:4], v[7:8]
	s_andn2_b32 exec_lo, exec_lo, s4
	s_cbranch_execnz .LBB41_652
; %bb.653:
	s_or_b32 exec_lo, exec_lo, s4
.LBB41_654:
	s_or_b32 exec_lo, exec_lo, s8
	v_mov_b32_e32 v0, 0
	s_movk_i32 s51, 0x298
	s_or_b32 s5, s5, exec_lo
	ds_read_b128 v[5:8], v0 offset:656
	s_waitcnt lgkmcnt(0)
	v_mul_f64 v[93:94], v[3:4], v[7:8]
	v_mul_f64 v[7:8], v[1:2], v[7:8]
	v_fma_f64 v[93:94], v[1:2], v[5:6], -v[93:94]
	v_fma_f64 v[1:2], v[3:4], v[5:6], v[7:8]
	buffer_store_dword v94, off, s[0:3], 0 offset:660
	buffer_store_dword v93, off, s[0:3], 0 offset:656
.LBB41_655:
	s_or_b32 exec_lo, exec_lo, s6
.LBB41_656:
	s_and_saveexec_b32 s4, s5
	s_cbranch_execz .LBB41_658
; %bb.657:
	v_mov_b32_e32 v0, s51
	buffer_store_dword v2, v0, s[0:3], 0 offen offset:4
	buffer_store_dword v1, v0, s[0:3], 0 offen
.LBB41_658:
	s_or_b32 exec_lo, exec_lo, s4
	s_clause 0x3
	buffer_load_dword v0, off, s[0:3], 0
	buffer_load_dword v1, off, s[0:3], 0 offset:4
	buffer_load_dword v2, off, s[0:3], 0 offset:8
	;; [unrolled: 1-line block ×3, first 2 shown]
	v_mov_b32_e32 v7, s49
	v_mov_b32_e32 v8, s48
	;; [unrolled: 1-line block ×4, first 2 shown]
	s_clause 0x7
	buffer_load_dword v4, v7, s[0:3], 0 offen
	buffer_load_dword v5, v7, s[0:3], 0 offen offset:4
	buffer_load_dword v6, v7, s[0:3], 0 offen offset:8
	;; [unrolled: 1-line block ×3, first 2 shown]
	buffer_load_dword v93, v8, s[0:3], 0 offen
	buffer_load_dword v94, v8, s[0:3], 0 offen offset:4
	buffer_load_dword v95, v8, s[0:3], 0 offen offset:8
	buffer_load_dword v96, v8, s[0:3], 0 offen offset:12
	v_mov_b32_e32 v8, s47
	v_mov_b32_e32 v119, s11
	s_clause 0x3
	buffer_load_dword v97, v8, s[0:3], 0 offen
	buffer_load_dword v98, v8, s[0:3], 0 offen offset:4
	buffer_load_dword v99, v8, s[0:3], 0 offen offset:8
	;; [unrolled: 1-line block ×3, first 2 shown]
	v_mov_b32_e32 v8, s46
	s_clause 0x3
	buffer_load_dword v101, v8, s[0:3], 0 offen
	buffer_load_dword v102, v8, s[0:3], 0 offen offset:4
	buffer_load_dword v103, v8, s[0:3], 0 offen offset:8
	;; [unrolled: 1-line block ×3, first 2 shown]
	v_mov_b32_e32 v8, s45
	v_mov_b32_e32 v121, s9
	;; [unrolled: 1-line block ×4, first 2 shown]
	s_waitcnt vmcnt(16)
	global_store_dwordx4 v[75:76], v[0:3], off
	s_clause 0x7
	buffer_load_dword v0, v8, s[0:3], 0 offen
	buffer_load_dword v1, v8, s[0:3], 0 offen offset:4
	buffer_load_dword v2, v8, s[0:3], 0 offen offset:8
	;; [unrolled: 1-line block ×3, first 2 shown]
	buffer_load_dword v105, v108, s[0:3], 0 offen
	buffer_load_dword v106, v108, s[0:3], 0 offen offset:4
	buffer_load_dword v107, v108, s[0:3], 0 offen offset:8
	buffer_load_dword v108, v108, s[0:3], 0 offen offset:12
	v_mov_b32_e32 v8, s43
	v_mov_b32_e32 v75, s37
	s_waitcnt vmcnt(20)
	global_store_dwordx4 v[81:82], v[4:7], off
	s_clause 0x3
	buffer_load_dword v4, v8, s[0:3], 0 offen
	buffer_load_dword v5, v8, s[0:3], 0 offen offset:4
	buffer_load_dword v6, v8, s[0:3], 0 offen offset:8
	;; [unrolled: 1-line block ×3, first 2 shown]
	v_mov_b32_e32 v8, s42
	s_clause 0x3
	buffer_load_dword v109, v8, s[0:3], 0 offen
	buffer_load_dword v110, v8, s[0:3], 0 offen offset:4
	buffer_load_dword v111, v8, s[0:3], 0 offen offset:8
	;; [unrolled: 1-line block ×3, first 2 shown]
	v_mov_b32_e32 v8, s41
	s_waitcnt vmcnt(24)
	global_store_dwordx4 v[91:92], v[93:96], off
	s_clause 0x3
	buffer_load_dword v91, v8, s[0:3], 0 offen
	buffer_load_dword v92, v8, s[0:3], 0 offen offset:4
	buffer_load_dword v93, v8, s[0:3], 0 offen offset:8
	;; [unrolled: 1-line block ×3, first 2 shown]
	v_mov_b32_e32 v8, s40
	s_waitcnt vmcnt(24)
	global_store_dwordx4 v[87:88], v[97:100], off
	s_clause 0x3
	buffer_load_dword v95, v8, s[0:3], 0 offen
	buffer_load_dword v96, v8, s[0:3], 0 offen offset:4
	buffer_load_dword v97, v8, s[0:3], 0 offen offset:8
	;; [unrolled: 1-line block ×3, first 2 shown]
	v_mov_b32_e32 v8, s39
	s_clause 0x3
	buffer_load_dword v113, v8, s[0:3], 0 offen
	buffer_load_dword v114, v8, s[0:3], 0 offen offset:4
	buffer_load_dword v115, v8, s[0:3], 0 offen offset:8
	buffer_load_dword v116, v8, s[0:3], 0 offen offset:12
	v_mov_b32_e32 v8, s38
	s_waitcnt vmcnt(28)
	global_store_dwordx4 v[89:90], v[101:104], off
	s_clause 0x3
	buffer_load_dword v87, v8, s[0:3], 0 offen
	buffer_load_dword v88, v8, s[0:3], 0 offen offset:4
	buffer_load_dword v89, v8, s[0:3], 0 offen offset:8
	;; [unrolled: 1-line block ×3, first 2 shown]
	v_mov_b32_e32 v8, s36
	s_waitcnt vmcnt(28)
	global_store_dwordx4 v[85:86], v[0:3], off
	s_clause 0x3
	buffer_load_dword v0, v75, s[0:3], 0 offen
	buffer_load_dword v1, v75, s[0:3], 0 offen offset:4
	buffer_load_dword v2, v75, s[0:3], 0 offen offset:8
	;; [unrolled: 1-line block ×3, first 2 shown]
	v_mov_b32_e32 v75, s35
	v_mov_b32_e32 v86, s21
	s_waitcnt vmcnt(28)
	global_store_dwordx4 v[83:84], v[105:108], off
	s_clause 0x7
	buffer_load_dword v81, v8, s[0:3], 0 offen
	buffer_load_dword v82, v8, s[0:3], 0 offen offset:4
	buffer_load_dword v83, v8, s[0:3], 0 offen offset:8
	;; [unrolled: 1-line block ×3, first 2 shown]
	buffer_load_dword v99, v75, s[0:3], 0 offen
	buffer_load_dword v100, v75, s[0:3], 0 offen offset:4
	buffer_load_dword v101, v75, s[0:3], 0 offen offset:8
	;; [unrolled: 1-line block ×3, first 2 shown]
	v_mov_b32_e32 v8, s34
	v_mov_b32_e32 v75, s33
	;; [unrolled: 1-line block ×3, first 2 shown]
	s_waitcnt vmcnt(32)
	global_store_dwordx4 v[79:80], v[4:7], off
	s_clause 0x7
	buffer_load_dword v4, v8, s[0:3], 0 offen
	buffer_load_dword v5, v8, s[0:3], 0 offen offset:4
	buffer_load_dword v6, v8, s[0:3], 0 offen offset:8
	;; [unrolled: 1-line block ×3, first 2 shown]
	buffer_load_dword v103, v75, s[0:3], 0 offen
	buffer_load_dword v104, v75, s[0:3], 0 offen offset:4
	buffer_load_dword v105, v75, s[0:3], 0 offen offset:8
	;; [unrolled: 1-line block ×3, first 2 shown]
	v_mov_b32_e32 v8, s31
	v_mov_b32_e32 v79, s29
	s_waitcnt vmcnt(36)
	global_store_dwordx4 v[77:78], v[109:112], off
	s_clause 0x3
	buffer_load_dword v75, v8, s[0:3], 0 offen
	buffer_load_dword v76, v8, s[0:3], 0 offen offset:4
	buffer_load_dword v77, v8, s[0:3], 0 offen offset:8
	;; [unrolled: 1-line block ×3, first 2 shown]
	v_mov_b32_e32 v8, s30
	s_waitcnt vmcnt(36)
	global_store_dwordx4 v[71:72], v[91:94], off
	s_clause 0x7
	buffer_load_dword v91, v8, s[0:3], 0 offen
	buffer_load_dword v92, v8, s[0:3], 0 offen offset:4
	buffer_load_dword v93, v8, s[0:3], 0 offen offset:8
	;; [unrolled: 1-line block ×3, first 2 shown]
	buffer_load_dword v107, v79, s[0:3], 0 offen
	buffer_load_dword v108, v79, s[0:3], 0 offen offset:4
	buffer_load_dword v109, v79, s[0:3], 0 offen offset:8
	;; [unrolled: 1-line block ×3, first 2 shown]
	v_mov_b32_e32 v8, s28
	v_mov_b32_e32 v79, s23
	s_waitcnt vmcnt(40)
	global_store_dwordx4 v[73:74], v[95:98], off
	s_clause 0x3
	buffer_load_dword v71, v8, s[0:3], 0 offen
	buffer_load_dword v72, v8, s[0:3], 0 offen offset:4
	buffer_load_dword v73, v8, s[0:3], 0 offen offset:8
	;; [unrolled: 1-line block ×3, first 2 shown]
	v_mov_b32_e32 v8, s27
	s_waitcnt vmcnt(40)
	global_store_dwordx4 v[69:70], v[113:116], off
	s_clause 0x3
	buffer_load_dword v95, v8, s[0:3], 0 offen
	buffer_load_dword v96, v8, s[0:3], 0 offen offset:4
	buffer_load_dword v97, v8, s[0:3], 0 offen offset:8
	;; [unrolled: 1-line block ×3, first 2 shown]
	v_mov_b32_e32 v8, s26
	s_clause 0x3
	buffer_load_dword v111, v8, s[0:3], 0 offen
	buffer_load_dword v112, v8, s[0:3], 0 offen offset:4
	buffer_load_dword v113, v8, s[0:3], 0 offen offset:8
	;; [unrolled: 1-line block ×3, first 2 shown]
	v_mov_b32_e32 v8, s25
	s_waitcnt vmcnt(44)
	global_store_dwordx4 v[67:68], v[87:90], off
	v_mov_b32_e32 v70, s24
	v_mov_b32_e32 v115, s17
	;; [unrolled: 1-line block ×4, first 2 shown]
	s_waitcnt vmcnt(40)
	global_store_dwordx4 v[57:58], v[0:3], off
	v_mov_b32_e32 v57, s19
	s_waitcnt vmcnt(36)
	global_store_dwordx4 v[43:44], v[81:84], off
	v_mov_b32_e32 v43, s13
	s_waitcnt vmcnt(32)
	global_store_dwordx4 v[21:22], v[99:102], off
	s_clause 0x7
	buffer_load_dword v0, v8, s[0:3], 0 offen
	buffer_load_dword v1, v8, s[0:3], 0 offen offset:4
	buffer_load_dword v2, v8, s[0:3], 0 offen offset:8
	;; [unrolled: 1-line block ×3, first 2 shown]
	buffer_load_dword v67, v70, s[0:3], 0 offen
	buffer_load_dword v68, v70, s[0:3], 0 offen offset:4
	buffer_load_dword v69, v70, s[0:3], 0 offen offset:8
	;; [unrolled: 1-line block ×3, first 2 shown]
	s_waitcnt vmcnt(36)
	global_store_dwordx4 v[15:16], v[4:7], off
	s_clause 0x7
	buffer_load_dword v4, v79, s[0:3], 0 offen
	buffer_load_dword v5, v79, s[0:3], 0 offen offset:4
	buffer_load_dword v6, v79, s[0:3], 0 offen offset:8
	;; [unrolled: 1-line block ×3, first 2 shown]
	buffer_load_dword v79, v85, s[0:3], 0 offen
	buffer_load_dword v80, v85, s[0:3], 0 offen offset:4
	buffer_load_dword v81, v85, s[0:3], 0 offen offset:8
	;; [unrolled: 1-line block ×3, first 2 shown]
	v_mov_b32_e32 v58, s18
	v_mov_b32_e32 v44, s12
	s_waitcnt vmcnt(40)
	global_store_dwordx4 v[25:26], v[103:106], off
	s_clause 0x7
	buffer_load_dword v83, v86, s[0:3], 0 offen
	buffer_load_dword v84, v86, s[0:3], 0 offen offset:4
	buffer_load_dword v85, v86, s[0:3], 0 offen offset:8
	;; [unrolled: 1-line block ×3, first 2 shown]
	buffer_load_dword v87, v90, s[0:3], 0 offen
	buffer_load_dword v88, v90, s[0:3], 0 offen offset:4
	buffer_load_dword v89, v90, s[0:3], 0 offen offset:8
	;; [unrolled: 1-line block ×3, first 2 shown]
	v_mov_b32_e32 v8, s7
	s_waitcnt vmcnt(44)
	global_store_dwordx4 v[27:28], v[75:78], off
	s_clause 0x7
	buffer_load_dword v25, v57, s[0:3], 0 offen
	buffer_load_dword v26, v57, s[0:3], 0 offen offset:4
	buffer_load_dword v27, v57, s[0:3], 0 offen offset:8
	buffer_load_dword v28, v57, s[0:3], 0 offen offset:12
	buffer_load_dword v75, v58, s[0:3], 0 offen
	buffer_load_dword v76, v58, s[0:3], 0 offen offset:4
	buffer_load_dword v77, v58, s[0:3], 0 offen offset:8
	buffer_load_dword v78, v58, s[0:3], 0 offen offset:12
	s_waitcnt vmcnt(48)
	global_store_dwordx4 v[23:24], v[91:94], off
	s_clause 0x7
	buffer_load_dword v21, v115, s[0:3], 0 offen
	buffer_load_dword v22, v115, s[0:3], 0 offen offset:4
	buffer_load_dword v23, v115, s[0:3], 0 offen offset:8
	buffer_load_dword v24, v115, s[0:3], 0 offen offset:12
	buffer_load_dword v91, v116, s[0:3], 0 offen
	buffer_load_dword v92, v116, s[0:3], 0 offen offset:4
	buffer_load_dword v93, v116, s[0:3], 0 offen offset:8
	buffer_load_dword v94, v116, s[0:3], 0 offen offset:12
	;; [unrolled: 11-line block ×6, first 2 shown]
	s_waitcnt vmcnt(62)
	global_store_dwordx4 v[11:12], v[0:3], off
	global_store_dwordx4 v[19:20], v[67:70], off
	s_waitcnt vmcnt(60)
	global_store_dwordx4 v[33:34], v[4:7], off
	s_waitcnt vmcnt(56)
	;; [unrolled: 2-line block ×16, first 2 shown]
	global_store_dwordx4 v[9:10], v[111:114], off
.LBB41_659:
	s_endpgm
	.section	.rodata,"a",@progbits
	.p2align	6, 0x0
	.amdhsa_kernel _ZN9rocsolver6v33100L18trti2_kernel_smallILi42E19rocblas_complex_numIdEPS3_EEv13rocblas_fill_17rocblas_diagonal_T1_iil
		.amdhsa_group_segment_fixed_size 1344
		.amdhsa_private_segment_fixed_size 688
		.amdhsa_kernarg_size 32
		.amdhsa_user_sgpr_count 6
		.amdhsa_user_sgpr_private_segment_buffer 1
		.amdhsa_user_sgpr_dispatch_ptr 0
		.amdhsa_user_sgpr_queue_ptr 0
		.amdhsa_user_sgpr_kernarg_segment_ptr 1
		.amdhsa_user_sgpr_dispatch_id 0
		.amdhsa_user_sgpr_flat_scratch_init 0
		.amdhsa_user_sgpr_private_segment_size 0
		.amdhsa_wavefront_size32 1
		.amdhsa_uses_dynamic_stack 0
		.amdhsa_system_sgpr_private_segment_wavefront_offset 1
		.amdhsa_system_sgpr_workgroup_id_x 1
		.amdhsa_system_sgpr_workgroup_id_y 0
		.amdhsa_system_sgpr_workgroup_id_z 0
		.amdhsa_system_sgpr_workgroup_info 0
		.amdhsa_system_vgpr_workitem_id 0
		.amdhsa_next_free_vgpr 122
		.amdhsa_next_free_sgpr 68
		.amdhsa_reserve_vcc 1
		.amdhsa_reserve_flat_scratch 0
		.amdhsa_float_round_mode_32 0
		.amdhsa_float_round_mode_16_64 0
		.amdhsa_float_denorm_mode_32 3
		.amdhsa_float_denorm_mode_16_64 3
		.amdhsa_dx10_clamp 1
		.amdhsa_ieee_mode 1
		.amdhsa_fp16_overflow 0
		.amdhsa_workgroup_processor_mode 1
		.amdhsa_memory_ordered 1
		.amdhsa_forward_progress 1
		.amdhsa_shared_vgpr_count 0
		.amdhsa_exception_fp_ieee_invalid_op 0
		.amdhsa_exception_fp_denorm_src 0
		.amdhsa_exception_fp_ieee_div_zero 0
		.amdhsa_exception_fp_ieee_overflow 0
		.amdhsa_exception_fp_ieee_underflow 0
		.amdhsa_exception_fp_ieee_inexact 0
		.amdhsa_exception_int_div_zero 0
	.end_amdhsa_kernel
	.section	.text._ZN9rocsolver6v33100L18trti2_kernel_smallILi42E19rocblas_complex_numIdEPS3_EEv13rocblas_fill_17rocblas_diagonal_T1_iil,"axG",@progbits,_ZN9rocsolver6v33100L18trti2_kernel_smallILi42E19rocblas_complex_numIdEPS3_EEv13rocblas_fill_17rocblas_diagonal_T1_iil,comdat
.Lfunc_end41:
	.size	_ZN9rocsolver6v33100L18trti2_kernel_smallILi42E19rocblas_complex_numIdEPS3_EEv13rocblas_fill_17rocblas_diagonal_T1_iil, .Lfunc_end41-_ZN9rocsolver6v33100L18trti2_kernel_smallILi42E19rocblas_complex_numIdEPS3_EEv13rocblas_fill_17rocblas_diagonal_T1_iil
                                        ; -- End function
	.set _ZN9rocsolver6v33100L18trti2_kernel_smallILi42E19rocblas_complex_numIdEPS3_EEv13rocblas_fill_17rocblas_diagonal_T1_iil.num_vgpr, 122
	.set _ZN9rocsolver6v33100L18trti2_kernel_smallILi42E19rocblas_complex_numIdEPS3_EEv13rocblas_fill_17rocblas_diagonal_T1_iil.num_agpr, 0
	.set _ZN9rocsolver6v33100L18trti2_kernel_smallILi42E19rocblas_complex_numIdEPS3_EEv13rocblas_fill_17rocblas_diagonal_T1_iil.numbered_sgpr, 68
	.set _ZN9rocsolver6v33100L18trti2_kernel_smallILi42E19rocblas_complex_numIdEPS3_EEv13rocblas_fill_17rocblas_diagonal_T1_iil.num_named_barrier, 0
	.set _ZN9rocsolver6v33100L18trti2_kernel_smallILi42E19rocblas_complex_numIdEPS3_EEv13rocblas_fill_17rocblas_diagonal_T1_iil.private_seg_size, 688
	.set _ZN9rocsolver6v33100L18trti2_kernel_smallILi42E19rocblas_complex_numIdEPS3_EEv13rocblas_fill_17rocblas_diagonal_T1_iil.uses_vcc, 1
	.set _ZN9rocsolver6v33100L18trti2_kernel_smallILi42E19rocblas_complex_numIdEPS3_EEv13rocblas_fill_17rocblas_diagonal_T1_iil.uses_flat_scratch, 0
	.set _ZN9rocsolver6v33100L18trti2_kernel_smallILi42E19rocblas_complex_numIdEPS3_EEv13rocblas_fill_17rocblas_diagonal_T1_iil.has_dyn_sized_stack, 0
	.set _ZN9rocsolver6v33100L18trti2_kernel_smallILi42E19rocblas_complex_numIdEPS3_EEv13rocblas_fill_17rocblas_diagonal_T1_iil.has_recursion, 0
	.set _ZN9rocsolver6v33100L18trti2_kernel_smallILi42E19rocblas_complex_numIdEPS3_EEv13rocblas_fill_17rocblas_diagonal_T1_iil.has_indirect_call, 0
	.section	.AMDGPU.csdata,"",@progbits
; Kernel info:
; codeLenInByte = 42624
; TotalNumSgprs: 70
; NumVgprs: 122
; ScratchSize: 688
; MemoryBound: 0
; FloatMode: 240
; IeeeMode: 1
; LDSByteSize: 1344 bytes/workgroup (compile time only)
; SGPRBlocks: 0
; VGPRBlocks: 15
; NumSGPRsForWavesPerEU: 70
; NumVGPRsForWavesPerEU: 122
; Occupancy: 8
; WaveLimiterHint : 0
; COMPUTE_PGM_RSRC2:SCRATCH_EN: 1
; COMPUTE_PGM_RSRC2:USER_SGPR: 6
; COMPUTE_PGM_RSRC2:TRAP_HANDLER: 0
; COMPUTE_PGM_RSRC2:TGID_X_EN: 1
; COMPUTE_PGM_RSRC2:TGID_Y_EN: 0
; COMPUTE_PGM_RSRC2:TGID_Z_EN: 0
; COMPUTE_PGM_RSRC2:TIDIG_COMP_CNT: 0
	.section	.text._ZN9rocsolver6v33100L18trti2_kernel_smallILi43E19rocblas_complex_numIdEPS3_EEv13rocblas_fill_17rocblas_diagonal_T1_iil,"axG",@progbits,_ZN9rocsolver6v33100L18trti2_kernel_smallILi43E19rocblas_complex_numIdEPS3_EEv13rocblas_fill_17rocblas_diagonal_T1_iil,comdat
	.globl	_ZN9rocsolver6v33100L18trti2_kernel_smallILi43E19rocblas_complex_numIdEPS3_EEv13rocblas_fill_17rocblas_diagonal_T1_iil ; -- Begin function _ZN9rocsolver6v33100L18trti2_kernel_smallILi43E19rocblas_complex_numIdEPS3_EEv13rocblas_fill_17rocblas_diagonal_T1_iil
	.p2align	8
	.type	_ZN9rocsolver6v33100L18trti2_kernel_smallILi43E19rocblas_complex_numIdEPS3_EEv13rocblas_fill_17rocblas_diagonal_T1_iil,@function
_ZN9rocsolver6v33100L18trti2_kernel_smallILi43E19rocblas_complex_numIdEPS3_EEv13rocblas_fill_17rocblas_diagonal_T1_iil: ; @_ZN9rocsolver6v33100L18trti2_kernel_smallILi43E19rocblas_complex_numIdEPS3_EEv13rocblas_fill_17rocblas_diagonal_T1_iil
; %bb.0:
	s_add_u32 s0, s0, s7
	s_addc_u32 s1, s1, 0
	s_mov_b32 s7, exec_lo
	v_cmpx_gt_u32_e32 43, v0
	s_cbranch_execz .LBB42_675
; %bb.1:
	s_load_dwordx8 s[8:15], s[4:5], 0x0
	s_ashr_i32 s4, s6, 31
	v_lshlrev_b32_e32 v103, 4, v0
	s_movk_i32 s17, 0x100
	s_movk_i32 s18, 0x110
	;; [unrolled: 1-line block ×17, first 2 shown]
	s_waitcnt lgkmcnt(0)
	s_mul_hi_u32 s5, s14, s6
	s_mul_i32 s16, s14, s4
	s_mul_i32 s15, s15, s6
	s_add_i32 s5, s5, s16
	s_mul_i32 s4, s14, s6
	v_add3_u32 v13, s13, s13, v0
	s_add_i32 s5, s5, s15
	s_ashr_i32 s7, s12, 31
	s_lshl_b64 s[4:5], s[4:5], 4
	s_mov_b32 s6, s12
	s_add_u32 s10, s10, s4
	v_ashrrev_i32_e32 v14, 31, v13
	s_addc_u32 s11, s11, s5
	s_lshl_b64 s[4:5], s[6:7], 4
	s_mov_b32 s14, s13
	s_add_u32 s4, s10, s4
	s_addc_u32 s5, s11, s5
	v_add_co_u32 v21, s6, s4, v103
	v_lshlrev_b64 v[5:6], 4, v[13:14]
	s_ashr_i32 s15, s13, 31
	v_add_co_ci_u32_e64 v22, null, s5, 0, s6
	s_lshl_b64 s[6:7], s[14:15], 4
	global_load_dwordx4 v[1:4], v103, s[4:5]
	v_add_co_u32 v19, vcc_lo, v21, s6
	v_add_co_ci_u32_e64 v20, null, s7, v22, vcc_lo
	v_add_co_u32 v17, vcc_lo, s4, v5
	v_add_co_ci_u32_e64 v18, null, s5, v6, vcc_lo
	s_clause 0x1
	global_load_dwordx4 v[5:8], v[19:20], off
	global_load_dwordx4 v[9:12], v[17:18], off
	v_add_nc_u32_e32 v13, s13, v13
	s_cmpk_lg_i32 s9, 0x84
	s_movk_i32 s6, 0x70
	s_movk_i32 s7, 0x80
	;; [unrolled: 1-line block ×3, first 2 shown]
	v_add_nc_u32_e32 v15, s13, v13
	v_ashrrev_i32_e32 v14, 31, v13
	s_movk_i32 s11, 0xa0
	s_movk_i32 s12, 0xb0
	;; [unrolled: 1-line block ×3, first 2 shown]
	v_add_nc_u32_e32 v23, s13, v15
	v_ashrrev_i32_e32 v16, 31, v15
	v_lshlrev_b64 v[13:14], 4, v[13:14]
	s_movk_i32 s15, 0xe0
	s_movk_i32 s16, 0xf0
	v_add_nc_u32_e32 v25, s13, v23
	v_ashrrev_i32_e32 v24, 31, v23
	v_lshlrev_b64 v[15:16], 4, v[15:16]
	v_add_co_u32 v81, vcc_lo, s4, v13
	v_add_nc_u32_e32 v27, s13, v25
	v_lshlrev_b64 v[23:24], 4, v[23:24]
	v_ashrrev_i32_e32 v26, 31, v25
	v_add_co_ci_u32_e64 v82, null, s5, v14, vcc_lo
	v_ashrrev_i32_e32 v28, 31, v27
	v_add_nc_u32_e32 v29, s13, v27
	v_add_co_u32 v77, vcc_lo, s4, v15
	v_lshlrev_b64 v[25:26], 4, v[25:26]
	v_add_co_ci_u32_e64 v78, null, s5, v16, vcc_lo
	v_add_co_u32 v75, vcc_lo, s4, v23
	v_add_co_ci_u32_e64 v76, null, s5, v24, vcc_lo
	v_lshlrev_b64 v[23:24], 4, v[27:28]
	v_ashrrev_i32_e32 v30, 31, v29
	v_add_nc_u32_e32 v27, s13, v29
	v_add_co_u32 v71, vcc_lo, s4, v25
	v_add_co_ci_u32_e64 v72, null, s5, v26, vcc_lo
	v_lshlrev_b64 v[25:26], 4, v[29:30]
	v_ashrrev_i32_e32 v28, 31, v27
	v_add_nc_u32_e32 v29, s13, v27
	;; [unrolled: 5-line block ×8, first 2 shown]
	v_add_co_u32 v47, vcc_lo, s4, v23
	v_add_co_ci_u32_e64 v48, null, s5, v24, vcc_lo
	v_lshlrev_b64 v[23:24], 4, v[27:28]
	v_add_nc_u32_e32 v27, s13, v29
	v_add_co_u32 v39, vcc_lo, s4, v25
	v_add_co_ci_u32_e64 v40, null, s5, v26, vcc_lo
	v_ashrrev_i32_e32 v28, 31, v27
	v_add_nc_u32_e32 v31, s13, v27
	v_add_co_u32 v33, vcc_lo, s4, v23
	v_add_co_ci_u32_e64 v34, null, s5, v24, vcc_lo
	v_lshlrev_b64 v[23:24], 4, v[27:28]
	v_add_nc_u32_e32 v27, s13, v31
	v_ashrrev_i32_e32 v30, 31, v29
	v_ashrrev_i32_e32 v32, 31, v31
	global_load_dwordx4 v[13:16], v[81:82], off
	s_movk_i32 s59, 0x210
	v_add_nc_u32_e32 v35, s13, v27
	v_lshlrev_b64 v[25:26], 4, v[29:30]
	v_ashrrev_i32_e32 v28, 31, v27
	s_movk_i32 s60, 0x220
	s_movk_i32 s61, 0x230
	v_add_nc_u32_e32 v37, s13, v35
	v_ashrrev_i32_e32 v36, 31, v35
	v_add_co_u32 v29, vcc_lo, s4, v25
	v_add_co_ci_u32_e64 v30, null, s5, v26, vcc_lo
	v_add_nc_u32_e32 v41, s13, v37
	v_lshlrev_b64 v[25:26], 4, v[31:32]
	v_add_co_u32 v31, vcc_lo, s4, v23
	v_ashrrev_i32_e32 v38, 31, v37
	v_add_nc_u32_e32 v43, s13, v41
	v_add_co_ci_u32_e64 v32, null, s5, v24, vcc_lo
	v_lshlrev_b64 v[23:24], 4, v[27:28]
	v_ashrrev_i32_e32 v42, 31, v41
	v_add_nc_u32_e32 v45, s13, v43
	v_lshlrev_b64 v[35:36], 4, v[35:36]
	v_ashrrev_i32_e32 v44, 31, v43
	v_add_co_u32 v27, vcc_lo, s4, v25
	v_add_nc_u32_e32 v49, s13, v45
	v_lshlrev_b64 v[37:38], 4, v[37:38]
	v_ashrrev_i32_e32 v46, 31, v45
	v_add_co_ci_u32_e64 v28, null, s5, v26, vcc_lo
	v_add_nc_u32_e32 v53, s13, v49
	v_add_co_u32 v25, vcc_lo, s4, v23
	v_lshlrev_b64 v[41:42], 4, v[41:42]
	v_ashrrev_i32_e32 v50, 31, v49
	v_add_nc_u32_e32 v59, s13, v53
	v_add_co_ci_u32_e64 v26, null, s5, v24, vcc_lo
	v_add_co_u32 v23, vcc_lo, s4, v35
	v_add_nc_u32_e32 v65, s13, v59
	v_lshlrev_b64 v[43:44], 4, v[43:44]
	v_ashrrev_i32_e32 v54, 31, v53
	v_add_co_ci_u32_e64 v24, null, s5, v36, vcc_lo
	v_add_nc_u32_e32 v69, s13, v65
	v_add_co_u32 v35, vcc_lo, s4, v37
	v_lshlrev_b64 v[45:46], 4, v[45:46]
	v_ashrrev_i32_e32 v60, 31, v59
	v_add_nc_u32_e32 v73, s13, v69
	v_add_co_ci_u32_e64 v36, null, s5, v38, vcc_lo
	;; [unrolled: 11-line block ×4, first 2 shown]
	v_add_co_u32 v49, vcc_lo, s4, v53
	v_add_nc_u32_e32 v93, s13, v91
	v_lshlrev_b64 v[69:70], 4, v[69:70]
	v_ashrrev_i32_e32 v84, 31, v83
	v_add_co_ci_u32_e64 v50, null, s5, v54, vcc_lo
	v_add_nc_u32_e32 v95, s13, v93
	v_add_co_u32 v53, vcc_lo, s4, v59
	v_lshlrev_b64 v[73:74], 4, v[73:74]
	v_ashrrev_i32_e32 v86, 31, v85
	v_add_co_ci_u32_e64 v54, null, s5, v60, vcc_lo
	v_add_co_u32 v59, vcc_lo, s4, v65
	v_lshlrev_b64 v[79:80], 4, v[79:80]
	v_ashrrev_i32_e32 v88, 31, v87
	v_add_nc_u32_e32 v97, s13, v95
	v_add_co_ci_u32_e64 v60, null, s5, v66, vcc_lo
	v_add_co_u32 v65, vcc_lo, s4, v69
	v_lshlrev_b64 v[83:84], 4, v[83:84]
	v_ashrrev_i32_e32 v90, 31, v89
	v_add_co_ci_u32_e64 v66, null, s5, v70, vcc_lo
	v_add_co_u32 v69, vcc_lo, s4, v73
	v_lshlrev_b64 v[85:86], 4, v[85:86]
	v_ashrrev_i32_e32 v92, 31, v91
	v_add_co_ci_u32_e64 v70, null, s5, v74, vcc_lo
	v_add_co_u32 v73, vcc_lo, s4, v79
	v_lshlrev_b64 v[87:88], 4, v[87:88]
	v_add_nc_u32_e32 v99, s13, v97
	v_ashrrev_i32_e32 v94, 31, v93
	v_add_co_ci_u32_e64 v74, null, s5, v80, vcc_lo
	v_add_co_u32 v79, vcc_lo, s4, v83
	v_lshlrev_b64 v[89:90], 4, v[89:90]
	v_ashrrev_i32_e32 v96, 31, v95
	v_add_co_ci_u32_e64 v80, null, s5, v84, vcc_lo
	v_add_co_u32 v83, vcc_lo, s4, v85
	v_lshlrev_b64 v[91:92], 4, v[91:92]
	v_ashrrev_i32_e32 v98, 31, v97
	v_add_nc_u32_e32 v101, s13, v99
	v_add_co_ci_u32_e64 v84, null, s5, v86, vcc_lo
	v_add_co_u32 v85, vcc_lo, s4, v87
	v_lshlrev_b64 v[93:94], 4, v[93:94]
	v_ashrrev_i32_e32 v100, 31, v99
	v_add_co_ci_u32_e64 v86, null, s5, v88, vcc_lo
	v_add_co_u32 v87, vcc_lo, s4, v89
	v_lshlrev_b64 v[95:96], 4, v[95:96]
	v_add_co_ci_u32_e64 v88, null, s5, v90, vcc_lo
	v_add_co_u32 v89, vcc_lo, s4, v91
	v_lshlrev_b64 v[97:98], 4, v[97:98]
	v_add_nc_u32_e32 v104, s13, v101
	v_add_co_ci_u32_e64 v90, null, s5, v92, vcc_lo
	v_add_co_u32 v91, vcc_lo, s4, v93
	v_lshlrev_b64 v[99:100], 4, v[99:100]
	v_add_co_ci_u32_e64 v92, null, s5, v94, vcc_lo
	v_add_co_u32 v93, vcc_lo, s4, v95
	v_ashrrev_i32_e32 v105, 31, v104
	v_add_co_ci_u32_e64 v94, null, s5, v96, vcc_lo
	v_add_co_u32 v95, vcc_lo, s4, v97
	v_add_co_ci_u32_e64 v96, null, s5, v98, vcc_lo
	v_add_co_u32 v97, vcc_lo, s4, v99
	v_add_co_ci_u32_e64 v98, null, s5, v100, vcc_lo
	v_lshlrev_b64 v[99:100], 4, v[104:105]
	global_load_dwordx4 v[104:107], v[77:78], off
	v_ashrrev_i32_e32 v102, 31, v101
	s_movk_i32 s13, 0xc0
	s_movk_i32 s62, 0x240
	;; [unrolled: 1-line block ×4, first 2 shown]
	v_lshlrev_b64 v[101:102], 4, v[101:102]
	s_movk_i32 s65, 0x270
	s_movk_i32 s66, 0x280
	;; [unrolled: 1-line block ×3, first 2 shown]
	s_cselect_b32 s50, -1, 0
	s_cmpk_eq_i32 s9, 0x84
	v_add_co_u32 v101, vcc_lo, s4, v101
	v_add_co_ci_u32_e64 v102, null, s5, v102, vcc_lo
	s_waitcnt vmcnt(4)
	buffer_store_dword v4, off, s[0:3], 0 offset:12
	buffer_store_dword v3, off, s[0:3], 0 offset:8
	;; [unrolled: 1-line block ×3, first 2 shown]
	buffer_store_dword v1, off, s[0:3], 0
	global_load_dwordx4 v[1:4], v[75:76], off
	s_waitcnt vmcnt(4)
	buffer_store_dword v8, off, s[0:3], 0 offset:28
	buffer_store_dword v7, off, s[0:3], 0 offset:24
	buffer_store_dword v6, off, s[0:3], 0 offset:20
	buffer_store_dword v5, off, s[0:3], 0 offset:16
	global_load_dwordx4 v[5:8], v[71:72], off
	s_waitcnt vmcnt(4)
	buffer_store_dword v12, off, s[0:3], 0 offset:44
	buffer_store_dword v11, off, s[0:3], 0 offset:40
	buffer_store_dword v10, off, s[0:3], 0 offset:36
	buffer_store_dword v9, off, s[0:3], 0 offset:32
	;; [unrolled: 6-line block ×3, first 2 shown]
	global_load_dwordx4 v[13:16], v[63:64], off
	v_add_co_u32 v99, vcc_lo, s4, v99
	v_add_co_ci_u32_e64 v100, null, s5, v100, vcc_lo
	s_movk_i32 s4, 0x50
	s_movk_i32 s5, 0x60
	;; [unrolled: 1-line block ×3, first 2 shown]
	s_waitcnt vmcnt(4)
	buffer_store_dword v107, off, s[0:3], 0 offset:76
	buffer_store_dword v106, off, s[0:3], 0 offset:72
	buffer_store_dword v105, off, s[0:3], 0 offset:68
	buffer_store_dword v104, off, s[0:3], 0 offset:64
	global_load_dwordx4 v[104:107], v[61:62], off
	s_waitcnt vmcnt(4)
	buffer_store_dword v4, off, s[0:3], 0 offset:92
	buffer_store_dword v3, off, s[0:3], 0 offset:88
	buffer_store_dword v2, off, s[0:3], 0 offset:84
	buffer_store_dword v1, off, s[0:3], 0 offset:80
	global_load_dwordx4 v[1:4], v[57:58], off
	;; [unrolled: 6-line block ×34, first 2 shown]
	s_waitcnt vmcnt(4)
	buffer_store_dword v16, off, s[0:3], 0 offset:620
	buffer_store_dword v15, off, s[0:3], 0 offset:616
	buffer_store_dword v14, off, s[0:3], 0 offset:612
	buffer_store_dword v13, off, s[0:3], 0 offset:608
	s_waitcnt vmcnt(3)
	buffer_store_dword v107, off, s[0:3], 0 offset:636
	buffer_store_dword v106, off, s[0:3], 0 offset:632
	buffer_store_dword v105, off, s[0:3], 0 offset:628
	buffer_store_dword v104, off, s[0:3], 0 offset:624
	s_waitcnt vmcnt(2)
	buffer_store_dword v4, off, s[0:3], 0 offset:652
	buffer_store_dword v3, off, s[0:3], 0 offset:648
	buffer_store_dword v2, off, s[0:3], 0 offset:644
	buffer_store_dword v1, off, s[0:3], 0 offset:640
	s_waitcnt vmcnt(1)
	buffer_store_dword v8, off, s[0:3], 0 offset:668
	buffer_store_dword v7, off, s[0:3], 0 offset:664
	buffer_store_dword v6, off, s[0:3], 0 offset:660
	buffer_store_dword v5, off, s[0:3], 0 offset:656
	s_waitcnt vmcnt(0)
	buffer_store_dword v12, off, s[0:3], 0 offset:684
	buffer_store_dword v11, off, s[0:3], 0 offset:680
	buffer_store_dword v10, off, s[0:3], 0 offset:676
	buffer_store_dword v9, off, s[0:3], 0 offset:672
	s_cbranch_scc1 .LBB42_7
; %bb.2:
	v_lshl_add_u32 v11, v0, 4, 0
                                        ; implicit-def: $vgpr7_vgpr8
                                        ; implicit-def: $vgpr3_vgpr4
	s_clause 0x3
	buffer_load_dword v5, v11, s[0:3], 0 offen
	buffer_load_dword v6, v11, s[0:3], 0 offen offset:4
	buffer_load_dword v9, v11, s[0:3], 0 offen offset:8
	;; [unrolled: 1-line block ×3, first 2 shown]
	s_waitcnt vmcnt(0)
	v_cmp_ngt_f64_e64 s9, |v[5:6]|, |v[9:10]|
	s_and_saveexec_b32 s26, s9
	s_xor_b32 s9, exec_lo, s26
	s_cbranch_execz .LBB42_4
; %bb.3:
	v_div_scale_f64 v[1:2], null, v[9:10], v[9:10], v[5:6]
	v_div_scale_f64 v[12:13], vcc_lo, v[5:6], v[9:10], v[5:6]
	v_rcp_f64_e32 v[3:4], v[1:2]
	v_fma_f64 v[7:8], -v[1:2], v[3:4], 1.0
	v_fma_f64 v[3:4], v[3:4], v[7:8], v[3:4]
	v_fma_f64 v[7:8], -v[1:2], v[3:4], 1.0
	v_fma_f64 v[3:4], v[3:4], v[7:8], v[3:4]
	v_mul_f64 v[7:8], v[12:13], v[3:4]
	v_fma_f64 v[1:2], -v[1:2], v[7:8], v[12:13]
	v_div_fmas_f64 v[1:2], v[1:2], v[3:4], v[7:8]
	v_div_fixup_f64 v[1:2], v[1:2], v[9:10], v[5:6]
	v_fma_f64 v[3:4], v[5:6], v[1:2], v[9:10]
	v_div_scale_f64 v[5:6], null, v[3:4], v[3:4], 1.0
	v_div_scale_f64 v[12:13], vcc_lo, 1.0, v[3:4], 1.0
	v_rcp_f64_e32 v[7:8], v[5:6]
	v_fma_f64 v[9:10], -v[5:6], v[7:8], 1.0
	v_fma_f64 v[7:8], v[7:8], v[9:10], v[7:8]
	v_fma_f64 v[9:10], -v[5:6], v[7:8], 1.0
	v_fma_f64 v[7:8], v[7:8], v[9:10], v[7:8]
	v_mul_f64 v[9:10], v[12:13], v[7:8]
	v_fma_f64 v[5:6], -v[5:6], v[9:10], v[12:13]
	v_div_fmas_f64 v[5:6], v[5:6], v[7:8], v[9:10]
                                        ; implicit-def: $vgpr9_vgpr10
	v_div_fixup_f64 v[3:4], v[5:6], v[3:4], 1.0
                                        ; implicit-def: $vgpr5_vgpr6
	v_mul_f64 v[7:8], v[1:2], v[3:4]
	v_xor_b32_e32 v4, 0x80000000, v4
	v_xor_b32_e32 v2, 0x80000000, v8
	v_mov_b32_e32 v1, v7
.LBB42_4:
	s_andn2_saveexec_b32 s9, s9
	s_cbranch_execz .LBB42_6
; %bb.5:
	v_div_scale_f64 v[1:2], null, v[5:6], v[5:6], v[9:10]
	v_div_scale_f64 v[12:13], vcc_lo, v[9:10], v[5:6], v[9:10]
	v_rcp_f64_e32 v[3:4], v[1:2]
	v_fma_f64 v[7:8], -v[1:2], v[3:4], 1.0
	v_fma_f64 v[3:4], v[3:4], v[7:8], v[3:4]
	v_fma_f64 v[7:8], -v[1:2], v[3:4], 1.0
	v_fma_f64 v[3:4], v[3:4], v[7:8], v[3:4]
	v_mul_f64 v[7:8], v[12:13], v[3:4]
	v_fma_f64 v[1:2], -v[1:2], v[7:8], v[12:13]
	v_div_fmas_f64 v[1:2], v[1:2], v[3:4], v[7:8]
	v_div_fixup_f64 v[1:2], v[1:2], v[5:6], v[9:10]
	v_fma_f64 v[3:4], v[9:10], v[1:2], v[5:6]
	v_div_scale_f64 v[5:6], null, v[3:4], v[3:4], 1.0
	v_rcp_f64_e32 v[7:8], v[5:6]
	v_fma_f64 v[9:10], -v[5:6], v[7:8], 1.0
	v_fma_f64 v[7:8], v[7:8], v[9:10], v[7:8]
	v_fma_f64 v[9:10], -v[5:6], v[7:8], 1.0
	v_fma_f64 v[7:8], v[7:8], v[9:10], v[7:8]
	v_div_scale_f64 v[9:10], vcc_lo, 1.0, v[3:4], 1.0
	v_mul_f64 v[12:13], v[9:10], v[7:8]
	v_fma_f64 v[5:6], -v[5:6], v[12:13], v[9:10]
	v_div_fmas_f64 v[5:6], v[5:6], v[7:8], v[12:13]
	v_div_fixup_f64 v[7:8], v[5:6], v[3:4], 1.0
	v_mul_f64 v[3:4], v[1:2], -v[7:8]
	v_xor_b32_e32 v2, 0x80000000, v8
	v_mov_b32_e32 v1, v7
.LBB42_6:
	s_or_b32 exec_lo, exec_lo, s9
	buffer_store_dword v4, v11, s[0:3], 0 offen offset:12
	v_xor_b32_e32 v4, 0x80000000, v4
	buffer_store_dword v8, v11, s[0:3], 0 offen offset:4
	buffer_store_dword v7, v11, s[0:3], 0 offen
	buffer_store_dword v3, v11, s[0:3], 0 offen offset:8
	s_branch .LBB42_8
.LBB42_7:
	v_mov_b32_e32 v1, 0
	v_mov_b32_e32 v3, 0
	;; [unrolled: 1-line block ×4, first 2 shown]
.LBB42_8:
	v_add_nc_u32_e32 v6, 0x2b0, v103
	v_mov_b32_e32 v5, v103
	s_mov_b32 s49, 16
	s_mov_b32 s48, 32
	;; [unrolled: 1-line block ×41, first 2 shown]
	s_cmpk_eq_i32 s8, 0x79
	ds_write_b128 v103, v[1:4]
	s_cbranch_scc1 .LBB42_340
; %bb.9:
	v_mov_b32_e32 v4, s7
	v_cmp_eq_u32_e64 s4, 42, v0
	s_clause 0x3
	buffer_load_dword v1, v4, s[0:3], 0 offen
	buffer_load_dword v2, v4, s[0:3], 0 offen offset:4
	buffer_load_dword v3, v4, s[0:3], 0 offen offset:8
	;; [unrolled: 1-line block ×3, first 2 shown]
	s_waitcnt vmcnt(0)
	ds_write_b128 v6, v[1:4]
	s_waitcnt lgkmcnt(0)
	s_waitcnt_vscnt null, 0x0
	s_barrier
	buffer_gl0_inv
	s_and_saveexec_b32 s5, s4
	s_cbranch_execz .LBB42_13
; %bb.10:
	ds_read_b128 v[1:4], v6
	s_andn2_b32 vcc_lo, exec_lo, s50
	s_cbranch_vccnz .LBB42_12
; %bb.11:
	s_clause 0x3
	buffer_load_dword v7, v5, s[0:3], 0 offen offset:8
	buffer_load_dword v8, v5, s[0:3], 0 offen offset:12
	buffer_load_dword v9, v5, s[0:3], 0 offen
	buffer_load_dword v10, v5, s[0:3], 0 offen offset:4
	s_waitcnt vmcnt(2) lgkmcnt(0)
	v_mul_f64 v[11:12], v[3:4], v[7:8]
	v_mul_f64 v[7:8], v[1:2], v[7:8]
	s_waitcnt vmcnt(0)
	v_fma_f64 v[1:2], v[1:2], v[9:10], -v[11:12]
	v_fma_f64 v[3:4], v[3:4], v[9:10], v[7:8]
.LBB42_12:
	v_mov_b32_e32 v7, 0
	ds_read_b128 v[7:10], v7 offset:656
	s_waitcnt lgkmcnt(0)
	v_mul_f64 v[11:12], v[3:4], v[9:10]
	v_mul_f64 v[9:10], v[1:2], v[9:10]
	v_fma_f64 v[1:2], v[1:2], v[7:8], -v[11:12]
	v_fma_f64 v[3:4], v[3:4], v[7:8], v[9:10]
	buffer_store_dword v2, off, s[0:3], 0 offset:660
	buffer_store_dword v1, off, s[0:3], 0 offset:656
	;; [unrolled: 1-line block ×4, first 2 shown]
.LBB42_13:
	s_or_b32 exec_lo, exec_lo, s5
	v_mov_b32_e32 v4, s9
	v_cmp_lt_u32_e64 s5, 40, v0
	s_clause 0x3
	buffer_load_dword v1, v4, s[0:3], 0 offen
	buffer_load_dword v2, v4, s[0:3], 0 offen offset:4
	buffer_load_dword v3, v4, s[0:3], 0 offen offset:8
	;; [unrolled: 1-line block ×3, first 2 shown]
	s_waitcnt vmcnt(0)
	ds_write_b128 v6, v[1:4]
	s_waitcnt lgkmcnt(0)
	s_waitcnt_vscnt null, 0x0
	s_barrier
	buffer_gl0_inv
	s_and_saveexec_b32 s8, s5
	s_cbranch_execz .LBB42_19
; %bb.14:
	ds_read_b128 v[1:4], v6
	s_andn2_b32 vcc_lo, exec_lo, s50
	s_cbranch_vccnz .LBB42_16
; %bb.15:
	s_clause 0x3
	buffer_load_dword v7, v5, s[0:3], 0 offen offset:8
	buffer_load_dword v8, v5, s[0:3], 0 offen offset:12
	buffer_load_dword v9, v5, s[0:3], 0 offen
	buffer_load_dword v10, v5, s[0:3], 0 offen offset:4
	s_waitcnt vmcnt(2) lgkmcnt(0)
	v_mul_f64 v[11:12], v[3:4], v[7:8]
	v_mul_f64 v[7:8], v[1:2], v[7:8]
	s_waitcnt vmcnt(0)
	v_fma_f64 v[1:2], v[1:2], v[9:10], -v[11:12]
	v_fma_f64 v[3:4], v[3:4], v[9:10], v[7:8]
.LBB42_16:
	s_and_saveexec_b32 s51, s4
	s_cbranch_execz .LBB42_18
; %bb.17:
	s_clause 0x3
	buffer_load_dword v11, off, s[0:3], 0 offset:664
	buffer_load_dword v12, off, s[0:3], 0 offset:668
	;; [unrolled: 1-line block ×4, first 2 shown]
	v_mov_b32_e32 v7, 0
	ds_read_b128 v[7:10], v7 offset:1344
	s_waitcnt vmcnt(2) lgkmcnt(0)
	v_mul_f64 v[15:16], v[7:8], v[11:12]
	v_mul_f64 v[11:12], v[9:10], v[11:12]
	s_waitcnt vmcnt(0)
	v_fma_f64 v[9:10], v[9:10], v[13:14], v[15:16]
	v_fma_f64 v[7:8], v[7:8], v[13:14], -v[11:12]
	v_add_f64 v[3:4], v[3:4], v[9:10]
	v_add_f64 v[1:2], v[1:2], v[7:8]
.LBB42_18:
	s_or_b32 exec_lo, exec_lo, s51
	v_mov_b32_e32 v7, 0
	ds_read_b128 v[7:10], v7 offset:640
	s_waitcnt lgkmcnt(0)
	v_mul_f64 v[11:12], v[3:4], v[9:10]
	v_mul_f64 v[9:10], v[1:2], v[9:10]
	v_fma_f64 v[1:2], v[1:2], v[7:8], -v[11:12]
	v_fma_f64 v[3:4], v[3:4], v[7:8], v[9:10]
	buffer_store_dword v2, off, s[0:3], 0 offset:644
	buffer_store_dword v1, off, s[0:3], 0 offset:640
	;; [unrolled: 1-line block ×4, first 2 shown]
.LBB42_19:
	s_or_b32 exec_lo, exec_lo, s8
	v_mov_b32_e32 v4, s10
	v_cmp_lt_u32_e64 s4, 39, v0
	s_clause 0x3
	buffer_load_dword v1, v4, s[0:3], 0 offen
	buffer_load_dword v2, v4, s[0:3], 0 offen offset:4
	buffer_load_dword v3, v4, s[0:3], 0 offen offset:8
	;; [unrolled: 1-line block ×3, first 2 shown]
	s_waitcnt vmcnt(0)
	ds_write_b128 v6, v[1:4]
	s_waitcnt lgkmcnt(0)
	s_waitcnt_vscnt null, 0x0
	s_barrier
	buffer_gl0_inv
	s_and_saveexec_b32 s8, s4
	s_cbranch_execz .LBB42_27
; %bb.20:
	ds_read_b128 v[1:4], v6
	s_andn2_b32 vcc_lo, exec_lo, s50
	s_cbranch_vccnz .LBB42_22
; %bb.21:
	s_clause 0x3
	buffer_load_dword v7, v5, s[0:3], 0 offen offset:8
	buffer_load_dword v8, v5, s[0:3], 0 offen offset:12
	buffer_load_dword v9, v5, s[0:3], 0 offen
	buffer_load_dword v10, v5, s[0:3], 0 offen offset:4
	s_waitcnt vmcnt(2) lgkmcnt(0)
	v_mul_f64 v[11:12], v[3:4], v[7:8]
	v_mul_f64 v[7:8], v[1:2], v[7:8]
	s_waitcnt vmcnt(0)
	v_fma_f64 v[1:2], v[1:2], v[9:10], -v[11:12]
	v_fma_f64 v[3:4], v[3:4], v[9:10], v[7:8]
.LBB42_22:
	s_and_saveexec_b32 s51, s5
	s_cbranch_execz .LBB42_26
; %bb.23:
	v_subrev_nc_u32_e32 v7, 40, v0
	s_movk_i32 s52, 0x530
	s_mov_b32 s5, 0
	s_mov_b32 s53, s9
	.p2align	6
.LBB42_24:                              ; =>This Inner Loop Header: Depth=1
	v_mov_b32_e32 v8, s53
	v_add_nc_u32_e32 v7, -1, v7
	s_add_i32 s53, s53, 16
	s_clause 0x3
	buffer_load_dword v12, v8, s[0:3], 0 offen offset:8
	buffer_load_dword v13, v8, s[0:3], 0 offen offset:12
	buffer_load_dword v14, v8, s[0:3], 0 offen
	buffer_load_dword v15, v8, s[0:3], 0 offen offset:4
	v_mov_b32_e32 v8, s52
	v_cmp_eq_u32_e32 vcc_lo, 0, v7
	s_add_i32 s52, s52, 16
	ds_read_b128 v[8:11], v8
	s_or_b32 s5, vcc_lo, s5
	s_waitcnt vmcnt(2) lgkmcnt(0)
	v_mul_f64 v[104:105], v[10:11], v[12:13]
	v_mul_f64 v[12:13], v[8:9], v[12:13]
	s_waitcnt vmcnt(0)
	v_fma_f64 v[8:9], v[8:9], v[14:15], -v[104:105]
	v_fma_f64 v[10:11], v[10:11], v[14:15], v[12:13]
	v_add_f64 v[1:2], v[1:2], v[8:9]
	v_add_f64 v[3:4], v[3:4], v[10:11]
	s_andn2_b32 exec_lo, exec_lo, s5
	s_cbranch_execnz .LBB42_24
; %bb.25:
	s_or_b32 exec_lo, exec_lo, s5
.LBB42_26:
	s_or_b32 exec_lo, exec_lo, s51
	v_mov_b32_e32 v7, 0
	ds_read_b128 v[7:10], v7 offset:624
	s_waitcnt lgkmcnt(0)
	v_mul_f64 v[11:12], v[3:4], v[9:10]
	v_mul_f64 v[9:10], v[1:2], v[9:10]
	v_fma_f64 v[1:2], v[1:2], v[7:8], -v[11:12]
	v_fma_f64 v[3:4], v[3:4], v[7:8], v[9:10]
	buffer_store_dword v2, off, s[0:3], 0 offset:628
	buffer_store_dword v1, off, s[0:3], 0 offset:624
	;; [unrolled: 1-line block ×4, first 2 shown]
.LBB42_27:
	s_or_b32 exec_lo, exec_lo, s8
	v_mov_b32_e32 v4, s11
	v_cmp_lt_u32_e64 s5, 38, v0
	s_clause 0x3
	buffer_load_dword v1, v4, s[0:3], 0 offen
	buffer_load_dword v2, v4, s[0:3], 0 offen offset:4
	buffer_load_dword v3, v4, s[0:3], 0 offen offset:8
	;; [unrolled: 1-line block ×3, first 2 shown]
	s_waitcnt vmcnt(0)
	ds_write_b128 v6, v[1:4]
	s_waitcnt lgkmcnt(0)
	s_waitcnt_vscnt null, 0x0
	s_barrier
	buffer_gl0_inv
	s_and_saveexec_b32 s8, s5
	s_cbranch_execz .LBB42_35
; %bb.28:
	ds_read_b128 v[1:4], v6
	s_andn2_b32 vcc_lo, exec_lo, s50
	s_cbranch_vccnz .LBB42_30
; %bb.29:
	s_clause 0x3
	buffer_load_dword v7, v5, s[0:3], 0 offen offset:8
	buffer_load_dword v8, v5, s[0:3], 0 offen offset:12
	buffer_load_dword v9, v5, s[0:3], 0 offen
	buffer_load_dword v10, v5, s[0:3], 0 offen offset:4
	s_waitcnt vmcnt(2) lgkmcnt(0)
	v_mul_f64 v[11:12], v[3:4], v[7:8]
	v_mul_f64 v[7:8], v[1:2], v[7:8]
	s_waitcnt vmcnt(0)
	v_fma_f64 v[1:2], v[1:2], v[9:10], -v[11:12]
	v_fma_f64 v[3:4], v[3:4], v[9:10], v[7:8]
.LBB42_30:
	s_and_saveexec_b32 s51, s4
	s_cbranch_execz .LBB42_34
; %bb.31:
	v_subrev_nc_u32_e32 v7, 39, v0
	s_movk_i32 s52, 0x520
	s_mov_b32 s4, 0
	s_mov_b32 s53, s10
	.p2align	6
.LBB42_32:                              ; =>This Inner Loop Header: Depth=1
	v_mov_b32_e32 v8, s53
	v_add_nc_u32_e32 v7, -1, v7
	s_add_i32 s53, s53, 16
	s_clause 0x3
	buffer_load_dword v12, v8, s[0:3], 0 offen offset:8
	buffer_load_dword v13, v8, s[0:3], 0 offen offset:12
	buffer_load_dword v14, v8, s[0:3], 0 offen
	buffer_load_dword v15, v8, s[0:3], 0 offen offset:4
	v_mov_b32_e32 v8, s52
	v_cmp_eq_u32_e32 vcc_lo, 0, v7
	s_add_i32 s52, s52, 16
	ds_read_b128 v[8:11], v8
	s_or_b32 s4, vcc_lo, s4
	s_waitcnt vmcnt(2) lgkmcnt(0)
	v_mul_f64 v[104:105], v[10:11], v[12:13]
	v_mul_f64 v[12:13], v[8:9], v[12:13]
	s_waitcnt vmcnt(0)
	v_fma_f64 v[8:9], v[8:9], v[14:15], -v[104:105]
	v_fma_f64 v[10:11], v[10:11], v[14:15], v[12:13]
	v_add_f64 v[1:2], v[1:2], v[8:9]
	v_add_f64 v[3:4], v[3:4], v[10:11]
	s_andn2_b32 exec_lo, exec_lo, s4
	s_cbranch_execnz .LBB42_32
; %bb.33:
	s_or_b32 exec_lo, exec_lo, s4
.LBB42_34:
	s_or_b32 exec_lo, exec_lo, s51
	v_mov_b32_e32 v7, 0
	ds_read_b128 v[7:10], v7 offset:608
	s_waitcnt lgkmcnt(0)
	v_mul_f64 v[11:12], v[3:4], v[9:10]
	v_mul_f64 v[9:10], v[1:2], v[9:10]
	v_fma_f64 v[1:2], v[1:2], v[7:8], -v[11:12]
	v_fma_f64 v[3:4], v[3:4], v[7:8], v[9:10]
	buffer_store_dword v2, off, s[0:3], 0 offset:612
	buffer_store_dword v1, off, s[0:3], 0 offset:608
	;; [unrolled: 1-line block ×4, first 2 shown]
.LBB42_35:
	s_or_b32 exec_lo, exec_lo, s8
	v_mov_b32_e32 v4, s12
	v_cmp_lt_u32_e64 s4, 37, v0
	s_clause 0x3
	buffer_load_dword v1, v4, s[0:3], 0 offen
	buffer_load_dword v2, v4, s[0:3], 0 offen offset:4
	buffer_load_dword v3, v4, s[0:3], 0 offen offset:8
	;; [unrolled: 1-line block ×3, first 2 shown]
	s_waitcnt vmcnt(0)
	ds_write_b128 v6, v[1:4]
	s_waitcnt lgkmcnt(0)
	s_waitcnt_vscnt null, 0x0
	s_barrier
	buffer_gl0_inv
	s_and_saveexec_b32 s8, s4
	s_cbranch_execz .LBB42_43
; %bb.36:
	ds_read_b128 v[1:4], v6
	s_andn2_b32 vcc_lo, exec_lo, s50
	s_cbranch_vccnz .LBB42_38
; %bb.37:
	s_clause 0x3
	buffer_load_dword v7, v5, s[0:3], 0 offen offset:8
	buffer_load_dword v8, v5, s[0:3], 0 offen offset:12
	buffer_load_dword v9, v5, s[0:3], 0 offen
	buffer_load_dword v10, v5, s[0:3], 0 offen offset:4
	s_waitcnt vmcnt(2) lgkmcnt(0)
	v_mul_f64 v[11:12], v[3:4], v[7:8]
	v_mul_f64 v[7:8], v[1:2], v[7:8]
	s_waitcnt vmcnt(0)
	v_fma_f64 v[1:2], v[1:2], v[9:10], -v[11:12]
	v_fma_f64 v[3:4], v[3:4], v[9:10], v[7:8]
.LBB42_38:
	s_and_saveexec_b32 s51, s5
	s_cbranch_execz .LBB42_42
; %bb.39:
	v_subrev_nc_u32_e32 v7, 38, v0
	s_movk_i32 s52, 0x510
	s_mov_b32 s5, 0
	s_mov_b32 s53, s11
	.p2align	6
.LBB42_40:                              ; =>This Inner Loop Header: Depth=1
	v_mov_b32_e32 v8, s53
	v_add_nc_u32_e32 v7, -1, v7
	s_add_i32 s53, s53, 16
	s_clause 0x3
	buffer_load_dword v12, v8, s[0:3], 0 offen offset:8
	buffer_load_dword v13, v8, s[0:3], 0 offen offset:12
	buffer_load_dword v14, v8, s[0:3], 0 offen
	buffer_load_dword v15, v8, s[0:3], 0 offen offset:4
	v_mov_b32_e32 v8, s52
	v_cmp_eq_u32_e32 vcc_lo, 0, v7
	s_add_i32 s52, s52, 16
	ds_read_b128 v[8:11], v8
	s_or_b32 s5, vcc_lo, s5
	s_waitcnt vmcnt(2) lgkmcnt(0)
	v_mul_f64 v[104:105], v[10:11], v[12:13]
	v_mul_f64 v[12:13], v[8:9], v[12:13]
	s_waitcnt vmcnt(0)
	v_fma_f64 v[8:9], v[8:9], v[14:15], -v[104:105]
	v_fma_f64 v[10:11], v[10:11], v[14:15], v[12:13]
	v_add_f64 v[1:2], v[1:2], v[8:9]
	v_add_f64 v[3:4], v[3:4], v[10:11]
	s_andn2_b32 exec_lo, exec_lo, s5
	s_cbranch_execnz .LBB42_40
; %bb.41:
	s_or_b32 exec_lo, exec_lo, s5
.LBB42_42:
	s_or_b32 exec_lo, exec_lo, s51
	v_mov_b32_e32 v7, 0
	ds_read_b128 v[7:10], v7 offset:592
	s_waitcnt lgkmcnt(0)
	v_mul_f64 v[11:12], v[3:4], v[9:10]
	v_mul_f64 v[9:10], v[1:2], v[9:10]
	v_fma_f64 v[1:2], v[1:2], v[7:8], -v[11:12]
	v_fma_f64 v[3:4], v[3:4], v[7:8], v[9:10]
	buffer_store_dword v2, off, s[0:3], 0 offset:596
	buffer_store_dword v1, off, s[0:3], 0 offset:592
	buffer_store_dword v4, off, s[0:3], 0 offset:604
	buffer_store_dword v3, off, s[0:3], 0 offset:600
.LBB42_43:
	s_or_b32 exec_lo, exec_lo, s8
	v_mov_b32_e32 v4, s13
	v_cmp_lt_u32_e64 s5, 36, v0
	s_clause 0x3
	buffer_load_dword v1, v4, s[0:3], 0 offen
	buffer_load_dword v2, v4, s[0:3], 0 offen offset:4
	buffer_load_dword v3, v4, s[0:3], 0 offen offset:8
	buffer_load_dword v4, v4, s[0:3], 0 offen offset:12
	s_waitcnt vmcnt(0)
	ds_write_b128 v6, v[1:4]
	s_waitcnt lgkmcnt(0)
	s_waitcnt_vscnt null, 0x0
	s_barrier
	buffer_gl0_inv
	s_and_saveexec_b32 s8, s5
	s_cbranch_execz .LBB42_51
; %bb.44:
	ds_read_b128 v[1:4], v6
	s_andn2_b32 vcc_lo, exec_lo, s50
	s_cbranch_vccnz .LBB42_46
; %bb.45:
	s_clause 0x3
	buffer_load_dword v7, v5, s[0:3], 0 offen offset:8
	buffer_load_dword v8, v5, s[0:3], 0 offen offset:12
	buffer_load_dword v9, v5, s[0:3], 0 offen
	buffer_load_dword v10, v5, s[0:3], 0 offen offset:4
	s_waitcnt vmcnt(2) lgkmcnt(0)
	v_mul_f64 v[11:12], v[3:4], v[7:8]
	v_mul_f64 v[7:8], v[1:2], v[7:8]
	s_waitcnt vmcnt(0)
	v_fma_f64 v[1:2], v[1:2], v[9:10], -v[11:12]
	v_fma_f64 v[3:4], v[3:4], v[9:10], v[7:8]
.LBB42_46:
	s_and_saveexec_b32 s51, s4
	s_cbranch_execz .LBB42_50
; %bb.47:
	v_subrev_nc_u32_e32 v7, 37, v0
	s_movk_i32 s52, 0x500
	s_mov_b32 s4, 0
	s_mov_b32 s53, s12
	.p2align	6
.LBB42_48:                              ; =>This Inner Loop Header: Depth=1
	v_mov_b32_e32 v8, s53
	v_add_nc_u32_e32 v7, -1, v7
	s_add_i32 s53, s53, 16
	s_clause 0x3
	buffer_load_dword v12, v8, s[0:3], 0 offen offset:8
	buffer_load_dword v13, v8, s[0:3], 0 offen offset:12
	buffer_load_dword v14, v8, s[0:3], 0 offen
	buffer_load_dword v15, v8, s[0:3], 0 offen offset:4
	v_mov_b32_e32 v8, s52
	v_cmp_eq_u32_e32 vcc_lo, 0, v7
	s_add_i32 s52, s52, 16
	ds_read_b128 v[8:11], v8
	s_or_b32 s4, vcc_lo, s4
	s_waitcnt vmcnt(2) lgkmcnt(0)
	v_mul_f64 v[104:105], v[10:11], v[12:13]
	v_mul_f64 v[12:13], v[8:9], v[12:13]
	s_waitcnt vmcnt(0)
	v_fma_f64 v[8:9], v[8:9], v[14:15], -v[104:105]
	v_fma_f64 v[10:11], v[10:11], v[14:15], v[12:13]
	v_add_f64 v[1:2], v[1:2], v[8:9]
	v_add_f64 v[3:4], v[3:4], v[10:11]
	s_andn2_b32 exec_lo, exec_lo, s4
	s_cbranch_execnz .LBB42_48
; %bb.49:
	s_or_b32 exec_lo, exec_lo, s4
.LBB42_50:
	s_or_b32 exec_lo, exec_lo, s51
	v_mov_b32_e32 v7, 0
	ds_read_b128 v[7:10], v7 offset:576
	s_waitcnt lgkmcnt(0)
	v_mul_f64 v[11:12], v[3:4], v[9:10]
	v_mul_f64 v[9:10], v[1:2], v[9:10]
	v_fma_f64 v[1:2], v[1:2], v[7:8], -v[11:12]
	v_fma_f64 v[3:4], v[3:4], v[7:8], v[9:10]
	buffer_store_dword v2, off, s[0:3], 0 offset:580
	buffer_store_dword v1, off, s[0:3], 0 offset:576
	;; [unrolled: 1-line block ×4, first 2 shown]
.LBB42_51:
	s_or_b32 exec_lo, exec_lo, s8
	v_mov_b32_e32 v4, s14
	v_cmp_lt_u32_e64 s4, 35, v0
	s_clause 0x3
	buffer_load_dword v1, v4, s[0:3], 0 offen
	buffer_load_dword v2, v4, s[0:3], 0 offen offset:4
	buffer_load_dword v3, v4, s[0:3], 0 offen offset:8
	buffer_load_dword v4, v4, s[0:3], 0 offen offset:12
	s_waitcnt vmcnt(0)
	ds_write_b128 v6, v[1:4]
	s_waitcnt lgkmcnt(0)
	s_waitcnt_vscnt null, 0x0
	s_barrier
	buffer_gl0_inv
	s_and_saveexec_b32 s8, s4
	s_cbranch_execz .LBB42_59
; %bb.52:
	ds_read_b128 v[1:4], v6
	s_andn2_b32 vcc_lo, exec_lo, s50
	s_cbranch_vccnz .LBB42_54
; %bb.53:
	s_clause 0x3
	buffer_load_dword v7, v5, s[0:3], 0 offen offset:8
	buffer_load_dword v8, v5, s[0:3], 0 offen offset:12
	buffer_load_dword v9, v5, s[0:3], 0 offen
	buffer_load_dword v10, v5, s[0:3], 0 offen offset:4
	s_waitcnt vmcnt(2) lgkmcnt(0)
	v_mul_f64 v[11:12], v[3:4], v[7:8]
	v_mul_f64 v[7:8], v[1:2], v[7:8]
	s_waitcnt vmcnt(0)
	v_fma_f64 v[1:2], v[1:2], v[9:10], -v[11:12]
	v_fma_f64 v[3:4], v[3:4], v[9:10], v[7:8]
.LBB42_54:
	s_and_saveexec_b32 s51, s5
	s_cbranch_execz .LBB42_58
; %bb.55:
	v_subrev_nc_u32_e32 v7, 36, v0
	s_movk_i32 s52, 0x4f0
	s_mov_b32 s5, 0
	s_mov_b32 s53, s13
	.p2align	6
.LBB42_56:                              ; =>This Inner Loop Header: Depth=1
	v_mov_b32_e32 v8, s53
	v_add_nc_u32_e32 v7, -1, v7
	s_add_i32 s53, s53, 16
	s_clause 0x3
	buffer_load_dword v12, v8, s[0:3], 0 offen offset:8
	buffer_load_dword v13, v8, s[0:3], 0 offen offset:12
	buffer_load_dword v14, v8, s[0:3], 0 offen
	buffer_load_dword v15, v8, s[0:3], 0 offen offset:4
	v_mov_b32_e32 v8, s52
	v_cmp_eq_u32_e32 vcc_lo, 0, v7
	s_add_i32 s52, s52, 16
	ds_read_b128 v[8:11], v8
	s_or_b32 s5, vcc_lo, s5
	s_waitcnt vmcnt(2) lgkmcnt(0)
	v_mul_f64 v[104:105], v[10:11], v[12:13]
	v_mul_f64 v[12:13], v[8:9], v[12:13]
	s_waitcnt vmcnt(0)
	v_fma_f64 v[8:9], v[8:9], v[14:15], -v[104:105]
	v_fma_f64 v[10:11], v[10:11], v[14:15], v[12:13]
	v_add_f64 v[1:2], v[1:2], v[8:9]
	v_add_f64 v[3:4], v[3:4], v[10:11]
	s_andn2_b32 exec_lo, exec_lo, s5
	s_cbranch_execnz .LBB42_56
; %bb.57:
	s_or_b32 exec_lo, exec_lo, s5
.LBB42_58:
	s_or_b32 exec_lo, exec_lo, s51
	v_mov_b32_e32 v7, 0
	ds_read_b128 v[7:10], v7 offset:560
	s_waitcnt lgkmcnt(0)
	v_mul_f64 v[11:12], v[3:4], v[9:10]
	v_mul_f64 v[9:10], v[1:2], v[9:10]
	v_fma_f64 v[1:2], v[1:2], v[7:8], -v[11:12]
	v_fma_f64 v[3:4], v[3:4], v[7:8], v[9:10]
	buffer_store_dword v2, off, s[0:3], 0 offset:564
	buffer_store_dword v1, off, s[0:3], 0 offset:560
	;; [unrolled: 1-line block ×4, first 2 shown]
.LBB42_59:
	s_or_b32 exec_lo, exec_lo, s8
	v_mov_b32_e32 v4, s15
	v_cmp_lt_u32_e64 s5, 34, v0
	s_clause 0x3
	buffer_load_dword v1, v4, s[0:3], 0 offen
	buffer_load_dword v2, v4, s[0:3], 0 offen offset:4
	buffer_load_dword v3, v4, s[0:3], 0 offen offset:8
	;; [unrolled: 1-line block ×3, first 2 shown]
	s_waitcnt vmcnt(0)
	ds_write_b128 v6, v[1:4]
	s_waitcnt lgkmcnt(0)
	s_waitcnt_vscnt null, 0x0
	s_barrier
	buffer_gl0_inv
	s_and_saveexec_b32 s8, s5
	s_cbranch_execz .LBB42_67
; %bb.60:
	ds_read_b128 v[1:4], v6
	s_andn2_b32 vcc_lo, exec_lo, s50
	s_cbranch_vccnz .LBB42_62
; %bb.61:
	s_clause 0x3
	buffer_load_dword v7, v5, s[0:3], 0 offen offset:8
	buffer_load_dword v8, v5, s[0:3], 0 offen offset:12
	buffer_load_dword v9, v5, s[0:3], 0 offen
	buffer_load_dword v10, v5, s[0:3], 0 offen offset:4
	s_waitcnt vmcnt(2) lgkmcnt(0)
	v_mul_f64 v[11:12], v[3:4], v[7:8]
	v_mul_f64 v[7:8], v[1:2], v[7:8]
	s_waitcnt vmcnt(0)
	v_fma_f64 v[1:2], v[1:2], v[9:10], -v[11:12]
	v_fma_f64 v[3:4], v[3:4], v[9:10], v[7:8]
.LBB42_62:
	s_and_saveexec_b32 s51, s4
	s_cbranch_execz .LBB42_66
; %bb.63:
	v_subrev_nc_u32_e32 v7, 35, v0
	s_movk_i32 s52, 0x4e0
	s_mov_b32 s4, 0
	s_mov_b32 s53, s14
	.p2align	6
.LBB42_64:                              ; =>This Inner Loop Header: Depth=1
	v_mov_b32_e32 v8, s53
	v_add_nc_u32_e32 v7, -1, v7
	s_add_i32 s53, s53, 16
	s_clause 0x3
	buffer_load_dword v12, v8, s[0:3], 0 offen offset:8
	buffer_load_dword v13, v8, s[0:3], 0 offen offset:12
	buffer_load_dword v14, v8, s[0:3], 0 offen
	buffer_load_dword v15, v8, s[0:3], 0 offen offset:4
	v_mov_b32_e32 v8, s52
	v_cmp_eq_u32_e32 vcc_lo, 0, v7
	s_add_i32 s52, s52, 16
	ds_read_b128 v[8:11], v8
	s_or_b32 s4, vcc_lo, s4
	s_waitcnt vmcnt(2) lgkmcnt(0)
	v_mul_f64 v[104:105], v[10:11], v[12:13]
	v_mul_f64 v[12:13], v[8:9], v[12:13]
	s_waitcnt vmcnt(0)
	v_fma_f64 v[8:9], v[8:9], v[14:15], -v[104:105]
	v_fma_f64 v[10:11], v[10:11], v[14:15], v[12:13]
	v_add_f64 v[1:2], v[1:2], v[8:9]
	v_add_f64 v[3:4], v[3:4], v[10:11]
	s_andn2_b32 exec_lo, exec_lo, s4
	s_cbranch_execnz .LBB42_64
; %bb.65:
	s_or_b32 exec_lo, exec_lo, s4
.LBB42_66:
	s_or_b32 exec_lo, exec_lo, s51
	v_mov_b32_e32 v7, 0
	ds_read_b128 v[7:10], v7 offset:544
	s_waitcnt lgkmcnt(0)
	v_mul_f64 v[11:12], v[3:4], v[9:10]
	v_mul_f64 v[9:10], v[1:2], v[9:10]
	v_fma_f64 v[1:2], v[1:2], v[7:8], -v[11:12]
	v_fma_f64 v[3:4], v[3:4], v[7:8], v[9:10]
	buffer_store_dword v2, off, s[0:3], 0 offset:548
	buffer_store_dword v1, off, s[0:3], 0 offset:544
	;; [unrolled: 1-line block ×4, first 2 shown]
.LBB42_67:
	s_or_b32 exec_lo, exec_lo, s8
	v_mov_b32_e32 v4, s16
	v_cmp_lt_u32_e64 s4, 33, v0
	s_clause 0x3
	buffer_load_dword v1, v4, s[0:3], 0 offen
	buffer_load_dword v2, v4, s[0:3], 0 offen offset:4
	buffer_load_dword v3, v4, s[0:3], 0 offen offset:8
	;; [unrolled: 1-line block ×3, first 2 shown]
	s_waitcnt vmcnt(0)
	ds_write_b128 v6, v[1:4]
	s_waitcnt lgkmcnt(0)
	s_waitcnt_vscnt null, 0x0
	s_barrier
	buffer_gl0_inv
	s_and_saveexec_b32 s8, s4
	s_cbranch_execz .LBB42_75
; %bb.68:
	ds_read_b128 v[1:4], v6
	s_andn2_b32 vcc_lo, exec_lo, s50
	s_cbranch_vccnz .LBB42_70
; %bb.69:
	s_clause 0x3
	buffer_load_dword v7, v5, s[0:3], 0 offen offset:8
	buffer_load_dword v8, v5, s[0:3], 0 offen offset:12
	buffer_load_dword v9, v5, s[0:3], 0 offen
	buffer_load_dword v10, v5, s[0:3], 0 offen offset:4
	s_waitcnt vmcnt(2) lgkmcnt(0)
	v_mul_f64 v[11:12], v[3:4], v[7:8]
	v_mul_f64 v[7:8], v[1:2], v[7:8]
	s_waitcnt vmcnt(0)
	v_fma_f64 v[1:2], v[1:2], v[9:10], -v[11:12]
	v_fma_f64 v[3:4], v[3:4], v[9:10], v[7:8]
.LBB42_70:
	s_and_saveexec_b32 s51, s5
	s_cbranch_execz .LBB42_74
; %bb.71:
	v_subrev_nc_u32_e32 v7, 34, v0
	s_movk_i32 s52, 0x4d0
	s_mov_b32 s5, 0
	s_mov_b32 s53, s15
	.p2align	6
.LBB42_72:                              ; =>This Inner Loop Header: Depth=1
	v_mov_b32_e32 v8, s53
	v_add_nc_u32_e32 v7, -1, v7
	s_add_i32 s53, s53, 16
	s_clause 0x3
	buffer_load_dword v12, v8, s[0:3], 0 offen offset:8
	buffer_load_dword v13, v8, s[0:3], 0 offen offset:12
	buffer_load_dword v14, v8, s[0:3], 0 offen
	buffer_load_dword v15, v8, s[0:3], 0 offen offset:4
	v_mov_b32_e32 v8, s52
	v_cmp_eq_u32_e32 vcc_lo, 0, v7
	s_add_i32 s52, s52, 16
	ds_read_b128 v[8:11], v8
	s_or_b32 s5, vcc_lo, s5
	s_waitcnt vmcnt(2) lgkmcnt(0)
	v_mul_f64 v[104:105], v[10:11], v[12:13]
	v_mul_f64 v[12:13], v[8:9], v[12:13]
	s_waitcnt vmcnt(0)
	v_fma_f64 v[8:9], v[8:9], v[14:15], -v[104:105]
	v_fma_f64 v[10:11], v[10:11], v[14:15], v[12:13]
	v_add_f64 v[1:2], v[1:2], v[8:9]
	v_add_f64 v[3:4], v[3:4], v[10:11]
	s_andn2_b32 exec_lo, exec_lo, s5
	s_cbranch_execnz .LBB42_72
; %bb.73:
	s_or_b32 exec_lo, exec_lo, s5
.LBB42_74:
	s_or_b32 exec_lo, exec_lo, s51
	v_mov_b32_e32 v7, 0
	ds_read_b128 v[7:10], v7 offset:528
	s_waitcnt lgkmcnt(0)
	v_mul_f64 v[11:12], v[3:4], v[9:10]
	v_mul_f64 v[9:10], v[1:2], v[9:10]
	v_fma_f64 v[1:2], v[1:2], v[7:8], -v[11:12]
	v_fma_f64 v[3:4], v[3:4], v[7:8], v[9:10]
	buffer_store_dword v2, off, s[0:3], 0 offset:532
	buffer_store_dword v1, off, s[0:3], 0 offset:528
	;; [unrolled: 1-line block ×4, first 2 shown]
.LBB42_75:
	s_or_b32 exec_lo, exec_lo, s8
	v_mov_b32_e32 v4, s17
	v_cmp_lt_u32_e64 s5, 32, v0
	s_clause 0x3
	buffer_load_dword v1, v4, s[0:3], 0 offen
	buffer_load_dword v2, v4, s[0:3], 0 offen offset:4
	buffer_load_dword v3, v4, s[0:3], 0 offen offset:8
	;; [unrolled: 1-line block ×3, first 2 shown]
	s_waitcnt vmcnt(0)
	ds_write_b128 v6, v[1:4]
	s_waitcnt lgkmcnt(0)
	s_waitcnt_vscnt null, 0x0
	s_barrier
	buffer_gl0_inv
	s_and_saveexec_b32 s8, s5
	s_cbranch_execz .LBB42_83
; %bb.76:
	ds_read_b128 v[1:4], v6
	s_andn2_b32 vcc_lo, exec_lo, s50
	s_cbranch_vccnz .LBB42_78
; %bb.77:
	s_clause 0x3
	buffer_load_dword v7, v5, s[0:3], 0 offen offset:8
	buffer_load_dword v8, v5, s[0:3], 0 offen offset:12
	buffer_load_dword v9, v5, s[0:3], 0 offen
	buffer_load_dword v10, v5, s[0:3], 0 offen offset:4
	s_waitcnt vmcnt(2) lgkmcnt(0)
	v_mul_f64 v[11:12], v[3:4], v[7:8]
	v_mul_f64 v[7:8], v[1:2], v[7:8]
	s_waitcnt vmcnt(0)
	v_fma_f64 v[1:2], v[1:2], v[9:10], -v[11:12]
	v_fma_f64 v[3:4], v[3:4], v[9:10], v[7:8]
.LBB42_78:
	s_and_saveexec_b32 s51, s4
	s_cbranch_execz .LBB42_82
; %bb.79:
	v_subrev_nc_u32_e32 v7, 33, v0
	s_movk_i32 s52, 0x4c0
	s_mov_b32 s4, 0
	s_mov_b32 s53, s16
	.p2align	6
.LBB42_80:                              ; =>This Inner Loop Header: Depth=1
	v_mov_b32_e32 v8, s53
	v_add_nc_u32_e32 v7, -1, v7
	s_add_i32 s53, s53, 16
	s_clause 0x3
	buffer_load_dword v12, v8, s[0:3], 0 offen offset:8
	buffer_load_dword v13, v8, s[0:3], 0 offen offset:12
	buffer_load_dword v14, v8, s[0:3], 0 offen
	buffer_load_dword v15, v8, s[0:3], 0 offen offset:4
	v_mov_b32_e32 v8, s52
	v_cmp_eq_u32_e32 vcc_lo, 0, v7
	s_add_i32 s52, s52, 16
	ds_read_b128 v[8:11], v8
	s_or_b32 s4, vcc_lo, s4
	s_waitcnt vmcnt(2) lgkmcnt(0)
	v_mul_f64 v[104:105], v[10:11], v[12:13]
	v_mul_f64 v[12:13], v[8:9], v[12:13]
	s_waitcnt vmcnt(0)
	v_fma_f64 v[8:9], v[8:9], v[14:15], -v[104:105]
	v_fma_f64 v[10:11], v[10:11], v[14:15], v[12:13]
	v_add_f64 v[1:2], v[1:2], v[8:9]
	v_add_f64 v[3:4], v[3:4], v[10:11]
	s_andn2_b32 exec_lo, exec_lo, s4
	s_cbranch_execnz .LBB42_80
; %bb.81:
	s_or_b32 exec_lo, exec_lo, s4
.LBB42_82:
	s_or_b32 exec_lo, exec_lo, s51
	v_mov_b32_e32 v7, 0
	ds_read_b128 v[7:10], v7 offset:512
	s_waitcnt lgkmcnt(0)
	v_mul_f64 v[11:12], v[3:4], v[9:10]
	v_mul_f64 v[9:10], v[1:2], v[9:10]
	v_fma_f64 v[1:2], v[1:2], v[7:8], -v[11:12]
	v_fma_f64 v[3:4], v[3:4], v[7:8], v[9:10]
	buffer_store_dword v2, off, s[0:3], 0 offset:516
	buffer_store_dword v1, off, s[0:3], 0 offset:512
	;; [unrolled: 1-line block ×4, first 2 shown]
.LBB42_83:
	s_or_b32 exec_lo, exec_lo, s8
	v_mov_b32_e32 v4, s18
	v_cmp_lt_u32_e64 s4, 31, v0
	s_clause 0x3
	buffer_load_dword v1, v4, s[0:3], 0 offen
	buffer_load_dword v2, v4, s[0:3], 0 offen offset:4
	buffer_load_dword v3, v4, s[0:3], 0 offen offset:8
	;; [unrolled: 1-line block ×3, first 2 shown]
	s_waitcnt vmcnt(0)
	ds_write_b128 v6, v[1:4]
	s_waitcnt lgkmcnt(0)
	s_waitcnt_vscnt null, 0x0
	s_barrier
	buffer_gl0_inv
	s_and_saveexec_b32 s8, s4
	s_cbranch_execz .LBB42_91
; %bb.84:
	ds_read_b128 v[1:4], v6
	s_andn2_b32 vcc_lo, exec_lo, s50
	s_cbranch_vccnz .LBB42_86
; %bb.85:
	s_clause 0x3
	buffer_load_dword v7, v5, s[0:3], 0 offen offset:8
	buffer_load_dword v8, v5, s[0:3], 0 offen offset:12
	buffer_load_dword v9, v5, s[0:3], 0 offen
	buffer_load_dword v10, v5, s[0:3], 0 offen offset:4
	s_waitcnt vmcnt(2) lgkmcnt(0)
	v_mul_f64 v[11:12], v[3:4], v[7:8]
	v_mul_f64 v[7:8], v[1:2], v[7:8]
	s_waitcnt vmcnt(0)
	v_fma_f64 v[1:2], v[1:2], v[9:10], -v[11:12]
	v_fma_f64 v[3:4], v[3:4], v[9:10], v[7:8]
.LBB42_86:
	s_and_saveexec_b32 s51, s5
	s_cbranch_execz .LBB42_90
; %bb.87:
	v_subrev_nc_u32_e32 v7, 32, v0
	s_movk_i32 s52, 0x4b0
	s_mov_b32 s5, 0
	s_mov_b32 s53, s17
	.p2align	6
.LBB42_88:                              ; =>This Inner Loop Header: Depth=1
	v_mov_b32_e32 v8, s53
	v_add_nc_u32_e32 v7, -1, v7
	s_add_i32 s53, s53, 16
	s_clause 0x3
	buffer_load_dword v12, v8, s[0:3], 0 offen offset:8
	buffer_load_dword v13, v8, s[0:3], 0 offen offset:12
	buffer_load_dword v14, v8, s[0:3], 0 offen
	buffer_load_dword v15, v8, s[0:3], 0 offen offset:4
	v_mov_b32_e32 v8, s52
	v_cmp_eq_u32_e32 vcc_lo, 0, v7
	s_add_i32 s52, s52, 16
	ds_read_b128 v[8:11], v8
	s_or_b32 s5, vcc_lo, s5
	s_waitcnt vmcnt(2) lgkmcnt(0)
	v_mul_f64 v[104:105], v[10:11], v[12:13]
	v_mul_f64 v[12:13], v[8:9], v[12:13]
	s_waitcnt vmcnt(0)
	v_fma_f64 v[8:9], v[8:9], v[14:15], -v[104:105]
	v_fma_f64 v[10:11], v[10:11], v[14:15], v[12:13]
	v_add_f64 v[1:2], v[1:2], v[8:9]
	v_add_f64 v[3:4], v[3:4], v[10:11]
	s_andn2_b32 exec_lo, exec_lo, s5
	s_cbranch_execnz .LBB42_88
; %bb.89:
	s_or_b32 exec_lo, exec_lo, s5
.LBB42_90:
	s_or_b32 exec_lo, exec_lo, s51
	v_mov_b32_e32 v7, 0
	ds_read_b128 v[7:10], v7 offset:496
	s_waitcnt lgkmcnt(0)
	v_mul_f64 v[11:12], v[3:4], v[9:10]
	v_mul_f64 v[9:10], v[1:2], v[9:10]
	v_fma_f64 v[1:2], v[1:2], v[7:8], -v[11:12]
	v_fma_f64 v[3:4], v[3:4], v[7:8], v[9:10]
	buffer_store_dword v2, off, s[0:3], 0 offset:500
	buffer_store_dword v1, off, s[0:3], 0 offset:496
	;; [unrolled: 1-line block ×4, first 2 shown]
.LBB42_91:
	s_or_b32 exec_lo, exec_lo, s8
	v_mov_b32_e32 v4, s19
	v_cmp_lt_u32_e64 s5, 30, v0
	s_clause 0x3
	buffer_load_dword v1, v4, s[0:3], 0 offen
	buffer_load_dword v2, v4, s[0:3], 0 offen offset:4
	buffer_load_dword v3, v4, s[0:3], 0 offen offset:8
	;; [unrolled: 1-line block ×3, first 2 shown]
	s_waitcnt vmcnt(0)
	ds_write_b128 v6, v[1:4]
	s_waitcnt lgkmcnt(0)
	s_waitcnt_vscnt null, 0x0
	s_barrier
	buffer_gl0_inv
	s_and_saveexec_b32 s8, s5
	s_cbranch_execz .LBB42_99
; %bb.92:
	ds_read_b128 v[1:4], v6
	s_andn2_b32 vcc_lo, exec_lo, s50
	s_cbranch_vccnz .LBB42_94
; %bb.93:
	s_clause 0x3
	buffer_load_dword v7, v5, s[0:3], 0 offen offset:8
	buffer_load_dword v8, v5, s[0:3], 0 offen offset:12
	buffer_load_dword v9, v5, s[0:3], 0 offen
	buffer_load_dword v10, v5, s[0:3], 0 offen offset:4
	s_waitcnt vmcnt(2) lgkmcnt(0)
	v_mul_f64 v[11:12], v[3:4], v[7:8]
	v_mul_f64 v[7:8], v[1:2], v[7:8]
	s_waitcnt vmcnt(0)
	v_fma_f64 v[1:2], v[1:2], v[9:10], -v[11:12]
	v_fma_f64 v[3:4], v[3:4], v[9:10], v[7:8]
.LBB42_94:
	s_and_saveexec_b32 s51, s4
	s_cbranch_execz .LBB42_98
; %bb.95:
	v_subrev_nc_u32_e32 v7, 31, v0
	s_movk_i32 s52, 0x4a0
	s_mov_b32 s4, 0
	s_mov_b32 s53, s18
	.p2align	6
.LBB42_96:                              ; =>This Inner Loop Header: Depth=1
	v_mov_b32_e32 v8, s53
	v_add_nc_u32_e32 v7, -1, v7
	s_add_i32 s53, s53, 16
	s_clause 0x3
	buffer_load_dword v12, v8, s[0:3], 0 offen offset:8
	buffer_load_dword v13, v8, s[0:3], 0 offen offset:12
	buffer_load_dword v14, v8, s[0:3], 0 offen
	buffer_load_dword v15, v8, s[0:3], 0 offen offset:4
	v_mov_b32_e32 v8, s52
	v_cmp_eq_u32_e32 vcc_lo, 0, v7
	s_add_i32 s52, s52, 16
	ds_read_b128 v[8:11], v8
	s_or_b32 s4, vcc_lo, s4
	s_waitcnt vmcnt(2) lgkmcnt(0)
	v_mul_f64 v[104:105], v[10:11], v[12:13]
	v_mul_f64 v[12:13], v[8:9], v[12:13]
	s_waitcnt vmcnt(0)
	v_fma_f64 v[8:9], v[8:9], v[14:15], -v[104:105]
	v_fma_f64 v[10:11], v[10:11], v[14:15], v[12:13]
	v_add_f64 v[1:2], v[1:2], v[8:9]
	v_add_f64 v[3:4], v[3:4], v[10:11]
	s_andn2_b32 exec_lo, exec_lo, s4
	s_cbranch_execnz .LBB42_96
; %bb.97:
	s_or_b32 exec_lo, exec_lo, s4
.LBB42_98:
	s_or_b32 exec_lo, exec_lo, s51
	v_mov_b32_e32 v7, 0
	ds_read_b128 v[7:10], v7 offset:480
	s_waitcnt lgkmcnt(0)
	v_mul_f64 v[11:12], v[3:4], v[9:10]
	v_mul_f64 v[9:10], v[1:2], v[9:10]
	v_fma_f64 v[1:2], v[1:2], v[7:8], -v[11:12]
	v_fma_f64 v[3:4], v[3:4], v[7:8], v[9:10]
	buffer_store_dword v2, off, s[0:3], 0 offset:484
	buffer_store_dword v1, off, s[0:3], 0 offset:480
	;; [unrolled: 1-line block ×4, first 2 shown]
.LBB42_99:
	s_or_b32 exec_lo, exec_lo, s8
	v_mov_b32_e32 v4, s20
	v_cmp_lt_u32_e64 s4, 29, v0
	s_clause 0x3
	buffer_load_dword v1, v4, s[0:3], 0 offen
	buffer_load_dword v2, v4, s[0:3], 0 offen offset:4
	buffer_load_dword v3, v4, s[0:3], 0 offen offset:8
	;; [unrolled: 1-line block ×3, first 2 shown]
	s_waitcnt vmcnt(0)
	ds_write_b128 v6, v[1:4]
	s_waitcnt lgkmcnt(0)
	s_waitcnt_vscnt null, 0x0
	s_barrier
	buffer_gl0_inv
	s_and_saveexec_b32 s8, s4
	s_cbranch_execz .LBB42_107
; %bb.100:
	ds_read_b128 v[1:4], v6
	s_andn2_b32 vcc_lo, exec_lo, s50
	s_cbranch_vccnz .LBB42_102
; %bb.101:
	s_clause 0x3
	buffer_load_dword v7, v5, s[0:3], 0 offen offset:8
	buffer_load_dword v8, v5, s[0:3], 0 offen offset:12
	buffer_load_dword v9, v5, s[0:3], 0 offen
	buffer_load_dword v10, v5, s[0:3], 0 offen offset:4
	s_waitcnt vmcnt(2) lgkmcnt(0)
	v_mul_f64 v[11:12], v[3:4], v[7:8]
	v_mul_f64 v[7:8], v[1:2], v[7:8]
	s_waitcnt vmcnt(0)
	v_fma_f64 v[1:2], v[1:2], v[9:10], -v[11:12]
	v_fma_f64 v[3:4], v[3:4], v[9:10], v[7:8]
.LBB42_102:
	s_and_saveexec_b32 s51, s5
	s_cbranch_execz .LBB42_106
; %bb.103:
	v_subrev_nc_u32_e32 v7, 30, v0
	s_movk_i32 s52, 0x490
	s_mov_b32 s5, 0
	s_mov_b32 s53, s19
	.p2align	6
.LBB42_104:                             ; =>This Inner Loop Header: Depth=1
	v_mov_b32_e32 v8, s53
	v_add_nc_u32_e32 v7, -1, v7
	s_add_i32 s53, s53, 16
	s_clause 0x3
	buffer_load_dword v12, v8, s[0:3], 0 offen offset:8
	buffer_load_dword v13, v8, s[0:3], 0 offen offset:12
	buffer_load_dword v14, v8, s[0:3], 0 offen
	buffer_load_dword v15, v8, s[0:3], 0 offen offset:4
	v_mov_b32_e32 v8, s52
	v_cmp_eq_u32_e32 vcc_lo, 0, v7
	s_add_i32 s52, s52, 16
	ds_read_b128 v[8:11], v8
	s_or_b32 s5, vcc_lo, s5
	s_waitcnt vmcnt(2) lgkmcnt(0)
	v_mul_f64 v[104:105], v[10:11], v[12:13]
	v_mul_f64 v[12:13], v[8:9], v[12:13]
	s_waitcnt vmcnt(0)
	v_fma_f64 v[8:9], v[8:9], v[14:15], -v[104:105]
	v_fma_f64 v[10:11], v[10:11], v[14:15], v[12:13]
	v_add_f64 v[1:2], v[1:2], v[8:9]
	v_add_f64 v[3:4], v[3:4], v[10:11]
	s_andn2_b32 exec_lo, exec_lo, s5
	s_cbranch_execnz .LBB42_104
; %bb.105:
	s_or_b32 exec_lo, exec_lo, s5
.LBB42_106:
	s_or_b32 exec_lo, exec_lo, s51
	v_mov_b32_e32 v7, 0
	ds_read_b128 v[7:10], v7 offset:464
	s_waitcnt lgkmcnt(0)
	v_mul_f64 v[11:12], v[3:4], v[9:10]
	v_mul_f64 v[9:10], v[1:2], v[9:10]
	v_fma_f64 v[1:2], v[1:2], v[7:8], -v[11:12]
	v_fma_f64 v[3:4], v[3:4], v[7:8], v[9:10]
	buffer_store_dword v2, off, s[0:3], 0 offset:468
	buffer_store_dword v1, off, s[0:3], 0 offset:464
	;; [unrolled: 1-line block ×4, first 2 shown]
.LBB42_107:
	s_or_b32 exec_lo, exec_lo, s8
	v_mov_b32_e32 v4, s21
	v_cmp_lt_u32_e64 s5, 28, v0
	s_clause 0x3
	buffer_load_dword v1, v4, s[0:3], 0 offen
	buffer_load_dword v2, v4, s[0:3], 0 offen offset:4
	buffer_load_dword v3, v4, s[0:3], 0 offen offset:8
	;; [unrolled: 1-line block ×3, first 2 shown]
	s_waitcnt vmcnt(0)
	ds_write_b128 v6, v[1:4]
	s_waitcnt lgkmcnt(0)
	s_waitcnt_vscnt null, 0x0
	s_barrier
	buffer_gl0_inv
	s_and_saveexec_b32 s8, s5
	s_cbranch_execz .LBB42_115
; %bb.108:
	ds_read_b128 v[1:4], v6
	s_andn2_b32 vcc_lo, exec_lo, s50
	s_cbranch_vccnz .LBB42_110
; %bb.109:
	s_clause 0x3
	buffer_load_dword v7, v5, s[0:3], 0 offen offset:8
	buffer_load_dword v8, v5, s[0:3], 0 offen offset:12
	buffer_load_dword v9, v5, s[0:3], 0 offen
	buffer_load_dword v10, v5, s[0:3], 0 offen offset:4
	s_waitcnt vmcnt(2) lgkmcnt(0)
	v_mul_f64 v[11:12], v[3:4], v[7:8]
	v_mul_f64 v[7:8], v[1:2], v[7:8]
	s_waitcnt vmcnt(0)
	v_fma_f64 v[1:2], v[1:2], v[9:10], -v[11:12]
	v_fma_f64 v[3:4], v[3:4], v[9:10], v[7:8]
.LBB42_110:
	s_and_saveexec_b32 s51, s4
	s_cbranch_execz .LBB42_114
; %bb.111:
	v_subrev_nc_u32_e32 v7, 29, v0
	s_movk_i32 s52, 0x480
	s_mov_b32 s4, 0
	s_mov_b32 s53, s20
	.p2align	6
.LBB42_112:                             ; =>This Inner Loop Header: Depth=1
	v_mov_b32_e32 v8, s53
	v_add_nc_u32_e32 v7, -1, v7
	s_add_i32 s53, s53, 16
	s_clause 0x3
	buffer_load_dword v12, v8, s[0:3], 0 offen offset:8
	buffer_load_dword v13, v8, s[0:3], 0 offen offset:12
	buffer_load_dword v14, v8, s[0:3], 0 offen
	buffer_load_dword v15, v8, s[0:3], 0 offen offset:4
	v_mov_b32_e32 v8, s52
	v_cmp_eq_u32_e32 vcc_lo, 0, v7
	s_add_i32 s52, s52, 16
	ds_read_b128 v[8:11], v8
	s_or_b32 s4, vcc_lo, s4
	s_waitcnt vmcnt(2) lgkmcnt(0)
	v_mul_f64 v[104:105], v[10:11], v[12:13]
	v_mul_f64 v[12:13], v[8:9], v[12:13]
	s_waitcnt vmcnt(0)
	v_fma_f64 v[8:9], v[8:9], v[14:15], -v[104:105]
	v_fma_f64 v[10:11], v[10:11], v[14:15], v[12:13]
	v_add_f64 v[1:2], v[1:2], v[8:9]
	v_add_f64 v[3:4], v[3:4], v[10:11]
	s_andn2_b32 exec_lo, exec_lo, s4
	s_cbranch_execnz .LBB42_112
; %bb.113:
	s_or_b32 exec_lo, exec_lo, s4
.LBB42_114:
	s_or_b32 exec_lo, exec_lo, s51
	v_mov_b32_e32 v7, 0
	ds_read_b128 v[7:10], v7 offset:448
	s_waitcnt lgkmcnt(0)
	v_mul_f64 v[11:12], v[3:4], v[9:10]
	v_mul_f64 v[9:10], v[1:2], v[9:10]
	v_fma_f64 v[1:2], v[1:2], v[7:8], -v[11:12]
	v_fma_f64 v[3:4], v[3:4], v[7:8], v[9:10]
	buffer_store_dword v2, off, s[0:3], 0 offset:452
	buffer_store_dword v1, off, s[0:3], 0 offset:448
	;; [unrolled: 1-line block ×4, first 2 shown]
.LBB42_115:
	s_or_b32 exec_lo, exec_lo, s8
	v_mov_b32_e32 v4, s22
	v_cmp_lt_u32_e64 s4, 27, v0
	s_clause 0x3
	buffer_load_dword v1, v4, s[0:3], 0 offen
	buffer_load_dword v2, v4, s[0:3], 0 offen offset:4
	buffer_load_dword v3, v4, s[0:3], 0 offen offset:8
	;; [unrolled: 1-line block ×3, first 2 shown]
	s_waitcnt vmcnt(0)
	ds_write_b128 v6, v[1:4]
	s_waitcnt lgkmcnt(0)
	s_waitcnt_vscnt null, 0x0
	s_barrier
	buffer_gl0_inv
	s_and_saveexec_b32 s8, s4
	s_cbranch_execz .LBB42_123
; %bb.116:
	ds_read_b128 v[1:4], v6
	s_andn2_b32 vcc_lo, exec_lo, s50
	s_cbranch_vccnz .LBB42_118
; %bb.117:
	s_clause 0x3
	buffer_load_dword v7, v5, s[0:3], 0 offen offset:8
	buffer_load_dword v8, v5, s[0:3], 0 offen offset:12
	buffer_load_dword v9, v5, s[0:3], 0 offen
	buffer_load_dword v10, v5, s[0:3], 0 offen offset:4
	s_waitcnt vmcnt(2) lgkmcnt(0)
	v_mul_f64 v[11:12], v[3:4], v[7:8]
	v_mul_f64 v[7:8], v[1:2], v[7:8]
	s_waitcnt vmcnt(0)
	v_fma_f64 v[1:2], v[1:2], v[9:10], -v[11:12]
	v_fma_f64 v[3:4], v[3:4], v[9:10], v[7:8]
.LBB42_118:
	s_and_saveexec_b32 s51, s5
	s_cbranch_execz .LBB42_122
; %bb.119:
	v_subrev_nc_u32_e32 v7, 28, v0
	s_movk_i32 s52, 0x470
	s_mov_b32 s5, 0
	s_mov_b32 s53, s21
	.p2align	6
.LBB42_120:                             ; =>This Inner Loop Header: Depth=1
	v_mov_b32_e32 v8, s53
	v_add_nc_u32_e32 v7, -1, v7
	s_add_i32 s53, s53, 16
	s_clause 0x3
	buffer_load_dword v12, v8, s[0:3], 0 offen offset:8
	buffer_load_dword v13, v8, s[0:3], 0 offen offset:12
	buffer_load_dword v14, v8, s[0:3], 0 offen
	buffer_load_dword v15, v8, s[0:3], 0 offen offset:4
	v_mov_b32_e32 v8, s52
	v_cmp_eq_u32_e32 vcc_lo, 0, v7
	s_add_i32 s52, s52, 16
	ds_read_b128 v[8:11], v8
	s_or_b32 s5, vcc_lo, s5
	s_waitcnt vmcnt(2) lgkmcnt(0)
	v_mul_f64 v[104:105], v[10:11], v[12:13]
	v_mul_f64 v[12:13], v[8:9], v[12:13]
	s_waitcnt vmcnt(0)
	v_fma_f64 v[8:9], v[8:9], v[14:15], -v[104:105]
	v_fma_f64 v[10:11], v[10:11], v[14:15], v[12:13]
	v_add_f64 v[1:2], v[1:2], v[8:9]
	v_add_f64 v[3:4], v[3:4], v[10:11]
	s_andn2_b32 exec_lo, exec_lo, s5
	s_cbranch_execnz .LBB42_120
; %bb.121:
	s_or_b32 exec_lo, exec_lo, s5
.LBB42_122:
	s_or_b32 exec_lo, exec_lo, s51
	v_mov_b32_e32 v7, 0
	ds_read_b128 v[7:10], v7 offset:432
	s_waitcnt lgkmcnt(0)
	v_mul_f64 v[11:12], v[3:4], v[9:10]
	v_mul_f64 v[9:10], v[1:2], v[9:10]
	v_fma_f64 v[1:2], v[1:2], v[7:8], -v[11:12]
	v_fma_f64 v[3:4], v[3:4], v[7:8], v[9:10]
	buffer_store_dword v2, off, s[0:3], 0 offset:436
	buffer_store_dword v1, off, s[0:3], 0 offset:432
	;; [unrolled: 1-line block ×4, first 2 shown]
.LBB42_123:
	s_or_b32 exec_lo, exec_lo, s8
	v_mov_b32_e32 v4, s23
	v_cmp_lt_u32_e64 s5, 26, v0
	s_clause 0x3
	buffer_load_dword v1, v4, s[0:3], 0 offen
	buffer_load_dword v2, v4, s[0:3], 0 offen offset:4
	buffer_load_dword v3, v4, s[0:3], 0 offen offset:8
	;; [unrolled: 1-line block ×3, first 2 shown]
	s_waitcnt vmcnt(0)
	ds_write_b128 v6, v[1:4]
	s_waitcnt lgkmcnt(0)
	s_waitcnt_vscnt null, 0x0
	s_barrier
	buffer_gl0_inv
	s_and_saveexec_b32 s8, s5
	s_cbranch_execz .LBB42_131
; %bb.124:
	ds_read_b128 v[1:4], v6
	s_andn2_b32 vcc_lo, exec_lo, s50
	s_cbranch_vccnz .LBB42_126
; %bb.125:
	s_clause 0x3
	buffer_load_dword v7, v5, s[0:3], 0 offen offset:8
	buffer_load_dword v8, v5, s[0:3], 0 offen offset:12
	buffer_load_dword v9, v5, s[0:3], 0 offen
	buffer_load_dword v10, v5, s[0:3], 0 offen offset:4
	s_waitcnt vmcnt(2) lgkmcnt(0)
	v_mul_f64 v[11:12], v[3:4], v[7:8]
	v_mul_f64 v[7:8], v[1:2], v[7:8]
	s_waitcnt vmcnt(0)
	v_fma_f64 v[1:2], v[1:2], v[9:10], -v[11:12]
	v_fma_f64 v[3:4], v[3:4], v[9:10], v[7:8]
.LBB42_126:
	s_and_saveexec_b32 s51, s4
	s_cbranch_execz .LBB42_130
; %bb.127:
	v_subrev_nc_u32_e32 v7, 27, v0
	s_movk_i32 s52, 0x460
	s_mov_b32 s4, 0
	s_mov_b32 s53, s22
	.p2align	6
.LBB42_128:                             ; =>This Inner Loop Header: Depth=1
	v_mov_b32_e32 v8, s53
	v_add_nc_u32_e32 v7, -1, v7
	s_add_i32 s53, s53, 16
	s_clause 0x3
	buffer_load_dword v12, v8, s[0:3], 0 offen offset:8
	buffer_load_dword v13, v8, s[0:3], 0 offen offset:12
	buffer_load_dword v14, v8, s[0:3], 0 offen
	buffer_load_dword v15, v8, s[0:3], 0 offen offset:4
	v_mov_b32_e32 v8, s52
	v_cmp_eq_u32_e32 vcc_lo, 0, v7
	s_add_i32 s52, s52, 16
	ds_read_b128 v[8:11], v8
	s_or_b32 s4, vcc_lo, s4
	s_waitcnt vmcnt(2) lgkmcnt(0)
	v_mul_f64 v[104:105], v[10:11], v[12:13]
	v_mul_f64 v[12:13], v[8:9], v[12:13]
	s_waitcnt vmcnt(0)
	v_fma_f64 v[8:9], v[8:9], v[14:15], -v[104:105]
	v_fma_f64 v[10:11], v[10:11], v[14:15], v[12:13]
	v_add_f64 v[1:2], v[1:2], v[8:9]
	v_add_f64 v[3:4], v[3:4], v[10:11]
	s_andn2_b32 exec_lo, exec_lo, s4
	s_cbranch_execnz .LBB42_128
; %bb.129:
	s_or_b32 exec_lo, exec_lo, s4
.LBB42_130:
	s_or_b32 exec_lo, exec_lo, s51
	v_mov_b32_e32 v7, 0
	ds_read_b128 v[7:10], v7 offset:416
	s_waitcnt lgkmcnt(0)
	v_mul_f64 v[11:12], v[3:4], v[9:10]
	v_mul_f64 v[9:10], v[1:2], v[9:10]
	v_fma_f64 v[1:2], v[1:2], v[7:8], -v[11:12]
	v_fma_f64 v[3:4], v[3:4], v[7:8], v[9:10]
	buffer_store_dword v2, off, s[0:3], 0 offset:420
	buffer_store_dword v1, off, s[0:3], 0 offset:416
	;; [unrolled: 1-line block ×4, first 2 shown]
.LBB42_131:
	s_or_b32 exec_lo, exec_lo, s8
	v_mov_b32_e32 v4, s24
	v_cmp_lt_u32_e64 s4, 25, v0
	s_clause 0x3
	buffer_load_dword v1, v4, s[0:3], 0 offen
	buffer_load_dword v2, v4, s[0:3], 0 offen offset:4
	buffer_load_dword v3, v4, s[0:3], 0 offen offset:8
	;; [unrolled: 1-line block ×3, first 2 shown]
	s_waitcnt vmcnt(0)
	ds_write_b128 v6, v[1:4]
	s_waitcnt lgkmcnt(0)
	s_waitcnt_vscnt null, 0x0
	s_barrier
	buffer_gl0_inv
	s_and_saveexec_b32 s8, s4
	s_cbranch_execz .LBB42_139
; %bb.132:
	ds_read_b128 v[1:4], v6
	s_andn2_b32 vcc_lo, exec_lo, s50
	s_cbranch_vccnz .LBB42_134
; %bb.133:
	s_clause 0x3
	buffer_load_dword v7, v5, s[0:3], 0 offen offset:8
	buffer_load_dword v8, v5, s[0:3], 0 offen offset:12
	buffer_load_dword v9, v5, s[0:3], 0 offen
	buffer_load_dword v10, v5, s[0:3], 0 offen offset:4
	s_waitcnt vmcnt(2) lgkmcnt(0)
	v_mul_f64 v[11:12], v[3:4], v[7:8]
	v_mul_f64 v[7:8], v[1:2], v[7:8]
	s_waitcnt vmcnt(0)
	v_fma_f64 v[1:2], v[1:2], v[9:10], -v[11:12]
	v_fma_f64 v[3:4], v[3:4], v[9:10], v[7:8]
.LBB42_134:
	s_and_saveexec_b32 s51, s5
	s_cbranch_execz .LBB42_138
; %bb.135:
	v_subrev_nc_u32_e32 v7, 26, v0
	s_movk_i32 s52, 0x450
	s_mov_b32 s5, 0
	s_mov_b32 s53, s23
	.p2align	6
.LBB42_136:                             ; =>This Inner Loop Header: Depth=1
	v_mov_b32_e32 v8, s53
	v_add_nc_u32_e32 v7, -1, v7
	s_add_i32 s53, s53, 16
	s_clause 0x3
	buffer_load_dword v12, v8, s[0:3], 0 offen offset:8
	buffer_load_dword v13, v8, s[0:3], 0 offen offset:12
	buffer_load_dword v14, v8, s[0:3], 0 offen
	buffer_load_dword v15, v8, s[0:3], 0 offen offset:4
	v_mov_b32_e32 v8, s52
	v_cmp_eq_u32_e32 vcc_lo, 0, v7
	s_add_i32 s52, s52, 16
	ds_read_b128 v[8:11], v8
	s_or_b32 s5, vcc_lo, s5
	s_waitcnt vmcnt(2) lgkmcnt(0)
	v_mul_f64 v[104:105], v[10:11], v[12:13]
	v_mul_f64 v[12:13], v[8:9], v[12:13]
	s_waitcnt vmcnt(0)
	v_fma_f64 v[8:9], v[8:9], v[14:15], -v[104:105]
	v_fma_f64 v[10:11], v[10:11], v[14:15], v[12:13]
	v_add_f64 v[1:2], v[1:2], v[8:9]
	v_add_f64 v[3:4], v[3:4], v[10:11]
	s_andn2_b32 exec_lo, exec_lo, s5
	s_cbranch_execnz .LBB42_136
; %bb.137:
	s_or_b32 exec_lo, exec_lo, s5
.LBB42_138:
	s_or_b32 exec_lo, exec_lo, s51
	v_mov_b32_e32 v7, 0
	ds_read_b128 v[7:10], v7 offset:400
	s_waitcnt lgkmcnt(0)
	v_mul_f64 v[11:12], v[3:4], v[9:10]
	v_mul_f64 v[9:10], v[1:2], v[9:10]
	v_fma_f64 v[1:2], v[1:2], v[7:8], -v[11:12]
	v_fma_f64 v[3:4], v[3:4], v[7:8], v[9:10]
	buffer_store_dword v2, off, s[0:3], 0 offset:404
	buffer_store_dword v1, off, s[0:3], 0 offset:400
	;; [unrolled: 1-line block ×4, first 2 shown]
.LBB42_139:
	s_or_b32 exec_lo, exec_lo, s8
	v_mov_b32_e32 v4, s25
	v_cmp_lt_u32_e64 s5, 24, v0
	s_clause 0x3
	buffer_load_dword v1, v4, s[0:3], 0 offen
	buffer_load_dword v2, v4, s[0:3], 0 offen offset:4
	buffer_load_dword v3, v4, s[0:3], 0 offen offset:8
	buffer_load_dword v4, v4, s[0:3], 0 offen offset:12
	s_waitcnt vmcnt(0)
	ds_write_b128 v6, v[1:4]
	s_waitcnt lgkmcnt(0)
	s_waitcnt_vscnt null, 0x0
	s_barrier
	buffer_gl0_inv
	s_and_saveexec_b32 s8, s5
	s_cbranch_execz .LBB42_147
; %bb.140:
	ds_read_b128 v[1:4], v6
	s_andn2_b32 vcc_lo, exec_lo, s50
	s_cbranch_vccnz .LBB42_142
; %bb.141:
	s_clause 0x3
	buffer_load_dword v7, v5, s[0:3], 0 offen offset:8
	buffer_load_dword v8, v5, s[0:3], 0 offen offset:12
	buffer_load_dword v9, v5, s[0:3], 0 offen
	buffer_load_dword v10, v5, s[0:3], 0 offen offset:4
	s_waitcnt vmcnt(2) lgkmcnt(0)
	v_mul_f64 v[11:12], v[3:4], v[7:8]
	v_mul_f64 v[7:8], v[1:2], v[7:8]
	s_waitcnt vmcnt(0)
	v_fma_f64 v[1:2], v[1:2], v[9:10], -v[11:12]
	v_fma_f64 v[3:4], v[3:4], v[9:10], v[7:8]
.LBB42_142:
	s_and_saveexec_b32 s51, s4
	s_cbranch_execz .LBB42_146
; %bb.143:
	v_subrev_nc_u32_e32 v7, 25, v0
	s_movk_i32 s52, 0x440
	s_mov_b32 s4, 0
	s_mov_b32 s53, s24
	.p2align	6
.LBB42_144:                             ; =>This Inner Loop Header: Depth=1
	v_mov_b32_e32 v8, s53
	v_add_nc_u32_e32 v7, -1, v7
	s_add_i32 s53, s53, 16
	s_clause 0x3
	buffer_load_dword v12, v8, s[0:3], 0 offen offset:8
	buffer_load_dword v13, v8, s[0:3], 0 offen offset:12
	buffer_load_dword v14, v8, s[0:3], 0 offen
	buffer_load_dword v15, v8, s[0:3], 0 offen offset:4
	v_mov_b32_e32 v8, s52
	v_cmp_eq_u32_e32 vcc_lo, 0, v7
	s_add_i32 s52, s52, 16
	ds_read_b128 v[8:11], v8
	s_or_b32 s4, vcc_lo, s4
	s_waitcnt vmcnt(2) lgkmcnt(0)
	v_mul_f64 v[104:105], v[10:11], v[12:13]
	v_mul_f64 v[12:13], v[8:9], v[12:13]
	s_waitcnt vmcnt(0)
	v_fma_f64 v[8:9], v[8:9], v[14:15], -v[104:105]
	v_fma_f64 v[10:11], v[10:11], v[14:15], v[12:13]
	v_add_f64 v[1:2], v[1:2], v[8:9]
	v_add_f64 v[3:4], v[3:4], v[10:11]
	s_andn2_b32 exec_lo, exec_lo, s4
	s_cbranch_execnz .LBB42_144
; %bb.145:
	s_or_b32 exec_lo, exec_lo, s4
.LBB42_146:
	s_or_b32 exec_lo, exec_lo, s51
	v_mov_b32_e32 v7, 0
	ds_read_b128 v[7:10], v7 offset:384
	s_waitcnt lgkmcnt(0)
	v_mul_f64 v[11:12], v[3:4], v[9:10]
	v_mul_f64 v[9:10], v[1:2], v[9:10]
	v_fma_f64 v[1:2], v[1:2], v[7:8], -v[11:12]
	v_fma_f64 v[3:4], v[3:4], v[7:8], v[9:10]
	buffer_store_dword v2, off, s[0:3], 0 offset:388
	buffer_store_dword v1, off, s[0:3], 0 offset:384
	;; [unrolled: 1-line block ×4, first 2 shown]
.LBB42_147:
	s_or_b32 exec_lo, exec_lo, s8
	v_mov_b32_e32 v4, s26
	v_cmp_lt_u32_e64 s4, 23, v0
	s_clause 0x3
	buffer_load_dword v1, v4, s[0:3], 0 offen
	buffer_load_dword v2, v4, s[0:3], 0 offen offset:4
	buffer_load_dword v3, v4, s[0:3], 0 offen offset:8
	buffer_load_dword v4, v4, s[0:3], 0 offen offset:12
	s_waitcnt vmcnt(0)
	ds_write_b128 v6, v[1:4]
	s_waitcnt lgkmcnt(0)
	s_waitcnt_vscnt null, 0x0
	s_barrier
	buffer_gl0_inv
	s_and_saveexec_b32 s8, s4
	s_cbranch_execz .LBB42_155
; %bb.148:
	ds_read_b128 v[1:4], v6
	s_andn2_b32 vcc_lo, exec_lo, s50
	s_cbranch_vccnz .LBB42_150
; %bb.149:
	s_clause 0x3
	buffer_load_dword v7, v5, s[0:3], 0 offen offset:8
	buffer_load_dword v8, v5, s[0:3], 0 offen offset:12
	buffer_load_dword v9, v5, s[0:3], 0 offen
	buffer_load_dword v10, v5, s[0:3], 0 offen offset:4
	s_waitcnt vmcnt(2) lgkmcnt(0)
	v_mul_f64 v[11:12], v[3:4], v[7:8]
	v_mul_f64 v[7:8], v[1:2], v[7:8]
	s_waitcnt vmcnt(0)
	v_fma_f64 v[1:2], v[1:2], v[9:10], -v[11:12]
	v_fma_f64 v[3:4], v[3:4], v[9:10], v[7:8]
.LBB42_150:
	s_and_saveexec_b32 s51, s5
	s_cbranch_execz .LBB42_154
; %bb.151:
	v_subrev_nc_u32_e32 v7, 24, v0
	s_movk_i32 s52, 0x430
	s_mov_b32 s5, 0
	s_mov_b32 s53, s25
	.p2align	6
.LBB42_152:                             ; =>This Inner Loop Header: Depth=1
	v_mov_b32_e32 v8, s53
	v_add_nc_u32_e32 v7, -1, v7
	s_add_i32 s53, s53, 16
	s_clause 0x3
	buffer_load_dword v12, v8, s[0:3], 0 offen offset:8
	buffer_load_dword v13, v8, s[0:3], 0 offen offset:12
	buffer_load_dword v14, v8, s[0:3], 0 offen
	buffer_load_dword v15, v8, s[0:3], 0 offen offset:4
	v_mov_b32_e32 v8, s52
	v_cmp_eq_u32_e32 vcc_lo, 0, v7
	s_add_i32 s52, s52, 16
	ds_read_b128 v[8:11], v8
	s_or_b32 s5, vcc_lo, s5
	s_waitcnt vmcnt(2) lgkmcnt(0)
	v_mul_f64 v[104:105], v[10:11], v[12:13]
	v_mul_f64 v[12:13], v[8:9], v[12:13]
	s_waitcnt vmcnt(0)
	v_fma_f64 v[8:9], v[8:9], v[14:15], -v[104:105]
	v_fma_f64 v[10:11], v[10:11], v[14:15], v[12:13]
	v_add_f64 v[1:2], v[1:2], v[8:9]
	v_add_f64 v[3:4], v[3:4], v[10:11]
	s_andn2_b32 exec_lo, exec_lo, s5
	s_cbranch_execnz .LBB42_152
; %bb.153:
	s_or_b32 exec_lo, exec_lo, s5
.LBB42_154:
	s_or_b32 exec_lo, exec_lo, s51
	v_mov_b32_e32 v7, 0
	ds_read_b128 v[7:10], v7 offset:368
	s_waitcnt lgkmcnt(0)
	v_mul_f64 v[11:12], v[3:4], v[9:10]
	v_mul_f64 v[9:10], v[1:2], v[9:10]
	v_fma_f64 v[1:2], v[1:2], v[7:8], -v[11:12]
	v_fma_f64 v[3:4], v[3:4], v[7:8], v[9:10]
	buffer_store_dword v2, off, s[0:3], 0 offset:372
	buffer_store_dword v1, off, s[0:3], 0 offset:368
	;; [unrolled: 1-line block ×4, first 2 shown]
.LBB42_155:
	s_or_b32 exec_lo, exec_lo, s8
	v_mov_b32_e32 v4, s27
	v_cmp_lt_u32_e64 s5, 22, v0
	s_clause 0x3
	buffer_load_dword v1, v4, s[0:3], 0 offen
	buffer_load_dword v2, v4, s[0:3], 0 offen offset:4
	buffer_load_dword v3, v4, s[0:3], 0 offen offset:8
	;; [unrolled: 1-line block ×3, first 2 shown]
	s_waitcnt vmcnt(0)
	ds_write_b128 v6, v[1:4]
	s_waitcnt lgkmcnt(0)
	s_waitcnt_vscnt null, 0x0
	s_barrier
	buffer_gl0_inv
	s_and_saveexec_b32 s8, s5
	s_cbranch_execz .LBB42_163
; %bb.156:
	ds_read_b128 v[1:4], v6
	s_andn2_b32 vcc_lo, exec_lo, s50
	s_cbranch_vccnz .LBB42_158
; %bb.157:
	s_clause 0x3
	buffer_load_dword v7, v5, s[0:3], 0 offen offset:8
	buffer_load_dword v8, v5, s[0:3], 0 offen offset:12
	buffer_load_dword v9, v5, s[0:3], 0 offen
	buffer_load_dword v10, v5, s[0:3], 0 offen offset:4
	s_waitcnt vmcnt(2) lgkmcnt(0)
	v_mul_f64 v[11:12], v[3:4], v[7:8]
	v_mul_f64 v[7:8], v[1:2], v[7:8]
	s_waitcnt vmcnt(0)
	v_fma_f64 v[1:2], v[1:2], v[9:10], -v[11:12]
	v_fma_f64 v[3:4], v[3:4], v[9:10], v[7:8]
.LBB42_158:
	s_and_saveexec_b32 s51, s4
	s_cbranch_execz .LBB42_162
; %bb.159:
	v_subrev_nc_u32_e32 v7, 23, v0
	s_movk_i32 s52, 0x420
	s_mov_b32 s4, 0
	s_mov_b32 s53, s26
	.p2align	6
.LBB42_160:                             ; =>This Inner Loop Header: Depth=1
	v_mov_b32_e32 v8, s53
	v_add_nc_u32_e32 v7, -1, v7
	s_add_i32 s53, s53, 16
	s_clause 0x3
	buffer_load_dword v12, v8, s[0:3], 0 offen offset:8
	buffer_load_dword v13, v8, s[0:3], 0 offen offset:12
	buffer_load_dword v14, v8, s[0:3], 0 offen
	buffer_load_dword v15, v8, s[0:3], 0 offen offset:4
	v_mov_b32_e32 v8, s52
	v_cmp_eq_u32_e32 vcc_lo, 0, v7
	s_add_i32 s52, s52, 16
	ds_read_b128 v[8:11], v8
	s_or_b32 s4, vcc_lo, s4
	s_waitcnt vmcnt(2) lgkmcnt(0)
	v_mul_f64 v[104:105], v[10:11], v[12:13]
	v_mul_f64 v[12:13], v[8:9], v[12:13]
	s_waitcnt vmcnt(0)
	v_fma_f64 v[8:9], v[8:9], v[14:15], -v[104:105]
	v_fma_f64 v[10:11], v[10:11], v[14:15], v[12:13]
	v_add_f64 v[1:2], v[1:2], v[8:9]
	v_add_f64 v[3:4], v[3:4], v[10:11]
	s_andn2_b32 exec_lo, exec_lo, s4
	s_cbranch_execnz .LBB42_160
; %bb.161:
	s_or_b32 exec_lo, exec_lo, s4
.LBB42_162:
	s_or_b32 exec_lo, exec_lo, s51
	v_mov_b32_e32 v7, 0
	ds_read_b128 v[7:10], v7 offset:352
	s_waitcnt lgkmcnt(0)
	v_mul_f64 v[11:12], v[3:4], v[9:10]
	v_mul_f64 v[9:10], v[1:2], v[9:10]
	v_fma_f64 v[1:2], v[1:2], v[7:8], -v[11:12]
	v_fma_f64 v[3:4], v[3:4], v[7:8], v[9:10]
	buffer_store_dword v2, off, s[0:3], 0 offset:356
	buffer_store_dword v1, off, s[0:3], 0 offset:352
	;; [unrolled: 1-line block ×4, first 2 shown]
.LBB42_163:
	s_or_b32 exec_lo, exec_lo, s8
	v_mov_b32_e32 v4, s28
	v_cmp_lt_u32_e64 s4, 21, v0
	s_clause 0x3
	buffer_load_dword v1, v4, s[0:3], 0 offen
	buffer_load_dword v2, v4, s[0:3], 0 offen offset:4
	buffer_load_dword v3, v4, s[0:3], 0 offen offset:8
	;; [unrolled: 1-line block ×3, first 2 shown]
	s_waitcnt vmcnt(0)
	ds_write_b128 v6, v[1:4]
	s_waitcnt lgkmcnt(0)
	s_waitcnt_vscnt null, 0x0
	s_barrier
	buffer_gl0_inv
	s_and_saveexec_b32 s8, s4
	s_cbranch_execz .LBB42_171
; %bb.164:
	ds_read_b128 v[1:4], v6
	s_andn2_b32 vcc_lo, exec_lo, s50
	s_cbranch_vccnz .LBB42_166
; %bb.165:
	s_clause 0x3
	buffer_load_dword v7, v5, s[0:3], 0 offen offset:8
	buffer_load_dword v8, v5, s[0:3], 0 offen offset:12
	buffer_load_dword v9, v5, s[0:3], 0 offen
	buffer_load_dword v10, v5, s[0:3], 0 offen offset:4
	s_waitcnt vmcnt(2) lgkmcnt(0)
	v_mul_f64 v[11:12], v[3:4], v[7:8]
	v_mul_f64 v[7:8], v[1:2], v[7:8]
	s_waitcnt vmcnt(0)
	v_fma_f64 v[1:2], v[1:2], v[9:10], -v[11:12]
	v_fma_f64 v[3:4], v[3:4], v[9:10], v[7:8]
.LBB42_166:
	s_and_saveexec_b32 s51, s5
	s_cbranch_execz .LBB42_170
; %bb.167:
	v_subrev_nc_u32_e32 v7, 22, v0
	s_movk_i32 s52, 0x410
	s_mov_b32 s5, 0
	s_mov_b32 s53, s27
	.p2align	6
.LBB42_168:                             ; =>This Inner Loop Header: Depth=1
	v_mov_b32_e32 v8, s53
	v_add_nc_u32_e32 v7, -1, v7
	s_add_i32 s53, s53, 16
	s_clause 0x3
	buffer_load_dword v12, v8, s[0:3], 0 offen offset:8
	buffer_load_dword v13, v8, s[0:3], 0 offen offset:12
	buffer_load_dword v14, v8, s[0:3], 0 offen
	buffer_load_dword v15, v8, s[0:3], 0 offen offset:4
	v_mov_b32_e32 v8, s52
	v_cmp_eq_u32_e32 vcc_lo, 0, v7
	s_add_i32 s52, s52, 16
	ds_read_b128 v[8:11], v8
	s_or_b32 s5, vcc_lo, s5
	s_waitcnt vmcnt(2) lgkmcnt(0)
	v_mul_f64 v[104:105], v[10:11], v[12:13]
	v_mul_f64 v[12:13], v[8:9], v[12:13]
	s_waitcnt vmcnt(0)
	v_fma_f64 v[8:9], v[8:9], v[14:15], -v[104:105]
	v_fma_f64 v[10:11], v[10:11], v[14:15], v[12:13]
	v_add_f64 v[1:2], v[1:2], v[8:9]
	v_add_f64 v[3:4], v[3:4], v[10:11]
	s_andn2_b32 exec_lo, exec_lo, s5
	s_cbranch_execnz .LBB42_168
; %bb.169:
	s_or_b32 exec_lo, exec_lo, s5
.LBB42_170:
	s_or_b32 exec_lo, exec_lo, s51
	v_mov_b32_e32 v7, 0
	ds_read_b128 v[7:10], v7 offset:336
	s_waitcnt lgkmcnt(0)
	v_mul_f64 v[11:12], v[3:4], v[9:10]
	v_mul_f64 v[9:10], v[1:2], v[9:10]
	v_fma_f64 v[1:2], v[1:2], v[7:8], -v[11:12]
	v_fma_f64 v[3:4], v[3:4], v[7:8], v[9:10]
	buffer_store_dword v2, off, s[0:3], 0 offset:340
	buffer_store_dword v1, off, s[0:3], 0 offset:336
	;; [unrolled: 1-line block ×4, first 2 shown]
.LBB42_171:
	s_or_b32 exec_lo, exec_lo, s8
	v_mov_b32_e32 v4, s29
	v_cmp_lt_u32_e64 s5, 20, v0
	s_clause 0x3
	buffer_load_dword v1, v4, s[0:3], 0 offen
	buffer_load_dword v2, v4, s[0:3], 0 offen offset:4
	buffer_load_dword v3, v4, s[0:3], 0 offen offset:8
	;; [unrolled: 1-line block ×3, first 2 shown]
	s_waitcnt vmcnt(0)
	ds_write_b128 v6, v[1:4]
	s_waitcnt lgkmcnt(0)
	s_waitcnt_vscnt null, 0x0
	s_barrier
	buffer_gl0_inv
	s_and_saveexec_b32 s8, s5
	s_cbranch_execz .LBB42_179
; %bb.172:
	ds_read_b128 v[1:4], v6
	s_andn2_b32 vcc_lo, exec_lo, s50
	s_cbranch_vccnz .LBB42_174
; %bb.173:
	s_clause 0x3
	buffer_load_dword v7, v5, s[0:3], 0 offen offset:8
	buffer_load_dword v8, v5, s[0:3], 0 offen offset:12
	buffer_load_dword v9, v5, s[0:3], 0 offen
	buffer_load_dword v10, v5, s[0:3], 0 offen offset:4
	s_waitcnt vmcnt(2) lgkmcnt(0)
	v_mul_f64 v[11:12], v[3:4], v[7:8]
	v_mul_f64 v[7:8], v[1:2], v[7:8]
	s_waitcnt vmcnt(0)
	v_fma_f64 v[1:2], v[1:2], v[9:10], -v[11:12]
	v_fma_f64 v[3:4], v[3:4], v[9:10], v[7:8]
.LBB42_174:
	s_and_saveexec_b32 s51, s4
	s_cbranch_execz .LBB42_178
; %bb.175:
	v_subrev_nc_u32_e32 v7, 21, v0
	s_movk_i32 s52, 0x400
	s_mov_b32 s4, 0
	s_mov_b32 s53, s28
	.p2align	6
.LBB42_176:                             ; =>This Inner Loop Header: Depth=1
	v_mov_b32_e32 v8, s53
	v_add_nc_u32_e32 v7, -1, v7
	s_add_i32 s53, s53, 16
	s_clause 0x3
	buffer_load_dword v12, v8, s[0:3], 0 offen offset:8
	buffer_load_dword v13, v8, s[0:3], 0 offen offset:12
	buffer_load_dword v14, v8, s[0:3], 0 offen
	buffer_load_dword v15, v8, s[0:3], 0 offen offset:4
	v_mov_b32_e32 v8, s52
	v_cmp_eq_u32_e32 vcc_lo, 0, v7
	s_add_i32 s52, s52, 16
	ds_read_b128 v[8:11], v8
	s_or_b32 s4, vcc_lo, s4
	s_waitcnt vmcnt(2) lgkmcnt(0)
	v_mul_f64 v[104:105], v[10:11], v[12:13]
	v_mul_f64 v[12:13], v[8:9], v[12:13]
	s_waitcnt vmcnt(0)
	v_fma_f64 v[8:9], v[8:9], v[14:15], -v[104:105]
	v_fma_f64 v[10:11], v[10:11], v[14:15], v[12:13]
	v_add_f64 v[1:2], v[1:2], v[8:9]
	v_add_f64 v[3:4], v[3:4], v[10:11]
	s_andn2_b32 exec_lo, exec_lo, s4
	s_cbranch_execnz .LBB42_176
; %bb.177:
	s_or_b32 exec_lo, exec_lo, s4
.LBB42_178:
	s_or_b32 exec_lo, exec_lo, s51
	v_mov_b32_e32 v7, 0
	ds_read_b128 v[7:10], v7 offset:320
	s_waitcnt lgkmcnt(0)
	v_mul_f64 v[11:12], v[3:4], v[9:10]
	v_mul_f64 v[9:10], v[1:2], v[9:10]
	v_fma_f64 v[1:2], v[1:2], v[7:8], -v[11:12]
	v_fma_f64 v[3:4], v[3:4], v[7:8], v[9:10]
	buffer_store_dword v2, off, s[0:3], 0 offset:324
	buffer_store_dword v1, off, s[0:3], 0 offset:320
	;; [unrolled: 1-line block ×4, first 2 shown]
.LBB42_179:
	s_or_b32 exec_lo, exec_lo, s8
	v_mov_b32_e32 v4, s30
	v_cmp_lt_u32_e64 s4, 19, v0
	s_clause 0x3
	buffer_load_dword v1, v4, s[0:3], 0 offen
	buffer_load_dword v2, v4, s[0:3], 0 offen offset:4
	buffer_load_dword v3, v4, s[0:3], 0 offen offset:8
	;; [unrolled: 1-line block ×3, first 2 shown]
	s_waitcnt vmcnt(0)
	ds_write_b128 v6, v[1:4]
	s_waitcnt lgkmcnt(0)
	s_waitcnt_vscnt null, 0x0
	s_barrier
	buffer_gl0_inv
	s_and_saveexec_b32 s8, s4
	s_cbranch_execz .LBB42_187
; %bb.180:
	ds_read_b128 v[1:4], v6
	s_andn2_b32 vcc_lo, exec_lo, s50
	s_cbranch_vccnz .LBB42_182
; %bb.181:
	s_clause 0x3
	buffer_load_dword v7, v5, s[0:3], 0 offen offset:8
	buffer_load_dword v8, v5, s[0:3], 0 offen offset:12
	buffer_load_dword v9, v5, s[0:3], 0 offen
	buffer_load_dword v10, v5, s[0:3], 0 offen offset:4
	s_waitcnt vmcnt(2) lgkmcnt(0)
	v_mul_f64 v[11:12], v[3:4], v[7:8]
	v_mul_f64 v[7:8], v[1:2], v[7:8]
	s_waitcnt vmcnt(0)
	v_fma_f64 v[1:2], v[1:2], v[9:10], -v[11:12]
	v_fma_f64 v[3:4], v[3:4], v[9:10], v[7:8]
.LBB42_182:
	s_and_saveexec_b32 s51, s5
	s_cbranch_execz .LBB42_186
; %bb.183:
	v_subrev_nc_u32_e32 v7, 20, v0
	s_movk_i32 s52, 0x3f0
	s_mov_b32 s5, 0
	s_mov_b32 s53, s29
	.p2align	6
.LBB42_184:                             ; =>This Inner Loop Header: Depth=1
	v_mov_b32_e32 v8, s53
	v_add_nc_u32_e32 v7, -1, v7
	s_add_i32 s53, s53, 16
	s_clause 0x3
	buffer_load_dword v12, v8, s[0:3], 0 offen offset:8
	buffer_load_dword v13, v8, s[0:3], 0 offen offset:12
	buffer_load_dword v14, v8, s[0:3], 0 offen
	buffer_load_dword v15, v8, s[0:3], 0 offen offset:4
	v_mov_b32_e32 v8, s52
	v_cmp_eq_u32_e32 vcc_lo, 0, v7
	s_add_i32 s52, s52, 16
	ds_read_b128 v[8:11], v8
	s_or_b32 s5, vcc_lo, s5
	s_waitcnt vmcnt(2) lgkmcnt(0)
	v_mul_f64 v[104:105], v[10:11], v[12:13]
	v_mul_f64 v[12:13], v[8:9], v[12:13]
	s_waitcnt vmcnt(0)
	v_fma_f64 v[8:9], v[8:9], v[14:15], -v[104:105]
	v_fma_f64 v[10:11], v[10:11], v[14:15], v[12:13]
	v_add_f64 v[1:2], v[1:2], v[8:9]
	v_add_f64 v[3:4], v[3:4], v[10:11]
	s_andn2_b32 exec_lo, exec_lo, s5
	s_cbranch_execnz .LBB42_184
; %bb.185:
	s_or_b32 exec_lo, exec_lo, s5
.LBB42_186:
	s_or_b32 exec_lo, exec_lo, s51
	v_mov_b32_e32 v7, 0
	ds_read_b128 v[7:10], v7 offset:304
	s_waitcnt lgkmcnt(0)
	v_mul_f64 v[11:12], v[3:4], v[9:10]
	v_mul_f64 v[9:10], v[1:2], v[9:10]
	v_fma_f64 v[1:2], v[1:2], v[7:8], -v[11:12]
	v_fma_f64 v[3:4], v[3:4], v[7:8], v[9:10]
	buffer_store_dword v2, off, s[0:3], 0 offset:308
	buffer_store_dword v1, off, s[0:3], 0 offset:304
	;; [unrolled: 1-line block ×4, first 2 shown]
.LBB42_187:
	s_or_b32 exec_lo, exec_lo, s8
	v_mov_b32_e32 v4, s31
	v_cmp_lt_u32_e64 s5, 18, v0
	s_clause 0x3
	buffer_load_dword v1, v4, s[0:3], 0 offen
	buffer_load_dword v2, v4, s[0:3], 0 offen offset:4
	buffer_load_dword v3, v4, s[0:3], 0 offen offset:8
	;; [unrolled: 1-line block ×3, first 2 shown]
	s_waitcnt vmcnt(0)
	ds_write_b128 v6, v[1:4]
	s_waitcnt lgkmcnt(0)
	s_waitcnt_vscnt null, 0x0
	s_barrier
	buffer_gl0_inv
	s_and_saveexec_b32 s8, s5
	s_cbranch_execz .LBB42_195
; %bb.188:
	ds_read_b128 v[1:4], v6
	s_andn2_b32 vcc_lo, exec_lo, s50
	s_cbranch_vccnz .LBB42_190
; %bb.189:
	s_clause 0x3
	buffer_load_dword v7, v5, s[0:3], 0 offen offset:8
	buffer_load_dword v8, v5, s[0:3], 0 offen offset:12
	buffer_load_dword v9, v5, s[0:3], 0 offen
	buffer_load_dword v10, v5, s[0:3], 0 offen offset:4
	s_waitcnt vmcnt(2) lgkmcnt(0)
	v_mul_f64 v[11:12], v[3:4], v[7:8]
	v_mul_f64 v[7:8], v[1:2], v[7:8]
	s_waitcnt vmcnt(0)
	v_fma_f64 v[1:2], v[1:2], v[9:10], -v[11:12]
	v_fma_f64 v[3:4], v[3:4], v[9:10], v[7:8]
.LBB42_190:
	s_and_saveexec_b32 s51, s4
	s_cbranch_execz .LBB42_194
; %bb.191:
	v_subrev_nc_u32_e32 v7, 19, v0
	s_movk_i32 s52, 0x3e0
	s_mov_b32 s4, 0
	s_mov_b32 s53, s30
	.p2align	6
.LBB42_192:                             ; =>This Inner Loop Header: Depth=1
	v_mov_b32_e32 v8, s53
	v_add_nc_u32_e32 v7, -1, v7
	s_add_i32 s53, s53, 16
	s_clause 0x3
	buffer_load_dword v12, v8, s[0:3], 0 offen offset:8
	buffer_load_dword v13, v8, s[0:3], 0 offen offset:12
	buffer_load_dword v14, v8, s[0:3], 0 offen
	buffer_load_dword v15, v8, s[0:3], 0 offen offset:4
	v_mov_b32_e32 v8, s52
	v_cmp_eq_u32_e32 vcc_lo, 0, v7
	s_add_i32 s52, s52, 16
	ds_read_b128 v[8:11], v8
	s_or_b32 s4, vcc_lo, s4
	s_waitcnt vmcnt(2) lgkmcnt(0)
	v_mul_f64 v[104:105], v[10:11], v[12:13]
	v_mul_f64 v[12:13], v[8:9], v[12:13]
	s_waitcnt vmcnt(0)
	v_fma_f64 v[8:9], v[8:9], v[14:15], -v[104:105]
	v_fma_f64 v[10:11], v[10:11], v[14:15], v[12:13]
	v_add_f64 v[1:2], v[1:2], v[8:9]
	v_add_f64 v[3:4], v[3:4], v[10:11]
	s_andn2_b32 exec_lo, exec_lo, s4
	s_cbranch_execnz .LBB42_192
; %bb.193:
	s_or_b32 exec_lo, exec_lo, s4
.LBB42_194:
	s_or_b32 exec_lo, exec_lo, s51
	v_mov_b32_e32 v7, 0
	ds_read_b128 v[7:10], v7 offset:288
	s_waitcnt lgkmcnt(0)
	v_mul_f64 v[11:12], v[3:4], v[9:10]
	v_mul_f64 v[9:10], v[1:2], v[9:10]
	v_fma_f64 v[1:2], v[1:2], v[7:8], -v[11:12]
	v_fma_f64 v[3:4], v[3:4], v[7:8], v[9:10]
	buffer_store_dword v2, off, s[0:3], 0 offset:292
	buffer_store_dword v1, off, s[0:3], 0 offset:288
	;; [unrolled: 1-line block ×4, first 2 shown]
.LBB42_195:
	s_or_b32 exec_lo, exec_lo, s8
	v_mov_b32_e32 v4, s33
	v_cmp_lt_u32_e64 s4, 17, v0
	s_clause 0x3
	buffer_load_dword v1, v4, s[0:3], 0 offen
	buffer_load_dword v2, v4, s[0:3], 0 offen offset:4
	buffer_load_dword v3, v4, s[0:3], 0 offen offset:8
	;; [unrolled: 1-line block ×3, first 2 shown]
	s_waitcnt vmcnt(0)
	ds_write_b128 v6, v[1:4]
	s_waitcnt lgkmcnt(0)
	s_waitcnt_vscnt null, 0x0
	s_barrier
	buffer_gl0_inv
	s_and_saveexec_b32 s8, s4
	s_cbranch_execz .LBB42_203
; %bb.196:
	ds_read_b128 v[1:4], v6
	s_andn2_b32 vcc_lo, exec_lo, s50
	s_cbranch_vccnz .LBB42_198
; %bb.197:
	s_clause 0x3
	buffer_load_dword v7, v5, s[0:3], 0 offen offset:8
	buffer_load_dword v8, v5, s[0:3], 0 offen offset:12
	buffer_load_dword v9, v5, s[0:3], 0 offen
	buffer_load_dword v10, v5, s[0:3], 0 offen offset:4
	s_waitcnt vmcnt(2) lgkmcnt(0)
	v_mul_f64 v[11:12], v[3:4], v[7:8]
	v_mul_f64 v[7:8], v[1:2], v[7:8]
	s_waitcnt vmcnt(0)
	v_fma_f64 v[1:2], v[1:2], v[9:10], -v[11:12]
	v_fma_f64 v[3:4], v[3:4], v[9:10], v[7:8]
.LBB42_198:
	s_and_saveexec_b32 s51, s5
	s_cbranch_execz .LBB42_202
; %bb.199:
	v_subrev_nc_u32_e32 v7, 18, v0
	s_movk_i32 s52, 0x3d0
	s_mov_b32 s5, 0
	s_mov_b32 s53, s31
	.p2align	6
.LBB42_200:                             ; =>This Inner Loop Header: Depth=1
	v_mov_b32_e32 v8, s53
	v_add_nc_u32_e32 v7, -1, v7
	s_add_i32 s53, s53, 16
	s_clause 0x3
	buffer_load_dword v12, v8, s[0:3], 0 offen offset:8
	buffer_load_dword v13, v8, s[0:3], 0 offen offset:12
	buffer_load_dword v14, v8, s[0:3], 0 offen
	buffer_load_dword v15, v8, s[0:3], 0 offen offset:4
	v_mov_b32_e32 v8, s52
	v_cmp_eq_u32_e32 vcc_lo, 0, v7
	s_add_i32 s52, s52, 16
	ds_read_b128 v[8:11], v8
	s_or_b32 s5, vcc_lo, s5
	s_waitcnt vmcnt(2) lgkmcnt(0)
	v_mul_f64 v[104:105], v[10:11], v[12:13]
	v_mul_f64 v[12:13], v[8:9], v[12:13]
	s_waitcnt vmcnt(0)
	v_fma_f64 v[8:9], v[8:9], v[14:15], -v[104:105]
	v_fma_f64 v[10:11], v[10:11], v[14:15], v[12:13]
	v_add_f64 v[1:2], v[1:2], v[8:9]
	v_add_f64 v[3:4], v[3:4], v[10:11]
	s_andn2_b32 exec_lo, exec_lo, s5
	s_cbranch_execnz .LBB42_200
; %bb.201:
	s_or_b32 exec_lo, exec_lo, s5
.LBB42_202:
	s_or_b32 exec_lo, exec_lo, s51
	v_mov_b32_e32 v7, 0
	ds_read_b128 v[7:10], v7 offset:272
	s_waitcnt lgkmcnt(0)
	v_mul_f64 v[11:12], v[3:4], v[9:10]
	v_mul_f64 v[9:10], v[1:2], v[9:10]
	v_fma_f64 v[1:2], v[1:2], v[7:8], -v[11:12]
	v_fma_f64 v[3:4], v[3:4], v[7:8], v[9:10]
	buffer_store_dword v2, off, s[0:3], 0 offset:276
	buffer_store_dword v1, off, s[0:3], 0 offset:272
	;; [unrolled: 1-line block ×4, first 2 shown]
.LBB42_203:
	s_or_b32 exec_lo, exec_lo, s8
	v_mov_b32_e32 v4, s34
	v_cmp_lt_u32_e64 s5, 16, v0
	s_clause 0x3
	buffer_load_dword v1, v4, s[0:3], 0 offen
	buffer_load_dword v2, v4, s[0:3], 0 offen offset:4
	buffer_load_dword v3, v4, s[0:3], 0 offen offset:8
	;; [unrolled: 1-line block ×3, first 2 shown]
	s_waitcnt vmcnt(0)
	ds_write_b128 v6, v[1:4]
	s_waitcnt lgkmcnt(0)
	s_waitcnt_vscnt null, 0x0
	s_barrier
	buffer_gl0_inv
	s_and_saveexec_b32 s8, s5
	s_cbranch_execz .LBB42_211
; %bb.204:
	ds_read_b128 v[1:4], v6
	s_andn2_b32 vcc_lo, exec_lo, s50
	s_cbranch_vccnz .LBB42_206
; %bb.205:
	s_clause 0x3
	buffer_load_dword v7, v5, s[0:3], 0 offen offset:8
	buffer_load_dword v8, v5, s[0:3], 0 offen offset:12
	buffer_load_dword v9, v5, s[0:3], 0 offen
	buffer_load_dword v10, v5, s[0:3], 0 offen offset:4
	s_waitcnt vmcnt(2) lgkmcnt(0)
	v_mul_f64 v[11:12], v[3:4], v[7:8]
	v_mul_f64 v[7:8], v[1:2], v[7:8]
	s_waitcnt vmcnt(0)
	v_fma_f64 v[1:2], v[1:2], v[9:10], -v[11:12]
	v_fma_f64 v[3:4], v[3:4], v[9:10], v[7:8]
.LBB42_206:
	s_and_saveexec_b32 s51, s4
	s_cbranch_execz .LBB42_210
; %bb.207:
	v_subrev_nc_u32_e32 v7, 17, v0
	s_movk_i32 s52, 0x3c0
	s_mov_b32 s4, 0
	s_mov_b32 s53, s33
	.p2align	6
.LBB42_208:                             ; =>This Inner Loop Header: Depth=1
	v_mov_b32_e32 v8, s53
	v_add_nc_u32_e32 v7, -1, v7
	s_add_i32 s53, s53, 16
	s_clause 0x3
	buffer_load_dword v12, v8, s[0:3], 0 offen offset:8
	buffer_load_dword v13, v8, s[0:3], 0 offen offset:12
	buffer_load_dword v14, v8, s[0:3], 0 offen
	buffer_load_dword v15, v8, s[0:3], 0 offen offset:4
	v_mov_b32_e32 v8, s52
	v_cmp_eq_u32_e32 vcc_lo, 0, v7
	s_add_i32 s52, s52, 16
	ds_read_b128 v[8:11], v8
	s_or_b32 s4, vcc_lo, s4
	s_waitcnt vmcnt(2) lgkmcnt(0)
	v_mul_f64 v[104:105], v[10:11], v[12:13]
	v_mul_f64 v[12:13], v[8:9], v[12:13]
	s_waitcnt vmcnt(0)
	v_fma_f64 v[8:9], v[8:9], v[14:15], -v[104:105]
	v_fma_f64 v[10:11], v[10:11], v[14:15], v[12:13]
	v_add_f64 v[1:2], v[1:2], v[8:9]
	v_add_f64 v[3:4], v[3:4], v[10:11]
	s_andn2_b32 exec_lo, exec_lo, s4
	s_cbranch_execnz .LBB42_208
; %bb.209:
	s_or_b32 exec_lo, exec_lo, s4
.LBB42_210:
	s_or_b32 exec_lo, exec_lo, s51
	v_mov_b32_e32 v7, 0
	ds_read_b128 v[7:10], v7 offset:256
	s_waitcnt lgkmcnt(0)
	v_mul_f64 v[11:12], v[3:4], v[9:10]
	v_mul_f64 v[9:10], v[1:2], v[9:10]
	v_fma_f64 v[1:2], v[1:2], v[7:8], -v[11:12]
	v_fma_f64 v[3:4], v[3:4], v[7:8], v[9:10]
	buffer_store_dword v2, off, s[0:3], 0 offset:260
	buffer_store_dword v1, off, s[0:3], 0 offset:256
	;; [unrolled: 1-line block ×4, first 2 shown]
.LBB42_211:
	s_or_b32 exec_lo, exec_lo, s8
	v_mov_b32_e32 v4, s35
	v_cmp_lt_u32_e64 s4, 15, v0
	s_clause 0x3
	buffer_load_dword v1, v4, s[0:3], 0 offen
	buffer_load_dword v2, v4, s[0:3], 0 offen offset:4
	buffer_load_dword v3, v4, s[0:3], 0 offen offset:8
	;; [unrolled: 1-line block ×3, first 2 shown]
	s_waitcnt vmcnt(0)
	ds_write_b128 v6, v[1:4]
	s_waitcnt lgkmcnt(0)
	s_waitcnt_vscnt null, 0x0
	s_barrier
	buffer_gl0_inv
	s_and_saveexec_b32 s8, s4
	s_cbranch_execz .LBB42_219
; %bb.212:
	ds_read_b128 v[1:4], v6
	s_andn2_b32 vcc_lo, exec_lo, s50
	s_cbranch_vccnz .LBB42_214
; %bb.213:
	s_clause 0x3
	buffer_load_dword v7, v5, s[0:3], 0 offen offset:8
	buffer_load_dword v8, v5, s[0:3], 0 offen offset:12
	buffer_load_dword v9, v5, s[0:3], 0 offen
	buffer_load_dword v10, v5, s[0:3], 0 offen offset:4
	s_waitcnt vmcnt(2) lgkmcnt(0)
	v_mul_f64 v[11:12], v[3:4], v[7:8]
	v_mul_f64 v[7:8], v[1:2], v[7:8]
	s_waitcnt vmcnt(0)
	v_fma_f64 v[1:2], v[1:2], v[9:10], -v[11:12]
	v_fma_f64 v[3:4], v[3:4], v[9:10], v[7:8]
.LBB42_214:
	s_and_saveexec_b32 s51, s5
	s_cbranch_execz .LBB42_218
; %bb.215:
	v_add_nc_u32_e32 v7, -16, v0
	s_movk_i32 s52, 0x3b0
	s_mov_b32 s5, 0
	s_mov_b32 s53, s34
	.p2align	6
.LBB42_216:                             ; =>This Inner Loop Header: Depth=1
	v_mov_b32_e32 v8, s53
	v_add_nc_u32_e32 v7, -1, v7
	s_add_i32 s53, s53, 16
	s_clause 0x3
	buffer_load_dword v12, v8, s[0:3], 0 offen offset:8
	buffer_load_dword v13, v8, s[0:3], 0 offen offset:12
	buffer_load_dword v14, v8, s[0:3], 0 offen
	buffer_load_dword v15, v8, s[0:3], 0 offen offset:4
	v_mov_b32_e32 v8, s52
	v_cmp_eq_u32_e32 vcc_lo, 0, v7
	s_add_i32 s52, s52, 16
	ds_read_b128 v[8:11], v8
	s_or_b32 s5, vcc_lo, s5
	s_waitcnt vmcnt(2) lgkmcnt(0)
	v_mul_f64 v[104:105], v[10:11], v[12:13]
	v_mul_f64 v[12:13], v[8:9], v[12:13]
	s_waitcnt vmcnt(0)
	v_fma_f64 v[8:9], v[8:9], v[14:15], -v[104:105]
	v_fma_f64 v[10:11], v[10:11], v[14:15], v[12:13]
	v_add_f64 v[1:2], v[1:2], v[8:9]
	v_add_f64 v[3:4], v[3:4], v[10:11]
	s_andn2_b32 exec_lo, exec_lo, s5
	s_cbranch_execnz .LBB42_216
; %bb.217:
	s_or_b32 exec_lo, exec_lo, s5
.LBB42_218:
	s_or_b32 exec_lo, exec_lo, s51
	v_mov_b32_e32 v7, 0
	ds_read_b128 v[7:10], v7 offset:240
	s_waitcnt lgkmcnt(0)
	v_mul_f64 v[11:12], v[3:4], v[9:10]
	v_mul_f64 v[9:10], v[1:2], v[9:10]
	v_fma_f64 v[1:2], v[1:2], v[7:8], -v[11:12]
	v_fma_f64 v[3:4], v[3:4], v[7:8], v[9:10]
	buffer_store_dword v2, off, s[0:3], 0 offset:244
	buffer_store_dword v1, off, s[0:3], 0 offset:240
	;; [unrolled: 1-line block ×4, first 2 shown]
.LBB42_219:
	s_or_b32 exec_lo, exec_lo, s8
	v_mov_b32_e32 v4, s36
	v_cmp_lt_u32_e64 s5, 14, v0
	s_clause 0x3
	buffer_load_dword v1, v4, s[0:3], 0 offen
	buffer_load_dword v2, v4, s[0:3], 0 offen offset:4
	buffer_load_dword v3, v4, s[0:3], 0 offen offset:8
	;; [unrolled: 1-line block ×3, first 2 shown]
	s_waitcnt vmcnt(0)
	ds_write_b128 v6, v[1:4]
	s_waitcnt lgkmcnt(0)
	s_waitcnt_vscnt null, 0x0
	s_barrier
	buffer_gl0_inv
	s_and_saveexec_b32 s8, s5
	s_cbranch_execz .LBB42_227
; %bb.220:
	ds_read_b128 v[1:4], v6
	s_andn2_b32 vcc_lo, exec_lo, s50
	s_cbranch_vccnz .LBB42_222
; %bb.221:
	s_clause 0x3
	buffer_load_dword v7, v5, s[0:3], 0 offen offset:8
	buffer_load_dword v8, v5, s[0:3], 0 offen offset:12
	buffer_load_dword v9, v5, s[0:3], 0 offen
	buffer_load_dword v10, v5, s[0:3], 0 offen offset:4
	s_waitcnt vmcnt(2) lgkmcnt(0)
	v_mul_f64 v[11:12], v[3:4], v[7:8]
	v_mul_f64 v[7:8], v[1:2], v[7:8]
	s_waitcnt vmcnt(0)
	v_fma_f64 v[1:2], v[1:2], v[9:10], -v[11:12]
	v_fma_f64 v[3:4], v[3:4], v[9:10], v[7:8]
.LBB42_222:
	s_and_saveexec_b32 s51, s4
	s_cbranch_execz .LBB42_226
; %bb.223:
	v_add_nc_u32_e32 v7, -15, v0
	s_movk_i32 s52, 0x3a0
	s_mov_b32 s4, 0
	s_mov_b32 s53, s35
	.p2align	6
.LBB42_224:                             ; =>This Inner Loop Header: Depth=1
	v_mov_b32_e32 v8, s53
	v_add_nc_u32_e32 v7, -1, v7
	s_add_i32 s53, s53, 16
	s_clause 0x3
	buffer_load_dword v12, v8, s[0:3], 0 offen offset:8
	buffer_load_dword v13, v8, s[0:3], 0 offen offset:12
	buffer_load_dword v14, v8, s[0:3], 0 offen
	buffer_load_dword v15, v8, s[0:3], 0 offen offset:4
	v_mov_b32_e32 v8, s52
	v_cmp_eq_u32_e32 vcc_lo, 0, v7
	s_add_i32 s52, s52, 16
	ds_read_b128 v[8:11], v8
	s_or_b32 s4, vcc_lo, s4
	s_waitcnt vmcnt(2) lgkmcnt(0)
	v_mul_f64 v[104:105], v[10:11], v[12:13]
	v_mul_f64 v[12:13], v[8:9], v[12:13]
	s_waitcnt vmcnt(0)
	v_fma_f64 v[8:9], v[8:9], v[14:15], -v[104:105]
	v_fma_f64 v[10:11], v[10:11], v[14:15], v[12:13]
	v_add_f64 v[1:2], v[1:2], v[8:9]
	v_add_f64 v[3:4], v[3:4], v[10:11]
	s_andn2_b32 exec_lo, exec_lo, s4
	s_cbranch_execnz .LBB42_224
; %bb.225:
	s_or_b32 exec_lo, exec_lo, s4
.LBB42_226:
	s_or_b32 exec_lo, exec_lo, s51
	v_mov_b32_e32 v7, 0
	ds_read_b128 v[7:10], v7 offset:224
	s_waitcnt lgkmcnt(0)
	v_mul_f64 v[11:12], v[3:4], v[9:10]
	v_mul_f64 v[9:10], v[1:2], v[9:10]
	v_fma_f64 v[1:2], v[1:2], v[7:8], -v[11:12]
	v_fma_f64 v[3:4], v[3:4], v[7:8], v[9:10]
	buffer_store_dword v2, off, s[0:3], 0 offset:228
	buffer_store_dword v1, off, s[0:3], 0 offset:224
	;; [unrolled: 1-line block ×4, first 2 shown]
.LBB42_227:
	s_or_b32 exec_lo, exec_lo, s8
	v_mov_b32_e32 v4, s37
	v_cmp_lt_u32_e64 s4, 13, v0
	s_clause 0x3
	buffer_load_dword v1, v4, s[0:3], 0 offen
	buffer_load_dword v2, v4, s[0:3], 0 offen offset:4
	buffer_load_dword v3, v4, s[0:3], 0 offen offset:8
	;; [unrolled: 1-line block ×3, first 2 shown]
	s_waitcnt vmcnt(0)
	ds_write_b128 v6, v[1:4]
	s_waitcnt lgkmcnt(0)
	s_waitcnt_vscnt null, 0x0
	s_barrier
	buffer_gl0_inv
	s_and_saveexec_b32 s8, s4
	s_cbranch_execz .LBB42_235
; %bb.228:
	ds_read_b128 v[1:4], v6
	s_andn2_b32 vcc_lo, exec_lo, s50
	s_cbranch_vccnz .LBB42_230
; %bb.229:
	s_clause 0x3
	buffer_load_dword v7, v5, s[0:3], 0 offen offset:8
	buffer_load_dword v8, v5, s[0:3], 0 offen offset:12
	buffer_load_dword v9, v5, s[0:3], 0 offen
	buffer_load_dword v10, v5, s[0:3], 0 offen offset:4
	s_waitcnt vmcnt(2) lgkmcnt(0)
	v_mul_f64 v[11:12], v[3:4], v[7:8]
	v_mul_f64 v[7:8], v[1:2], v[7:8]
	s_waitcnt vmcnt(0)
	v_fma_f64 v[1:2], v[1:2], v[9:10], -v[11:12]
	v_fma_f64 v[3:4], v[3:4], v[9:10], v[7:8]
.LBB42_230:
	s_and_saveexec_b32 s51, s5
	s_cbranch_execz .LBB42_234
; %bb.231:
	v_add_nc_u32_e32 v7, -14, v0
	s_movk_i32 s52, 0x390
	s_mov_b32 s5, 0
	s_mov_b32 s53, s36
	.p2align	6
.LBB42_232:                             ; =>This Inner Loop Header: Depth=1
	v_mov_b32_e32 v8, s53
	v_add_nc_u32_e32 v7, -1, v7
	s_add_i32 s53, s53, 16
	s_clause 0x3
	buffer_load_dword v12, v8, s[0:3], 0 offen offset:8
	buffer_load_dword v13, v8, s[0:3], 0 offen offset:12
	buffer_load_dword v14, v8, s[0:3], 0 offen
	buffer_load_dword v15, v8, s[0:3], 0 offen offset:4
	v_mov_b32_e32 v8, s52
	v_cmp_eq_u32_e32 vcc_lo, 0, v7
	s_add_i32 s52, s52, 16
	ds_read_b128 v[8:11], v8
	s_or_b32 s5, vcc_lo, s5
	s_waitcnt vmcnt(2) lgkmcnt(0)
	v_mul_f64 v[104:105], v[10:11], v[12:13]
	v_mul_f64 v[12:13], v[8:9], v[12:13]
	s_waitcnt vmcnt(0)
	v_fma_f64 v[8:9], v[8:9], v[14:15], -v[104:105]
	v_fma_f64 v[10:11], v[10:11], v[14:15], v[12:13]
	v_add_f64 v[1:2], v[1:2], v[8:9]
	v_add_f64 v[3:4], v[3:4], v[10:11]
	s_andn2_b32 exec_lo, exec_lo, s5
	s_cbranch_execnz .LBB42_232
; %bb.233:
	s_or_b32 exec_lo, exec_lo, s5
.LBB42_234:
	s_or_b32 exec_lo, exec_lo, s51
	v_mov_b32_e32 v7, 0
	ds_read_b128 v[7:10], v7 offset:208
	s_waitcnt lgkmcnt(0)
	v_mul_f64 v[11:12], v[3:4], v[9:10]
	v_mul_f64 v[9:10], v[1:2], v[9:10]
	v_fma_f64 v[1:2], v[1:2], v[7:8], -v[11:12]
	v_fma_f64 v[3:4], v[3:4], v[7:8], v[9:10]
	buffer_store_dword v2, off, s[0:3], 0 offset:212
	buffer_store_dword v1, off, s[0:3], 0 offset:208
	;; [unrolled: 1-line block ×4, first 2 shown]
.LBB42_235:
	s_or_b32 exec_lo, exec_lo, s8
	v_mov_b32_e32 v4, s38
	v_cmp_lt_u32_e64 s5, 12, v0
	s_clause 0x3
	buffer_load_dword v1, v4, s[0:3], 0 offen
	buffer_load_dword v2, v4, s[0:3], 0 offen offset:4
	buffer_load_dword v3, v4, s[0:3], 0 offen offset:8
	;; [unrolled: 1-line block ×3, first 2 shown]
	s_waitcnt vmcnt(0)
	ds_write_b128 v6, v[1:4]
	s_waitcnt lgkmcnt(0)
	s_waitcnt_vscnt null, 0x0
	s_barrier
	buffer_gl0_inv
	s_and_saveexec_b32 s8, s5
	s_cbranch_execz .LBB42_243
; %bb.236:
	ds_read_b128 v[1:4], v6
	s_andn2_b32 vcc_lo, exec_lo, s50
	s_cbranch_vccnz .LBB42_238
; %bb.237:
	s_clause 0x3
	buffer_load_dword v7, v5, s[0:3], 0 offen offset:8
	buffer_load_dword v8, v5, s[0:3], 0 offen offset:12
	buffer_load_dword v9, v5, s[0:3], 0 offen
	buffer_load_dword v10, v5, s[0:3], 0 offen offset:4
	s_waitcnt vmcnt(2) lgkmcnt(0)
	v_mul_f64 v[11:12], v[3:4], v[7:8]
	v_mul_f64 v[7:8], v[1:2], v[7:8]
	s_waitcnt vmcnt(0)
	v_fma_f64 v[1:2], v[1:2], v[9:10], -v[11:12]
	v_fma_f64 v[3:4], v[3:4], v[9:10], v[7:8]
.LBB42_238:
	s_and_saveexec_b32 s51, s4
	s_cbranch_execz .LBB42_242
; %bb.239:
	v_add_nc_u32_e32 v7, -13, v0
	s_movk_i32 s52, 0x380
	s_mov_b32 s4, 0
	s_mov_b32 s53, s37
	.p2align	6
.LBB42_240:                             ; =>This Inner Loop Header: Depth=1
	v_mov_b32_e32 v8, s53
	v_add_nc_u32_e32 v7, -1, v7
	s_add_i32 s53, s53, 16
	s_clause 0x3
	buffer_load_dword v12, v8, s[0:3], 0 offen offset:8
	buffer_load_dword v13, v8, s[0:3], 0 offen offset:12
	buffer_load_dword v14, v8, s[0:3], 0 offen
	buffer_load_dword v15, v8, s[0:3], 0 offen offset:4
	v_mov_b32_e32 v8, s52
	v_cmp_eq_u32_e32 vcc_lo, 0, v7
	s_add_i32 s52, s52, 16
	ds_read_b128 v[8:11], v8
	s_or_b32 s4, vcc_lo, s4
	s_waitcnt vmcnt(2) lgkmcnt(0)
	v_mul_f64 v[104:105], v[10:11], v[12:13]
	v_mul_f64 v[12:13], v[8:9], v[12:13]
	s_waitcnt vmcnt(0)
	v_fma_f64 v[8:9], v[8:9], v[14:15], -v[104:105]
	v_fma_f64 v[10:11], v[10:11], v[14:15], v[12:13]
	v_add_f64 v[1:2], v[1:2], v[8:9]
	v_add_f64 v[3:4], v[3:4], v[10:11]
	s_andn2_b32 exec_lo, exec_lo, s4
	s_cbranch_execnz .LBB42_240
; %bb.241:
	s_or_b32 exec_lo, exec_lo, s4
.LBB42_242:
	s_or_b32 exec_lo, exec_lo, s51
	v_mov_b32_e32 v7, 0
	ds_read_b128 v[7:10], v7 offset:192
	s_waitcnt lgkmcnt(0)
	v_mul_f64 v[11:12], v[3:4], v[9:10]
	v_mul_f64 v[9:10], v[1:2], v[9:10]
	v_fma_f64 v[1:2], v[1:2], v[7:8], -v[11:12]
	v_fma_f64 v[3:4], v[3:4], v[7:8], v[9:10]
	buffer_store_dword v2, off, s[0:3], 0 offset:196
	buffer_store_dword v1, off, s[0:3], 0 offset:192
	;; [unrolled: 1-line block ×4, first 2 shown]
.LBB42_243:
	s_or_b32 exec_lo, exec_lo, s8
	v_mov_b32_e32 v4, s39
	v_cmp_lt_u32_e64 s4, 11, v0
	s_clause 0x3
	buffer_load_dword v1, v4, s[0:3], 0 offen
	buffer_load_dword v2, v4, s[0:3], 0 offen offset:4
	buffer_load_dword v3, v4, s[0:3], 0 offen offset:8
	;; [unrolled: 1-line block ×3, first 2 shown]
	s_waitcnt vmcnt(0)
	ds_write_b128 v6, v[1:4]
	s_waitcnt lgkmcnt(0)
	s_waitcnt_vscnt null, 0x0
	s_barrier
	buffer_gl0_inv
	s_and_saveexec_b32 s8, s4
	s_cbranch_execz .LBB42_251
; %bb.244:
	ds_read_b128 v[1:4], v6
	s_andn2_b32 vcc_lo, exec_lo, s50
	s_cbranch_vccnz .LBB42_246
; %bb.245:
	s_clause 0x3
	buffer_load_dword v7, v5, s[0:3], 0 offen offset:8
	buffer_load_dword v8, v5, s[0:3], 0 offen offset:12
	buffer_load_dword v9, v5, s[0:3], 0 offen
	buffer_load_dword v10, v5, s[0:3], 0 offen offset:4
	s_waitcnt vmcnt(2) lgkmcnt(0)
	v_mul_f64 v[11:12], v[3:4], v[7:8]
	v_mul_f64 v[7:8], v[1:2], v[7:8]
	s_waitcnt vmcnt(0)
	v_fma_f64 v[1:2], v[1:2], v[9:10], -v[11:12]
	v_fma_f64 v[3:4], v[3:4], v[9:10], v[7:8]
.LBB42_246:
	s_and_saveexec_b32 s51, s5
	s_cbranch_execz .LBB42_250
; %bb.247:
	v_add_nc_u32_e32 v7, -12, v0
	s_movk_i32 s52, 0x370
	s_mov_b32 s5, 0
	s_mov_b32 s53, s38
	.p2align	6
.LBB42_248:                             ; =>This Inner Loop Header: Depth=1
	v_mov_b32_e32 v8, s53
	v_add_nc_u32_e32 v7, -1, v7
	s_add_i32 s53, s53, 16
	s_clause 0x3
	buffer_load_dword v12, v8, s[0:3], 0 offen offset:8
	buffer_load_dword v13, v8, s[0:3], 0 offen offset:12
	buffer_load_dword v14, v8, s[0:3], 0 offen
	buffer_load_dword v15, v8, s[0:3], 0 offen offset:4
	v_mov_b32_e32 v8, s52
	v_cmp_eq_u32_e32 vcc_lo, 0, v7
	s_add_i32 s52, s52, 16
	ds_read_b128 v[8:11], v8
	s_or_b32 s5, vcc_lo, s5
	s_waitcnt vmcnt(2) lgkmcnt(0)
	v_mul_f64 v[104:105], v[10:11], v[12:13]
	v_mul_f64 v[12:13], v[8:9], v[12:13]
	s_waitcnt vmcnt(0)
	v_fma_f64 v[8:9], v[8:9], v[14:15], -v[104:105]
	v_fma_f64 v[10:11], v[10:11], v[14:15], v[12:13]
	v_add_f64 v[1:2], v[1:2], v[8:9]
	v_add_f64 v[3:4], v[3:4], v[10:11]
	s_andn2_b32 exec_lo, exec_lo, s5
	s_cbranch_execnz .LBB42_248
; %bb.249:
	s_or_b32 exec_lo, exec_lo, s5
.LBB42_250:
	s_or_b32 exec_lo, exec_lo, s51
	v_mov_b32_e32 v7, 0
	ds_read_b128 v[7:10], v7 offset:176
	s_waitcnt lgkmcnt(0)
	v_mul_f64 v[11:12], v[3:4], v[9:10]
	v_mul_f64 v[9:10], v[1:2], v[9:10]
	v_fma_f64 v[1:2], v[1:2], v[7:8], -v[11:12]
	v_fma_f64 v[3:4], v[3:4], v[7:8], v[9:10]
	buffer_store_dword v2, off, s[0:3], 0 offset:180
	buffer_store_dword v1, off, s[0:3], 0 offset:176
	;; [unrolled: 1-line block ×4, first 2 shown]
.LBB42_251:
	s_or_b32 exec_lo, exec_lo, s8
	v_mov_b32_e32 v4, s40
	v_cmp_lt_u32_e64 s5, 10, v0
	s_clause 0x3
	buffer_load_dword v1, v4, s[0:3], 0 offen
	buffer_load_dword v2, v4, s[0:3], 0 offen offset:4
	buffer_load_dword v3, v4, s[0:3], 0 offen offset:8
	;; [unrolled: 1-line block ×3, first 2 shown]
	s_waitcnt vmcnt(0)
	ds_write_b128 v6, v[1:4]
	s_waitcnt lgkmcnt(0)
	s_waitcnt_vscnt null, 0x0
	s_barrier
	buffer_gl0_inv
	s_and_saveexec_b32 s8, s5
	s_cbranch_execz .LBB42_259
; %bb.252:
	ds_read_b128 v[1:4], v6
	s_andn2_b32 vcc_lo, exec_lo, s50
	s_cbranch_vccnz .LBB42_254
; %bb.253:
	s_clause 0x3
	buffer_load_dword v7, v5, s[0:3], 0 offen offset:8
	buffer_load_dword v8, v5, s[0:3], 0 offen offset:12
	buffer_load_dword v9, v5, s[0:3], 0 offen
	buffer_load_dword v10, v5, s[0:3], 0 offen offset:4
	s_waitcnt vmcnt(2) lgkmcnt(0)
	v_mul_f64 v[11:12], v[3:4], v[7:8]
	v_mul_f64 v[7:8], v[1:2], v[7:8]
	s_waitcnt vmcnt(0)
	v_fma_f64 v[1:2], v[1:2], v[9:10], -v[11:12]
	v_fma_f64 v[3:4], v[3:4], v[9:10], v[7:8]
.LBB42_254:
	s_and_saveexec_b32 s51, s4
	s_cbranch_execz .LBB42_258
; %bb.255:
	v_add_nc_u32_e32 v7, -11, v0
	s_movk_i32 s52, 0x360
	s_mov_b32 s4, 0
	s_mov_b32 s53, s39
	.p2align	6
.LBB42_256:                             ; =>This Inner Loop Header: Depth=1
	v_mov_b32_e32 v8, s53
	v_add_nc_u32_e32 v7, -1, v7
	s_add_i32 s53, s53, 16
	s_clause 0x3
	buffer_load_dword v12, v8, s[0:3], 0 offen offset:8
	buffer_load_dword v13, v8, s[0:3], 0 offen offset:12
	buffer_load_dword v14, v8, s[0:3], 0 offen
	buffer_load_dword v15, v8, s[0:3], 0 offen offset:4
	v_mov_b32_e32 v8, s52
	v_cmp_eq_u32_e32 vcc_lo, 0, v7
	s_add_i32 s52, s52, 16
	ds_read_b128 v[8:11], v8
	s_or_b32 s4, vcc_lo, s4
	s_waitcnt vmcnt(2) lgkmcnt(0)
	v_mul_f64 v[104:105], v[10:11], v[12:13]
	v_mul_f64 v[12:13], v[8:9], v[12:13]
	s_waitcnt vmcnt(0)
	v_fma_f64 v[8:9], v[8:9], v[14:15], -v[104:105]
	v_fma_f64 v[10:11], v[10:11], v[14:15], v[12:13]
	v_add_f64 v[1:2], v[1:2], v[8:9]
	v_add_f64 v[3:4], v[3:4], v[10:11]
	s_andn2_b32 exec_lo, exec_lo, s4
	s_cbranch_execnz .LBB42_256
; %bb.257:
	s_or_b32 exec_lo, exec_lo, s4
.LBB42_258:
	s_or_b32 exec_lo, exec_lo, s51
	v_mov_b32_e32 v7, 0
	ds_read_b128 v[7:10], v7 offset:160
	s_waitcnt lgkmcnt(0)
	v_mul_f64 v[11:12], v[3:4], v[9:10]
	v_mul_f64 v[9:10], v[1:2], v[9:10]
	v_fma_f64 v[1:2], v[1:2], v[7:8], -v[11:12]
	v_fma_f64 v[3:4], v[3:4], v[7:8], v[9:10]
	buffer_store_dword v2, off, s[0:3], 0 offset:164
	buffer_store_dword v1, off, s[0:3], 0 offset:160
	;; [unrolled: 1-line block ×4, first 2 shown]
.LBB42_259:
	s_or_b32 exec_lo, exec_lo, s8
	v_mov_b32_e32 v4, s41
	v_cmp_lt_u32_e64 s4, 9, v0
	s_clause 0x3
	buffer_load_dword v1, v4, s[0:3], 0 offen
	buffer_load_dword v2, v4, s[0:3], 0 offen offset:4
	buffer_load_dword v3, v4, s[0:3], 0 offen offset:8
	;; [unrolled: 1-line block ×3, first 2 shown]
	s_waitcnt vmcnt(0)
	ds_write_b128 v6, v[1:4]
	s_waitcnt lgkmcnt(0)
	s_waitcnt_vscnt null, 0x0
	s_barrier
	buffer_gl0_inv
	s_and_saveexec_b32 s8, s4
	s_cbranch_execz .LBB42_267
; %bb.260:
	ds_read_b128 v[1:4], v6
	s_andn2_b32 vcc_lo, exec_lo, s50
	s_cbranch_vccnz .LBB42_262
; %bb.261:
	s_clause 0x3
	buffer_load_dword v7, v5, s[0:3], 0 offen offset:8
	buffer_load_dword v8, v5, s[0:3], 0 offen offset:12
	buffer_load_dword v9, v5, s[0:3], 0 offen
	buffer_load_dword v10, v5, s[0:3], 0 offen offset:4
	s_waitcnt vmcnt(2) lgkmcnt(0)
	v_mul_f64 v[11:12], v[3:4], v[7:8]
	v_mul_f64 v[7:8], v[1:2], v[7:8]
	s_waitcnt vmcnt(0)
	v_fma_f64 v[1:2], v[1:2], v[9:10], -v[11:12]
	v_fma_f64 v[3:4], v[3:4], v[9:10], v[7:8]
.LBB42_262:
	s_and_saveexec_b32 s51, s5
	s_cbranch_execz .LBB42_266
; %bb.263:
	v_add_nc_u32_e32 v7, -10, v0
	s_movk_i32 s52, 0x350
	s_mov_b32 s5, 0
	s_mov_b32 s53, s40
	.p2align	6
.LBB42_264:                             ; =>This Inner Loop Header: Depth=1
	v_mov_b32_e32 v8, s53
	v_add_nc_u32_e32 v7, -1, v7
	s_add_i32 s53, s53, 16
	s_clause 0x3
	buffer_load_dword v12, v8, s[0:3], 0 offen offset:8
	buffer_load_dword v13, v8, s[0:3], 0 offen offset:12
	buffer_load_dword v14, v8, s[0:3], 0 offen
	buffer_load_dword v15, v8, s[0:3], 0 offen offset:4
	v_mov_b32_e32 v8, s52
	v_cmp_eq_u32_e32 vcc_lo, 0, v7
	s_add_i32 s52, s52, 16
	ds_read_b128 v[8:11], v8
	s_or_b32 s5, vcc_lo, s5
	s_waitcnt vmcnt(2) lgkmcnt(0)
	v_mul_f64 v[104:105], v[10:11], v[12:13]
	v_mul_f64 v[12:13], v[8:9], v[12:13]
	s_waitcnt vmcnt(0)
	v_fma_f64 v[8:9], v[8:9], v[14:15], -v[104:105]
	v_fma_f64 v[10:11], v[10:11], v[14:15], v[12:13]
	v_add_f64 v[1:2], v[1:2], v[8:9]
	v_add_f64 v[3:4], v[3:4], v[10:11]
	s_andn2_b32 exec_lo, exec_lo, s5
	s_cbranch_execnz .LBB42_264
; %bb.265:
	s_or_b32 exec_lo, exec_lo, s5
.LBB42_266:
	s_or_b32 exec_lo, exec_lo, s51
	v_mov_b32_e32 v7, 0
	ds_read_b128 v[7:10], v7 offset:144
	s_waitcnt lgkmcnt(0)
	v_mul_f64 v[11:12], v[3:4], v[9:10]
	v_mul_f64 v[9:10], v[1:2], v[9:10]
	v_fma_f64 v[1:2], v[1:2], v[7:8], -v[11:12]
	v_fma_f64 v[3:4], v[3:4], v[7:8], v[9:10]
	buffer_store_dword v2, off, s[0:3], 0 offset:148
	buffer_store_dword v1, off, s[0:3], 0 offset:144
	;; [unrolled: 1-line block ×4, first 2 shown]
.LBB42_267:
	s_or_b32 exec_lo, exec_lo, s8
	v_mov_b32_e32 v4, s42
	v_cmp_lt_u32_e64 s5, 8, v0
	s_clause 0x3
	buffer_load_dword v1, v4, s[0:3], 0 offen
	buffer_load_dword v2, v4, s[0:3], 0 offen offset:4
	buffer_load_dword v3, v4, s[0:3], 0 offen offset:8
	;; [unrolled: 1-line block ×3, first 2 shown]
	s_waitcnt vmcnt(0)
	ds_write_b128 v6, v[1:4]
	s_waitcnt lgkmcnt(0)
	s_waitcnt_vscnt null, 0x0
	s_barrier
	buffer_gl0_inv
	s_and_saveexec_b32 s8, s5
	s_cbranch_execz .LBB42_275
; %bb.268:
	ds_read_b128 v[1:4], v6
	s_andn2_b32 vcc_lo, exec_lo, s50
	s_cbranch_vccnz .LBB42_270
; %bb.269:
	s_clause 0x3
	buffer_load_dword v7, v5, s[0:3], 0 offen offset:8
	buffer_load_dword v8, v5, s[0:3], 0 offen offset:12
	buffer_load_dword v9, v5, s[0:3], 0 offen
	buffer_load_dword v10, v5, s[0:3], 0 offen offset:4
	s_waitcnt vmcnt(2) lgkmcnt(0)
	v_mul_f64 v[11:12], v[3:4], v[7:8]
	v_mul_f64 v[7:8], v[1:2], v[7:8]
	s_waitcnt vmcnt(0)
	v_fma_f64 v[1:2], v[1:2], v[9:10], -v[11:12]
	v_fma_f64 v[3:4], v[3:4], v[9:10], v[7:8]
.LBB42_270:
	s_and_saveexec_b32 s51, s4
	s_cbranch_execz .LBB42_274
; %bb.271:
	v_add_nc_u32_e32 v7, -9, v0
	s_movk_i32 s52, 0x340
	s_mov_b32 s4, 0
	s_mov_b32 s53, s41
	.p2align	6
.LBB42_272:                             ; =>This Inner Loop Header: Depth=1
	v_mov_b32_e32 v8, s53
	v_add_nc_u32_e32 v7, -1, v7
	s_add_i32 s53, s53, 16
	s_clause 0x3
	buffer_load_dword v12, v8, s[0:3], 0 offen offset:8
	buffer_load_dword v13, v8, s[0:3], 0 offen offset:12
	buffer_load_dword v14, v8, s[0:3], 0 offen
	buffer_load_dword v15, v8, s[0:3], 0 offen offset:4
	v_mov_b32_e32 v8, s52
	v_cmp_eq_u32_e32 vcc_lo, 0, v7
	s_add_i32 s52, s52, 16
	ds_read_b128 v[8:11], v8
	s_or_b32 s4, vcc_lo, s4
	s_waitcnt vmcnt(2) lgkmcnt(0)
	v_mul_f64 v[104:105], v[10:11], v[12:13]
	v_mul_f64 v[12:13], v[8:9], v[12:13]
	s_waitcnt vmcnt(0)
	v_fma_f64 v[8:9], v[8:9], v[14:15], -v[104:105]
	v_fma_f64 v[10:11], v[10:11], v[14:15], v[12:13]
	v_add_f64 v[1:2], v[1:2], v[8:9]
	v_add_f64 v[3:4], v[3:4], v[10:11]
	s_andn2_b32 exec_lo, exec_lo, s4
	s_cbranch_execnz .LBB42_272
; %bb.273:
	s_or_b32 exec_lo, exec_lo, s4
.LBB42_274:
	s_or_b32 exec_lo, exec_lo, s51
	v_mov_b32_e32 v7, 0
	ds_read_b128 v[7:10], v7 offset:128
	s_waitcnt lgkmcnt(0)
	v_mul_f64 v[11:12], v[3:4], v[9:10]
	v_mul_f64 v[9:10], v[1:2], v[9:10]
	v_fma_f64 v[1:2], v[1:2], v[7:8], -v[11:12]
	v_fma_f64 v[3:4], v[3:4], v[7:8], v[9:10]
	buffer_store_dword v2, off, s[0:3], 0 offset:132
	buffer_store_dword v1, off, s[0:3], 0 offset:128
	;; [unrolled: 1-line block ×4, first 2 shown]
.LBB42_275:
	s_or_b32 exec_lo, exec_lo, s8
	v_mov_b32_e32 v4, s43
	v_cmp_lt_u32_e64 s4, 7, v0
	s_clause 0x3
	buffer_load_dword v1, v4, s[0:3], 0 offen
	buffer_load_dword v2, v4, s[0:3], 0 offen offset:4
	buffer_load_dword v3, v4, s[0:3], 0 offen offset:8
	;; [unrolled: 1-line block ×3, first 2 shown]
	s_waitcnt vmcnt(0)
	ds_write_b128 v6, v[1:4]
	s_waitcnt lgkmcnt(0)
	s_waitcnt_vscnt null, 0x0
	s_barrier
	buffer_gl0_inv
	s_and_saveexec_b32 s8, s4
	s_cbranch_execz .LBB42_283
; %bb.276:
	ds_read_b128 v[1:4], v6
	s_andn2_b32 vcc_lo, exec_lo, s50
	s_cbranch_vccnz .LBB42_278
; %bb.277:
	s_clause 0x3
	buffer_load_dword v7, v5, s[0:3], 0 offen offset:8
	buffer_load_dword v8, v5, s[0:3], 0 offen offset:12
	buffer_load_dword v9, v5, s[0:3], 0 offen
	buffer_load_dword v10, v5, s[0:3], 0 offen offset:4
	s_waitcnt vmcnt(2) lgkmcnt(0)
	v_mul_f64 v[11:12], v[3:4], v[7:8]
	v_mul_f64 v[7:8], v[1:2], v[7:8]
	s_waitcnt vmcnt(0)
	v_fma_f64 v[1:2], v[1:2], v[9:10], -v[11:12]
	v_fma_f64 v[3:4], v[3:4], v[9:10], v[7:8]
.LBB42_278:
	s_and_saveexec_b32 s51, s5
	s_cbranch_execz .LBB42_282
; %bb.279:
	v_add_nc_u32_e32 v7, -8, v0
	s_movk_i32 s52, 0x330
	s_mov_b32 s5, 0
	s_mov_b32 s53, s42
	.p2align	6
.LBB42_280:                             ; =>This Inner Loop Header: Depth=1
	v_mov_b32_e32 v8, s53
	v_add_nc_u32_e32 v7, -1, v7
	s_add_i32 s53, s53, 16
	s_clause 0x3
	buffer_load_dword v12, v8, s[0:3], 0 offen offset:8
	buffer_load_dword v13, v8, s[0:3], 0 offen offset:12
	buffer_load_dword v14, v8, s[0:3], 0 offen
	buffer_load_dword v15, v8, s[0:3], 0 offen offset:4
	v_mov_b32_e32 v8, s52
	v_cmp_eq_u32_e32 vcc_lo, 0, v7
	s_add_i32 s52, s52, 16
	ds_read_b128 v[8:11], v8
	s_or_b32 s5, vcc_lo, s5
	s_waitcnt vmcnt(2) lgkmcnt(0)
	v_mul_f64 v[104:105], v[10:11], v[12:13]
	v_mul_f64 v[12:13], v[8:9], v[12:13]
	s_waitcnt vmcnt(0)
	v_fma_f64 v[8:9], v[8:9], v[14:15], -v[104:105]
	v_fma_f64 v[10:11], v[10:11], v[14:15], v[12:13]
	v_add_f64 v[1:2], v[1:2], v[8:9]
	v_add_f64 v[3:4], v[3:4], v[10:11]
	s_andn2_b32 exec_lo, exec_lo, s5
	s_cbranch_execnz .LBB42_280
; %bb.281:
	s_or_b32 exec_lo, exec_lo, s5
.LBB42_282:
	s_or_b32 exec_lo, exec_lo, s51
	v_mov_b32_e32 v7, 0
	ds_read_b128 v[7:10], v7 offset:112
	s_waitcnt lgkmcnt(0)
	v_mul_f64 v[11:12], v[3:4], v[9:10]
	v_mul_f64 v[9:10], v[1:2], v[9:10]
	v_fma_f64 v[1:2], v[1:2], v[7:8], -v[11:12]
	v_fma_f64 v[3:4], v[3:4], v[7:8], v[9:10]
	buffer_store_dword v2, off, s[0:3], 0 offset:116
	buffer_store_dword v1, off, s[0:3], 0 offset:112
	;; [unrolled: 1-line block ×4, first 2 shown]
.LBB42_283:
	s_or_b32 exec_lo, exec_lo, s8
	v_mov_b32_e32 v4, s44
	v_cmp_lt_u32_e64 s5, 6, v0
	s_clause 0x3
	buffer_load_dword v1, v4, s[0:3], 0 offen
	buffer_load_dword v2, v4, s[0:3], 0 offen offset:4
	buffer_load_dword v3, v4, s[0:3], 0 offen offset:8
	;; [unrolled: 1-line block ×3, first 2 shown]
	s_waitcnt vmcnt(0)
	ds_write_b128 v6, v[1:4]
	s_waitcnt lgkmcnt(0)
	s_waitcnt_vscnt null, 0x0
	s_barrier
	buffer_gl0_inv
	s_and_saveexec_b32 s8, s5
	s_cbranch_execz .LBB42_291
; %bb.284:
	ds_read_b128 v[1:4], v6
	s_andn2_b32 vcc_lo, exec_lo, s50
	s_cbranch_vccnz .LBB42_286
; %bb.285:
	s_clause 0x3
	buffer_load_dword v7, v5, s[0:3], 0 offen offset:8
	buffer_load_dword v8, v5, s[0:3], 0 offen offset:12
	buffer_load_dword v9, v5, s[0:3], 0 offen
	buffer_load_dword v10, v5, s[0:3], 0 offen offset:4
	s_waitcnt vmcnt(2) lgkmcnt(0)
	v_mul_f64 v[11:12], v[3:4], v[7:8]
	v_mul_f64 v[7:8], v[1:2], v[7:8]
	s_waitcnt vmcnt(0)
	v_fma_f64 v[1:2], v[1:2], v[9:10], -v[11:12]
	v_fma_f64 v[3:4], v[3:4], v[9:10], v[7:8]
.LBB42_286:
	s_and_saveexec_b32 s51, s4
	s_cbranch_execz .LBB42_290
; %bb.287:
	v_add_nc_u32_e32 v7, -7, v0
	s_movk_i32 s52, 0x320
	s_mov_b32 s4, 0
	s_mov_b32 s53, s43
	.p2align	6
.LBB42_288:                             ; =>This Inner Loop Header: Depth=1
	v_mov_b32_e32 v8, s53
	v_add_nc_u32_e32 v7, -1, v7
	s_add_i32 s53, s53, 16
	s_clause 0x3
	buffer_load_dword v12, v8, s[0:3], 0 offen offset:8
	buffer_load_dword v13, v8, s[0:3], 0 offen offset:12
	buffer_load_dword v14, v8, s[0:3], 0 offen
	buffer_load_dword v15, v8, s[0:3], 0 offen offset:4
	v_mov_b32_e32 v8, s52
	v_cmp_eq_u32_e32 vcc_lo, 0, v7
	s_add_i32 s52, s52, 16
	ds_read_b128 v[8:11], v8
	s_or_b32 s4, vcc_lo, s4
	s_waitcnt vmcnt(2) lgkmcnt(0)
	v_mul_f64 v[104:105], v[10:11], v[12:13]
	v_mul_f64 v[12:13], v[8:9], v[12:13]
	s_waitcnt vmcnt(0)
	v_fma_f64 v[8:9], v[8:9], v[14:15], -v[104:105]
	v_fma_f64 v[10:11], v[10:11], v[14:15], v[12:13]
	v_add_f64 v[1:2], v[1:2], v[8:9]
	v_add_f64 v[3:4], v[3:4], v[10:11]
	s_andn2_b32 exec_lo, exec_lo, s4
	s_cbranch_execnz .LBB42_288
; %bb.289:
	s_or_b32 exec_lo, exec_lo, s4
.LBB42_290:
	s_or_b32 exec_lo, exec_lo, s51
	v_mov_b32_e32 v7, 0
	ds_read_b128 v[7:10], v7 offset:96
	s_waitcnt lgkmcnt(0)
	v_mul_f64 v[11:12], v[3:4], v[9:10]
	v_mul_f64 v[9:10], v[1:2], v[9:10]
	v_fma_f64 v[1:2], v[1:2], v[7:8], -v[11:12]
	v_fma_f64 v[3:4], v[3:4], v[7:8], v[9:10]
	buffer_store_dword v2, off, s[0:3], 0 offset:100
	buffer_store_dword v1, off, s[0:3], 0 offset:96
	;; [unrolled: 1-line block ×4, first 2 shown]
.LBB42_291:
	s_or_b32 exec_lo, exec_lo, s8
	v_mov_b32_e32 v4, s45
	v_cmp_lt_u32_e64 s4, 5, v0
	s_clause 0x3
	buffer_load_dword v1, v4, s[0:3], 0 offen
	buffer_load_dword v2, v4, s[0:3], 0 offen offset:4
	buffer_load_dword v3, v4, s[0:3], 0 offen offset:8
	;; [unrolled: 1-line block ×3, first 2 shown]
	s_waitcnt vmcnt(0)
	ds_write_b128 v6, v[1:4]
	s_waitcnt lgkmcnt(0)
	s_waitcnt_vscnt null, 0x0
	s_barrier
	buffer_gl0_inv
	s_and_saveexec_b32 s8, s4
	s_cbranch_execz .LBB42_299
; %bb.292:
	ds_read_b128 v[1:4], v6
	s_andn2_b32 vcc_lo, exec_lo, s50
	s_cbranch_vccnz .LBB42_294
; %bb.293:
	s_clause 0x3
	buffer_load_dword v7, v5, s[0:3], 0 offen offset:8
	buffer_load_dword v8, v5, s[0:3], 0 offen offset:12
	buffer_load_dword v9, v5, s[0:3], 0 offen
	buffer_load_dword v10, v5, s[0:3], 0 offen offset:4
	s_waitcnt vmcnt(2) lgkmcnt(0)
	v_mul_f64 v[11:12], v[3:4], v[7:8]
	v_mul_f64 v[7:8], v[1:2], v[7:8]
	s_waitcnt vmcnt(0)
	v_fma_f64 v[1:2], v[1:2], v[9:10], -v[11:12]
	v_fma_f64 v[3:4], v[3:4], v[9:10], v[7:8]
.LBB42_294:
	s_and_saveexec_b32 s51, s5
	s_cbranch_execz .LBB42_298
; %bb.295:
	v_add_nc_u32_e32 v7, -6, v0
	s_movk_i32 s52, 0x310
	s_mov_b32 s5, 0
	s_mov_b32 s53, s44
	.p2align	6
.LBB42_296:                             ; =>This Inner Loop Header: Depth=1
	v_mov_b32_e32 v8, s53
	v_add_nc_u32_e32 v7, -1, v7
	s_add_i32 s53, s53, 16
	s_clause 0x3
	buffer_load_dword v12, v8, s[0:3], 0 offen offset:8
	buffer_load_dword v13, v8, s[0:3], 0 offen offset:12
	buffer_load_dword v14, v8, s[0:3], 0 offen
	buffer_load_dword v15, v8, s[0:3], 0 offen offset:4
	v_mov_b32_e32 v8, s52
	v_cmp_eq_u32_e32 vcc_lo, 0, v7
	s_add_i32 s52, s52, 16
	ds_read_b128 v[8:11], v8
	s_or_b32 s5, vcc_lo, s5
	s_waitcnt vmcnt(2) lgkmcnt(0)
	v_mul_f64 v[104:105], v[10:11], v[12:13]
	v_mul_f64 v[12:13], v[8:9], v[12:13]
	s_waitcnt vmcnt(0)
	v_fma_f64 v[8:9], v[8:9], v[14:15], -v[104:105]
	v_fma_f64 v[10:11], v[10:11], v[14:15], v[12:13]
	v_add_f64 v[1:2], v[1:2], v[8:9]
	v_add_f64 v[3:4], v[3:4], v[10:11]
	s_andn2_b32 exec_lo, exec_lo, s5
	s_cbranch_execnz .LBB42_296
; %bb.297:
	s_or_b32 exec_lo, exec_lo, s5
.LBB42_298:
	s_or_b32 exec_lo, exec_lo, s51
	v_mov_b32_e32 v7, 0
	ds_read_b128 v[7:10], v7 offset:80
	s_waitcnt lgkmcnt(0)
	v_mul_f64 v[11:12], v[3:4], v[9:10]
	v_mul_f64 v[9:10], v[1:2], v[9:10]
	v_fma_f64 v[1:2], v[1:2], v[7:8], -v[11:12]
	v_fma_f64 v[3:4], v[3:4], v[7:8], v[9:10]
	buffer_store_dword v2, off, s[0:3], 0 offset:84
	buffer_store_dword v1, off, s[0:3], 0 offset:80
	buffer_store_dword v4, off, s[0:3], 0 offset:92
	buffer_store_dword v3, off, s[0:3], 0 offset:88
.LBB42_299:
	s_or_b32 exec_lo, exec_lo, s8
	v_mov_b32_e32 v4, s46
	v_cmp_lt_u32_e64 s5, 4, v0
	s_clause 0x3
	buffer_load_dword v1, v4, s[0:3], 0 offen
	buffer_load_dword v2, v4, s[0:3], 0 offen offset:4
	buffer_load_dword v3, v4, s[0:3], 0 offen offset:8
	;; [unrolled: 1-line block ×3, first 2 shown]
	s_waitcnt vmcnt(0)
	ds_write_b128 v6, v[1:4]
	s_waitcnt lgkmcnt(0)
	s_waitcnt_vscnt null, 0x0
	s_barrier
	buffer_gl0_inv
	s_and_saveexec_b32 s8, s5
	s_cbranch_execz .LBB42_307
; %bb.300:
	ds_read_b128 v[1:4], v6
	s_andn2_b32 vcc_lo, exec_lo, s50
	s_cbranch_vccnz .LBB42_302
; %bb.301:
	s_clause 0x3
	buffer_load_dword v7, v5, s[0:3], 0 offen offset:8
	buffer_load_dword v8, v5, s[0:3], 0 offen offset:12
	buffer_load_dword v9, v5, s[0:3], 0 offen
	buffer_load_dword v10, v5, s[0:3], 0 offen offset:4
	s_waitcnt vmcnt(2) lgkmcnt(0)
	v_mul_f64 v[11:12], v[3:4], v[7:8]
	v_mul_f64 v[7:8], v[1:2], v[7:8]
	s_waitcnt vmcnt(0)
	v_fma_f64 v[1:2], v[1:2], v[9:10], -v[11:12]
	v_fma_f64 v[3:4], v[3:4], v[9:10], v[7:8]
.LBB42_302:
	s_and_saveexec_b32 s51, s4
	s_cbranch_execz .LBB42_306
; %bb.303:
	v_add_nc_u32_e32 v7, -5, v0
	s_movk_i32 s52, 0x300
	s_mov_b32 s4, 0
	s_mov_b32 s53, s45
	.p2align	6
.LBB42_304:                             ; =>This Inner Loop Header: Depth=1
	v_mov_b32_e32 v8, s53
	v_add_nc_u32_e32 v7, -1, v7
	s_add_i32 s53, s53, 16
	s_clause 0x3
	buffer_load_dword v12, v8, s[0:3], 0 offen offset:8
	buffer_load_dword v13, v8, s[0:3], 0 offen offset:12
	buffer_load_dword v14, v8, s[0:3], 0 offen
	buffer_load_dword v15, v8, s[0:3], 0 offen offset:4
	v_mov_b32_e32 v8, s52
	v_cmp_eq_u32_e32 vcc_lo, 0, v7
	s_add_i32 s52, s52, 16
	ds_read_b128 v[8:11], v8
	s_or_b32 s4, vcc_lo, s4
	s_waitcnt vmcnt(2) lgkmcnt(0)
	v_mul_f64 v[104:105], v[10:11], v[12:13]
	v_mul_f64 v[12:13], v[8:9], v[12:13]
	s_waitcnt vmcnt(0)
	v_fma_f64 v[8:9], v[8:9], v[14:15], -v[104:105]
	v_fma_f64 v[10:11], v[10:11], v[14:15], v[12:13]
	v_add_f64 v[1:2], v[1:2], v[8:9]
	v_add_f64 v[3:4], v[3:4], v[10:11]
	s_andn2_b32 exec_lo, exec_lo, s4
	s_cbranch_execnz .LBB42_304
; %bb.305:
	s_or_b32 exec_lo, exec_lo, s4
.LBB42_306:
	s_or_b32 exec_lo, exec_lo, s51
	v_mov_b32_e32 v7, 0
	ds_read_b128 v[7:10], v7 offset:64
	s_waitcnt lgkmcnt(0)
	v_mul_f64 v[11:12], v[3:4], v[9:10]
	v_mul_f64 v[9:10], v[1:2], v[9:10]
	v_fma_f64 v[1:2], v[1:2], v[7:8], -v[11:12]
	v_fma_f64 v[3:4], v[3:4], v[7:8], v[9:10]
	buffer_store_dword v2, off, s[0:3], 0 offset:68
	buffer_store_dword v1, off, s[0:3], 0 offset:64
	buffer_store_dword v4, off, s[0:3], 0 offset:76
	buffer_store_dword v3, off, s[0:3], 0 offset:72
.LBB42_307:
	s_or_b32 exec_lo, exec_lo, s8
	v_mov_b32_e32 v4, s47
	v_cmp_lt_u32_e64 s4, 3, v0
	s_clause 0x3
	buffer_load_dword v1, v4, s[0:3], 0 offen
	buffer_load_dword v2, v4, s[0:3], 0 offen offset:4
	buffer_load_dword v3, v4, s[0:3], 0 offen offset:8
	buffer_load_dword v4, v4, s[0:3], 0 offen offset:12
	s_waitcnt vmcnt(0)
	ds_write_b128 v6, v[1:4]
	s_waitcnt lgkmcnt(0)
	s_waitcnt_vscnt null, 0x0
	s_barrier
	buffer_gl0_inv
	s_and_saveexec_b32 s8, s4
	s_cbranch_execz .LBB42_315
; %bb.308:
	ds_read_b128 v[1:4], v6
	s_andn2_b32 vcc_lo, exec_lo, s50
	s_cbranch_vccnz .LBB42_310
; %bb.309:
	s_clause 0x3
	buffer_load_dword v7, v5, s[0:3], 0 offen offset:8
	buffer_load_dword v8, v5, s[0:3], 0 offen offset:12
	buffer_load_dword v9, v5, s[0:3], 0 offen
	buffer_load_dword v10, v5, s[0:3], 0 offen offset:4
	s_waitcnt vmcnt(2) lgkmcnt(0)
	v_mul_f64 v[11:12], v[3:4], v[7:8]
	v_mul_f64 v[7:8], v[1:2], v[7:8]
	s_waitcnt vmcnt(0)
	v_fma_f64 v[1:2], v[1:2], v[9:10], -v[11:12]
	v_fma_f64 v[3:4], v[3:4], v[9:10], v[7:8]
.LBB42_310:
	s_and_saveexec_b32 s51, s5
	s_cbranch_execz .LBB42_314
; %bb.311:
	v_add_nc_u32_e32 v7, -4, v0
	s_movk_i32 s52, 0x2f0
	s_mov_b32 s5, 0
	s_mov_b32 s53, s46
	.p2align	6
.LBB42_312:                             ; =>This Inner Loop Header: Depth=1
	v_mov_b32_e32 v8, s53
	v_add_nc_u32_e32 v7, -1, v7
	s_add_i32 s53, s53, 16
	s_clause 0x3
	buffer_load_dword v12, v8, s[0:3], 0 offen offset:8
	buffer_load_dword v13, v8, s[0:3], 0 offen offset:12
	buffer_load_dword v14, v8, s[0:3], 0 offen
	buffer_load_dword v15, v8, s[0:3], 0 offen offset:4
	v_mov_b32_e32 v8, s52
	v_cmp_eq_u32_e32 vcc_lo, 0, v7
	s_add_i32 s52, s52, 16
	ds_read_b128 v[8:11], v8
	s_or_b32 s5, vcc_lo, s5
	s_waitcnt vmcnt(2) lgkmcnt(0)
	v_mul_f64 v[104:105], v[10:11], v[12:13]
	v_mul_f64 v[12:13], v[8:9], v[12:13]
	s_waitcnt vmcnt(0)
	v_fma_f64 v[8:9], v[8:9], v[14:15], -v[104:105]
	v_fma_f64 v[10:11], v[10:11], v[14:15], v[12:13]
	v_add_f64 v[1:2], v[1:2], v[8:9]
	v_add_f64 v[3:4], v[3:4], v[10:11]
	s_andn2_b32 exec_lo, exec_lo, s5
	s_cbranch_execnz .LBB42_312
; %bb.313:
	s_or_b32 exec_lo, exec_lo, s5
.LBB42_314:
	s_or_b32 exec_lo, exec_lo, s51
	v_mov_b32_e32 v7, 0
	ds_read_b128 v[7:10], v7 offset:48
	s_waitcnt lgkmcnt(0)
	v_mul_f64 v[11:12], v[3:4], v[9:10]
	v_mul_f64 v[9:10], v[1:2], v[9:10]
	v_fma_f64 v[1:2], v[1:2], v[7:8], -v[11:12]
	v_fma_f64 v[3:4], v[3:4], v[7:8], v[9:10]
	buffer_store_dword v2, off, s[0:3], 0 offset:52
	buffer_store_dword v1, off, s[0:3], 0 offset:48
	;; [unrolled: 1-line block ×4, first 2 shown]
.LBB42_315:
	s_or_b32 exec_lo, exec_lo, s8
	v_mov_b32_e32 v4, s48
	v_cmp_lt_u32_e64 s5, 2, v0
	s_clause 0x3
	buffer_load_dword v1, v4, s[0:3], 0 offen
	buffer_load_dword v2, v4, s[0:3], 0 offen offset:4
	buffer_load_dword v3, v4, s[0:3], 0 offen offset:8
	;; [unrolled: 1-line block ×3, first 2 shown]
	s_waitcnt vmcnt(0)
	ds_write_b128 v6, v[1:4]
	s_waitcnt lgkmcnt(0)
	s_waitcnt_vscnt null, 0x0
	s_barrier
	buffer_gl0_inv
	s_and_saveexec_b32 s8, s5
	s_cbranch_execz .LBB42_323
; %bb.316:
	ds_read_b128 v[1:4], v6
	s_andn2_b32 vcc_lo, exec_lo, s50
	s_cbranch_vccnz .LBB42_318
; %bb.317:
	s_clause 0x3
	buffer_load_dword v7, v5, s[0:3], 0 offen offset:8
	buffer_load_dword v8, v5, s[0:3], 0 offen offset:12
	buffer_load_dword v9, v5, s[0:3], 0 offen
	buffer_load_dword v10, v5, s[0:3], 0 offen offset:4
	s_waitcnt vmcnt(2) lgkmcnt(0)
	v_mul_f64 v[11:12], v[3:4], v[7:8]
	v_mul_f64 v[7:8], v[1:2], v[7:8]
	s_waitcnt vmcnt(0)
	v_fma_f64 v[1:2], v[1:2], v[9:10], -v[11:12]
	v_fma_f64 v[3:4], v[3:4], v[9:10], v[7:8]
.LBB42_318:
	s_and_saveexec_b32 s51, s4
	s_cbranch_execz .LBB42_322
; %bb.319:
	v_add_nc_u32_e32 v7, -3, v0
	s_movk_i32 s52, 0x2e0
	s_mov_b32 s4, 0
	s_mov_b32 s53, s47
	.p2align	6
.LBB42_320:                             ; =>This Inner Loop Header: Depth=1
	v_mov_b32_e32 v8, s53
	v_add_nc_u32_e32 v7, -1, v7
	s_add_i32 s53, s53, 16
	s_clause 0x3
	buffer_load_dword v12, v8, s[0:3], 0 offen offset:8
	buffer_load_dword v13, v8, s[0:3], 0 offen offset:12
	buffer_load_dword v14, v8, s[0:3], 0 offen
	buffer_load_dword v15, v8, s[0:3], 0 offen offset:4
	v_mov_b32_e32 v8, s52
	v_cmp_eq_u32_e32 vcc_lo, 0, v7
	s_add_i32 s52, s52, 16
	ds_read_b128 v[8:11], v8
	s_or_b32 s4, vcc_lo, s4
	s_waitcnt vmcnt(2) lgkmcnt(0)
	v_mul_f64 v[104:105], v[10:11], v[12:13]
	v_mul_f64 v[12:13], v[8:9], v[12:13]
	s_waitcnt vmcnt(0)
	v_fma_f64 v[8:9], v[8:9], v[14:15], -v[104:105]
	v_fma_f64 v[10:11], v[10:11], v[14:15], v[12:13]
	v_add_f64 v[1:2], v[1:2], v[8:9]
	v_add_f64 v[3:4], v[3:4], v[10:11]
	s_andn2_b32 exec_lo, exec_lo, s4
	s_cbranch_execnz .LBB42_320
; %bb.321:
	s_or_b32 exec_lo, exec_lo, s4
.LBB42_322:
	s_or_b32 exec_lo, exec_lo, s51
	v_mov_b32_e32 v7, 0
	ds_read_b128 v[7:10], v7 offset:32
	s_waitcnt lgkmcnt(0)
	v_mul_f64 v[11:12], v[3:4], v[9:10]
	v_mul_f64 v[9:10], v[1:2], v[9:10]
	v_fma_f64 v[1:2], v[1:2], v[7:8], -v[11:12]
	v_fma_f64 v[3:4], v[3:4], v[7:8], v[9:10]
	buffer_store_dword v2, off, s[0:3], 0 offset:36
	buffer_store_dword v1, off, s[0:3], 0 offset:32
	;; [unrolled: 1-line block ×4, first 2 shown]
.LBB42_323:
	s_or_b32 exec_lo, exec_lo, s8
	v_mov_b32_e32 v4, s49
	v_cmp_lt_u32_e64 s4, 1, v0
	s_clause 0x3
	buffer_load_dword v1, v4, s[0:3], 0 offen
	buffer_load_dword v2, v4, s[0:3], 0 offen offset:4
	buffer_load_dword v3, v4, s[0:3], 0 offen offset:8
	;; [unrolled: 1-line block ×3, first 2 shown]
	s_waitcnt vmcnt(0)
	ds_write_b128 v6, v[1:4]
	s_waitcnt lgkmcnt(0)
	s_waitcnt_vscnt null, 0x0
	s_barrier
	buffer_gl0_inv
	s_and_saveexec_b32 s8, s4
	s_cbranch_execz .LBB42_331
; %bb.324:
	ds_read_b128 v[1:4], v6
	s_andn2_b32 vcc_lo, exec_lo, s50
	s_cbranch_vccnz .LBB42_326
; %bb.325:
	s_clause 0x3
	buffer_load_dword v7, v5, s[0:3], 0 offen offset:8
	buffer_load_dword v8, v5, s[0:3], 0 offen offset:12
	buffer_load_dword v9, v5, s[0:3], 0 offen
	buffer_load_dword v10, v5, s[0:3], 0 offen offset:4
	s_waitcnt vmcnt(2) lgkmcnt(0)
	v_mul_f64 v[11:12], v[3:4], v[7:8]
	v_mul_f64 v[7:8], v[1:2], v[7:8]
	s_waitcnt vmcnt(0)
	v_fma_f64 v[1:2], v[1:2], v[9:10], -v[11:12]
	v_fma_f64 v[3:4], v[3:4], v[9:10], v[7:8]
.LBB42_326:
	s_and_saveexec_b32 s51, s5
	s_cbranch_execz .LBB42_330
; %bb.327:
	v_add_nc_u32_e32 v7, -2, v0
	s_movk_i32 s52, 0x2d0
	s_mov_b32 s5, 0
	s_mov_b32 s53, s48
	.p2align	6
.LBB42_328:                             ; =>This Inner Loop Header: Depth=1
	v_mov_b32_e32 v8, s53
	v_add_nc_u32_e32 v7, -1, v7
	s_add_i32 s53, s53, 16
	s_clause 0x3
	buffer_load_dword v12, v8, s[0:3], 0 offen offset:8
	buffer_load_dword v13, v8, s[0:3], 0 offen offset:12
	buffer_load_dword v14, v8, s[0:3], 0 offen
	buffer_load_dword v15, v8, s[0:3], 0 offen offset:4
	v_mov_b32_e32 v8, s52
	v_cmp_eq_u32_e32 vcc_lo, 0, v7
	s_add_i32 s52, s52, 16
	ds_read_b128 v[8:11], v8
	s_or_b32 s5, vcc_lo, s5
	s_waitcnt vmcnt(2) lgkmcnt(0)
	v_mul_f64 v[104:105], v[10:11], v[12:13]
	v_mul_f64 v[12:13], v[8:9], v[12:13]
	s_waitcnt vmcnt(0)
	v_fma_f64 v[8:9], v[8:9], v[14:15], -v[104:105]
	v_fma_f64 v[10:11], v[10:11], v[14:15], v[12:13]
	v_add_f64 v[1:2], v[1:2], v[8:9]
	v_add_f64 v[3:4], v[3:4], v[10:11]
	s_andn2_b32 exec_lo, exec_lo, s5
	s_cbranch_execnz .LBB42_328
; %bb.329:
	s_or_b32 exec_lo, exec_lo, s5
.LBB42_330:
	s_or_b32 exec_lo, exec_lo, s51
	v_mov_b32_e32 v7, 0
	ds_read_b128 v[7:10], v7 offset:16
	s_waitcnt lgkmcnt(0)
	v_mul_f64 v[11:12], v[3:4], v[9:10]
	v_mul_f64 v[9:10], v[1:2], v[9:10]
	v_fma_f64 v[1:2], v[1:2], v[7:8], -v[11:12]
	v_fma_f64 v[3:4], v[3:4], v[7:8], v[9:10]
	buffer_store_dword v2, off, s[0:3], 0 offset:20
	buffer_store_dword v1, off, s[0:3], 0 offset:16
	;; [unrolled: 1-line block ×4, first 2 shown]
.LBB42_331:
	s_or_b32 exec_lo, exec_lo, s8
	s_clause 0x3
	buffer_load_dword v1, off, s[0:3], 0
	buffer_load_dword v2, off, s[0:3], 0 offset:4
	buffer_load_dword v3, off, s[0:3], 0 offset:8
	;; [unrolled: 1-line block ×3, first 2 shown]
	s_mov_b32 s8, 0
	s_mov_b32 s5, 0
	s_mov_b32 s51, exec_lo
                                        ; implicit-def: $sgpr52
	s_waitcnt vmcnt(0)
	ds_write_b128 v6, v[1:4]
	s_waitcnt lgkmcnt(0)
	s_waitcnt_vscnt null, 0x0
	s_barrier
	buffer_gl0_inv
                                        ; implicit-def: $vgpr1_vgpr2
	v_cmpx_ne_u32_e32 0, v0
	s_cbranch_execz .LBB42_339
; %bb.332:
	ds_read_b128 v[1:4], v6
	s_andn2_b32 vcc_lo, exec_lo, s50
	s_cbranch_vccnz .LBB42_334
; %bb.333:
	s_clause 0x3
	buffer_load_dword v7, v5, s[0:3], 0 offen offset:8
	buffer_load_dword v8, v5, s[0:3], 0 offen offset:12
	buffer_load_dword v9, v5, s[0:3], 0 offen
	buffer_load_dword v10, v5, s[0:3], 0 offen offset:4
	s_waitcnt vmcnt(2) lgkmcnt(0)
	v_mul_f64 v[11:12], v[3:4], v[7:8]
	v_mul_f64 v[7:8], v[1:2], v[7:8]
	s_waitcnt vmcnt(0)
	v_fma_f64 v[1:2], v[1:2], v[9:10], -v[11:12]
	v_fma_f64 v[3:4], v[3:4], v[9:10], v[7:8]
.LBB42_334:
	s_and_saveexec_b32 s5, s4
	s_cbranch_execz .LBB42_338
; %bb.335:
	v_add_nc_u32_e32 v7, -1, v0
	s_movk_i32 s52, 0x2c0
	s_mov_b32 s4, 0
	s_mov_b32 s53, s49
	.p2align	6
.LBB42_336:                             ; =>This Inner Loop Header: Depth=1
	v_mov_b32_e32 v8, s53
	v_add_nc_u32_e32 v7, -1, v7
	s_add_i32 s53, s53, 16
	s_clause 0x3
	buffer_load_dword v12, v8, s[0:3], 0 offen offset:8
	buffer_load_dword v13, v8, s[0:3], 0 offen offset:12
	buffer_load_dword v14, v8, s[0:3], 0 offen
	buffer_load_dword v15, v8, s[0:3], 0 offen offset:4
	v_mov_b32_e32 v8, s52
	v_cmp_eq_u32_e32 vcc_lo, 0, v7
	s_add_i32 s52, s52, 16
	ds_read_b128 v[8:11], v8
	s_or_b32 s4, vcc_lo, s4
	s_waitcnt vmcnt(2) lgkmcnt(0)
	v_mul_f64 v[104:105], v[10:11], v[12:13]
	v_mul_f64 v[12:13], v[8:9], v[12:13]
	s_waitcnt vmcnt(0)
	v_fma_f64 v[8:9], v[8:9], v[14:15], -v[104:105]
	v_fma_f64 v[10:11], v[10:11], v[14:15], v[12:13]
	v_add_f64 v[1:2], v[1:2], v[8:9]
	v_add_f64 v[3:4], v[3:4], v[10:11]
	s_andn2_b32 exec_lo, exec_lo, s4
	s_cbranch_execnz .LBB42_336
; %bb.337:
	s_or_b32 exec_lo, exec_lo, s4
.LBB42_338:
	s_or_b32 exec_lo, exec_lo, s5
	v_mov_b32_e32 v7, 0
	s_mov_b32 s5, exec_lo
	s_or_b32 s52, 0, 8
	ds_read_b128 v[7:10], v7
	s_waitcnt lgkmcnt(0)
	v_mul_f64 v[11:12], v[3:4], v[9:10]
	v_mul_f64 v[9:10], v[1:2], v[9:10]
	v_fma_f64 v[11:12], v[1:2], v[7:8], -v[11:12]
	v_fma_f64 v[1:2], v[3:4], v[7:8], v[9:10]
	buffer_store_dword v12, off, s[0:3], 0 offset:4
	buffer_store_dword v11, off, s[0:3], 0
.LBB42_339:
	s_or_b32 exec_lo, exec_lo, s51
	s_and_b32 vcc_lo, exec_lo, s8
	s_cbranch_vccnz .LBB42_341
	s_branch .LBB42_672
.LBB42_340:
	s_mov_b32 s5, 0
                                        ; implicit-def: $vgpr1_vgpr2
                                        ; implicit-def: $sgpr52
	s_cbranch_execz .LBB42_672
.LBB42_341:
	v_mov_b32_e32 v4, s49
	v_cmp_eq_u32_e64 s4, 0, v0
	v_cndmask_b32_e64 v7, 0, 1, s50
	s_clause 0x3
	buffer_load_dword v1, v4, s[0:3], 0 offen
	buffer_load_dword v2, v4, s[0:3], 0 offen offset:4
	buffer_load_dword v3, v4, s[0:3], 0 offen offset:8
	;; [unrolled: 1-line block ×3, first 2 shown]
	s_waitcnt vmcnt(0)
	ds_write_b128 v6, v[1:4]
	s_waitcnt lgkmcnt(0)
	s_waitcnt_vscnt null, 0x0
	s_barrier
	buffer_gl0_inv
	s_and_saveexec_b32 s8, s4
	s_cbranch_execz .LBB42_345
; %bb.342:
	ds_read_b128 v[1:4], v6
	s_andn2_b32 vcc_lo, exec_lo, s50
	s_cbranch_vccnz .LBB42_344
; %bb.343:
	s_clause 0x3
	buffer_load_dword v8, v5, s[0:3], 0 offen offset:8
	buffer_load_dword v9, v5, s[0:3], 0 offen offset:12
	buffer_load_dword v10, v5, s[0:3], 0 offen
	buffer_load_dword v11, v5, s[0:3], 0 offen offset:4
	s_waitcnt vmcnt(2) lgkmcnt(0)
	v_mul_f64 v[12:13], v[3:4], v[8:9]
	v_mul_f64 v[8:9], v[1:2], v[8:9]
	s_waitcnt vmcnt(0)
	v_fma_f64 v[1:2], v[1:2], v[10:11], -v[12:13]
	v_fma_f64 v[3:4], v[3:4], v[10:11], v[8:9]
.LBB42_344:
	v_mov_b32_e32 v8, 0
	ds_read_b128 v[8:11], v8 offset:16
	s_waitcnt lgkmcnt(0)
	v_mul_f64 v[12:13], v[3:4], v[10:11]
	v_mul_f64 v[10:11], v[1:2], v[10:11]
	v_fma_f64 v[1:2], v[1:2], v[8:9], -v[12:13]
	v_fma_f64 v[3:4], v[3:4], v[8:9], v[10:11]
	buffer_store_dword v2, off, s[0:3], 0 offset:20
	buffer_store_dword v1, off, s[0:3], 0 offset:16
	;; [unrolled: 1-line block ×4, first 2 shown]
.LBB42_345:
	s_or_b32 exec_lo, exec_lo, s8
	v_mov_b32_e32 v4, s48
	s_mov_b32 s8, exec_lo
	s_clause 0x3
	buffer_load_dword v1, v4, s[0:3], 0 offen
	buffer_load_dword v2, v4, s[0:3], 0 offen offset:4
	buffer_load_dword v3, v4, s[0:3], 0 offen offset:8
	;; [unrolled: 1-line block ×3, first 2 shown]
	s_waitcnt vmcnt(0)
	ds_write_b128 v6, v[1:4]
	s_waitcnt lgkmcnt(0)
	s_waitcnt_vscnt null, 0x0
	s_barrier
	buffer_gl0_inv
	v_cmpx_gt_u32_e32 2, v0
	s_cbranch_execz .LBB42_351
; %bb.346:
	ds_read_b128 v[1:4], v6
	v_cmp_ne_u32_e32 vcc_lo, 1, v7
	s_cbranch_vccnz .LBB42_348
; %bb.347:
	s_clause 0x3
	buffer_load_dword v8, v5, s[0:3], 0 offen offset:8
	buffer_load_dword v9, v5, s[0:3], 0 offen offset:12
	buffer_load_dword v10, v5, s[0:3], 0 offen
	buffer_load_dword v11, v5, s[0:3], 0 offen offset:4
	s_waitcnt vmcnt(2) lgkmcnt(0)
	v_mul_f64 v[12:13], v[3:4], v[8:9]
	v_mul_f64 v[8:9], v[1:2], v[8:9]
	s_waitcnt vmcnt(0)
	v_fma_f64 v[1:2], v[1:2], v[10:11], -v[12:13]
	v_fma_f64 v[3:4], v[3:4], v[10:11], v[8:9]
.LBB42_348:
	s_and_saveexec_b32 s50, s4
	s_cbranch_execz .LBB42_350
; %bb.349:
	s_clause 0x3
	buffer_load_dword v12, off, s[0:3], 0 offset:24
	buffer_load_dword v13, off, s[0:3], 0 offset:28
	;; [unrolled: 1-line block ×4, first 2 shown]
	v_mov_b32_e32 v8, 0
	ds_read_b128 v[8:11], v8 offset:704
	s_waitcnt vmcnt(2) lgkmcnt(0)
	v_mul_f64 v[104:105], v[10:11], v[12:13]
	v_mul_f64 v[12:13], v[8:9], v[12:13]
	s_waitcnt vmcnt(0)
	v_fma_f64 v[8:9], v[8:9], v[14:15], -v[104:105]
	v_fma_f64 v[10:11], v[10:11], v[14:15], v[12:13]
	v_add_f64 v[1:2], v[1:2], v[8:9]
	v_add_f64 v[3:4], v[3:4], v[10:11]
.LBB42_350:
	s_or_b32 exec_lo, exec_lo, s50
	v_mov_b32_e32 v8, 0
	ds_read_b128 v[8:11], v8 offset:32
	s_waitcnt lgkmcnt(0)
	v_mul_f64 v[12:13], v[3:4], v[10:11]
	v_mul_f64 v[10:11], v[1:2], v[10:11]
	v_fma_f64 v[1:2], v[1:2], v[8:9], -v[12:13]
	v_fma_f64 v[3:4], v[3:4], v[8:9], v[10:11]
	buffer_store_dword v2, off, s[0:3], 0 offset:36
	buffer_store_dword v1, off, s[0:3], 0 offset:32
	buffer_store_dword v4, off, s[0:3], 0 offset:44
	buffer_store_dword v3, off, s[0:3], 0 offset:40
.LBB42_351:
	s_or_b32 exec_lo, exec_lo, s8
	v_mov_b32_e32 v4, s47
	s_mov_b32 s8, exec_lo
	s_clause 0x3
	buffer_load_dword v1, v4, s[0:3], 0 offen
	buffer_load_dword v2, v4, s[0:3], 0 offen offset:4
	buffer_load_dword v3, v4, s[0:3], 0 offen offset:8
	;; [unrolled: 1-line block ×3, first 2 shown]
	s_waitcnt vmcnt(0)
	ds_write_b128 v6, v[1:4]
	s_waitcnt lgkmcnt(0)
	s_waitcnt_vscnt null, 0x0
	s_barrier
	buffer_gl0_inv
	v_cmpx_gt_u32_e32 3, v0
	s_cbranch_execz .LBB42_359
; %bb.352:
	ds_read_b128 v[1:4], v6
	v_cmp_ne_u32_e32 vcc_lo, 1, v7
	s_cbranch_vccnz .LBB42_354
; %bb.353:
	s_clause 0x3
	buffer_load_dword v8, v5, s[0:3], 0 offen offset:8
	buffer_load_dword v9, v5, s[0:3], 0 offen offset:12
	buffer_load_dword v10, v5, s[0:3], 0 offen
	buffer_load_dword v11, v5, s[0:3], 0 offen offset:4
	s_waitcnt vmcnt(2) lgkmcnt(0)
	v_mul_f64 v[12:13], v[3:4], v[8:9]
	v_mul_f64 v[8:9], v[1:2], v[8:9]
	s_waitcnt vmcnt(0)
	v_fma_f64 v[1:2], v[1:2], v[10:11], -v[12:13]
	v_fma_f64 v[3:4], v[3:4], v[10:11], v[8:9]
.LBB42_354:
	s_mov_b32 s50, exec_lo
	v_cmpx_ne_u32_e32 2, v0
	s_cbranch_execz .LBB42_358
; %bb.355:
	s_clause 0x3
	buffer_load_dword v12, v5, s[0:3], 0 offen offset:24
	buffer_load_dword v13, v5, s[0:3], 0 offen offset:28
	;; [unrolled: 1-line block ×4, first 2 shown]
	ds_read_b128 v[8:11], v6 offset:16
	s_waitcnt vmcnt(2) lgkmcnt(0)
	v_mul_f64 v[104:105], v[10:11], v[12:13]
	v_mul_f64 v[12:13], v[8:9], v[12:13]
	s_waitcnt vmcnt(0)
	v_fma_f64 v[8:9], v[8:9], v[14:15], -v[104:105]
	v_fma_f64 v[10:11], v[10:11], v[14:15], v[12:13]
	v_add_f64 v[1:2], v[1:2], v[8:9]
	v_add_f64 v[3:4], v[3:4], v[10:11]
	s_and_saveexec_b32 s51, s4
	s_cbranch_execz .LBB42_357
; %bb.356:
	s_clause 0x3
	buffer_load_dword v12, off, s[0:3], 0 offset:40
	buffer_load_dword v13, off, s[0:3], 0 offset:44
	;; [unrolled: 1-line block ×4, first 2 shown]
	v_mov_b32_e32 v8, 0
	ds_read_b128 v[8:11], v8 offset:720
	s_waitcnt vmcnt(2) lgkmcnt(0)
	v_mul_f64 v[104:105], v[8:9], v[12:13]
	v_mul_f64 v[12:13], v[10:11], v[12:13]
	s_waitcnt vmcnt(0)
	v_fma_f64 v[10:11], v[10:11], v[14:15], v[104:105]
	v_fma_f64 v[8:9], v[8:9], v[14:15], -v[12:13]
	v_add_f64 v[3:4], v[3:4], v[10:11]
	v_add_f64 v[1:2], v[1:2], v[8:9]
.LBB42_357:
	s_or_b32 exec_lo, exec_lo, s51
.LBB42_358:
	s_or_b32 exec_lo, exec_lo, s50
	v_mov_b32_e32 v8, 0
	ds_read_b128 v[8:11], v8 offset:48
	s_waitcnt lgkmcnt(0)
	v_mul_f64 v[12:13], v[3:4], v[10:11]
	v_mul_f64 v[10:11], v[1:2], v[10:11]
	v_fma_f64 v[1:2], v[1:2], v[8:9], -v[12:13]
	v_fma_f64 v[3:4], v[3:4], v[8:9], v[10:11]
	buffer_store_dword v2, off, s[0:3], 0 offset:52
	buffer_store_dword v1, off, s[0:3], 0 offset:48
	;; [unrolled: 1-line block ×4, first 2 shown]
.LBB42_359:
	s_or_b32 exec_lo, exec_lo, s8
	v_mov_b32_e32 v4, s46
	s_mov_b32 s4, exec_lo
	s_clause 0x3
	buffer_load_dword v1, v4, s[0:3], 0 offen
	buffer_load_dword v2, v4, s[0:3], 0 offen offset:4
	buffer_load_dword v3, v4, s[0:3], 0 offen offset:8
	;; [unrolled: 1-line block ×3, first 2 shown]
	s_waitcnt vmcnt(0)
	ds_write_b128 v6, v[1:4]
	s_waitcnt lgkmcnt(0)
	s_waitcnt_vscnt null, 0x0
	s_barrier
	buffer_gl0_inv
	v_cmpx_gt_u32_e32 4, v0
	s_cbranch_execz .LBB42_367
; %bb.360:
	ds_read_b128 v[1:4], v6
	v_cmp_ne_u32_e32 vcc_lo, 1, v7
	s_cbranch_vccnz .LBB42_362
; %bb.361:
	s_clause 0x3
	buffer_load_dword v8, v5, s[0:3], 0 offen offset:8
	buffer_load_dword v9, v5, s[0:3], 0 offen offset:12
	buffer_load_dword v10, v5, s[0:3], 0 offen
	buffer_load_dword v11, v5, s[0:3], 0 offen offset:4
	s_waitcnt vmcnt(2) lgkmcnt(0)
	v_mul_f64 v[12:13], v[3:4], v[8:9]
	v_mul_f64 v[8:9], v[1:2], v[8:9]
	s_waitcnt vmcnt(0)
	v_fma_f64 v[1:2], v[1:2], v[10:11], -v[12:13]
	v_fma_f64 v[3:4], v[3:4], v[10:11], v[8:9]
.LBB42_362:
	s_mov_b32 s8, exec_lo
	v_cmpx_ne_u32_e32 3, v0
	s_cbranch_execz .LBB42_366
; %bb.363:
	v_add_nc_u32_e32 v8, 0x2c0, v103
	v_add3_u32 v9, 0, v103, 16
	v_mov_b32_e32 v10, v0
	s_mov_b32 s50, 0
	.p2align	6
.LBB42_364:                             ; =>This Inner Loop Header: Depth=1
	s_clause 0x3
	buffer_load_dword v15, v9, s[0:3], 0 offen offset:8
	buffer_load_dword v16, v9, s[0:3], 0 offen offset:12
	buffer_load_dword v104, v9, s[0:3], 0 offen
	buffer_load_dword v105, v9, s[0:3], 0 offen offset:4
	ds_read_b128 v[11:14], v8
	v_add_nc_u32_e32 v10, 1, v10
	v_add_nc_u32_e32 v8, 16, v8
	v_add_nc_u32_e32 v9, 16, v9
	v_cmp_lt_u32_e32 vcc_lo, 2, v10
	s_or_b32 s50, vcc_lo, s50
	s_waitcnt vmcnt(2) lgkmcnt(0)
	v_mul_f64 v[106:107], v[13:14], v[15:16]
	v_mul_f64 v[15:16], v[11:12], v[15:16]
	s_waitcnt vmcnt(0)
	v_fma_f64 v[11:12], v[11:12], v[104:105], -v[106:107]
	v_fma_f64 v[13:14], v[13:14], v[104:105], v[15:16]
	v_add_f64 v[1:2], v[1:2], v[11:12]
	v_add_f64 v[3:4], v[3:4], v[13:14]
	s_andn2_b32 exec_lo, exec_lo, s50
	s_cbranch_execnz .LBB42_364
; %bb.365:
	s_or_b32 exec_lo, exec_lo, s50
.LBB42_366:
	s_or_b32 exec_lo, exec_lo, s8
	v_mov_b32_e32 v8, 0
	ds_read_b128 v[8:11], v8 offset:64
	s_waitcnt lgkmcnt(0)
	v_mul_f64 v[12:13], v[3:4], v[10:11]
	v_mul_f64 v[10:11], v[1:2], v[10:11]
	v_fma_f64 v[1:2], v[1:2], v[8:9], -v[12:13]
	v_fma_f64 v[3:4], v[3:4], v[8:9], v[10:11]
	buffer_store_dword v2, off, s[0:3], 0 offset:68
	buffer_store_dword v1, off, s[0:3], 0 offset:64
	;; [unrolled: 1-line block ×4, first 2 shown]
.LBB42_367:
	s_or_b32 exec_lo, exec_lo, s4
	v_mov_b32_e32 v4, s45
	s_mov_b32 s4, exec_lo
	s_clause 0x3
	buffer_load_dword v1, v4, s[0:3], 0 offen
	buffer_load_dword v2, v4, s[0:3], 0 offen offset:4
	buffer_load_dword v3, v4, s[0:3], 0 offen offset:8
	;; [unrolled: 1-line block ×3, first 2 shown]
	s_waitcnt vmcnt(0)
	ds_write_b128 v6, v[1:4]
	s_waitcnt lgkmcnt(0)
	s_waitcnt_vscnt null, 0x0
	s_barrier
	buffer_gl0_inv
	v_cmpx_gt_u32_e32 5, v0
	s_cbranch_execz .LBB42_375
; %bb.368:
	ds_read_b128 v[1:4], v6
	v_cmp_ne_u32_e32 vcc_lo, 1, v7
	s_cbranch_vccnz .LBB42_370
; %bb.369:
	s_clause 0x3
	buffer_load_dword v8, v5, s[0:3], 0 offen offset:8
	buffer_load_dword v9, v5, s[0:3], 0 offen offset:12
	buffer_load_dword v10, v5, s[0:3], 0 offen
	buffer_load_dword v11, v5, s[0:3], 0 offen offset:4
	s_waitcnt vmcnt(2) lgkmcnt(0)
	v_mul_f64 v[12:13], v[3:4], v[8:9]
	v_mul_f64 v[8:9], v[1:2], v[8:9]
	s_waitcnt vmcnt(0)
	v_fma_f64 v[1:2], v[1:2], v[10:11], -v[12:13]
	v_fma_f64 v[3:4], v[3:4], v[10:11], v[8:9]
.LBB42_370:
	s_mov_b32 s8, exec_lo
	v_cmpx_ne_u32_e32 4, v0
	s_cbranch_execz .LBB42_374
; %bb.371:
	v_add_nc_u32_e32 v8, 0x2c0, v103
	v_add3_u32 v9, 0, v103, 16
	v_mov_b32_e32 v10, v0
	s_mov_b32 s50, 0
	.p2align	6
.LBB42_372:                             ; =>This Inner Loop Header: Depth=1
	s_clause 0x3
	buffer_load_dword v15, v9, s[0:3], 0 offen offset:8
	buffer_load_dword v16, v9, s[0:3], 0 offen offset:12
	buffer_load_dword v104, v9, s[0:3], 0 offen
	buffer_load_dword v105, v9, s[0:3], 0 offen offset:4
	ds_read_b128 v[11:14], v8
	v_add_nc_u32_e32 v10, 1, v10
	v_add_nc_u32_e32 v8, 16, v8
	;; [unrolled: 1-line block ×3, first 2 shown]
	v_cmp_lt_u32_e32 vcc_lo, 3, v10
	s_or_b32 s50, vcc_lo, s50
	s_waitcnt vmcnt(2) lgkmcnt(0)
	v_mul_f64 v[106:107], v[13:14], v[15:16]
	v_mul_f64 v[15:16], v[11:12], v[15:16]
	s_waitcnt vmcnt(0)
	v_fma_f64 v[11:12], v[11:12], v[104:105], -v[106:107]
	v_fma_f64 v[13:14], v[13:14], v[104:105], v[15:16]
	v_add_f64 v[1:2], v[1:2], v[11:12]
	v_add_f64 v[3:4], v[3:4], v[13:14]
	s_andn2_b32 exec_lo, exec_lo, s50
	s_cbranch_execnz .LBB42_372
; %bb.373:
	s_or_b32 exec_lo, exec_lo, s50
.LBB42_374:
	s_or_b32 exec_lo, exec_lo, s8
	v_mov_b32_e32 v8, 0
	ds_read_b128 v[8:11], v8 offset:80
	s_waitcnt lgkmcnt(0)
	v_mul_f64 v[12:13], v[3:4], v[10:11]
	v_mul_f64 v[10:11], v[1:2], v[10:11]
	v_fma_f64 v[1:2], v[1:2], v[8:9], -v[12:13]
	v_fma_f64 v[3:4], v[3:4], v[8:9], v[10:11]
	buffer_store_dword v2, off, s[0:3], 0 offset:84
	buffer_store_dword v1, off, s[0:3], 0 offset:80
	;; [unrolled: 1-line block ×4, first 2 shown]
.LBB42_375:
	s_or_b32 exec_lo, exec_lo, s4
	v_mov_b32_e32 v4, s44
	s_mov_b32 s4, exec_lo
	s_clause 0x3
	buffer_load_dword v1, v4, s[0:3], 0 offen
	buffer_load_dword v2, v4, s[0:3], 0 offen offset:4
	buffer_load_dword v3, v4, s[0:3], 0 offen offset:8
	;; [unrolled: 1-line block ×3, first 2 shown]
	s_waitcnt vmcnt(0)
	ds_write_b128 v6, v[1:4]
	s_waitcnt lgkmcnt(0)
	s_waitcnt_vscnt null, 0x0
	s_barrier
	buffer_gl0_inv
	v_cmpx_gt_u32_e32 6, v0
	s_cbranch_execz .LBB42_383
; %bb.376:
	ds_read_b128 v[1:4], v6
	v_cmp_ne_u32_e32 vcc_lo, 1, v7
	s_cbranch_vccnz .LBB42_378
; %bb.377:
	s_clause 0x3
	buffer_load_dword v8, v5, s[0:3], 0 offen offset:8
	buffer_load_dword v9, v5, s[0:3], 0 offen offset:12
	buffer_load_dword v10, v5, s[0:3], 0 offen
	buffer_load_dword v11, v5, s[0:3], 0 offen offset:4
	s_waitcnt vmcnt(2) lgkmcnt(0)
	v_mul_f64 v[12:13], v[3:4], v[8:9]
	v_mul_f64 v[8:9], v[1:2], v[8:9]
	s_waitcnt vmcnt(0)
	v_fma_f64 v[1:2], v[1:2], v[10:11], -v[12:13]
	v_fma_f64 v[3:4], v[3:4], v[10:11], v[8:9]
.LBB42_378:
	s_mov_b32 s8, exec_lo
	v_cmpx_ne_u32_e32 5, v0
	s_cbranch_execz .LBB42_382
; %bb.379:
	v_add_nc_u32_e32 v8, 0x2c0, v103
	v_add3_u32 v9, 0, v103, 16
	v_mov_b32_e32 v10, v0
	s_mov_b32 s50, 0
	.p2align	6
.LBB42_380:                             ; =>This Inner Loop Header: Depth=1
	s_clause 0x3
	buffer_load_dword v15, v9, s[0:3], 0 offen offset:8
	buffer_load_dword v16, v9, s[0:3], 0 offen offset:12
	buffer_load_dword v104, v9, s[0:3], 0 offen
	buffer_load_dword v105, v9, s[0:3], 0 offen offset:4
	ds_read_b128 v[11:14], v8
	v_add_nc_u32_e32 v10, 1, v10
	v_add_nc_u32_e32 v8, 16, v8
	;; [unrolled: 1-line block ×3, first 2 shown]
	v_cmp_lt_u32_e32 vcc_lo, 4, v10
	s_or_b32 s50, vcc_lo, s50
	s_waitcnt vmcnt(2) lgkmcnt(0)
	v_mul_f64 v[106:107], v[13:14], v[15:16]
	v_mul_f64 v[15:16], v[11:12], v[15:16]
	s_waitcnt vmcnt(0)
	v_fma_f64 v[11:12], v[11:12], v[104:105], -v[106:107]
	v_fma_f64 v[13:14], v[13:14], v[104:105], v[15:16]
	v_add_f64 v[1:2], v[1:2], v[11:12]
	v_add_f64 v[3:4], v[3:4], v[13:14]
	s_andn2_b32 exec_lo, exec_lo, s50
	s_cbranch_execnz .LBB42_380
; %bb.381:
	s_or_b32 exec_lo, exec_lo, s50
.LBB42_382:
	s_or_b32 exec_lo, exec_lo, s8
	v_mov_b32_e32 v8, 0
	ds_read_b128 v[8:11], v8 offset:96
	s_waitcnt lgkmcnt(0)
	v_mul_f64 v[12:13], v[3:4], v[10:11]
	v_mul_f64 v[10:11], v[1:2], v[10:11]
	v_fma_f64 v[1:2], v[1:2], v[8:9], -v[12:13]
	v_fma_f64 v[3:4], v[3:4], v[8:9], v[10:11]
	buffer_store_dword v2, off, s[0:3], 0 offset:100
	buffer_store_dword v1, off, s[0:3], 0 offset:96
	;; [unrolled: 1-line block ×4, first 2 shown]
.LBB42_383:
	s_or_b32 exec_lo, exec_lo, s4
	v_mov_b32_e32 v4, s43
	s_mov_b32 s4, exec_lo
	s_clause 0x3
	buffer_load_dword v1, v4, s[0:3], 0 offen
	buffer_load_dword v2, v4, s[0:3], 0 offen offset:4
	buffer_load_dword v3, v4, s[0:3], 0 offen offset:8
	;; [unrolled: 1-line block ×3, first 2 shown]
	s_waitcnt vmcnt(0)
	ds_write_b128 v6, v[1:4]
	s_waitcnt lgkmcnt(0)
	s_waitcnt_vscnt null, 0x0
	s_barrier
	buffer_gl0_inv
	v_cmpx_gt_u32_e32 7, v0
	s_cbranch_execz .LBB42_391
; %bb.384:
	ds_read_b128 v[1:4], v6
	v_cmp_ne_u32_e32 vcc_lo, 1, v7
	s_cbranch_vccnz .LBB42_386
; %bb.385:
	s_clause 0x3
	buffer_load_dword v8, v5, s[0:3], 0 offen offset:8
	buffer_load_dword v9, v5, s[0:3], 0 offen offset:12
	buffer_load_dword v10, v5, s[0:3], 0 offen
	buffer_load_dword v11, v5, s[0:3], 0 offen offset:4
	s_waitcnt vmcnt(2) lgkmcnt(0)
	v_mul_f64 v[12:13], v[3:4], v[8:9]
	v_mul_f64 v[8:9], v[1:2], v[8:9]
	s_waitcnt vmcnt(0)
	v_fma_f64 v[1:2], v[1:2], v[10:11], -v[12:13]
	v_fma_f64 v[3:4], v[3:4], v[10:11], v[8:9]
.LBB42_386:
	s_mov_b32 s8, exec_lo
	v_cmpx_ne_u32_e32 6, v0
	s_cbranch_execz .LBB42_390
; %bb.387:
	v_add_nc_u32_e32 v8, 0x2c0, v103
	v_add3_u32 v9, 0, v103, 16
	v_mov_b32_e32 v10, v0
	s_mov_b32 s50, 0
	.p2align	6
.LBB42_388:                             ; =>This Inner Loop Header: Depth=1
	s_clause 0x3
	buffer_load_dword v15, v9, s[0:3], 0 offen offset:8
	buffer_load_dword v16, v9, s[0:3], 0 offen offset:12
	buffer_load_dword v104, v9, s[0:3], 0 offen
	buffer_load_dword v105, v9, s[0:3], 0 offen offset:4
	ds_read_b128 v[11:14], v8
	v_add_nc_u32_e32 v10, 1, v10
	v_add_nc_u32_e32 v8, 16, v8
	;; [unrolled: 1-line block ×3, first 2 shown]
	v_cmp_lt_u32_e32 vcc_lo, 5, v10
	s_or_b32 s50, vcc_lo, s50
	s_waitcnt vmcnt(2) lgkmcnt(0)
	v_mul_f64 v[106:107], v[13:14], v[15:16]
	v_mul_f64 v[15:16], v[11:12], v[15:16]
	s_waitcnt vmcnt(0)
	v_fma_f64 v[11:12], v[11:12], v[104:105], -v[106:107]
	v_fma_f64 v[13:14], v[13:14], v[104:105], v[15:16]
	v_add_f64 v[1:2], v[1:2], v[11:12]
	v_add_f64 v[3:4], v[3:4], v[13:14]
	s_andn2_b32 exec_lo, exec_lo, s50
	s_cbranch_execnz .LBB42_388
; %bb.389:
	s_or_b32 exec_lo, exec_lo, s50
.LBB42_390:
	s_or_b32 exec_lo, exec_lo, s8
	v_mov_b32_e32 v8, 0
	ds_read_b128 v[8:11], v8 offset:112
	s_waitcnt lgkmcnt(0)
	v_mul_f64 v[12:13], v[3:4], v[10:11]
	v_mul_f64 v[10:11], v[1:2], v[10:11]
	v_fma_f64 v[1:2], v[1:2], v[8:9], -v[12:13]
	v_fma_f64 v[3:4], v[3:4], v[8:9], v[10:11]
	buffer_store_dword v2, off, s[0:3], 0 offset:116
	buffer_store_dword v1, off, s[0:3], 0 offset:112
	;; [unrolled: 1-line block ×4, first 2 shown]
.LBB42_391:
	s_or_b32 exec_lo, exec_lo, s4
	v_mov_b32_e32 v4, s42
	s_mov_b32 s4, exec_lo
	s_clause 0x3
	buffer_load_dword v1, v4, s[0:3], 0 offen
	buffer_load_dword v2, v4, s[0:3], 0 offen offset:4
	buffer_load_dword v3, v4, s[0:3], 0 offen offset:8
	buffer_load_dword v4, v4, s[0:3], 0 offen offset:12
	s_waitcnt vmcnt(0)
	ds_write_b128 v6, v[1:4]
	s_waitcnt lgkmcnt(0)
	s_waitcnt_vscnt null, 0x0
	s_barrier
	buffer_gl0_inv
	v_cmpx_gt_u32_e32 8, v0
	s_cbranch_execz .LBB42_399
; %bb.392:
	ds_read_b128 v[1:4], v6
	v_cmp_ne_u32_e32 vcc_lo, 1, v7
	s_cbranch_vccnz .LBB42_394
; %bb.393:
	s_clause 0x3
	buffer_load_dword v8, v5, s[0:3], 0 offen offset:8
	buffer_load_dword v9, v5, s[0:3], 0 offen offset:12
	buffer_load_dword v10, v5, s[0:3], 0 offen
	buffer_load_dword v11, v5, s[0:3], 0 offen offset:4
	s_waitcnt vmcnt(2) lgkmcnt(0)
	v_mul_f64 v[12:13], v[3:4], v[8:9]
	v_mul_f64 v[8:9], v[1:2], v[8:9]
	s_waitcnt vmcnt(0)
	v_fma_f64 v[1:2], v[1:2], v[10:11], -v[12:13]
	v_fma_f64 v[3:4], v[3:4], v[10:11], v[8:9]
.LBB42_394:
	s_mov_b32 s8, exec_lo
	v_cmpx_ne_u32_e32 7, v0
	s_cbranch_execz .LBB42_398
; %bb.395:
	v_add_nc_u32_e32 v8, 0x2c0, v103
	v_add3_u32 v9, 0, v103, 16
	v_mov_b32_e32 v10, v0
	s_mov_b32 s50, 0
	.p2align	6
.LBB42_396:                             ; =>This Inner Loop Header: Depth=1
	s_clause 0x3
	buffer_load_dword v15, v9, s[0:3], 0 offen offset:8
	buffer_load_dword v16, v9, s[0:3], 0 offen offset:12
	buffer_load_dword v104, v9, s[0:3], 0 offen
	buffer_load_dword v105, v9, s[0:3], 0 offen offset:4
	ds_read_b128 v[11:14], v8
	v_add_nc_u32_e32 v10, 1, v10
	v_add_nc_u32_e32 v8, 16, v8
	;; [unrolled: 1-line block ×3, first 2 shown]
	v_cmp_lt_u32_e32 vcc_lo, 6, v10
	s_or_b32 s50, vcc_lo, s50
	s_waitcnt vmcnt(2) lgkmcnt(0)
	v_mul_f64 v[106:107], v[13:14], v[15:16]
	v_mul_f64 v[15:16], v[11:12], v[15:16]
	s_waitcnt vmcnt(0)
	v_fma_f64 v[11:12], v[11:12], v[104:105], -v[106:107]
	v_fma_f64 v[13:14], v[13:14], v[104:105], v[15:16]
	v_add_f64 v[1:2], v[1:2], v[11:12]
	v_add_f64 v[3:4], v[3:4], v[13:14]
	s_andn2_b32 exec_lo, exec_lo, s50
	s_cbranch_execnz .LBB42_396
; %bb.397:
	s_or_b32 exec_lo, exec_lo, s50
.LBB42_398:
	s_or_b32 exec_lo, exec_lo, s8
	v_mov_b32_e32 v8, 0
	ds_read_b128 v[8:11], v8 offset:128
	s_waitcnt lgkmcnt(0)
	v_mul_f64 v[12:13], v[3:4], v[10:11]
	v_mul_f64 v[10:11], v[1:2], v[10:11]
	v_fma_f64 v[1:2], v[1:2], v[8:9], -v[12:13]
	v_fma_f64 v[3:4], v[3:4], v[8:9], v[10:11]
	buffer_store_dword v2, off, s[0:3], 0 offset:132
	buffer_store_dword v1, off, s[0:3], 0 offset:128
	;; [unrolled: 1-line block ×4, first 2 shown]
.LBB42_399:
	s_or_b32 exec_lo, exec_lo, s4
	v_mov_b32_e32 v4, s41
	s_mov_b32 s4, exec_lo
	s_clause 0x3
	buffer_load_dword v1, v4, s[0:3], 0 offen
	buffer_load_dword v2, v4, s[0:3], 0 offen offset:4
	buffer_load_dword v3, v4, s[0:3], 0 offen offset:8
	;; [unrolled: 1-line block ×3, first 2 shown]
	s_waitcnt vmcnt(0)
	ds_write_b128 v6, v[1:4]
	s_waitcnt lgkmcnt(0)
	s_waitcnt_vscnt null, 0x0
	s_barrier
	buffer_gl0_inv
	v_cmpx_gt_u32_e32 9, v0
	s_cbranch_execz .LBB42_407
; %bb.400:
	ds_read_b128 v[1:4], v6
	v_cmp_ne_u32_e32 vcc_lo, 1, v7
	s_cbranch_vccnz .LBB42_402
; %bb.401:
	s_clause 0x3
	buffer_load_dword v8, v5, s[0:3], 0 offen offset:8
	buffer_load_dword v9, v5, s[0:3], 0 offen offset:12
	buffer_load_dword v10, v5, s[0:3], 0 offen
	buffer_load_dword v11, v5, s[0:3], 0 offen offset:4
	s_waitcnt vmcnt(2) lgkmcnt(0)
	v_mul_f64 v[12:13], v[3:4], v[8:9]
	v_mul_f64 v[8:9], v[1:2], v[8:9]
	s_waitcnt vmcnt(0)
	v_fma_f64 v[1:2], v[1:2], v[10:11], -v[12:13]
	v_fma_f64 v[3:4], v[3:4], v[10:11], v[8:9]
.LBB42_402:
	s_mov_b32 s8, exec_lo
	v_cmpx_ne_u32_e32 8, v0
	s_cbranch_execz .LBB42_406
; %bb.403:
	v_add_nc_u32_e32 v8, 0x2c0, v103
	v_add3_u32 v9, 0, v103, 16
	v_mov_b32_e32 v10, v0
	s_mov_b32 s50, 0
	.p2align	6
.LBB42_404:                             ; =>This Inner Loop Header: Depth=1
	s_clause 0x3
	buffer_load_dword v15, v9, s[0:3], 0 offen offset:8
	buffer_load_dword v16, v9, s[0:3], 0 offen offset:12
	buffer_load_dword v104, v9, s[0:3], 0 offen
	buffer_load_dword v105, v9, s[0:3], 0 offen offset:4
	ds_read_b128 v[11:14], v8
	v_add_nc_u32_e32 v10, 1, v10
	v_add_nc_u32_e32 v8, 16, v8
	v_add_nc_u32_e32 v9, 16, v9
	v_cmp_lt_u32_e32 vcc_lo, 7, v10
	s_or_b32 s50, vcc_lo, s50
	s_waitcnt vmcnt(2) lgkmcnt(0)
	v_mul_f64 v[106:107], v[13:14], v[15:16]
	v_mul_f64 v[15:16], v[11:12], v[15:16]
	s_waitcnt vmcnt(0)
	v_fma_f64 v[11:12], v[11:12], v[104:105], -v[106:107]
	v_fma_f64 v[13:14], v[13:14], v[104:105], v[15:16]
	v_add_f64 v[1:2], v[1:2], v[11:12]
	v_add_f64 v[3:4], v[3:4], v[13:14]
	s_andn2_b32 exec_lo, exec_lo, s50
	s_cbranch_execnz .LBB42_404
; %bb.405:
	s_or_b32 exec_lo, exec_lo, s50
.LBB42_406:
	s_or_b32 exec_lo, exec_lo, s8
	v_mov_b32_e32 v8, 0
	ds_read_b128 v[8:11], v8 offset:144
	s_waitcnt lgkmcnt(0)
	v_mul_f64 v[12:13], v[3:4], v[10:11]
	v_mul_f64 v[10:11], v[1:2], v[10:11]
	v_fma_f64 v[1:2], v[1:2], v[8:9], -v[12:13]
	v_fma_f64 v[3:4], v[3:4], v[8:9], v[10:11]
	buffer_store_dword v2, off, s[0:3], 0 offset:148
	buffer_store_dword v1, off, s[0:3], 0 offset:144
	;; [unrolled: 1-line block ×4, first 2 shown]
.LBB42_407:
	s_or_b32 exec_lo, exec_lo, s4
	v_mov_b32_e32 v4, s40
	s_mov_b32 s4, exec_lo
	s_clause 0x3
	buffer_load_dword v1, v4, s[0:3], 0 offen
	buffer_load_dword v2, v4, s[0:3], 0 offen offset:4
	buffer_load_dword v3, v4, s[0:3], 0 offen offset:8
	;; [unrolled: 1-line block ×3, first 2 shown]
	s_waitcnt vmcnt(0)
	ds_write_b128 v6, v[1:4]
	s_waitcnt lgkmcnt(0)
	s_waitcnt_vscnt null, 0x0
	s_barrier
	buffer_gl0_inv
	v_cmpx_gt_u32_e32 10, v0
	s_cbranch_execz .LBB42_415
; %bb.408:
	ds_read_b128 v[1:4], v6
	v_cmp_ne_u32_e32 vcc_lo, 1, v7
	s_cbranch_vccnz .LBB42_410
; %bb.409:
	s_clause 0x3
	buffer_load_dword v8, v5, s[0:3], 0 offen offset:8
	buffer_load_dword v9, v5, s[0:3], 0 offen offset:12
	buffer_load_dword v10, v5, s[0:3], 0 offen
	buffer_load_dword v11, v5, s[0:3], 0 offen offset:4
	s_waitcnt vmcnt(2) lgkmcnt(0)
	v_mul_f64 v[12:13], v[3:4], v[8:9]
	v_mul_f64 v[8:9], v[1:2], v[8:9]
	s_waitcnt vmcnt(0)
	v_fma_f64 v[1:2], v[1:2], v[10:11], -v[12:13]
	v_fma_f64 v[3:4], v[3:4], v[10:11], v[8:9]
.LBB42_410:
	s_mov_b32 s8, exec_lo
	v_cmpx_ne_u32_e32 9, v0
	s_cbranch_execz .LBB42_414
; %bb.411:
	v_add_nc_u32_e32 v8, 0x2c0, v103
	v_add3_u32 v9, 0, v103, 16
	v_mov_b32_e32 v10, v0
	s_mov_b32 s50, 0
	.p2align	6
.LBB42_412:                             ; =>This Inner Loop Header: Depth=1
	s_clause 0x3
	buffer_load_dword v15, v9, s[0:3], 0 offen offset:8
	buffer_load_dword v16, v9, s[0:3], 0 offen offset:12
	buffer_load_dword v104, v9, s[0:3], 0 offen
	buffer_load_dword v105, v9, s[0:3], 0 offen offset:4
	ds_read_b128 v[11:14], v8
	v_add_nc_u32_e32 v10, 1, v10
	v_add_nc_u32_e32 v8, 16, v8
	;; [unrolled: 1-line block ×3, first 2 shown]
	v_cmp_lt_u32_e32 vcc_lo, 8, v10
	s_or_b32 s50, vcc_lo, s50
	s_waitcnt vmcnt(2) lgkmcnt(0)
	v_mul_f64 v[106:107], v[13:14], v[15:16]
	v_mul_f64 v[15:16], v[11:12], v[15:16]
	s_waitcnt vmcnt(0)
	v_fma_f64 v[11:12], v[11:12], v[104:105], -v[106:107]
	v_fma_f64 v[13:14], v[13:14], v[104:105], v[15:16]
	v_add_f64 v[1:2], v[1:2], v[11:12]
	v_add_f64 v[3:4], v[3:4], v[13:14]
	s_andn2_b32 exec_lo, exec_lo, s50
	s_cbranch_execnz .LBB42_412
; %bb.413:
	s_or_b32 exec_lo, exec_lo, s50
.LBB42_414:
	s_or_b32 exec_lo, exec_lo, s8
	v_mov_b32_e32 v8, 0
	ds_read_b128 v[8:11], v8 offset:160
	s_waitcnt lgkmcnt(0)
	v_mul_f64 v[12:13], v[3:4], v[10:11]
	v_mul_f64 v[10:11], v[1:2], v[10:11]
	v_fma_f64 v[1:2], v[1:2], v[8:9], -v[12:13]
	v_fma_f64 v[3:4], v[3:4], v[8:9], v[10:11]
	buffer_store_dword v2, off, s[0:3], 0 offset:164
	buffer_store_dword v1, off, s[0:3], 0 offset:160
	;; [unrolled: 1-line block ×4, first 2 shown]
.LBB42_415:
	s_or_b32 exec_lo, exec_lo, s4
	v_mov_b32_e32 v4, s39
	s_mov_b32 s4, exec_lo
	s_clause 0x3
	buffer_load_dword v1, v4, s[0:3], 0 offen
	buffer_load_dword v2, v4, s[0:3], 0 offen offset:4
	buffer_load_dword v3, v4, s[0:3], 0 offen offset:8
	;; [unrolled: 1-line block ×3, first 2 shown]
	s_waitcnt vmcnt(0)
	ds_write_b128 v6, v[1:4]
	s_waitcnt lgkmcnt(0)
	s_waitcnt_vscnt null, 0x0
	s_barrier
	buffer_gl0_inv
	v_cmpx_gt_u32_e32 11, v0
	s_cbranch_execz .LBB42_423
; %bb.416:
	ds_read_b128 v[1:4], v6
	v_cmp_ne_u32_e32 vcc_lo, 1, v7
	s_cbranch_vccnz .LBB42_418
; %bb.417:
	s_clause 0x3
	buffer_load_dword v8, v5, s[0:3], 0 offen offset:8
	buffer_load_dword v9, v5, s[0:3], 0 offen offset:12
	buffer_load_dword v10, v5, s[0:3], 0 offen
	buffer_load_dword v11, v5, s[0:3], 0 offen offset:4
	s_waitcnt vmcnt(2) lgkmcnt(0)
	v_mul_f64 v[12:13], v[3:4], v[8:9]
	v_mul_f64 v[8:9], v[1:2], v[8:9]
	s_waitcnt vmcnt(0)
	v_fma_f64 v[1:2], v[1:2], v[10:11], -v[12:13]
	v_fma_f64 v[3:4], v[3:4], v[10:11], v[8:9]
.LBB42_418:
	s_mov_b32 s8, exec_lo
	v_cmpx_ne_u32_e32 10, v0
	s_cbranch_execz .LBB42_422
; %bb.419:
	v_add_nc_u32_e32 v8, 0x2c0, v103
	v_add3_u32 v9, 0, v103, 16
	v_mov_b32_e32 v10, v0
	s_mov_b32 s50, 0
	.p2align	6
.LBB42_420:                             ; =>This Inner Loop Header: Depth=1
	s_clause 0x3
	buffer_load_dword v15, v9, s[0:3], 0 offen offset:8
	buffer_load_dword v16, v9, s[0:3], 0 offen offset:12
	buffer_load_dword v104, v9, s[0:3], 0 offen
	buffer_load_dword v105, v9, s[0:3], 0 offen offset:4
	ds_read_b128 v[11:14], v8
	v_add_nc_u32_e32 v10, 1, v10
	v_add_nc_u32_e32 v8, 16, v8
	;; [unrolled: 1-line block ×3, first 2 shown]
	v_cmp_lt_u32_e32 vcc_lo, 9, v10
	s_or_b32 s50, vcc_lo, s50
	s_waitcnt vmcnt(2) lgkmcnt(0)
	v_mul_f64 v[106:107], v[13:14], v[15:16]
	v_mul_f64 v[15:16], v[11:12], v[15:16]
	s_waitcnt vmcnt(0)
	v_fma_f64 v[11:12], v[11:12], v[104:105], -v[106:107]
	v_fma_f64 v[13:14], v[13:14], v[104:105], v[15:16]
	v_add_f64 v[1:2], v[1:2], v[11:12]
	v_add_f64 v[3:4], v[3:4], v[13:14]
	s_andn2_b32 exec_lo, exec_lo, s50
	s_cbranch_execnz .LBB42_420
; %bb.421:
	s_or_b32 exec_lo, exec_lo, s50
.LBB42_422:
	s_or_b32 exec_lo, exec_lo, s8
	v_mov_b32_e32 v8, 0
	ds_read_b128 v[8:11], v8 offset:176
	s_waitcnt lgkmcnt(0)
	v_mul_f64 v[12:13], v[3:4], v[10:11]
	v_mul_f64 v[10:11], v[1:2], v[10:11]
	v_fma_f64 v[1:2], v[1:2], v[8:9], -v[12:13]
	v_fma_f64 v[3:4], v[3:4], v[8:9], v[10:11]
	buffer_store_dword v2, off, s[0:3], 0 offset:180
	buffer_store_dword v1, off, s[0:3], 0 offset:176
	;; [unrolled: 1-line block ×4, first 2 shown]
.LBB42_423:
	s_or_b32 exec_lo, exec_lo, s4
	v_mov_b32_e32 v4, s38
	s_mov_b32 s4, exec_lo
	s_clause 0x3
	buffer_load_dword v1, v4, s[0:3], 0 offen
	buffer_load_dword v2, v4, s[0:3], 0 offen offset:4
	buffer_load_dword v3, v4, s[0:3], 0 offen offset:8
	;; [unrolled: 1-line block ×3, first 2 shown]
	s_waitcnt vmcnt(0)
	ds_write_b128 v6, v[1:4]
	s_waitcnt lgkmcnt(0)
	s_waitcnt_vscnt null, 0x0
	s_barrier
	buffer_gl0_inv
	v_cmpx_gt_u32_e32 12, v0
	s_cbranch_execz .LBB42_431
; %bb.424:
	ds_read_b128 v[1:4], v6
	v_cmp_ne_u32_e32 vcc_lo, 1, v7
	s_cbranch_vccnz .LBB42_426
; %bb.425:
	s_clause 0x3
	buffer_load_dword v8, v5, s[0:3], 0 offen offset:8
	buffer_load_dword v9, v5, s[0:3], 0 offen offset:12
	buffer_load_dword v10, v5, s[0:3], 0 offen
	buffer_load_dword v11, v5, s[0:3], 0 offen offset:4
	s_waitcnt vmcnt(2) lgkmcnt(0)
	v_mul_f64 v[12:13], v[3:4], v[8:9]
	v_mul_f64 v[8:9], v[1:2], v[8:9]
	s_waitcnt vmcnt(0)
	v_fma_f64 v[1:2], v[1:2], v[10:11], -v[12:13]
	v_fma_f64 v[3:4], v[3:4], v[10:11], v[8:9]
.LBB42_426:
	s_mov_b32 s8, exec_lo
	v_cmpx_ne_u32_e32 11, v0
	s_cbranch_execz .LBB42_430
; %bb.427:
	v_add_nc_u32_e32 v8, 0x2c0, v103
	v_add3_u32 v9, 0, v103, 16
	v_mov_b32_e32 v10, v0
	s_mov_b32 s50, 0
	.p2align	6
.LBB42_428:                             ; =>This Inner Loop Header: Depth=1
	s_clause 0x3
	buffer_load_dword v15, v9, s[0:3], 0 offen offset:8
	buffer_load_dword v16, v9, s[0:3], 0 offen offset:12
	buffer_load_dword v104, v9, s[0:3], 0 offen
	buffer_load_dword v105, v9, s[0:3], 0 offen offset:4
	ds_read_b128 v[11:14], v8
	v_add_nc_u32_e32 v10, 1, v10
	v_add_nc_u32_e32 v8, 16, v8
	;; [unrolled: 1-line block ×3, first 2 shown]
	v_cmp_lt_u32_e32 vcc_lo, 10, v10
	s_or_b32 s50, vcc_lo, s50
	s_waitcnt vmcnt(2) lgkmcnt(0)
	v_mul_f64 v[106:107], v[13:14], v[15:16]
	v_mul_f64 v[15:16], v[11:12], v[15:16]
	s_waitcnt vmcnt(0)
	v_fma_f64 v[11:12], v[11:12], v[104:105], -v[106:107]
	v_fma_f64 v[13:14], v[13:14], v[104:105], v[15:16]
	v_add_f64 v[1:2], v[1:2], v[11:12]
	v_add_f64 v[3:4], v[3:4], v[13:14]
	s_andn2_b32 exec_lo, exec_lo, s50
	s_cbranch_execnz .LBB42_428
; %bb.429:
	s_or_b32 exec_lo, exec_lo, s50
.LBB42_430:
	s_or_b32 exec_lo, exec_lo, s8
	v_mov_b32_e32 v8, 0
	ds_read_b128 v[8:11], v8 offset:192
	s_waitcnt lgkmcnt(0)
	v_mul_f64 v[12:13], v[3:4], v[10:11]
	v_mul_f64 v[10:11], v[1:2], v[10:11]
	v_fma_f64 v[1:2], v[1:2], v[8:9], -v[12:13]
	v_fma_f64 v[3:4], v[3:4], v[8:9], v[10:11]
	buffer_store_dword v2, off, s[0:3], 0 offset:196
	buffer_store_dword v1, off, s[0:3], 0 offset:192
	;; [unrolled: 1-line block ×4, first 2 shown]
.LBB42_431:
	s_or_b32 exec_lo, exec_lo, s4
	v_mov_b32_e32 v4, s37
	s_mov_b32 s4, exec_lo
	s_clause 0x3
	buffer_load_dword v1, v4, s[0:3], 0 offen
	buffer_load_dword v2, v4, s[0:3], 0 offen offset:4
	buffer_load_dword v3, v4, s[0:3], 0 offen offset:8
	;; [unrolled: 1-line block ×3, first 2 shown]
	s_waitcnt vmcnt(0)
	ds_write_b128 v6, v[1:4]
	s_waitcnt lgkmcnt(0)
	s_waitcnt_vscnt null, 0x0
	s_barrier
	buffer_gl0_inv
	v_cmpx_gt_u32_e32 13, v0
	s_cbranch_execz .LBB42_439
; %bb.432:
	ds_read_b128 v[1:4], v6
	v_cmp_ne_u32_e32 vcc_lo, 1, v7
	s_cbranch_vccnz .LBB42_434
; %bb.433:
	s_clause 0x3
	buffer_load_dword v8, v5, s[0:3], 0 offen offset:8
	buffer_load_dword v9, v5, s[0:3], 0 offen offset:12
	buffer_load_dword v10, v5, s[0:3], 0 offen
	buffer_load_dword v11, v5, s[0:3], 0 offen offset:4
	s_waitcnt vmcnt(2) lgkmcnt(0)
	v_mul_f64 v[12:13], v[3:4], v[8:9]
	v_mul_f64 v[8:9], v[1:2], v[8:9]
	s_waitcnt vmcnt(0)
	v_fma_f64 v[1:2], v[1:2], v[10:11], -v[12:13]
	v_fma_f64 v[3:4], v[3:4], v[10:11], v[8:9]
.LBB42_434:
	s_mov_b32 s8, exec_lo
	v_cmpx_ne_u32_e32 12, v0
	s_cbranch_execz .LBB42_438
; %bb.435:
	v_add_nc_u32_e32 v8, 0x2c0, v103
	v_add3_u32 v9, 0, v103, 16
	v_mov_b32_e32 v10, v0
	s_mov_b32 s50, 0
	.p2align	6
.LBB42_436:                             ; =>This Inner Loop Header: Depth=1
	s_clause 0x3
	buffer_load_dword v15, v9, s[0:3], 0 offen offset:8
	buffer_load_dword v16, v9, s[0:3], 0 offen offset:12
	buffer_load_dword v104, v9, s[0:3], 0 offen
	buffer_load_dword v105, v9, s[0:3], 0 offen offset:4
	ds_read_b128 v[11:14], v8
	v_add_nc_u32_e32 v10, 1, v10
	v_add_nc_u32_e32 v8, 16, v8
	;; [unrolled: 1-line block ×3, first 2 shown]
	v_cmp_lt_u32_e32 vcc_lo, 11, v10
	s_or_b32 s50, vcc_lo, s50
	s_waitcnt vmcnt(2) lgkmcnt(0)
	v_mul_f64 v[106:107], v[13:14], v[15:16]
	v_mul_f64 v[15:16], v[11:12], v[15:16]
	s_waitcnt vmcnt(0)
	v_fma_f64 v[11:12], v[11:12], v[104:105], -v[106:107]
	v_fma_f64 v[13:14], v[13:14], v[104:105], v[15:16]
	v_add_f64 v[1:2], v[1:2], v[11:12]
	v_add_f64 v[3:4], v[3:4], v[13:14]
	s_andn2_b32 exec_lo, exec_lo, s50
	s_cbranch_execnz .LBB42_436
; %bb.437:
	s_or_b32 exec_lo, exec_lo, s50
.LBB42_438:
	s_or_b32 exec_lo, exec_lo, s8
	v_mov_b32_e32 v8, 0
	ds_read_b128 v[8:11], v8 offset:208
	s_waitcnt lgkmcnt(0)
	v_mul_f64 v[12:13], v[3:4], v[10:11]
	v_mul_f64 v[10:11], v[1:2], v[10:11]
	v_fma_f64 v[1:2], v[1:2], v[8:9], -v[12:13]
	v_fma_f64 v[3:4], v[3:4], v[8:9], v[10:11]
	buffer_store_dword v2, off, s[0:3], 0 offset:212
	buffer_store_dword v1, off, s[0:3], 0 offset:208
	;; [unrolled: 1-line block ×4, first 2 shown]
.LBB42_439:
	s_or_b32 exec_lo, exec_lo, s4
	v_mov_b32_e32 v4, s36
	s_mov_b32 s4, exec_lo
	s_clause 0x3
	buffer_load_dword v1, v4, s[0:3], 0 offen
	buffer_load_dword v2, v4, s[0:3], 0 offen offset:4
	buffer_load_dword v3, v4, s[0:3], 0 offen offset:8
	buffer_load_dword v4, v4, s[0:3], 0 offen offset:12
	s_waitcnt vmcnt(0)
	ds_write_b128 v6, v[1:4]
	s_waitcnt lgkmcnt(0)
	s_waitcnt_vscnt null, 0x0
	s_barrier
	buffer_gl0_inv
	v_cmpx_gt_u32_e32 14, v0
	s_cbranch_execz .LBB42_447
; %bb.440:
	ds_read_b128 v[1:4], v6
	v_cmp_ne_u32_e32 vcc_lo, 1, v7
	s_cbranch_vccnz .LBB42_442
; %bb.441:
	s_clause 0x3
	buffer_load_dword v8, v5, s[0:3], 0 offen offset:8
	buffer_load_dword v9, v5, s[0:3], 0 offen offset:12
	buffer_load_dword v10, v5, s[0:3], 0 offen
	buffer_load_dword v11, v5, s[0:3], 0 offen offset:4
	s_waitcnt vmcnt(2) lgkmcnt(0)
	v_mul_f64 v[12:13], v[3:4], v[8:9]
	v_mul_f64 v[8:9], v[1:2], v[8:9]
	s_waitcnt vmcnt(0)
	v_fma_f64 v[1:2], v[1:2], v[10:11], -v[12:13]
	v_fma_f64 v[3:4], v[3:4], v[10:11], v[8:9]
.LBB42_442:
	s_mov_b32 s8, exec_lo
	v_cmpx_ne_u32_e32 13, v0
	s_cbranch_execz .LBB42_446
; %bb.443:
	v_add_nc_u32_e32 v8, 0x2c0, v103
	v_add3_u32 v9, 0, v103, 16
	v_mov_b32_e32 v10, v0
	s_mov_b32 s50, 0
	.p2align	6
.LBB42_444:                             ; =>This Inner Loop Header: Depth=1
	s_clause 0x3
	buffer_load_dword v15, v9, s[0:3], 0 offen offset:8
	buffer_load_dword v16, v9, s[0:3], 0 offen offset:12
	buffer_load_dword v104, v9, s[0:3], 0 offen
	buffer_load_dword v105, v9, s[0:3], 0 offen offset:4
	ds_read_b128 v[11:14], v8
	v_add_nc_u32_e32 v10, 1, v10
	v_add_nc_u32_e32 v8, 16, v8
	;; [unrolled: 1-line block ×3, first 2 shown]
	v_cmp_lt_u32_e32 vcc_lo, 12, v10
	s_or_b32 s50, vcc_lo, s50
	s_waitcnt vmcnt(2) lgkmcnt(0)
	v_mul_f64 v[106:107], v[13:14], v[15:16]
	v_mul_f64 v[15:16], v[11:12], v[15:16]
	s_waitcnt vmcnt(0)
	v_fma_f64 v[11:12], v[11:12], v[104:105], -v[106:107]
	v_fma_f64 v[13:14], v[13:14], v[104:105], v[15:16]
	v_add_f64 v[1:2], v[1:2], v[11:12]
	v_add_f64 v[3:4], v[3:4], v[13:14]
	s_andn2_b32 exec_lo, exec_lo, s50
	s_cbranch_execnz .LBB42_444
; %bb.445:
	s_or_b32 exec_lo, exec_lo, s50
.LBB42_446:
	s_or_b32 exec_lo, exec_lo, s8
	v_mov_b32_e32 v8, 0
	ds_read_b128 v[8:11], v8 offset:224
	s_waitcnt lgkmcnt(0)
	v_mul_f64 v[12:13], v[3:4], v[10:11]
	v_mul_f64 v[10:11], v[1:2], v[10:11]
	v_fma_f64 v[1:2], v[1:2], v[8:9], -v[12:13]
	v_fma_f64 v[3:4], v[3:4], v[8:9], v[10:11]
	buffer_store_dword v2, off, s[0:3], 0 offset:228
	buffer_store_dword v1, off, s[0:3], 0 offset:224
	;; [unrolled: 1-line block ×4, first 2 shown]
.LBB42_447:
	s_or_b32 exec_lo, exec_lo, s4
	v_mov_b32_e32 v4, s35
	s_mov_b32 s4, exec_lo
	s_clause 0x3
	buffer_load_dword v1, v4, s[0:3], 0 offen
	buffer_load_dword v2, v4, s[0:3], 0 offen offset:4
	buffer_load_dword v3, v4, s[0:3], 0 offen offset:8
	;; [unrolled: 1-line block ×3, first 2 shown]
	s_waitcnt vmcnt(0)
	ds_write_b128 v6, v[1:4]
	s_waitcnt lgkmcnt(0)
	s_waitcnt_vscnt null, 0x0
	s_barrier
	buffer_gl0_inv
	v_cmpx_gt_u32_e32 15, v0
	s_cbranch_execz .LBB42_455
; %bb.448:
	ds_read_b128 v[1:4], v6
	v_cmp_ne_u32_e32 vcc_lo, 1, v7
	s_cbranch_vccnz .LBB42_450
; %bb.449:
	s_clause 0x3
	buffer_load_dword v8, v5, s[0:3], 0 offen offset:8
	buffer_load_dword v9, v5, s[0:3], 0 offen offset:12
	buffer_load_dword v10, v5, s[0:3], 0 offen
	buffer_load_dword v11, v5, s[0:3], 0 offen offset:4
	s_waitcnt vmcnt(2) lgkmcnt(0)
	v_mul_f64 v[12:13], v[3:4], v[8:9]
	v_mul_f64 v[8:9], v[1:2], v[8:9]
	s_waitcnt vmcnt(0)
	v_fma_f64 v[1:2], v[1:2], v[10:11], -v[12:13]
	v_fma_f64 v[3:4], v[3:4], v[10:11], v[8:9]
.LBB42_450:
	s_mov_b32 s8, exec_lo
	v_cmpx_ne_u32_e32 14, v0
	s_cbranch_execz .LBB42_454
; %bb.451:
	v_add_nc_u32_e32 v8, 0x2c0, v103
	v_add3_u32 v9, 0, v103, 16
	v_mov_b32_e32 v10, v0
	s_mov_b32 s50, 0
	.p2align	6
.LBB42_452:                             ; =>This Inner Loop Header: Depth=1
	s_clause 0x3
	buffer_load_dword v15, v9, s[0:3], 0 offen offset:8
	buffer_load_dword v16, v9, s[0:3], 0 offen offset:12
	buffer_load_dword v104, v9, s[0:3], 0 offen
	buffer_load_dword v105, v9, s[0:3], 0 offen offset:4
	ds_read_b128 v[11:14], v8
	v_add_nc_u32_e32 v10, 1, v10
	v_add_nc_u32_e32 v8, 16, v8
	;; [unrolled: 1-line block ×3, first 2 shown]
	v_cmp_lt_u32_e32 vcc_lo, 13, v10
	s_or_b32 s50, vcc_lo, s50
	s_waitcnt vmcnt(2) lgkmcnt(0)
	v_mul_f64 v[106:107], v[13:14], v[15:16]
	v_mul_f64 v[15:16], v[11:12], v[15:16]
	s_waitcnt vmcnt(0)
	v_fma_f64 v[11:12], v[11:12], v[104:105], -v[106:107]
	v_fma_f64 v[13:14], v[13:14], v[104:105], v[15:16]
	v_add_f64 v[1:2], v[1:2], v[11:12]
	v_add_f64 v[3:4], v[3:4], v[13:14]
	s_andn2_b32 exec_lo, exec_lo, s50
	s_cbranch_execnz .LBB42_452
; %bb.453:
	s_or_b32 exec_lo, exec_lo, s50
.LBB42_454:
	s_or_b32 exec_lo, exec_lo, s8
	v_mov_b32_e32 v8, 0
	ds_read_b128 v[8:11], v8 offset:240
	s_waitcnt lgkmcnt(0)
	v_mul_f64 v[12:13], v[3:4], v[10:11]
	v_mul_f64 v[10:11], v[1:2], v[10:11]
	v_fma_f64 v[1:2], v[1:2], v[8:9], -v[12:13]
	v_fma_f64 v[3:4], v[3:4], v[8:9], v[10:11]
	buffer_store_dword v2, off, s[0:3], 0 offset:244
	buffer_store_dword v1, off, s[0:3], 0 offset:240
	;; [unrolled: 1-line block ×4, first 2 shown]
.LBB42_455:
	s_or_b32 exec_lo, exec_lo, s4
	v_mov_b32_e32 v4, s34
	s_mov_b32 s4, exec_lo
	s_clause 0x3
	buffer_load_dword v1, v4, s[0:3], 0 offen
	buffer_load_dword v2, v4, s[0:3], 0 offen offset:4
	buffer_load_dword v3, v4, s[0:3], 0 offen offset:8
	;; [unrolled: 1-line block ×3, first 2 shown]
	s_waitcnt vmcnt(0)
	ds_write_b128 v6, v[1:4]
	s_waitcnt lgkmcnt(0)
	s_waitcnt_vscnt null, 0x0
	s_barrier
	buffer_gl0_inv
	v_cmpx_gt_u32_e32 16, v0
	s_cbranch_execz .LBB42_463
; %bb.456:
	ds_read_b128 v[1:4], v6
	v_cmp_ne_u32_e32 vcc_lo, 1, v7
	s_cbranch_vccnz .LBB42_458
; %bb.457:
	s_clause 0x3
	buffer_load_dword v8, v5, s[0:3], 0 offen offset:8
	buffer_load_dword v9, v5, s[0:3], 0 offen offset:12
	buffer_load_dword v10, v5, s[0:3], 0 offen
	buffer_load_dword v11, v5, s[0:3], 0 offen offset:4
	s_waitcnt vmcnt(2) lgkmcnt(0)
	v_mul_f64 v[12:13], v[3:4], v[8:9]
	v_mul_f64 v[8:9], v[1:2], v[8:9]
	s_waitcnt vmcnt(0)
	v_fma_f64 v[1:2], v[1:2], v[10:11], -v[12:13]
	v_fma_f64 v[3:4], v[3:4], v[10:11], v[8:9]
.LBB42_458:
	s_mov_b32 s8, exec_lo
	v_cmpx_ne_u32_e32 15, v0
	s_cbranch_execz .LBB42_462
; %bb.459:
	v_add_nc_u32_e32 v8, 0x2c0, v103
	v_add3_u32 v9, 0, v103, 16
	v_mov_b32_e32 v10, v0
	s_mov_b32 s50, 0
	.p2align	6
.LBB42_460:                             ; =>This Inner Loop Header: Depth=1
	s_clause 0x3
	buffer_load_dword v15, v9, s[0:3], 0 offen offset:8
	buffer_load_dword v16, v9, s[0:3], 0 offen offset:12
	buffer_load_dword v104, v9, s[0:3], 0 offen
	buffer_load_dword v105, v9, s[0:3], 0 offen offset:4
	ds_read_b128 v[11:14], v8
	v_add_nc_u32_e32 v10, 1, v10
	v_add_nc_u32_e32 v8, 16, v8
	;; [unrolled: 1-line block ×3, first 2 shown]
	v_cmp_lt_u32_e32 vcc_lo, 14, v10
	s_or_b32 s50, vcc_lo, s50
	s_waitcnt vmcnt(2) lgkmcnt(0)
	v_mul_f64 v[106:107], v[13:14], v[15:16]
	v_mul_f64 v[15:16], v[11:12], v[15:16]
	s_waitcnt vmcnt(0)
	v_fma_f64 v[11:12], v[11:12], v[104:105], -v[106:107]
	v_fma_f64 v[13:14], v[13:14], v[104:105], v[15:16]
	v_add_f64 v[1:2], v[1:2], v[11:12]
	v_add_f64 v[3:4], v[3:4], v[13:14]
	s_andn2_b32 exec_lo, exec_lo, s50
	s_cbranch_execnz .LBB42_460
; %bb.461:
	s_or_b32 exec_lo, exec_lo, s50
.LBB42_462:
	s_or_b32 exec_lo, exec_lo, s8
	v_mov_b32_e32 v8, 0
	ds_read_b128 v[8:11], v8 offset:256
	s_waitcnt lgkmcnt(0)
	v_mul_f64 v[12:13], v[3:4], v[10:11]
	v_mul_f64 v[10:11], v[1:2], v[10:11]
	v_fma_f64 v[1:2], v[1:2], v[8:9], -v[12:13]
	v_fma_f64 v[3:4], v[3:4], v[8:9], v[10:11]
	buffer_store_dword v2, off, s[0:3], 0 offset:260
	buffer_store_dword v1, off, s[0:3], 0 offset:256
	;; [unrolled: 1-line block ×4, first 2 shown]
.LBB42_463:
	s_or_b32 exec_lo, exec_lo, s4
	v_mov_b32_e32 v4, s33
	s_mov_b32 s4, exec_lo
	s_clause 0x3
	buffer_load_dword v1, v4, s[0:3], 0 offen
	buffer_load_dword v2, v4, s[0:3], 0 offen offset:4
	buffer_load_dword v3, v4, s[0:3], 0 offen offset:8
	buffer_load_dword v4, v4, s[0:3], 0 offen offset:12
	s_waitcnt vmcnt(0)
	ds_write_b128 v6, v[1:4]
	s_waitcnt lgkmcnt(0)
	s_waitcnt_vscnt null, 0x0
	s_barrier
	buffer_gl0_inv
	v_cmpx_gt_u32_e32 17, v0
	s_cbranch_execz .LBB42_471
; %bb.464:
	ds_read_b128 v[1:4], v6
	v_cmp_ne_u32_e32 vcc_lo, 1, v7
	s_cbranch_vccnz .LBB42_466
; %bb.465:
	s_clause 0x3
	buffer_load_dword v8, v5, s[0:3], 0 offen offset:8
	buffer_load_dword v9, v5, s[0:3], 0 offen offset:12
	buffer_load_dword v10, v5, s[0:3], 0 offen
	buffer_load_dword v11, v5, s[0:3], 0 offen offset:4
	s_waitcnt vmcnt(2) lgkmcnt(0)
	v_mul_f64 v[12:13], v[3:4], v[8:9]
	v_mul_f64 v[8:9], v[1:2], v[8:9]
	s_waitcnt vmcnt(0)
	v_fma_f64 v[1:2], v[1:2], v[10:11], -v[12:13]
	v_fma_f64 v[3:4], v[3:4], v[10:11], v[8:9]
.LBB42_466:
	s_mov_b32 s8, exec_lo
	v_cmpx_ne_u32_e32 16, v0
	s_cbranch_execz .LBB42_470
; %bb.467:
	v_add_nc_u32_e32 v8, 0x2c0, v103
	v_add3_u32 v9, 0, v103, 16
	v_mov_b32_e32 v10, v0
	s_mov_b32 s50, 0
	.p2align	6
.LBB42_468:                             ; =>This Inner Loop Header: Depth=1
	s_clause 0x3
	buffer_load_dword v15, v9, s[0:3], 0 offen offset:8
	buffer_load_dword v16, v9, s[0:3], 0 offen offset:12
	buffer_load_dword v104, v9, s[0:3], 0 offen
	buffer_load_dword v105, v9, s[0:3], 0 offen offset:4
	ds_read_b128 v[11:14], v8
	v_add_nc_u32_e32 v10, 1, v10
	v_add_nc_u32_e32 v8, 16, v8
	;; [unrolled: 1-line block ×3, first 2 shown]
	v_cmp_lt_u32_e32 vcc_lo, 15, v10
	s_or_b32 s50, vcc_lo, s50
	s_waitcnt vmcnt(2) lgkmcnt(0)
	v_mul_f64 v[106:107], v[13:14], v[15:16]
	v_mul_f64 v[15:16], v[11:12], v[15:16]
	s_waitcnt vmcnt(0)
	v_fma_f64 v[11:12], v[11:12], v[104:105], -v[106:107]
	v_fma_f64 v[13:14], v[13:14], v[104:105], v[15:16]
	v_add_f64 v[1:2], v[1:2], v[11:12]
	v_add_f64 v[3:4], v[3:4], v[13:14]
	s_andn2_b32 exec_lo, exec_lo, s50
	s_cbranch_execnz .LBB42_468
; %bb.469:
	s_or_b32 exec_lo, exec_lo, s50
.LBB42_470:
	s_or_b32 exec_lo, exec_lo, s8
	v_mov_b32_e32 v8, 0
	ds_read_b128 v[8:11], v8 offset:272
	s_waitcnt lgkmcnt(0)
	v_mul_f64 v[12:13], v[3:4], v[10:11]
	v_mul_f64 v[10:11], v[1:2], v[10:11]
	v_fma_f64 v[1:2], v[1:2], v[8:9], -v[12:13]
	v_fma_f64 v[3:4], v[3:4], v[8:9], v[10:11]
	buffer_store_dword v2, off, s[0:3], 0 offset:276
	buffer_store_dword v1, off, s[0:3], 0 offset:272
	;; [unrolled: 1-line block ×4, first 2 shown]
.LBB42_471:
	s_or_b32 exec_lo, exec_lo, s4
	v_mov_b32_e32 v4, s31
	s_mov_b32 s4, exec_lo
	s_clause 0x3
	buffer_load_dword v1, v4, s[0:3], 0 offen
	buffer_load_dword v2, v4, s[0:3], 0 offen offset:4
	buffer_load_dword v3, v4, s[0:3], 0 offen offset:8
	;; [unrolled: 1-line block ×3, first 2 shown]
	s_waitcnt vmcnt(0)
	ds_write_b128 v6, v[1:4]
	s_waitcnt lgkmcnt(0)
	s_waitcnt_vscnt null, 0x0
	s_barrier
	buffer_gl0_inv
	v_cmpx_gt_u32_e32 18, v0
	s_cbranch_execz .LBB42_479
; %bb.472:
	ds_read_b128 v[1:4], v6
	v_cmp_ne_u32_e32 vcc_lo, 1, v7
	s_cbranch_vccnz .LBB42_474
; %bb.473:
	s_clause 0x3
	buffer_load_dword v8, v5, s[0:3], 0 offen offset:8
	buffer_load_dword v9, v5, s[0:3], 0 offen offset:12
	buffer_load_dword v10, v5, s[0:3], 0 offen
	buffer_load_dword v11, v5, s[0:3], 0 offen offset:4
	s_waitcnt vmcnt(2) lgkmcnt(0)
	v_mul_f64 v[12:13], v[3:4], v[8:9]
	v_mul_f64 v[8:9], v[1:2], v[8:9]
	s_waitcnt vmcnt(0)
	v_fma_f64 v[1:2], v[1:2], v[10:11], -v[12:13]
	v_fma_f64 v[3:4], v[3:4], v[10:11], v[8:9]
.LBB42_474:
	s_mov_b32 s8, exec_lo
	v_cmpx_ne_u32_e32 17, v0
	s_cbranch_execz .LBB42_478
; %bb.475:
	v_add_nc_u32_e32 v8, 0x2c0, v103
	v_add3_u32 v9, 0, v103, 16
	v_mov_b32_e32 v10, v0
	s_mov_b32 s50, 0
	.p2align	6
.LBB42_476:                             ; =>This Inner Loop Header: Depth=1
	s_clause 0x3
	buffer_load_dword v15, v9, s[0:3], 0 offen offset:8
	buffer_load_dword v16, v9, s[0:3], 0 offen offset:12
	buffer_load_dword v104, v9, s[0:3], 0 offen
	buffer_load_dword v105, v9, s[0:3], 0 offen offset:4
	ds_read_b128 v[11:14], v8
	v_add_nc_u32_e32 v10, 1, v10
	v_add_nc_u32_e32 v8, 16, v8
	;; [unrolled: 1-line block ×3, first 2 shown]
	v_cmp_lt_u32_e32 vcc_lo, 16, v10
	s_or_b32 s50, vcc_lo, s50
	s_waitcnt vmcnt(2) lgkmcnt(0)
	v_mul_f64 v[106:107], v[13:14], v[15:16]
	v_mul_f64 v[15:16], v[11:12], v[15:16]
	s_waitcnt vmcnt(0)
	v_fma_f64 v[11:12], v[11:12], v[104:105], -v[106:107]
	v_fma_f64 v[13:14], v[13:14], v[104:105], v[15:16]
	v_add_f64 v[1:2], v[1:2], v[11:12]
	v_add_f64 v[3:4], v[3:4], v[13:14]
	s_andn2_b32 exec_lo, exec_lo, s50
	s_cbranch_execnz .LBB42_476
; %bb.477:
	s_or_b32 exec_lo, exec_lo, s50
.LBB42_478:
	s_or_b32 exec_lo, exec_lo, s8
	v_mov_b32_e32 v8, 0
	ds_read_b128 v[8:11], v8 offset:288
	s_waitcnt lgkmcnt(0)
	v_mul_f64 v[12:13], v[3:4], v[10:11]
	v_mul_f64 v[10:11], v[1:2], v[10:11]
	v_fma_f64 v[1:2], v[1:2], v[8:9], -v[12:13]
	v_fma_f64 v[3:4], v[3:4], v[8:9], v[10:11]
	buffer_store_dword v2, off, s[0:3], 0 offset:292
	buffer_store_dword v1, off, s[0:3], 0 offset:288
	;; [unrolled: 1-line block ×4, first 2 shown]
.LBB42_479:
	s_or_b32 exec_lo, exec_lo, s4
	v_mov_b32_e32 v4, s30
	s_mov_b32 s4, exec_lo
	s_clause 0x3
	buffer_load_dword v1, v4, s[0:3], 0 offen
	buffer_load_dword v2, v4, s[0:3], 0 offen offset:4
	buffer_load_dword v3, v4, s[0:3], 0 offen offset:8
	;; [unrolled: 1-line block ×3, first 2 shown]
	s_waitcnt vmcnt(0)
	ds_write_b128 v6, v[1:4]
	s_waitcnt lgkmcnt(0)
	s_waitcnt_vscnt null, 0x0
	s_barrier
	buffer_gl0_inv
	v_cmpx_gt_u32_e32 19, v0
	s_cbranch_execz .LBB42_487
; %bb.480:
	ds_read_b128 v[1:4], v6
	v_cmp_ne_u32_e32 vcc_lo, 1, v7
	s_cbranch_vccnz .LBB42_482
; %bb.481:
	s_clause 0x3
	buffer_load_dword v8, v5, s[0:3], 0 offen offset:8
	buffer_load_dword v9, v5, s[0:3], 0 offen offset:12
	buffer_load_dword v10, v5, s[0:3], 0 offen
	buffer_load_dword v11, v5, s[0:3], 0 offen offset:4
	s_waitcnt vmcnt(2) lgkmcnt(0)
	v_mul_f64 v[12:13], v[3:4], v[8:9]
	v_mul_f64 v[8:9], v[1:2], v[8:9]
	s_waitcnt vmcnt(0)
	v_fma_f64 v[1:2], v[1:2], v[10:11], -v[12:13]
	v_fma_f64 v[3:4], v[3:4], v[10:11], v[8:9]
.LBB42_482:
	s_mov_b32 s8, exec_lo
	v_cmpx_ne_u32_e32 18, v0
	s_cbranch_execz .LBB42_486
; %bb.483:
	v_add_nc_u32_e32 v8, 0x2c0, v103
	v_add3_u32 v9, 0, v103, 16
	v_mov_b32_e32 v10, v0
	s_mov_b32 s50, 0
	.p2align	6
.LBB42_484:                             ; =>This Inner Loop Header: Depth=1
	s_clause 0x3
	buffer_load_dword v15, v9, s[0:3], 0 offen offset:8
	buffer_load_dword v16, v9, s[0:3], 0 offen offset:12
	buffer_load_dword v104, v9, s[0:3], 0 offen
	buffer_load_dword v105, v9, s[0:3], 0 offen offset:4
	ds_read_b128 v[11:14], v8
	v_add_nc_u32_e32 v10, 1, v10
	v_add_nc_u32_e32 v8, 16, v8
	;; [unrolled: 1-line block ×3, first 2 shown]
	v_cmp_lt_u32_e32 vcc_lo, 17, v10
	s_or_b32 s50, vcc_lo, s50
	s_waitcnt vmcnt(2) lgkmcnt(0)
	v_mul_f64 v[106:107], v[13:14], v[15:16]
	v_mul_f64 v[15:16], v[11:12], v[15:16]
	s_waitcnt vmcnt(0)
	v_fma_f64 v[11:12], v[11:12], v[104:105], -v[106:107]
	v_fma_f64 v[13:14], v[13:14], v[104:105], v[15:16]
	v_add_f64 v[1:2], v[1:2], v[11:12]
	v_add_f64 v[3:4], v[3:4], v[13:14]
	s_andn2_b32 exec_lo, exec_lo, s50
	s_cbranch_execnz .LBB42_484
; %bb.485:
	s_or_b32 exec_lo, exec_lo, s50
.LBB42_486:
	s_or_b32 exec_lo, exec_lo, s8
	v_mov_b32_e32 v8, 0
	ds_read_b128 v[8:11], v8 offset:304
	s_waitcnt lgkmcnt(0)
	v_mul_f64 v[12:13], v[3:4], v[10:11]
	v_mul_f64 v[10:11], v[1:2], v[10:11]
	v_fma_f64 v[1:2], v[1:2], v[8:9], -v[12:13]
	v_fma_f64 v[3:4], v[3:4], v[8:9], v[10:11]
	buffer_store_dword v2, off, s[0:3], 0 offset:308
	buffer_store_dword v1, off, s[0:3], 0 offset:304
	;; [unrolled: 1-line block ×4, first 2 shown]
.LBB42_487:
	s_or_b32 exec_lo, exec_lo, s4
	v_mov_b32_e32 v4, s29
	s_mov_b32 s4, exec_lo
	s_clause 0x3
	buffer_load_dword v1, v4, s[0:3], 0 offen
	buffer_load_dword v2, v4, s[0:3], 0 offen offset:4
	buffer_load_dword v3, v4, s[0:3], 0 offen offset:8
	;; [unrolled: 1-line block ×3, first 2 shown]
	s_waitcnt vmcnt(0)
	ds_write_b128 v6, v[1:4]
	s_waitcnt lgkmcnt(0)
	s_waitcnt_vscnt null, 0x0
	s_barrier
	buffer_gl0_inv
	v_cmpx_gt_u32_e32 20, v0
	s_cbranch_execz .LBB42_495
; %bb.488:
	ds_read_b128 v[1:4], v6
	v_cmp_ne_u32_e32 vcc_lo, 1, v7
	s_cbranch_vccnz .LBB42_490
; %bb.489:
	s_clause 0x3
	buffer_load_dword v8, v5, s[0:3], 0 offen offset:8
	buffer_load_dword v9, v5, s[0:3], 0 offen offset:12
	buffer_load_dword v10, v5, s[0:3], 0 offen
	buffer_load_dword v11, v5, s[0:3], 0 offen offset:4
	s_waitcnt vmcnt(2) lgkmcnt(0)
	v_mul_f64 v[12:13], v[3:4], v[8:9]
	v_mul_f64 v[8:9], v[1:2], v[8:9]
	s_waitcnt vmcnt(0)
	v_fma_f64 v[1:2], v[1:2], v[10:11], -v[12:13]
	v_fma_f64 v[3:4], v[3:4], v[10:11], v[8:9]
.LBB42_490:
	s_mov_b32 s8, exec_lo
	v_cmpx_ne_u32_e32 19, v0
	s_cbranch_execz .LBB42_494
; %bb.491:
	v_add_nc_u32_e32 v8, 0x2c0, v103
	v_add3_u32 v9, 0, v103, 16
	v_mov_b32_e32 v10, v0
	s_mov_b32 s50, 0
	.p2align	6
.LBB42_492:                             ; =>This Inner Loop Header: Depth=1
	s_clause 0x3
	buffer_load_dword v15, v9, s[0:3], 0 offen offset:8
	buffer_load_dword v16, v9, s[0:3], 0 offen offset:12
	buffer_load_dword v104, v9, s[0:3], 0 offen
	buffer_load_dword v105, v9, s[0:3], 0 offen offset:4
	ds_read_b128 v[11:14], v8
	v_add_nc_u32_e32 v10, 1, v10
	v_add_nc_u32_e32 v8, 16, v8
	;; [unrolled: 1-line block ×3, first 2 shown]
	v_cmp_lt_u32_e32 vcc_lo, 18, v10
	s_or_b32 s50, vcc_lo, s50
	s_waitcnt vmcnt(2) lgkmcnt(0)
	v_mul_f64 v[106:107], v[13:14], v[15:16]
	v_mul_f64 v[15:16], v[11:12], v[15:16]
	s_waitcnt vmcnt(0)
	v_fma_f64 v[11:12], v[11:12], v[104:105], -v[106:107]
	v_fma_f64 v[13:14], v[13:14], v[104:105], v[15:16]
	v_add_f64 v[1:2], v[1:2], v[11:12]
	v_add_f64 v[3:4], v[3:4], v[13:14]
	s_andn2_b32 exec_lo, exec_lo, s50
	s_cbranch_execnz .LBB42_492
; %bb.493:
	s_or_b32 exec_lo, exec_lo, s50
.LBB42_494:
	s_or_b32 exec_lo, exec_lo, s8
	v_mov_b32_e32 v8, 0
	ds_read_b128 v[8:11], v8 offset:320
	s_waitcnt lgkmcnt(0)
	v_mul_f64 v[12:13], v[3:4], v[10:11]
	v_mul_f64 v[10:11], v[1:2], v[10:11]
	v_fma_f64 v[1:2], v[1:2], v[8:9], -v[12:13]
	v_fma_f64 v[3:4], v[3:4], v[8:9], v[10:11]
	buffer_store_dword v2, off, s[0:3], 0 offset:324
	buffer_store_dword v1, off, s[0:3], 0 offset:320
	;; [unrolled: 1-line block ×4, first 2 shown]
.LBB42_495:
	s_or_b32 exec_lo, exec_lo, s4
	v_mov_b32_e32 v4, s28
	s_mov_b32 s4, exec_lo
	s_clause 0x3
	buffer_load_dword v1, v4, s[0:3], 0 offen
	buffer_load_dword v2, v4, s[0:3], 0 offen offset:4
	buffer_load_dword v3, v4, s[0:3], 0 offen offset:8
	;; [unrolled: 1-line block ×3, first 2 shown]
	s_waitcnt vmcnt(0)
	ds_write_b128 v6, v[1:4]
	s_waitcnt lgkmcnt(0)
	s_waitcnt_vscnt null, 0x0
	s_barrier
	buffer_gl0_inv
	v_cmpx_gt_u32_e32 21, v0
	s_cbranch_execz .LBB42_503
; %bb.496:
	ds_read_b128 v[1:4], v6
	v_cmp_ne_u32_e32 vcc_lo, 1, v7
	s_cbranch_vccnz .LBB42_498
; %bb.497:
	s_clause 0x3
	buffer_load_dword v8, v5, s[0:3], 0 offen offset:8
	buffer_load_dword v9, v5, s[0:3], 0 offen offset:12
	buffer_load_dword v10, v5, s[0:3], 0 offen
	buffer_load_dword v11, v5, s[0:3], 0 offen offset:4
	s_waitcnt vmcnt(2) lgkmcnt(0)
	v_mul_f64 v[12:13], v[3:4], v[8:9]
	v_mul_f64 v[8:9], v[1:2], v[8:9]
	s_waitcnt vmcnt(0)
	v_fma_f64 v[1:2], v[1:2], v[10:11], -v[12:13]
	v_fma_f64 v[3:4], v[3:4], v[10:11], v[8:9]
.LBB42_498:
	s_mov_b32 s8, exec_lo
	v_cmpx_ne_u32_e32 20, v0
	s_cbranch_execz .LBB42_502
; %bb.499:
	v_add_nc_u32_e32 v8, 0x2c0, v103
	v_add3_u32 v9, 0, v103, 16
	v_mov_b32_e32 v10, v0
	s_mov_b32 s50, 0
	.p2align	6
.LBB42_500:                             ; =>This Inner Loop Header: Depth=1
	s_clause 0x3
	buffer_load_dword v15, v9, s[0:3], 0 offen offset:8
	buffer_load_dword v16, v9, s[0:3], 0 offen offset:12
	buffer_load_dword v104, v9, s[0:3], 0 offen
	buffer_load_dword v105, v9, s[0:3], 0 offen offset:4
	ds_read_b128 v[11:14], v8
	v_add_nc_u32_e32 v10, 1, v10
	v_add_nc_u32_e32 v8, 16, v8
	;; [unrolled: 1-line block ×3, first 2 shown]
	v_cmp_lt_u32_e32 vcc_lo, 19, v10
	s_or_b32 s50, vcc_lo, s50
	s_waitcnt vmcnt(2) lgkmcnt(0)
	v_mul_f64 v[106:107], v[13:14], v[15:16]
	v_mul_f64 v[15:16], v[11:12], v[15:16]
	s_waitcnt vmcnt(0)
	v_fma_f64 v[11:12], v[11:12], v[104:105], -v[106:107]
	v_fma_f64 v[13:14], v[13:14], v[104:105], v[15:16]
	v_add_f64 v[1:2], v[1:2], v[11:12]
	v_add_f64 v[3:4], v[3:4], v[13:14]
	s_andn2_b32 exec_lo, exec_lo, s50
	s_cbranch_execnz .LBB42_500
; %bb.501:
	s_or_b32 exec_lo, exec_lo, s50
.LBB42_502:
	s_or_b32 exec_lo, exec_lo, s8
	v_mov_b32_e32 v8, 0
	ds_read_b128 v[8:11], v8 offset:336
	s_waitcnt lgkmcnt(0)
	v_mul_f64 v[12:13], v[3:4], v[10:11]
	v_mul_f64 v[10:11], v[1:2], v[10:11]
	v_fma_f64 v[1:2], v[1:2], v[8:9], -v[12:13]
	v_fma_f64 v[3:4], v[3:4], v[8:9], v[10:11]
	buffer_store_dword v2, off, s[0:3], 0 offset:340
	buffer_store_dword v1, off, s[0:3], 0 offset:336
	buffer_store_dword v4, off, s[0:3], 0 offset:348
	buffer_store_dword v3, off, s[0:3], 0 offset:344
.LBB42_503:
	s_or_b32 exec_lo, exec_lo, s4
	v_mov_b32_e32 v4, s27
	s_mov_b32 s4, exec_lo
	s_clause 0x3
	buffer_load_dword v1, v4, s[0:3], 0 offen
	buffer_load_dword v2, v4, s[0:3], 0 offen offset:4
	buffer_load_dword v3, v4, s[0:3], 0 offen offset:8
	;; [unrolled: 1-line block ×3, first 2 shown]
	s_waitcnt vmcnt(0)
	ds_write_b128 v6, v[1:4]
	s_waitcnt lgkmcnt(0)
	s_waitcnt_vscnt null, 0x0
	s_barrier
	buffer_gl0_inv
	v_cmpx_gt_u32_e32 22, v0
	s_cbranch_execz .LBB42_511
; %bb.504:
	ds_read_b128 v[1:4], v6
	v_cmp_ne_u32_e32 vcc_lo, 1, v7
	s_cbranch_vccnz .LBB42_506
; %bb.505:
	s_clause 0x3
	buffer_load_dword v8, v5, s[0:3], 0 offen offset:8
	buffer_load_dword v9, v5, s[0:3], 0 offen offset:12
	buffer_load_dword v10, v5, s[0:3], 0 offen
	buffer_load_dword v11, v5, s[0:3], 0 offen offset:4
	s_waitcnt vmcnt(2) lgkmcnt(0)
	v_mul_f64 v[12:13], v[3:4], v[8:9]
	v_mul_f64 v[8:9], v[1:2], v[8:9]
	s_waitcnt vmcnt(0)
	v_fma_f64 v[1:2], v[1:2], v[10:11], -v[12:13]
	v_fma_f64 v[3:4], v[3:4], v[10:11], v[8:9]
.LBB42_506:
	s_mov_b32 s8, exec_lo
	v_cmpx_ne_u32_e32 21, v0
	s_cbranch_execz .LBB42_510
; %bb.507:
	v_add_nc_u32_e32 v8, 0x2c0, v103
	v_add3_u32 v9, 0, v103, 16
	v_mov_b32_e32 v10, v0
	s_mov_b32 s50, 0
	.p2align	6
.LBB42_508:                             ; =>This Inner Loop Header: Depth=1
	s_clause 0x3
	buffer_load_dword v15, v9, s[0:3], 0 offen offset:8
	buffer_load_dword v16, v9, s[0:3], 0 offen offset:12
	buffer_load_dword v104, v9, s[0:3], 0 offen
	buffer_load_dword v105, v9, s[0:3], 0 offen offset:4
	ds_read_b128 v[11:14], v8
	v_add_nc_u32_e32 v10, 1, v10
	v_add_nc_u32_e32 v8, 16, v8
	v_add_nc_u32_e32 v9, 16, v9
	v_cmp_lt_u32_e32 vcc_lo, 20, v10
	s_or_b32 s50, vcc_lo, s50
	s_waitcnt vmcnt(2) lgkmcnt(0)
	v_mul_f64 v[106:107], v[13:14], v[15:16]
	v_mul_f64 v[15:16], v[11:12], v[15:16]
	s_waitcnt vmcnt(0)
	v_fma_f64 v[11:12], v[11:12], v[104:105], -v[106:107]
	v_fma_f64 v[13:14], v[13:14], v[104:105], v[15:16]
	v_add_f64 v[1:2], v[1:2], v[11:12]
	v_add_f64 v[3:4], v[3:4], v[13:14]
	s_andn2_b32 exec_lo, exec_lo, s50
	s_cbranch_execnz .LBB42_508
; %bb.509:
	s_or_b32 exec_lo, exec_lo, s50
.LBB42_510:
	s_or_b32 exec_lo, exec_lo, s8
	v_mov_b32_e32 v8, 0
	ds_read_b128 v[8:11], v8 offset:352
	s_waitcnt lgkmcnt(0)
	v_mul_f64 v[12:13], v[3:4], v[10:11]
	v_mul_f64 v[10:11], v[1:2], v[10:11]
	v_fma_f64 v[1:2], v[1:2], v[8:9], -v[12:13]
	v_fma_f64 v[3:4], v[3:4], v[8:9], v[10:11]
	buffer_store_dword v2, off, s[0:3], 0 offset:356
	buffer_store_dword v1, off, s[0:3], 0 offset:352
	buffer_store_dword v4, off, s[0:3], 0 offset:364
	buffer_store_dword v3, off, s[0:3], 0 offset:360
.LBB42_511:
	s_or_b32 exec_lo, exec_lo, s4
	v_mov_b32_e32 v4, s26
	s_mov_b32 s4, exec_lo
	s_clause 0x3
	buffer_load_dword v1, v4, s[0:3], 0 offen
	buffer_load_dword v2, v4, s[0:3], 0 offen offset:4
	buffer_load_dword v3, v4, s[0:3], 0 offen offset:8
	;; [unrolled: 1-line block ×3, first 2 shown]
	s_waitcnt vmcnt(0)
	ds_write_b128 v6, v[1:4]
	s_waitcnt lgkmcnt(0)
	s_waitcnt_vscnt null, 0x0
	s_barrier
	buffer_gl0_inv
	v_cmpx_gt_u32_e32 23, v0
	s_cbranch_execz .LBB42_519
; %bb.512:
	ds_read_b128 v[1:4], v6
	v_cmp_ne_u32_e32 vcc_lo, 1, v7
	s_cbranch_vccnz .LBB42_514
; %bb.513:
	s_clause 0x3
	buffer_load_dword v8, v5, s[0:3], 0 offen offset:8
	buffer_load_dword v9, v5, s[0:3], 0 offen offset:12
	buffer_load_dword v10, v5, s[0:3], 0 offen
	buffer_load_dword v11, v5, s[0:3], 0 offen offset:4
	s_waitcnt vmcnt(2) lgkmcnt(0)
	v_mul_f64 v[12:13], v[3:4], v[8:9]
	v_mul_f64 v[8:9], v[1:2], v[8:9]
	s_waitcnt vmcnt(0)
	v_fma_f64 v[1:2], v[1:2], v[10:11], -v[12:13]
	v_fma_f64 v[3:4], v[3:4], v[10:11], v[8:9]
.LBB42_514:
	s_mov_b32 s8, exec_lo
	v_cmpx_ne_u32_e32 22, v0
	s_cbranch_execz .LBB42_518
; %bb.515:
	v_add_nc_u32_e32 v8, 0x2c0, v103
	v_add3_u32 v9, 0, v103, 16
	v_mov_b32_e32 v10, v0
	s_mov_b32 s50, 0
	.p2align	6
.LBB42_516:                             ; =>This Inner Loop Header: Depth=1
	s_clause 0x3
	buffer_load_dword v15, v9, s[0:3], 0 offen offset:8
	buffer_load_dword v16, v9, s[0:3], 0 offen offset:12
	buffer_load_dword v104, v9, s[0:3], 0 offen
	buffer_load_dword v105, v9, s[0:3], 0 offen offset:4
	ds_read_b128 v[11:14], v8
	v_add_nc_u32_e32 v10, 1, v10
	v_add_nc_u32_e32 v8, 16, v8
	;; [unrolled: 1-line block ×3, first 2 shown]
	v_cmp_lt_u32_e32 vcc_lo, 21, v10
	s_or_b32 s50, vcc_lo, s50
	s_waitcnt vmcnt(2) lgkmcnt(0)
	v_mul_f64 v[106:107], v[13:14], v[15:16]
	v_mul_f64 v[15:16], v[11:12], v[15:16]
	s_waitcnt vmcnt(0)
	v_fma_f64 v[11:12], v[11:12], v[104:105], -v[106:107]
	v_fma_f64 v[13:14], v[13:14], v[104:105], v[15:16]
	v_add_f64 v[1:2], v[1:2], v[11:12]
	v_add_f64 v[3:4], v[3:4], v[13:14]
	s_andn2_b32 exec_lo, exec_lo, s50
	s_cbranch_execnz .LBB42_516
; %bb.517:
	s_or_b32 exec_lo, exec_lo, s50
.LBB42_518:
	s_or_b32 exec_lo, exec_lo, s8
	v_mov_b32_e32 v8, 0
	ds_read_b128 v[8:11], v8 offset:368
	s_waitcnt lgkmcnt(0)
	v_mul_f64 v[12:13], v[3:4], v[10:11]
	v_mul_f64 v[10:11], v[1:2], v[10:11]
	v_fma_f64 v[1:2], v[1:2], v[8:9], -v[12:13]
	v_fma_f64 v[3:4], v[3:4], v[8:9], v[10:11]
	buffer_store_dword v2, off, s[0:3], 0 offset:372
	buffer_store_dword v1, off, s[0:3], 0 offset:368
	;; [unrolled: 1-line block ×4, first 2 shown]
.LBB42_519:
	s_or_b32 exec_lo, exec_lo, s4
	v_mov_b32_e32 v4, s25
	s_mov_b32 s4, exec_lo
	s_clause 0x3
	buffer_load_dword v1, v4, s[0:3], 0 offen
	buffer_load_dword v2, v4, s[0:3], 0 offen offset:4
	buffer_load_dword v3, v4, s[0:3], 0 offen offset:8
	;; [unrolled: 1-line block ×3, first 2 shown]
	s_waitcnt vmcnt(0)
	ds_write_b128 v6, v[1:4]
	s_waitcnt lgkmcnt(0)
	s_waitcnt_vscnt null, 0x0
	s_barrier
	buffer_gl0_inv
	v_cmpx_gt_u32_e32 24, v0
	s_cbranch_execz .LBB42_527
; %bb.520:
	ds_read_b128 v[1:4], v6
	v_cmp_ne_u32_e32 vcc_lo, 1, v7
	s_cbranch_vccnz .LBB42_522
; %bb.521:
	s_clause 0x3
	buffer_load_dword v8, v5, s[0:3], 0 offen offset:8
	buffer_load_dword v9, v5, s[0:3], 0 offen offset:12
	buffer_load_dword v10, v5, s[0:3], 0 offen
	buffer_load_dword v11, v5, s[0:3], 0 offen offset:4
	s_waitcnt vmcnt(2) lgkmcnt(0)
	v_mul_f64 v[12:13], v[3:4], v[8:9]
	v_mul_f64 v[8:9], v[1:2], v[8:9]
	s_waitcnt vmcnt(0)
	v_fma_f64 v[1:2], v[1:2], v[10:11], -v[12:13]
	v_fma_f64 v[3:4], v[3:4], v[10:11], v[8:9]
.LBB42_522:
	s_mov_b32 s8, exec_lo
	v_cmpx_ne_u32_e32 23, v0
	s_cbranch_execz .LBB42_526
; %bb.523:
	v_add_nc_u32_e32 v8, 0x2c0, v103
	v_add3_u32 v9, 0, v103, 16
	v_mov_b32_e32 v10, v0
	s_mov_b32 s50, 0
	.p2align	6
.LBB42_524:                             ; =>This Inner Loop Header: Depth=1
	s_clause 0x3
	buffer_load_dword v15, v9, s[0:3], 0 offen offset:8
	buffer_load_dword v16, v9, s[0:3], 0 offen offset:12
	buffer_load_dword v104, v9, s[0:3], 0 offen
	buffer_load_dword v105, v9, s[0:3], 0 offen offset:4
	ds_read_b128 v[11:14], v8
	v_add_nc_u32_e32 v10, 1, v10
	v_add_nc_u32_e32 v8, 16, v8
	;; [unrolled: 1-line block ×3, first 2 shown]
	v_cmp_lt_u32_e32 vcc_lo, 22, v10
	s_or_b32 s50, vcc_lo, s50
	s_waitcnt vmcnt(2) lgkmcnt(0)
	v_mul_f64 v[106:107], v[13:14], v[15:16]
	v_mul_f64 v[15:16], v[11:12], v[15:16]
	s_waitcnt vmcnt(0)
	v_fma_f64 v[11:12], v[11:12], v[104:105], -v[106:107]
	v_fma_f64 v[13:14], v[13:14], v[104:105], v[15:16]
	v_add_f64 v[1:2], v[1:2], v[11:12]
	v_add_f64 v[3:4], v[3:4], v[13:14]
	s_andn2_b32 exec_lo, exec_lo, s50
	s_cbranch_execnz .LBB42_524
; %bb.525:
	s_or_b32 exec_lo, exec_lo, s50
.LBB42_526:
	s_or_b32 exec_lo, exec_lo, s8
	v_mov_b32_e32 v8, 0
	ds_read_b128 v[8:11], v8 offset:384
	s_waitcnt lgkmcnt(0)
	v_mul_f64 v[12:13], v[3:4], v[10:11]
	v_mul_f64 v[10:11], v[1:2], v[10:11]
	v_fma_f64 v[1:2], v[1:2], v[8:9], -v[12:13]
	v_fma_f64 v[3:4], v[3:4], v[8:9], v[10:11]
	buffer_store_dword v2, off, s[0:3], 0 offset:388
	buffer_store_dword v1, off, s[0:3], 0 offset:384
	;; [unrolled: 1-line block ×4, first 2 shown]
.LBB42_527:
	s_or_b32 exec_lo, exec_lo, s4
	v_mov_b32_e32 v4, s24
	s_mov_b32 s4, exec_lo
	s_clause 0x3
	buffer_load_dword v1, v4, s[0:3], 0 offen
	buffer_load_dword v2, v4, s[0:3], 0 offen offset:4
	buffer_load_dword v3, v4, s[0:3], 0 offen offset:8
	buffer_load_dword v4, v4, s[0:3], 0 offen offset:12
	s_waitcnt vmcnt(0)
	ds_write_b128 v6, v[1:4]
	s_waitcnt lgkmcnt(0)
	s_waitcnt_vscnt null, 0x0
	s_barrier
	buffer_gl0_inv
	v_cmpx_gt_u32_e32 25, v0
	s_cbranch_execz .LBB42_535
; %bb.528:
	ds_read_b128 v[1:4], v6
	v_cmp_ne_u32_e32 vcc_lo, 1, v7
	s_cbranch_vccnz .LBB42_530
; %bb.529:
	s_clause 0x3
	buffer_load_dword v8, v5, s[0:3], 0 offen offset:8
	buffer_load_dword v9, v5, s[0:3], 0 offen offset:12
	buffer_load_dword v10, v5, s[0:3], 0 offen
	buffer_load_dword v11, v5, s[0:3], 0 offen offset:4
	s_waitcnt vmcnt(2) lgkmcnt(0)
	v_mul_f64 v[12:13], v[3:4], v[8:9]
	v_mul_f64 v[8:9], v[1:2], v[8:9]
	s_waitcnt vmcnt(0)
	v_fma_f64 v[1:2], v[1:2], v[10:11], -v[12:13]
	v_fma_f64 v[3:4], v[3:4], v[10:11], v[8:9]
.LBB42_530:
	s_mov_b32 s8, exec_lo
	v_cmpx_ne_u32_e32 24, v0
	s_cbranch_execz .LBB42_534
; %bb.531:
	v_add_nc_u32_e32 v8, 0x2c0, v103
	v_add3_u32 v9, 0, v103, 16
	v_mov_b32_e32 v10, v0
	s_mov_b32 s50, 0
	.p2align	6
.LBB42_532:                             ; =>This Inner Loop Header: Depth=1
	s_clause 0x3
	buffer_load_dword v15, v9, s[0:3], 0 offen offset:8
	buffer_load_dword v16, v9, s[0:3], 0 offen offset:12
	buffer_load_dword v104, v9, s[0:3], 0 offen
	buffer_load_dword v105, v9, s[0:3], 0 offen offset:4
	ds_read_b128 v[11:14], v8
	v_add_nc_u32_e32 v10, 1, v10
	v_add_nc_u32_e32 v8, 16, v8
	;; [unrolled: 1-line block ×3, first 2 shown]
	v_cmp_lt_u32_e32 vcc_lo, 23, v10
	s_or_b32 s50, vcc_lo, s50
	s_waitcnt vmcnt(2) lgkmcnt(0)
	v_mul_f64 v[106:107], v[13:14], v[15:16]
	v_mul_f64 v[15:16], v[11:12], v[15:16]
	s_waitcnt vmcnt(0)
	v_fma_f64 v[11:12], v[11:12], v[104:105], -v[106:107]
	v_fma_f64 v[13:14], v[13:14], v[104:105], v[15:16]
	v_add_f64 v[1:2], v[1:2], v[11:12]
	v_add_f64 v[3:4], v[3:4], v[13:14]
	s_andn2_b32 exec_lo, exec_lo, s50
	s_cbranch_execnz .LBB42_532
; %bb.533:
	s_or_b32 exec_lo, exec_lo, s50
.LBB42_534:
	s_or_b32 exec_lo, exec_lo, s8
	v_mov_b32_e32 v8, 0
	ds_read_b128 v[8:11], v8 offset:400
	s_waitcnt lgkmcnt(0)
	v_mul_f64 v[12:13], v[3:4], v[10:11]
	v_mul_f64 v[10:11], v[1:2], v[10:11]
	v_fma_f64 v[1:2], v[1:2], v[8:9], -v[12:13]
	v_fma_f64 v[3:4], v[3:4], v[8:9], v[10:11]
	buffer_store_dword v2, off, s[0:3], 0 offset:404
	buffer_store_dword v1, off, s[0:3], 0 offset:400
	;; [unrolled: 1-line block ×4, first 2 shown]
.LBB42_535:
	s_or_b32 exec_lo, exec_lo, s4
	v_mov_b32_e32 v4, s23
	s_mov_b32 s4, exec_lo
	s_clause 0x3
	buffer_load_dword v1, v4, s[0:3], 0 offen
	buffer_load_dword v2, v4, s[0:3], 0 offen offset:4
	buffer_load_dword v3, v4, s[0:3], 0 offen offset:8
	;; [unrolled: 1-line block ×3, first 2 shown]
	s_waitcnt vmcnt(0)
	ds_write_b128 v6, v[1:4]
	s_waitcnt lgkmcnt(0)
	s_waitcnt_vscnt null, 0x0
	s_barrier
	buffer_gl0_inv
	v_cmpx_gt_u32_e32 26, v0
	s_cbranch_execz .LBB42_543
; %bb.536:
	ds_read_b128 v[1:4], v6
	v_cmp_ne_u32_e32 vcc_lo, 1, v7
	s_cbranch_vccnz .LBB42_538
; %bb.537:
	s_clause 0x3
	buffer_load_dword v8, v5, s[0:3], 0 offen offset:8
	buffer_load_dword v9, v5, s[0:3], 0 offen offset:12
	buffer_load_dword v10, v5, s[0:3], 0 offen
	buffer_load_dword v11, v5, s[0:3], 0 offen offset:4
	s_waitcnt vmcnt(2) lgkmcnt(0)
	v_mul_f64 v[12:13], v[3:4], v[8:9]
	v_mul_f64 v[8:9], v[1:2], v[8:9]
	s_waitcnt vmcnt(0)
	v_fma_f64 v[1:2], v[1:2], v[10:11], -v[12:13]
	v_fma_f64 v[3:4], v[3:4], v[10:11], v[8:9]
.LBB42_538:
	s_mov_b32 s8, exec_lo
	v_cmpx_ne_u32_e32 25, v0
	s_cbranch_execz .LBB42_542
; %bb.539:
	v_add_nc_u32_e32 v8, 0x2c0, v103
	v_add3_u32 v9, 0, v103, 16
	v_mov_b32_e32 v10, v0
	s_mov_b32 s50, 0
	.p2align	6
.LBB42_540:                             ; =>This Inner Loop Header: Depth=1
	s_clause 0x3
	buffer_load_dword v15, v9, s[0:3], 0 offen offset:8
	buffer_load_dword v16, v9, s[0:3], 0 offen offset:12
	buffer_load_dword v104, v9, s[0:3], 0 offen
	buffer_load_dword v105, v9, s[0:3], 0 offen offset:4
	ds_read_b128 v[11:14], v8
	v_add_nc_u32_e32 v10, 1, v10
	v_add_nc_u32_e32 v8, 16, v8
	;; [unrolled: 1-line block ×3, first 2 shown]
	v_cmp_lt_u32_e32 vcc_lo, 24, v10
	s_or_b32 s50, vcc_lo, s50
	s_waitcnt vmcnt(2) lgkmcnt(0)
	v_mul_f64 v[106:107], v[13:14], v[15:16]
	v_mul_f64 v[15:16], v[11:12], v[15:16]
	s_waitcnt vmcnt(0)
	v_fma_f64 v[11:12], v[11:12], v[104:105], -v[106:107]
	v_fma_f64 v[13:14], v[13:14], v[104:105], v[15:16]
	v_add_f64 v[1:2], v[1:2], v[11:12]
	v_add_f64 v[3:4], v[3:4], v[13:14]
	s_andn2_b32 exec_lo, exec_lo, s50
	s_cbranch_execnz .LBB42_540
; %bb.541:
	s_or_b32 exec_lo, exec_lo, s50
.LBB42_542:
	s_or_b32 exec_lo, exec_lo, s8
	v_mov_b32_e32 v8, 0
	ds_read_b128 v[8:11], v8 offset:416
	s_waitcnt lgkmcnt(0)
	v_mul_f64 v[12:13], v[3:4], v[10:11]
	v_mul_f64 v[10:11], v[1:2], v[10:11]
	v_fma_f64 v[1:2], v[1:2], v[8:9], -v[12:13]
	v_fma_f64 v[3:4], v[3:4], v[8:9], v[10:11]
	buffer_store_dword v2, off, s[0:3], 0 offset:420
	buffer_store_dword v1, off, s[0:3], 0 offset:416
	;; [unrolled: 1-line block ×4, first 2 shown]
.LBB42_543:
	s_or_b32 exec_lo, exec_lo, s4
	v_mov_b32_e32 v4, s22
	s_mov_b32 s4, exec_lo
	s_clause 0x3
	buffer_load_dword v1, v4, s[0:3], 0 offen
	buffer_load_dword v2, v4, s[0:3], 0 offen offset:4
	buffer_load_dword v3, v4, s[0:3], 0 offen offset:8
	;; [unrolled: 1-line block ×3, first 2 shown]
	s_waitcnt vmcnt(0)
	ds_write_b128 v6, v[1:4]
	s_waitcnt lgkmcnt(0)
	s_waitcnt_vscnt null, 0x0
	s_barrier
	buffer_gl0_inv
	v_cmpx_gt_u32_e32 27, v0
	s_cbranch_execz .LBB42_551
; %bb.544:
	ds_read_b128 v[1:4], v6
	v_cmp_ne_u32_e32 vcc_lo, 1, v7
	s_cbranch_vccnz .LBB42_546
; %bb.545:
	s_clause 0x3
	buffer_load_dword v8, v5, s[0:3], 0 offen offset:8
	buffer_load_dword v9, v5, s[0:3], 0 offen offset:12
	buffer_load_dword v10, v5, s[0:3], 0 offen
	buffer_load_dword v11, v5, s[0:3], 0 offen offset:4
	s_waitcnt vmcnt(2) lgkmcnt(0)
	v_mul_f64 v[12:13], v[3:4], v[8:9]
	v_mul_f64 v[8:9], v[1:2], v[8:9]
	s_waitcnt vmcnt(0)
	v_fma_f64 v[1:2], v[1:2], v[10:11], -v[12:13]
	v_fma_f64 v[3:4], v[3:4], v[10:11], v[8:9]
.LBB42_546:
	s_mov_b32 s8, exec_lo
	v_cmpx_ne_u32_e32 26, v0
	s_cbranch_execz .LBB42_550
; %bb.547:
	v_add_nc_u32_e32 v8, 0x2c0, v103
	v_add3_u32 v9, 0, v103, 16
	v_mov_b32_e32 v10, v0
	s_mov_b32 s50, 0
	.p2align	6
.LBB42_548:                             ; =>This Inner Loop Header: Depth=1
	s_clause 0x3
	buffer_load_dword v15, v9, s[0:3], 0 offen offset:8
	buffer_load_dword v16, v9, s[0:3], 0 offen offset:12
	buffer_load_dword v104, v9, s[0:3], 0 offen
	buffer_load_dword v105, v9, s[0:3], 0 offen offset:4
	ds_read_b128 v[11:14], v8
	v_add_nc_u32_e32 v10, 1, v10
	v_add_nc_u32_e32 v8, 16, v8
	;; [unrolled: 1-line block ×3, first 2 shown]
	v_cmp_lt_u32_e32 vcc_lo, 25, v10
	s_or_b32 s50, vcc_lo, s50
	s_waitcnt vmcnt(2) lgkmcnt(0)
	v_mul_f64 v[106:107], v[13:14], v[15:16]
	v_mul_f64 v[15:16], v[11:12], v[15:16]
	s_waitcnt vmcnt(0)
	v_fma_f64 v[11:12], v[11:12], v[104:105], -v[106:107]
	v_fma_f64 v[13:14], v[13:14], v[104:105], v[15:16]
	v_add_f64 v[1:2], v[1:2], v[11:12]
	v_add_f64 v[3:4], v[3:4], v[13:14]
	s_andn2_b32 exec_lo, exec_lo, s50
	s_cbranch_execnz .LBB42_548
; %bb.549:
	s_or_b32 exec_lo, exec_lo, s50
.LBB42_550:
	s_or_b32 exec_lo, exec_lo, s8
	v_mov_b32_e32 v8, 0
	ds_read_b128 v[8:11], v8 offset:432
	s_waitcnt lgkmcnt(0)
	v_mul_f64 v[12:13], v[3:4], v[10:11]
	v_mul_f64 v[10:11], v[1:2], v[10:11]
	v_fma_f64 v[1:2], v[1:2], v[8:9], -v[12:13]
	v_fma_f64 v[3:4], v[3:4], v[8:9], v[10:11]
	buffer_store_dword v2, off, s[0:3], 0 offset:436
	buffer_store_dword v1, off, s[0:3], 0 offset:432
	;; [unrolled: 1-line block ×4, first 2 shown]
.LBB42_551:
	s_or_b32 exec_lo, exec_lo, s4
	v_mov_b32_e32 v4, s21
	s_mov_b32 s4, exec_lo
	s_clause 0x3
	buffer_load_dword v1, v4, s[0:3], 0 offen
	buffer_load_dword v2, v4, s[0:3], 0 offen offset:4
	buffer_load_dword v3, v4, s[0:3], 0 offen offset:8
	;; [unrolled: 1-line block ×3, first 2 shown]
	s_waitcnt vmcnt(0)
	ds_write_b128 v6, v[1:4]
	s_waitcnt lgkmcnt(0)
	s_waitcnt_vscnt null, 0x0
	s_barrier
	buffer_gl0_inv
	v_cmpx_gt_u32_e32 28, v0
	s_cbranch_execz .LBB42_559
; %bb.552:
	ds_read_b128 v[1:4], v6
	v_cmp_ne_u32_e32 vcc_lo, 1, v7
	s_cbranch_vccnz .LBB42_554
; %bb.553:
	s_clause 0x3
	buffer_load_dword v8, v5, s[0:3], 0 offen offset:8
	buffer_load_dword v9, v5, s[0:3], 0 offen offset:12
	buffer_load_dword v10, v5, s[0:3], 0 offen
	buffer_load_dword v11, v5, s[0:3], 0 offen offset:4
	s_waitcnt vmcnt(2) lgkmcnt(0)
	v_mul_f64 v[12:13], v[3:4], v[8:9]
	v_mul_f64 v[8:9], v[1:2], v[8:9]
	s_waitcnt vmcnt(0)
	v_fma_f64 v[1:2], v[1:2], v[10:11], -v[12:13]
	v_fma_f64 v[3:4], v[3:4], v[10:11], v[8:9]
.LBB42_554:
	s_mov_b32 s8, exec_lo
	v_cmpx_ne_u32_e32 27, v0
	s_cbranch_execz .LBB42_558
; %bb.555:
	v_add_nc_u32_e32 v8, 0x2c0, v103
	v_add3_u32 v9, 0, v103, 16
	v_mov_b32_e32 v10, v0
	s_mov_b32 s50, 0
	.p2align	6
.LBB42_556:                             ; =>This Inner Loop Header: Depth=1
	s_clause 0x3
	buffer_load_dword v15, v9, s[0:3], 0 offen offset:8
	buffer_load_dword v16, v9, s[0:3], 0 offen offset:12
	buffer_load_dword v104, v9, s[0:3], 0 offen
	buffer_load_dword v105, v9, s[0:3], 0 offen offset:4
	ds_read_b128 v[11:14], v8
	v_add_nc_u32_e32 v10, 1, v10
	v_add_nc_u32_e32 v8, 16, v8
	;; [unrolled: 1-line block ×3, first 2 shown]
	v_cmp_lt_u32_e32 vcc_lo, 26, v10
	s_or_b32 s50, vcc_lo, s50
	s_waitcnt vmcnt(2) lgkmcnt(0)
	v_mul_f64 v[106:107], v[13:14], v[15:16]
	v_mul_f64 v[15:16], v[11:12], v[15:16]
	s_waitcnt vmcnt(0)
	v_fma_f64 v[11:12], v[11:12], v[104:105], -v[106:107]
	v_fma_f64 v[13:14], v[13:14], v[104:105], v[15:16]
	v_add_f64 v[1:2], v[1:2], v[11:12]
	v_add_f64 v[3:4], v[3:4], v[13:14]
	s_andn2_b32 exec_lo, exec_lo, s50
	s_cbranch_execnz .LBB42_556
; %bb.557:
	s_or_b32 exec_lo, exec_lo, s50
.LBB42_558:
	s_or_b32 exec_lo, exec_lo, s8
	v_mov_b32_e32 v8, 0
	ds_read_b128 v[8:11], v8 offset:448
	s_waitcnt lgkmcnt(0)
	v_mul_f64 v[12:13], v[3:4], v[10:11]
	v_mul_f64 v[10:11], v[1:2], v[10:11]
	v_fma_f64 v[1:2], v[1:2], v[8:9], -v[12:13]
	v_fma_f64 v[3:4], v[3:4], v[8:9], v[10:11]
	buffer_store_dword v2, off, s[0:3], 0 offset:452
	buffer_store_dword v1, off, s[0:3], 0 offset:448
	;; [unrolled: 1-line block ×4, first 2 shown]
.LBB42_559:
	s_or_b32 exec_lo, exec_lo, s4
	v_mov_b32_e32 v4, s20
	s_mov_b32 s4, exec_lo
	s_clause 0x3
	buffer_load_dword v1, v4, s[0:3], 0 offen
	buffer_load_dword v2, v4, s[0:3], 0 offen offset:4
	buffer_load_dword v3, v4, s[0:3], 0 offen offset:8
	;; [unrolled: 1-line block ×3, first 2 shown]
	s_waitcnt vmcnt(0)
	ds_write_b128 v6, v[1:4]
	s_waitcnt lgkmcnt(0)
	s_waitcnt_vscnt null, 0x0
	s_barrier
	buffer_gl0_inv
	v_cmpx_gt_u32_e32 29, v0
	s_cbranch_execz .LBB42_567
; %bb.560:
	ds_read_b128 v[1:4], v6
	v_cmp_ne_u32_e32 vcc_lo, 1, v7
	s_cbranch_vccnz .LBB42_562
; %bb.561:
	s_clause 0x3
	buffer_load_dword v8, v5, s[0:3], 0 offen offset:8
	buffer_load_dword v9, v5, s[0:3], 0 offen offset:12
	buffer_load_dword v10, v5, s[0:3], 0 offen
	buffer_load_dword v11, v5, s[0:3], 0 offen offset:4
	s_waitcnt vmcnt(2) lgkmcnt(0)
	v_mul_f64 v[12:13], v[3:4], v[8:9]
	v_mul_f64 v[8:9], v[1:2], v[8:9]
	s_waitcnt vmcnt(0)
	v_fma_f64 v[1:2], v[1:2], v[10:11], -v[12:13]
	v_fma_f64 v[3:4], v[3:4], v[10:11], v[8:9]
.LBB42_562:
	s_mov_b32 s8, exec_lo
	v_cmpx_ne_u32_e32 28, v0
	s_cbranch_execz .LBB42_566
; %bb.563:
	v_add_nc_u32_e32 v8, 0x2c0, v103
	v_add3_u32 v9, 0, v103, 16
	v_mov_b32_e32 v10, v0
	s_mov_b32 s50, 0
	.p2align	6
.LBB42_564:                             ; =>This Inner Loop Header: Depth=1
	s_clause 0x3
	buffer_load_dword v15, v9, s[0:3], 0 offen offset:8
	buffer_load_dword v16, v9, s[0:3], 0 offen offset:12
	buffer_load_dword v104, v9, s[0:3], 0 offen
	buffer_load_dword v105, v9, s[0:3], 0 offen offset:4
	ds_read_b128 v[11:14], v8
	v_add_nc_u32_e32 v10, 1, v10
	v_add_nc_u32_e32 v8, 16, v8
	;; [unrolled: 1-line block ×3, first 2 shown]
	v_cmp_lt_u32_e32 vcc_lo, 27, v10
	s_or_b32 s50, vcc_lo, s50
	s_waitcnt vmcnt(2) lgkmcnt(0)
	v_mul_f64 v[106:107], v[13:14], v[15:16]
	v_mul_f64 v[15:16], v[11:12], v[15:16]
	s_waitcnt vmcnt(0)
	v_fma_f64 v[11:12], v[11:12], v[104:105], -v[106:107]
	v_fma_f64 v[13:14], v[13:14], v[104:105], v[15:16]
	v_add_f64 v[1:2], v[1:2], v[11:12]
	v_add_f64 v[3:4], v[3:4], v[13:14]
	s_andn2_b32 exec_lo, exec_lo, s50
	s_cbranch_execnz .LBB42_564
; %bb.565:
	s_or_b32 exec_lo, exec_lo, s50
.LBB42_566:
	s_or_b32 exec_lo, exec_lo, s8
	v_mov_b32_e32 v8, 0
	ds_read_b128 v[8:11], v8 offset:464
	s_waitcnt lgkmcnt(0)
	v_mul_f64 v[12:13], v[3:4], v[10:11]
	v_mul_f64 v[10:11], v[1:2], v[10:11]
	v_fma_f64 v[1:2], v[1:2], v[8:9], -v[12:13]
	v_fma_f64 v[3:4], v[3:4], v[8:9], v[10:11]
	buffer_store_dword v2, off, s[0:3], 0 offset:468
	buffer_store_dword v1, off, s[0:3], 0 offset:464
	;; [unrolled: 1-line block ×4, first 2 shown]
.LBB42_567:
	s_or_b32 exec_lo, exec_lo, s4
	v_mov_b32_e32 v4, s19
	s_mov_b32 s4, exec_lo
	s_clause 0x3
	buffer_load_dword v1, v4, s[0:3], 0 offen
	buffer_load_dword v2, v4, s[0:3], 0 offen offset:4
	buffer_load_dword v3, v4, s[0:3], 0 offen offset:8
	;; [unrolled: 1-line block ×3, first 2 shown]
	s_waitcnt vmcnt(0)
	ds_write_b128 v6, v[1:4]
	s_waitcnt lgkmcnt(0)
	s_waitcnt_vscnt null, 0x0
	s_barrier
	buffer_gl0_inv
	v_cmpx_gt_u32_e32 30, v0
	s_cbranch_execz .LBB42_575
; %bb.568:
	ds_read_b128 v[1:4], v6
	v_cmp_ne_u32_e32 vcc_lo, 1, v7
	s_cbranch_vccnz .LBB42_570
; %bb.569:
	s_clause 0x3
	buffer_load_dword v8, v5, s[0:3], 0 offen offset:8
	buffer_load_dword v9, v5, s[0:3], 0 offen offset:12
	buffer_load_dword v10, v5, s[0:3], 0 offen
	buffer_load_dword v11, v5, s[0:3], 0 offen offset:4
	s_waitcnt vmcnt(2) lgkmcnt(0)
	v_mul_f64 v[12:13], v[3:4], v[8:9]
	v_mul_f64 v[8:9], v[1:2], v[8:9]
	s_waitcnt vmcnt(0)
	v_fma_f64 v[1:2], v[1:2], v[10:11], -v[12:13]
	v_fma_f64 v[3:4], v[3:4], v[10:11], v[8:9]
.LBB42_570:
	s_mov_b32 s8, exec_lo
	v_cmpx_ne_u32_e32 29, v0
	s_cbranch_execz .LBB42_574
; %bb.571:
	v_add_nc_u32_e32 v8, 0x2c0, v103
	v_add3_u32 v9, 0, v103, 16
	v_mov_b32_e32 v10, v0
	s_mov_b32 s50, 0
	.p2align	6
.LBB42_572:                             ; =>This Inner Loop Header: Depth=1
	s_clause 0x3
	buffer_load_dword v15, v9, s[0:3], 0 offen offset:8
	buffer_load_dword v16, v9, s[0:3], 0 offen offset:12
	buffer_load_dword v104, v9, s[0:3], 0 offen
	buffer_load_dword v105, v9, s[0:3], 0 offen offset:4
	ds_read_b128 v[11:14], v8
	v_add_nc_u32_e32 v10, 1, v10
	v_add_nc_u32_e32 v8, 16, v8
	;; [unrolled: 1-line block ×3, first 2 shown]
	v_cmp_lt_u32_e32 vcc_lo, 28, v10
	s_or_b32 s50, vcc_lo, s50
	s_waitcnt vmcnt(2) lgkmcnt(0)
	v_mul_f64 v[106:107], v[13:14], v[15:16]
	v_mul_f64 v[15:16], v[11:12], v[15:16]
	s_waitcnt vmcnt(0)
	v_fma_f64 v[11:12], v[11:12], v[104:105], -v[106:107]
	v_fma_f64 v[13:14], v[13:14], v[104:105], v[15:16]
	v_add_f64 v[1:2], v[1:2], v[11:12]
	v_add_f64 v[3:4], v[3:4], v[13:14]
	s_andn2_b32 exec_lo, exec_lo, s50
	s_cbranch_execnz .LBB42_572
; %bb.573:
	s_or_b32 exec_lo, exec_lo, s50
.LBB42_574:
	s_or_b32 exec_lo, exec_lo, s8
	v_mov_b32_e32 v8, 0
	ds_read_b128 v[8:11], v8 offset:480
	s_waitcnt lgkmcnt(0)
	v_mul_f64 v[12:13], v[3:4], v[10:11]
	v_mul_f64 v[10:11], v[1:2], v[10:11]
	v_fma_f64 v[1:2], v[1:2], v[8:9], -v[12:13]
	v_fma_f64 v[3:4], v[3:4], v[8:9], v[10:11]
	buffer_store_dword v2, off, s[0:3], 0 offset:484
	buffer_store_dword v1, off, s[0:3], 0 offset:480
	;; [unrolled: 1-line block ×4, first 2 shown]
.LBB42_575:
	s_or_b32 exec_lo, exec_lo, s4
	v_mov_b32_e32 v4, s18
	s_mov_b32 s4, exec_lo
	s_clause 0x3
	buffer_load_dword v1, v4, s[0:3], 0 offen
	buffer_load_dword v2, v4, s[0:3], 0 offen offset:4
	buffer_load_dword v3, v4, s[0:3], 0 offen offset:8
	;; [unrolled: 1-line block ×3, first 2 shown]
	s_waitcnt vmcnt(0)
	ds_write_b128 v6, v[1:4]
	s_waitcnt lgkmcnt(0)
	s_waitcnt_vscnt null, 0x0
	s_barrier
	buffer_gl0_inv
	v_cmpx_gt_u32_e32 31, v0
	s_cbranch_execz .LBB42_583
; %bb.576:
	ds_read_b128 v[1:4], v6
	v_cmp_ne_u32_e32 vcc_lo, 1, v7
	s_cbranch_vccnz .LBB42_578
; %bb.577:
	s_clause 0x3
	buffer_load_dword v8, v5, s[0:3], 0 offen offset:8
	buffer_load_dword v9, v5, s[0:3], 0 offen offset:12
	buffer_load_dword v10, v5, s[0:3], 0 offen
	buffer_load_dword v11, v5, s[0:3], 0 offen offset:4
	s_waitcnt vmcnt(2) lgkmcnt(0)
	v_mul_f64 v[12:13], v[3:4], v[8:9]
	v_mul_f64 v[8:9], v[1:2], v[8:9]
	s_waitcnt vmcnt(0)
	v_fma_f64 v[1:2], v[1:2], v[10:11], -v[12:13]
	v_fma_f64 v[3:4], v[3:4], v[10:11], v[8:9]
.LBB42_578:
	s_mov_b32 s8, exec_lo
	v_cmpx_ne_u32_e32 30, v0
	s_cbranch_execz .LBB42_582
; %bb.579:
	v_add_nc_u32_e32 v8, 0x2c0, v103
	v_add3_u32 v9, 0, v103, 16
	v_mov_b32_e32 v10, v0
	s_mov_b32 s50, 0
	.p2align	6
.LBB42_580:                             ; =>This Inner Loop Header: Depth=1
	s_clause 0x3
	buffer_load_dword v15, v9, s[0:3], 0 offen offset:8
	buffer_load_dword v16, v9, s[0:3], 0 offen offset:12
	buffer_load_dword v104, v9, s[0:3], 0 offen
	buffer_load_dword v105, v9, s[0:3], 0 offen offset:4
	ds_read_b128 v[11:14], v8
	v_add_nc_u32_e32 v10, 1, v10
	v_add_nc_u32_e32 v8, 16, v8
	;; [unrolled: 1-line block ×3, first 2 shown]
	v_cmp_lt_u32_e32 vcc_lo, 29, v10
	s_or_b32 s50, vcc_lo, s50
	s_waitcnt vmcnt(2) lgkmcnt(0)
	v_mul_f64 v[106:107], v[13:14], v[15:16]
	v_mul_f64 v[15:16], v[11:12], v[15:16]
	s_waitcnt vmcnt(0)
	v_fma_f64 v[11:12], v[11:12], v[104:105], -v[106:107]
	v_fma_f64 v[13:14], v[13:14], v[104:105], v[15:16]
	v_add_f64 v[1:2], v[1:2], v[11:12]
	v_add_f64 v[3:4], v[3:4], v[13:14]
	s_andn2_b32 exec_lo, exec_lo, s50
	s_cbranch_execnz .LBB42_580
; %bb.581:
	s_or_b32 exec_lo, exec_lo, s50
.LBB42_582:
	s_or_b32 exec_lo, exec_lo, s8
	v_mov_b32_e32 v8, 0
	ds_read_b128 v[8:11], v8 offset:496
	s_waitcnt lgkmcnt(0)
	v_mul_f64 v[12:13], v[3:4], v[10:11]
	v_mul_f64 v[10:11], v[1:2], v[10:11]
	v_fma_f64 v[1:2], v[1:2], v[8:9], -v[12:13]
	v_fma_f64 v[3:4], v[3:4], v[8:9], v[10:11]
	buffer_store_dword v2, off, s[0:3], 0 offset:500
	buffer_store_dword v1, off, s[0:3], 0 offset:496
	;; [unrolled: 1-line block ×4, first 2 shown]
.LBB42_583:
	s_or_b32 exec_lo, exec_lo, s4
	v_mov_b32_e32 v4, s17
	s_mov_b32 s4, exec_lo
	s_clause 0x3
	buffer_load_dword v1, v4, s[0:3], 0 offen
	buffer_load_dword v2, v4, s[0:3], 0 offen offset:4
	buffer_load_dword v3, v4, s[0:3], 0 offen offset:8
	;; [unrolled: 1-line block ×3, first 2 shown]
	s_waitcnt vmcnt(0)
	ds_write_b128 v6, v[1:4]
	s_waitcnt lgkmcnt(0)
	s_waitcnt_vscnt null, 0x0
	s_barrier
	buffer_gl0_inv
	v_cmpx_gt_u32_e32 32, v0
	s_cbranch_execz .LBB42_591
; %bb.584:
	ds_read_b128 v[1:4], v6
	v_cmp_ne_u32_e32 vcc_lo, 1, v7
	s_cbranch_vccnz .LBB42_586
; %bb.585:
	s_clause 0x3
	buffer_load_dword v8, v5, s[0:3], 0 offen offset:8
	buffer_load_dword v9, v5, s[0:3], 0 offen offset:12
	buffer_load_dword v10, v5, s[0:3], 0 offen
	buffer_load_dword v11, v5, s[0:3], 0 offen offset:4
	s_waitcnt vmcnt(2) lgkmcnt(0)
	v_mul_f64 v[12:13], v[3:4], v[8:9]
	v_mul_f64 v[8:9], v[1:2], v[8:9]
	s_waitcnt vmcnt(0)
	v_fma_f64 v[1:2], v[1:2], v[10:11], -v[12:13]
	v_fma_f64 v[3:4], v[3:4], v[10:11], v[8:9]
.LBB42_586:
	s_mov_b32 s8, exec_lo
	v_cmpx_ne_u32_e32 31, v0
	s_cbranch_execz .LBB42_590
; %bb.587:
	v_add_nc_u32_e32 v8, 0x2c0, v103
	v_add3_u32 v9, 0, v103, 16
	v_mov_b32_e32 v10, v0
	s_mov_b32 s50, 0
	.p2align	6
.LBB42_588:                             ; =>This Inner Loop Header: Depth=1
	s_clause 0x3
	buffer_load_dword v15, v9, s[0:3], 0 offen offset:8
	buffer_load_dword v16, v9, s[0:3], 0 offen offset:12
	buffer_load_dword v104, v9, s[0:3], 0 offen
	buffer_load_dword v105, v9, s[0:3], 0 offen offset:4
	ds_read_b128 v[11:14], v8
	v_add_nc_u32_e32 v10, 1, v10
	v_add_nc_u32_e32 v8, 16, v8
	;; [unrolled: 1-line block ×3, first 2 shown]
	v_cmp_lt_u32_e32 vcc_lo, 30, v10
	s_or_b32 s50, vcc_lo, s50
	s_waitcnt vmcnt(2) lgkmcnt(0)
	v_mul_f64 v[106:107], v[13:14], v[15:16]
	v_mul_f64 v[15:16], v[11:12], v[15:16]
	s_waitcnt vmcnt(0)
	v_fma_f64 v[11:12], v[11:12], v[104:105], -v[106:107]
	v_fma_f64 v[13:14], v[13:14], v[104:105], v[15:16]
	v_add_f64 v[1:2], v[1:2], v[11:12]
	v_add_f64 v[3:4], v[3:4], v[13:14]
	s_andn2_b32 exec_lo, exec_lo, s50
	s_cbranch_execnz .LBB42_588
; %bb.589:
	s_or_b32 exec_lo, exec_lo, s50
.LBB42_590:
	s_or_b32 exec_lo, exec_lo, s8
	v_mov_b32_e32 v8, 0
	ds_read_b128 v[8:11], v8 offset:512
	s_waitcnt lgkmcnt(0)
	v_mul_f64 v[12:13], v[3:4], v[10:11]
	v_mul_f64 v[10:11], v[1:2], v[10:11]
	v_fma_f64 v[1:2], v[1:2], v[8:9], -v[12:13]
	v_fma_f64 v[3:4], v[3:4], v[8:9], v[10:11]
	buffer_store_dword v2, off, s[0:3], 0 offset:516
	buffer_store_dword v1, off, s[0:3], 0 offset:512
	;; [unrolled: 1-line block ×4, first 2 shown]
.LBB42_591:
	s_or_b32 exec_lo, exec_lo, s4
	v_mov_b32_e32 v4, s16
	s_mov_b32 s4, exec_lo
	s_clause 0x3
	buffer_load_dword v1, v4, s[0:3], 0 offen
	buffer_load_dword v2, v4, s[0:3], 0 offen offset:4
	buffer_load_dword v3, v4, s[0:3], 0 offen offset:8
	;; [unrolled: 1-line block ×3, first 2 shown]
	s_waitcnt vmcnt(0)
	ds_write_b128 v6, v[1:4]
	s_waitcnt lgkmcnt(0)
	s_waitcnt_vscnt null, 0x0
	s_barrier
	buffer_gl0_inv
	v_cmpx_gt_u32_e32 33, v0
	s_cbranch_execz .LBB42_599
; %bb.592:
	ds_read_b128 v[1:4], v6
	v_cmp_ne_u32_e32 vcc_lo, 1, v7
	s_cbranch_vccnz .LBB42_594
; %bb.593:
	s_clause 0x3
	buffer_load_dword v8, v5, s[0:3], 0 offen offset:8
	buffer_load_dword v9, v5, s[0:3], 0 offen offset:12
	buffer_load_dword v10, v5, s[0:3], 0 offen
	buffer_load_dword v11, v5, s[0:3], 0 offen offset:4
	s_waitcnt vmcnt(2) lgkmcnt(0)
	v_mul_f64 v[12:13], v[3:4], v[8:9]
	v_mul_f64 v[8:9], v[1:2], v[8:9]
	s_waitcnt vmcnt(0)
	v_fma_f64 v[1:2], v[1:2], v[10:11], -v[12:13]
	v_fma_f64 v[3:4], v[3:4], v[10:11], v[8:9]
.LBB42_594:
	s_mov_b32 s8, exec_lo
	v_cmpx_ne_u32_e32 32, v0
	s_cbranch_execz .LBB42_598
; %bb.595:
	v_add_nc_u32_e32 v8, 0x2c0, v103
	v_add3_u32 v9, 0, v103, 16
	v_mov_b32_e32 v10, v0
	s_mov_b32 s50, 0
	.p2align	6
.LBB42_596:                             ; =>This Inner Loop Header: Depth=1
	s_clause 0x3
	buffer_load_dword v15, v9, s[0:3], 0 offen offset:8
	buffer_load_dword v16, v9, s[0:3], 0 offen offset:12
	buffer_load_dword v104, v9, s[0:3], 0 offen
	buffer_load_dword v105, v9, s[0:3], 0 offen offset:4
	ds_read_b128 v[11:14], v8
	v_add_nc_u32_e32 v10, 1, v10
	v_add_nc_u32_e32 v8, 16, v8
	;; [unrolled: 1-line block ×3, first 2 shown]
	v_cmp_lt_u32_e32 vcc_lo, 31, v10
	s_or_b32 s50, vcc_lo, s50
	s_waitcnt vmcnt(2) lgkmcnt(0)
	v_mul_f64 v[106:107], v[13:14], v[15:16]
	v_mul_f64 v[15:16], v[11:12], v[15:16]
	s_waitcnt vmcnt(0)
	v_fma_f64 v[11:12], v[11:12], v[104:105], -v[106:107]
	v_fma_f64 v[13:14], v[13:14], v[104:105], v[15:16]
	v_add_f64 v[1:2], v[1:2], v[11:12]
	v_add_f64 v[3:4], v[3:4], v[13:14]
	s_andn2_b32 exec_lo, exec_lo, s50
	s_cbranch_execnz .LBB42_596
; %bb.597:
	s_or_b32 exec_lo, exec_lo, s50
.LBB42_598:
	s_or_b32 exec_lo, exec_lo, s8
	v_mov_b32_e32 v8, 0
	ds_read_b128 v[8:11], v8 offset:528
	s_waitcnt lgkmcnt(0)
	v_mul_f64 v[12:13], v[3:4], v[10:11]
	v_mul_f64 v[10:11], v[1:2], v[10:11]
	v_fma_f64 v[1:2], v[1:2], v[8:9], -v[12:13]
	v_fma_f64 v[3:4], v[3:4], v[8:9], v[10:11]
	buffer_store_dword v2, off, s[0:3], 0 offset:532
	buffer_store_dword v1, off, s[0:3], 0 offset:528
	;; [unrolled: 1-line block ×4, first 2 shown]
.LBB42_599:
	s_or_b32 exec_lo, exec_lo, s4
	v_mov_b32_e32 v4, s15
	s_mov_b32 s4, exec_lo
	s_clause 0x3
	buffer_load_dword v1, v4, s[0:3], 0 offen
	buffer_load_dword v2, v4, s[0:3], 0 offen offset:4
	buffer_load_dword v3, v4, s[0:3], 0 offen offset:8
	;; [unrolled: 1-line block ×3, first 2 shown]
	s_waitcnt vmcnt(0)
	ds_write_b128 v6, v[1:4]
	s_waitcnt lgkmcnt(0)
	s_waitcnt_vscnt null, 0x0
	s_barrier
	buffer_gl0_inv
	v_cmpx_gt_u32_e32 34, v0
	s_cbranch_execz .LBB42_607
; %bb.600:
	ds_read_b128 v[1:4], v6
	v_cmp_ne_u32_e32 vcc_lo, 1, v7
	s_cbranch_vccnz .LBB42_602
; %bb.601:
	s_clause 0x3
	buffer_load_dword v8, v5, s[0:3], 0 offen offset:8
	buffer_load_dword v9, v5, s[0:3], 0 offen offset:12
	buffer_load_dword v10, v5, s[0:3], 0 offen
	buffer_load_dword v11, v5, s[0:3], 0 offen offset:4
	s_waitcnt vmcnt(2) lgkmcnt(0)
	v_mul_f64 v[12:13], v[3:4], v[8:9]
	v_mul_f64 v[8:9], v[1:2], v[8:9]
	s_waitcnt vmcnt(0)
	v_fma_f64 v[1:2], v[1:2], v[10:11], -v[12:13]
	v_fma_f64 v[3:4], v[3:4], v[10:11], v[8:9]
.LBB42_602:
	s_mov_b32 s8, exec_lo
	v_cmpx_ne_u32_e32 33, v0
	s_cbranch_execz .LBB42_606
; %bb.603:
	v_add_nc_u32_e32 v8, 0x2c0, v103
	v_add3_u32 v9, 0, v103, 16
	v_mov_b32_e32 v10, v0
	s_mov_b32 s50, 0
	.p2align	6
.LBB42_604:                             ; =>This Inner Loop Header: Depth=1
	s_clause 0x3
	buffer_load_dword v15, v9, s[0:3], 0 offen offset:8
	buffer_load_dword v16, v9, s[0:3], 0 offen offset:12
	buffer_load_dword v104, v9, s[0:3], 0 offen
	buffer_load_dword v105, v9, s[0:3], 0 offen offset:4
	ds_read_b128 v[11:14], v8
	v_add_nc_u32_e32 v10, 1, v10
	v_add_nc_u32_e32 v8, 16, v8
	;; [unrolled: 1-line block ×3, first 2 shown]
	v_cmp_lt_u32_e32 vcc_lo, 32, v10
	s_or_b32 s50, vcc_lo, s50
	s_waitcnt vmcnt(2) lgkmcnt(0)
	v_mul_f64 v[106:107], v[13:14], v[15:16]
	v_mul_f64 v[15:16], v[11:12], v[15:16]
	s_waitcnt vmcnt(0)
	v_fma_f64 v[11:12], v[11:12], v[104:105], -v[106:107]
	v_fma_f64 v[13:14], v[13:14], v[104:105], v[15:16]
	v_add_f64 v[1:2], v[1:2], v[11:12]
	v_add_f64 v[3:4], v[3:4], v[13:14]
	s_andn2_b32 exec_lo, exec_lo, s50
	s_cbranch_execnz .LBB42_604
; %bb.605:
	s_or_b32 exec_lo, exec_lo, s50
.LBB42_606:
	s_or_b32 exec_lo, exec_lo, s8
	v_mov_b32_e32 v8, 0
	ds_read_b128 v[8:11], v8 offset:544
	s_waitcnt lgkmcnt(0)
	v_mul_f64 v[12:13], v[3:4], v[10:11]
	v_mul_f64 v[10:11], v[1:2], v[10:11]
	v_fma_f64 v[1:2], v[1:2], v[8:9], -v[12:13]
	v_fma_f64 v[3:4], v[3:4], v[8:9], v[10:11]
	buffer_store_dword v2, off, s[0:3], 0 offset:548
	buffer_store_dword v1, off, s[0:3], 0 offset:544
	;; [unrolled: 1-line block ×4, first 2 shown]
.LBB42_607:
	s_or_b32 exec_lo, exec_lo, s4
	v_mov_b32_e32 v4, s14
	s_mov_b32 s4, exec_lo
	s_clause 0x3
	buffer_load_dword v1, v4, s[0:3], 0 offen
	buffer_load_dword v2, v4, s[0:3], 0 offen offset:4
	buffer_load_dword v3, v4, s[0:3], 0 offen offset:8
	buffer_load_dword v4, v4, s[0:3], 0 offen offset:12
	s_waitcnt vmcnt(0)
	ds_write_b128 v6, v[1:4]
	s_waitcnt lgkmcnt(0)
	s_waitcnt_vscnt null, 0x0
	s_barrier
	buffer_gl0_inv
	v_cmpx_gt_u32_e32 35, v0
	s_cbranch_execz .LBB42_615
; %bb.608:
	ds_read_b128 v[1:4], v6
	v_cmp_ne_u32_e32 vcc_lo, 1, v7
	s_cbranch_vccnz .LBB42_610
; %bb.609:
	s_clause 0x3
	buffer_load_dword v8, v5, s[0:3], 0 offen offset:8
	buffer_load_dword v9, v5, s[0:3], 0 offen offset:12
	buffer_load_dword v10, v5, s[0:3], 0 offen
	buffer_load_dword v11, v5, s[0:3], 0 offen offset:4
	s_waitcnt vmcnt(2) lgkmcnt(0)
	v_mul_f64 v[12:13], v[3:4], v[8:9]
	v_mul_f64 v[8:9], v[1:2], v[8:9]
	s_waitcnt vmcnt(0)
	v_fma_f64 v[1:2], v[1:2], v[10:11], -v[12:13]
	v_fma_f64 v[3:4], v[3:4], v[10:11], v[8:9]
.LBB42_610:
	s_mov_b32 s8, exec_lo
	v_cmpx_ne_u32_e32 34, v0
	s_cbranch_execz .LBB42_614
; %bb.611:
	v_add_nc_u32_e32 v8, 0x2c0, v103
	v_add3_u32 v9, 0, v103, 16
	v_mov_b32_e32 v10, v0
	s_mov_b32 s50, 0
	.p2align	6
.LBB42_612:                             ; =>This Inner Loop Header: Depth=1
	s_clause 0x3
	buffer_load_dword v15, v9, s[0:3], 0 offen offset:8
	buffer_load_dword v16, v9, s[0:3], 0 offen offset:12
	buffer_load_dword v104, v9, s[0:3], 0 offen
	buffer_load_dword v105, v9, s[0:3], 0 offen offset:4
	ds_read_b128 v[11:14], v8
	v_add_nc_u32_e32 v10, 1, v10
	v_add_nc_u32_e32 v8, 16, v8
	;; [unrolled: 1-line block ×3, first 2 shown]
	v_cmp_lt_u32_e32 vcc_lo, 33, v10
	s_or_b32 s50, vcc_lo, s50
	s_waitcnt vmcnt(2) lgkmcnt(0)
	v_mul_f64 v[106:107], v[13:14], v[15:16]
	v_mul_f64 v[15:16], v[11:12], v[15:16]
	s_waitcnt vmcnt(0)
	v_fma_f64 v[11:12], v[11:12], v[104:105], -v[106:107]
	v_fma_f64 v[13:14], v[13:14], v[104:105], v[15:16]
	v_add_f64 v[1:2], v[1:2], v[11:12]
	v_add_f64 v[3:4], v[3:4], v[13:14]
	s_andn2_b32 exec_lo, exec_lo, s50
	s_cbranch_execnz .LBB42_612
; %bb.613:
	s_or_b32 exec_lo, exec_lo, s50
.LBB42_614:
	s_or_b32 exec_lo, exec_lo, s8
	v_mov_b32_e32 v8, 0
	ds_read_b128 v[8:11], v8 offset:560
	s_waitcnt lgkmcnt(0)
	v_mul_f64 v[12:13], v[3:4], v[10:11]
	v_mul_f64 v[10:11], v[1:2], v[10:11]
	v_fma_f64 v[1:2], v[1:2], v[8:9], -v[12:13]
	v_fma_f64 v[3:4], v[3:4], v[8:9], v[10:11]
	buffer_store_dword v2, off, s[0:3], 0 offset:564
	buffer_store_dword v1, off, s[0:3], 0 offset:560
	;; [unrolled: 1-line block ×4, first 2 shown]
.LBB42_615:
	s_or_b32 exec_lo, exec_lo, s4
	v_mov_b32_e32 v4, s13
	s_mov_b32 s4, exec_lo
	s_clause 0x3
	buffer_load_dword v1, v4, s[0:3], 0 offen
	buffer_load_dword v2, v4, s[0:3], 0 offen offset:4
	buffer_load_dword v3, v4, s[0:3], 0 offen offset:8
	;; [unrolled: 1-line block ×3, first 2 shown]
	s_waitcnt vmcnt(0)
	ds_write_b128 v6, v[1:4]
	s_waitcnt lgkmcnt(0)
	s_waitcnt_vscnt null, 0x0
	s_barrier
	buffer_gl0_inv
	v_cmpx_gt_u32_e32 36, v0
	s_cbranch_execz .LBB42_623
; %bb.616:
	ds_read_b128 v[1:4], v6
	v_cmp_ne_u32_e32 vcc_lo, 1, v7
	s_cbranch_vccnz .LBB42_618
; %bb.617:
	s_clause 0x3
	buffer_load_dword v8, v5, s[0:3], 0 offen offset:8
	buffer_load_dword v9, v5, s[0:3], 0 offen offset:12
	buffer_load_dword v10, v5, s[0:3], 0 offen
	buffer_load_dword v11, v5, s[0:3], 0 offen offset:4
	s_waitcnt vmcnt(2) lgkmcnt(0)
	v_mul_f64 v[12:13], v[3:4], v[8:9]
	v_mul_f64 v[8:9], v[1:2], v[8:9]
	s_waitcnt vmcnt(0)
	v_fma_f64 v[1:2], v[1:2], v[10:11], -v[12:13]
	v_fma_f64 v[3:4], v[3:4], v[10:11], v[8:9]
.LBB42_618:
	s_mov_b32 s8, exec_lo
	v_cmpx_ne_u32_e32 35, v0
	s_cbranch_execz .LBB42_622
; %bb.619:
	v_add_nc_u32_e32 v8, 0x2c0, v103
	v_add3_u32 v9, 0, v103, 16
	v_mov_b32_e32 v10, v0
	s_mov_b32 s50, 0
	.p2align	6
.LBB42_620:                             ; =>This Inner Loop Header: Depth=1
	s_clause 0x3
	buffer_load_dword v15, v9, s[0:3], 0 offen offset:8
	buffer_load_dword v16, v9, s[0:3], 0 offen offset:12
	buffer_load_dword v104, v9, s[0:3], 0 offen
	buffer_load_dword v105, v9, s[0:3], 0 offen offset:4
	ds_read_b128 v[11:14], v8
	v_add_nc_u32_e32 v10, 1, v10
	v_add_nc_u32_e32 v8, 16, v8
	;; [unrolled: 1-line block ×3, first 2 shown]
	v_cmp_lt_u32_e32 vcc_lo, 34, v10
	s_or_b32 s50, vcc_lo, s50
	s_waitcnt vmcnt(2) lgkmcnt(0)
	v_mul_f64 v[106:107], v[13:14], v[15:16]
	v_mul_f64 v[15:16], v[11:12], v[15:16]
	s_waitcnt vmcnt(0)
	v_fma_f64 v[11:12], v[11:12], v[104:105], -v[106:107]
	v_fma_f64 v[13:14], v[13:14], v[104:105], v[15:16]
	v_add_f64 v[1:2], v[1:2], v[11:12]
	v_add_f64 v[3:4], v[3:4], v[13:14]
	s_andn2_b32 exec_lo, exec_lo, s50
	s_cbranch_execnz .LBB42_620
; %bb.621:
	s_or_b32 exec_lo, exec_lo, s50
.LBB42_622:
	s_or_b32 exec_lo, exec_lo, s8
	v_mov_b32_e32 v8, 0
	ds_read_b128 v[8:11], v8 offset:576
	s_waitcnt lgkmcnt(0)
	v_mul_f64 v[12:13], v[3:4], v[10:11]
	v_mul_f64 v[10:11], v[1:2], v[10:11]
	v_fma_f64 v[1:2], v[1:2], v[8:9], -v[12:13]
	v_fma_f64 v[3:4], v[3:4], v[8:9], v[10:11]
	buffer_store_dword v2, off, s[0:3], 0 offset:580
	buffer_store_dword v1, off, s[0:3], 0 offset:576
	;; [unrolled: 1-line block ×4, first 2 shown]
.LBB42_623:
	s_or_b32 exec_lo, exec_lo, s4
	v_mov_b32_e32 v4, s12
	s_mov_b32 s4, exec_lo
	s_clause 0x3
	buffer_load_dword v1, v4, s[0:3], 0 offen
	buffer_load_dword v2, v4, s[0:3], 0 offen offset:4
	buffer_load_dword v3, v4, s[0:3], 0 offen offset:8
	buffer_load_dword v4, v4, s[0:3], 0 offen offset:12
	s_waitcnt vmcnt(0)
	ds_write_b128 v6, v[1:4]
	s_waitcnt lgkmcnt(0)
	s_waitcnt_vscnt null, 0x0
	s_barrier
	buffer_gl0_inv
	v_cmpx_gt_u32_e32 37, v0
	s_cbranch_execz .LBB42_631
; %bb.624:
	ds_read_b128 v[1:4], v6
	v_cmp_ne_u32_e32 vcc_lo, 1, v7
	s_cbranch_vccnz .LBB42_626
; %bb.625:
	s_clause 0x3
	buffer_load_dword v8, v5, s[0:3], 0 offen offset:8
	buffer_load_dword v9, v5, s[0:3], 0 offen offset:12
	buffer_load_dword v10, v5, s[0:3], 0 offen
	buffer_load_dword v11, v5, s[0:3], 0 offen offset:4
	s_waitcnt vmcnt(2) lgkmcnt(0)
	v_mul_f64 v[12:13], v[3:4], v[8:9]
	v_mul_f64 v[8:9], v[1:2], v[8:9]
	s_waitcnt vmcnt(0)
	v_fma_f64 v[1:2], v[1:2], v[10:11], -v[12:13]
	v_fma_f64 v[3:4], v[3:4], v[10:11], v[8:9]
.LBB42_626:
	s_mov_b32 s8, exec_lo
	v_cmpx_ne_u32_e32 36, v0
	s_cbranch_execz .LBB42_630
; %bb.627:
	v_add_nc_u32_e32 v8, 0x2c0, v103
	v_add3_u32 v9, 0, v103, 16
	v_mov_b32_e32 v10, v0
	s_mov_b32 s50, 0
	.p2align	6
.LBB42_628:                             ; =>This Inner Loop Header: Depth=1
	s_clause 0x3
	buffer_load_dword v15, v9, s[0:3], 0 offen offset:8
	buffer_load_dword v16, v9, s[0:3], 0 offen offset:12
	buffer_load_dword v104, v9, s[0:3], 0 offen
	buffer_load_dword v105, v9, s[0:3], 0 offen offset:4
	ds_read_b128 v[11:14], v8
	v_add_nc_u32_e32 v10, 1, v10
	v_add_nc_u32_e32 v8, 16, v8
	;; [unrolled: 1-line block ×3, first 2 shown]
	v_cmp_lt_u32_e32 vcc_lo, 35, v10
	s_or_b32 s50, vcc_lo, s50
	s_waitcnt vmcnt(2) lgkmcnt(0)
	v_mul_f64 v[106:107], v[13:14], v[15:16]
	v_mul_f64 v[15:16], v[11:12], v[15:16]
	s_waitcnt vmcnt(0)
	v_fma_f64 v[11:12], v[11:12], v[104:105], -v[106:107]
	v_fma_f64 v[13:14], v[13:14], v[104:105], v[15:16]
	v_add_f64 v[1:2], v[1:2], v[11:12]
	v_add_f64 v[3:4], v[3:4], v[13:14]
	s_andn2_b32 exec_lo, exec_lo, s50
	s_cbranch_execnz .LBB42_628
; %bb.629:
	s_or_b32 exec_lo, exec_lo, s50
.LBB42_630:
	s_or_b32 exec_lo, exec_lo, s8
	v_mov_b32_e32 v8, 0
	ds_read_b128 v[8:11], v8 offset:592
	s_waitcnt lgkmcnt(0)
	v_mul_f64 v[12:13], v[3:4], v[10:11]
	v_mul_f64 v[10:11], v[1:2], v[10:11]
	v_fma_f64 v[1:2], v[1:2], v[8:9], -v[12:13]
	v_fma_f64 v[3:4], v[3:4], v[8:9], v[10:11]
	buffer_store_dword v2, off, s[0:3], 0 offset:596
	buffer_store_dword v1, off, s[0:3], 0 offset:592
	;; [unrolled: 1-line block ×4, first 2 shown]
.LBB42_631:
	s_or_b32 exec_lo, exec_lo, s4
	v_mov_b32_e32 v4, s11
	s_mov_b32 s4, exec_lo
	s_clause 0x3
	buffer_load_dword v1, v4, s[0:3], 0 offen
	buffer_load_dword v2, v4, s[0:3], 0 offen offset:4
	buffer_load_dword v3, v4, s[0:3], 0 offen offset:8
	;; [unrolled: 1-line block ×3, first 2 shown]
	s_waitcnt vmcnt(0)
	ds_write_b128 v6, v[1:4]
	s_waitcnt lgkmcnt(0)
	s_waitcnt_vscnt null, 0x0
	s_barrier
	buffer_gl0_inv
	v_cmpx_gt_u32_e32 38, v0
	s_cbranch_execz .LBB42_639
; %bb.632:
	ds_read_b128 v[1:4], v6
	v_cmp_ne_u32_e32 vcc_lo, 1, v7
	s_cbranch_vccnz .LBB42_634
; %bb.633:
	s_clause 0x3
	buffer_load_dword v8, v5, s[0:3], 0 offen offset:8
	buffer_load_dword v9, v5, s[0:3], 0 offen offset:12
	buffer_load_dword v10, v5, s[0:3], 0 offen
	buffer_load_dword v11, v5, s[0:3], 0 offen offset:4
	s_waitcnt vmcnt(2) lgkmcnt(0)
	v_mul_f64 v[12:13], v[3:4], v[8:9]
	v_mul_f64 v[8:9], v[1:2], v[8:9]
	s_waitcnt vmcnt(0)
	v_fma_f64 v[1:2], v[1:2], v[10:11], -v[12:13]
	v_fma_f64 v[3:4], v[3:4], v[10:11], v[8:9]
.LBB42_634:
	s_mov_b32 s8, exec_lo
	v_cmpx_ne_u32_e32 37, v0
	s_cbranch_execz .LBB42_638
; %bb.635:
	v_add_nc_u32_e32 v8, 0x2c0, v103
	v_add3_u32 v9, 0, v103, 16
	v_mov_b32_e32 v10, v0
	s_mov_b32 s50, 0
	.p2align	6
.LBB42_636:                             ; =>This Inner Loop Header: Depth=1
	s_clause 0x3
	buffer_load_dword v15, v9, s[0:3], 0 offen offset:8
	buffer_load_dword v16, v9, s[0:3], 0 offen offset:12
	buffer_load_dword v104, v9, s[0:3], 0 offen
	buffer_load_dword v105, v9, s[0:3], 0 offen offset:4
	ds_read_b128 v[11:14], v8
	v_add_nc_u32_e32 v10, 1, v10
	v_add_nc_u32_e32 v8, 16, v8
	;; [unrolled: 1-line block ×3, first 2 shown]
	v_cmp_lt_u32_e32 vcc_lo, 36, v10
	s_or_b32 s50, vcc_lo, s50
	s_waitcnt vmcnt(2) lgkmcnt(0)
	v_mul_f64 v[106:107], v[13:14], v[15:16]
	v_mul_f64 v[15:16], v[11:12], v[15:16]
	s_waitcnt vmcnt(0)
	v_fma_f64 v[11:12], v[11:12], v[104:105], -v[106:107]
	v_fma_f64 v[13:14], v[13:14], v[104:105], v[15:16]
	v_add_f64 v[1:2], v[1:2], v[11:12]
	v_add_f64 v[3:4], v[3:4], v[13:14]
	s_andn2_b32 exec_lo, exec_lo, s50
	s_cbranch_execnz .LBB42_636
; %bb.637:
	s_or_b32 exec_lo, exec_lo, s50
.LBB42_638:
	s_or_b32 exec_lo, exec_lo, s8
	v_mov_b32_e32 v8, 0
	ds_read_b128 v[8:11], v8 offset:608
	s_waitcnt lgkmcnt(0)
	v_mul_f64 v[12:13], v[3:4], v[10:11]
	v_mul_f64 v[10:11], v[1:2], v[10:11]
	v_fma_f64 v[1:2], v[1:2], v[8:9], -v[12:13]
	v_fma_f64 v[3:4], v[3:4], v[8:9], v[10:11]
	buffer_store_dword v2, off, s[0:3], 0 offset:612
	buffer_store_dword v1, off, s[0:3], 0 offset:608
	;; [unrolled: 1-line block ×4, first 2 shown]
.LBB42_639:
	s_or_b32 exec_lo, exec_lo, s4
	v_mov_b32_e32 v4, s10
	s_mov_b32 s4, exec_lo
	s_clause 0x3
	buffer_load_dword v1, v4, s[0:3], 0 offen
	buffer_load_dword v2, v4, s[0:3], 0 offen offset:4
	buffer_load_dword v3, v4, s[0:3], 0 offen offset:8
	buffer_load_dword v4, v4, s[0:3], 0 offen offset:12
	s_waitcnt vmcnt(0)
	ds_write_b128 v6, v[1:4]
	s_waitcnt lgkmcnt(0)
	s_waitcnt_vscnt null, 0x0
	s_barrier
	buffer_gl0_inv
	v_cmpx_gt_u32_e32 39, v0
	s_cbranch_execz .LBB42_647
; %bb.640:
	ds_read_b128 v[1:4], v6
	v_cmp_ne_u32_e32 vcc_lo, 1, v7
	s_cbranch_vccnz .LBB42_642
; %bb.641:
	s_clause 0x3
	buffer_load_dword v8, v5, s[0:3], 0 offen offset:8
	buffer_load_dword v9, v5, s[0:3], 0 offen offset:12
	buffer_load_dword v10, v5, s[0:3], 0 offen
	buffer_load_dword v11, v5, s[0:3], 0 offen offset:4
	s_waitcnt vmcnt(2) lgkmcnt(0)
	v_mul_f64 v[12:13], v[3:4], v[8:9]
	v_mul_f64 v[8:9], v[1:2], v[8:9]
	s_waitcnt vmcnt(0)
	v_fma_f64 v[1:2], v[1:2], v[10:11], -v[12:13]
	v_fma_f64 v[3:4], v[3:4], v[10:11], v[8:9]
.LBB42_642:
	s_mov_b32 s8, exec_lo
	v_cmpx_ne_u32_e32 38, v0
	s_cbranch_execz .LBB42_646
; %bb.643:
	v_add_nc_u32_e32 v8, 0x2c0, v103
	v_add3_u32 v9, 0, v103, 16
	v_mov_b32_e32 v10, v0
	s_mov_b32 s50, 0
	.p2align	6
.LBB42_644:                             ; =>This Inner Loop Header: Depth=1
	s_clause 0x3
	buffer_load_dword v15, v9, s[0:3], 0 offen offset:8
	buffer_load_dword v16, v9, s[0:3], 0 offen offset:12
	buffer_load_dword v104, v9, s[0:3], 0 offen
	buffer_load_dword v105, v9, s[0:3], 0 offen offset:4
	ds_read_b128 v[11:14], v8
	v_add_nc_u32_e32 v10, 1, v10
	v_add_nc_u32_e32 v8, 16, v8
	v_add_nc_u32_e32 v9, 16, v9
	v_cmp_lt_u32_e32 vcc_lo, 37, v10
	s_or_b32 s50, vcc_lo, s50
	s_waitcnt vmcnt(2) lgkmcnt(0)
	v_mul_f64 v[106:107], v[13:14], v[15:16]
	v_mul_f64 v[15:16], v[11:12], v[15:16]
	s_waitcnt vmcnt(0)
	v_fma_f64 v[11:12], v[11:12], v[104:105], -v[106:107]
	v_fma_f64 v[13:14], v[13:14], v[104:105], v[15:16]
	v_add_f64 v[1:2], v[1:2], v[11:12]
	v_add_f64 v[3:4], v[3:4], v[13:14]
	s_andn2_b32 exec_lo, exec_lo, s50
	s_cbranch_execnz .LBB42_644
; %bb.645:
	s_or_b32 exec_lo, exec_lo, s50
.LBB42_646:
	s_or_b32 exec_lo, exec_lo, s8
	v_mov_b32_e32 v8, 0
	ds_read_b128 v[8:11], v8 offset:624
	s_waitcnt lgkmcnt(0)
	v_mul_f64 v[12:13], v[3:4], v[10:11]
	v_mul_f64 v[10:11], v[1:2], v[10:11]
	v_fma_f64 v[1:2], v[1:2], v[8:9], -v[12:13]
	v_fma_f64 v[3:4], v[3:4], v[8:9], v[10:11]
	buffer_store_dword v2, off, s[0:3], 0 offset:628
	buffer_store_dword v1, off, s[0:3], 0 offset:624
	;; [unrolled: 1-line block ×4, first 2 shown]
.LBB42_647:
	s_or_b32 exec_lo, exec_lo, s4
	v_mov_b32_e32 v4, s9
	s_mov_b32 s4, exec_lo
	s_clause 0x3
	buffer_load_dword v1, v4, s[0:3], 0 offen
	buffer_load_dword v2, v4, s[0:3], 0 offen offset:4
	buffer_load_dword v3, v4, s[0:3], 0 offen offset:8
	;; [unrolled: 1-line block ×3, first 2 shown]
	s_waitcnt vmcnt(0)
	ds_write_b128 v6, v[1:4]
	s_waitcnt lgkmcnt(0)
	s_waitcnt_vscnt null, 0x0
	s_barrier
	buffer_gl0_inv
	v_cmpx_gt_u32_e32 40, v0
	s_cbranch_execz .LBB42_655
; %bb.648:
	ds_read_b128 v[1:4], v6
	v_cmp_ne_u32_e32 vcc_lo, 1, v7
	s_cbranch_vccnz .LBB42_650
; %bb.649:
	s_clause 0x3
	buffer_load_dword v8, v5, s[0:3], 0 offen offset:8
	buffer_load_dword v9, v5, s[0:3], 0 offen offset:12
	buffer_load_dword v10, v5, s[0:3], 0 offen
	buffer_load_dword v11, v5, s[0:3], 0 offen offset:4
	s_waitcnt vmcnt(2) lgkmcnt(0)
	v_mul_f64 v[12:13], v[3:4], v[8:9]
	v_mul_f64 v[8:9], v[1:2], v[8:9]
	s_waitcnt vmcnt(0)
	v_fma_f64 v[1:2], v[1:2], v[10:11], -v[12:13]
	v_fma_f64 v[3:4], v[3:4], v[10:11], v[8:9]
.LBB42_650:
	s_mov_b32 s8, exec_lo
	v_cmpx_ne_u32_e32 39, v0
	s_cbranch_execz .LBB42_654
; %bb.651:
	v_add_nc_u32_e32 v8, 0x2c0, v103
	v_add3_u32 v9, 0, v103, 16
	v_mov_b32_e32 v10, v0
	s_mov_b32 s50, 0
	.p2align	6
.LBB42_652:                             ; =>This Inner Loop Header: Depth=1
	s_clause 0x3
	buffer_load_dword v15, v9, s[0:3], 0 offen offset:8
	buffer_load_dword v16, v9, s[0:3], 0 offen offset:12
	buffer_load_dword v104, v9, s[0:3], 0 offen
	buffer_load_dword v105, v9, s[0:3], 0 offen offset:4
	ds_read_b128 v[11:14], v8
	v_add_nc_u32_e32 v10, 1, v10
	v_add_nc_u32_e32 v8, 16, v8
	;; [unrolled: 1-line block ×3, first 2 shown]
	v_cmp_lt_u32_e32 vcc_lo, 38, v10
	s_or_b32 s50, vcc_lo, s50
	s_waitcnt vmcnt(2) lgkmcnt(0)
	v_mul_f64 v[106:107], v[13:14], v[15:16]
	v_mul_f64 v[15:16], v[11:12], v[15:16]
	s_waitcnt vmcnt(0)
	v_fma_f64 v[11:12], v[11:12], v[104:105], -v[106:107]
	v_fma_f64 v[13:14], v[13:14], v[104:105], v[15:16]
	v_add_f64 v[1:2], v[1:2], v[11:12]
	v_add_f64 v[3:4], v[3:4], v[13:14]
	s_andn2_b32 exec_lo, exec_lo, s50
	s_cbranch_execnz .LBB42_652
; %bb.653:
	s_or_b32 exec_lo, exec_lo, s50
.LBB42_654:
	s_or_b32 exec_lo, exec_lo, s8
	v_mov_b32_e32 v8, 0
	ds_read_b128 v[8:11], v8 offset:640
	s_waitcnt lgkmcnt(0)
	v_mul_f64 v[12:13], v[3:4], v[10:11]
	v_mul_f64 v[10:11], v[1:2], v[10:11]
	v_fma_f64 v[1:2], v[1:2], v[8:9], -v[12:13]
	v_fma_f64 v[3:4], v[3:4], v[8:9], v[10:11]
	buffer_store_dword v2, off, s[0:3], 0 offset:644
	buffer_store_dword v1, off, s[0:3], 0 offset:640
	;; [unrolled: 1-line block ×4, first 2 shown]
.LBB42_655:
	s_or_b32 exec_lo, exec_lo, s4
	v_mov_b32_e32 v4, s7
	v_cmp_gt_u32_e64 s4, 41, v0
	s_clause 0x3
	buffer_load_dword v1, v4, s[0:3], 0 offen
	buffer_load_dword v2, v4, s[0:3], 0 offen offset:4
	buffer_load_dword v3, v4, s[0:3], 0 offen offset:8
	;; [unrolled: 1-line block ×3, first 2 shown]
	s_waitcnt vmcnt(0)
	ds_write_b128 v6, v[1:4]
	s_waitcnt lgkmcnt(0)
	s_waitcnt_vscnt null, 0x0
	s_barrier
	buffer_gl0_inv
	s_and_saveexec_b32 s8, s4
	s_cbranch_execz .LBB42_663
; %bb.656:
	ds_read_b128 v[1:4], v6
	v_cmp_ne_u32_e32 vcc_lo, 1, v7
	s_cbranch_vccnz .LBB42_658
; %bb.657:
	s_clause 0x3
	buffer_load_dword v8, v5, s[0:3], 0 offen offset:8
	buffer_load_dword v9, v5, s[0:3], 0 offen offset:12
	buffer_load_dword v10, v5, s[0:3], 0 offen
	buffer_load_dword v11, v5, s[0:3], 0 offen offset:4
	s_waitcnt vmcnt(2) lgkmcnt(0)
	v_mul_f64 v[12:13], v[3:4], v[8:9]
	v_mul_f64 v[8:9], v[1:2], v[8:9]
	s_waitcnt vmcnt(0)
	v_fma_f64 v[1:2], v[1:2], v[10:11], -v[12:13]
	v_fma_f64 v[3:4], v[3:4], v[10:11], v[8:9]
.LBB42_658:
	s_mov_b32 s50, exec_lo
	v_cmpx_ne_u32_e32 40, v0
	s_cbranch_execz .LBB42_662
; %bb.659:
	v_add_nc_u32_e32 v8, 0x2c0, v103
	v_add3_u32 v9, 0, v103, 16
	v_mov_b32_e32 v10, v0
	s_mov_b32 s51, 0
	.p2align	6
.LBB42_660:                             ; =>This Inner Loop Header: Depth=1
	s_clause 0x3
	buffer_load_dword v15, v9, s[0:3], 0 offen offset:8
	buffer_load_dword v16, v9, s[0:3], 0 offen offset:12
	buffer_load_dword v104, v9, s[0:3], 0 offen
	buffer_load_dword v105, v9, s[0:3], 0 offen offset:4
	ds_read_b128 v[11:14], v8
	v_add_nc_u32_e32 v10, 1, v10
	v_add_nc_u32_e32 v8, 16, v8
	;; [unrolled: 1-line block ×3, first 2 shown]
	v_cmp_lt_u32_e32 vcc_lo, 39, v10
	s_or_b32 s51, vcc_lo, s51
	s_waitcnt vmcnt(2) lgkmcnt(0)
	v_mul_f64 v[106:107], v[13:14], v[15:16]
	v_mul_f64 v[15:16], v[11:12], v[15:16]
	s_waitcnt vmcnt(0)
	v_fma_f64 v[11:12], v[11:12], v[104:105], -v[106:107]
	v_fma_f64 v[13:14], v[13:14], v[104:105], v[15:16]
	v_add_f64 v[1:2], v[1:2], v[11:12]
	v_add_f64 v[3:4], v[3:4], v[13:14]
	s_andn2_b32 exec_lo, exec_lo, s51
	s_cbranch_execnz .LBB42_660
; %bb.661:
	s_or_b32 exec_lo, exec_lo, s51
.LBB42_662:
	s_or_b32 exec_lo, exec_lo, s50
	v_mov_b32_e32 v8, 0
	ds_read_b128 v[8:11], v8 offset:656
	s_waitcnt lgkmcnt(0)
	v_mul_f64 v[12:13], v[3:4], v[10:11]
	v_mul_f64 v[10:11], v[1:2], v[10:11]
	v_fma_f64 v[1:2], v[1:2], v[8:9], -v[12:13]
	v_fma_f64 v[3:4], v[3:4], v[8:9], v[10:11]
	buffer_store_dword v2, off, s[0:3], 0 offset:660
	buffer_store_dword v1, off, s[0:3], 0 offset:656
	;; [unrolled: 1-line block ×4, first 2 shown]
.LBB42_663:
	s_or_b32 exec_lo, exec_lo, s8
	v_mov_b32_e32 v4, s6
	s_mov_b32 s8, exec_lo
                                        ; implicit-def: $sgpr52
	s_clause 0x3
	buffer_load_dword v1, v4, s[0:3], 0 offen
	buffer_load_dword v2, v4, s[0:3], 0 offen offset:4
	buffer_load_dword v3, v4, s[0:3], 0 offen offset:8
	;; [unrolled: 1-line block ×3, first 2 shown]
	s_waitcnt vmcnt(0)
	ds_write_b128 v6, v[1:4]
	s_waitcnt lgkmcnt(0)
	s_waitcnt_vscnt null, 0x0
	s_barrier
	buffer_gl0_inv
                                        ; implicit-def: $vgpr1_vgpr2
	v_cmpx_ne_u32_e32 42, v0
	s_cbranch_execz .LBB42_671
; %bb.664:
	ds_read_b128 v[1:4], v6
	v_cmp_ne_u32_e32 vcc_lo, 1, v7
	s_cbranch_vccnz .LBB42_666
; %bb.665:
	s_clause 0x3
	buffer_load_dword v6, v5, s[0:3], 0 offen offset:8
	buffer_load_dword v7, v5, s[0:3], 0 offen offset:12
	buffer_load_dword v8, v5, s[0:3], 0 offen
	buffer_load_dword v9, v5, s[0:3], 0 offen offset:4
	s_waitcnt vmcnt(2) lgkmcnt(0)
	v_mul_f64 v[10:11], v[3:4], v[6:7]
	v_mul_f64 v[5:6], v[1:2], v[6:7]
	s_waitcnt vmcnt(0)
	v_fma_f64 v[1:2], v[1:2], v[8:9], -v[10:11]
	v_fma_f64 v[3:4], v[3:4], v[8:9], v[5:6]
.LBB42_666:
	s_and_saveexec_b32 s50, s4
	s_cbranch_execz .LBB42_670
; %bb.667:
	v_add_nc_u32_e32 v5, 0x2c0, v103
	v_add3_u32 v6, 0, v103, 16
	s_mov_b32 s4, 0
	.p2align	6
.LBB42_668:                             ; =>This Inner Loop Header: Depth=1
	s_clause 0x3
	buffer_load_dword v11, v6, s[0:3], 0 offen offset:8
	buffer_load_dword v12, v6, s[0:3], 0 offen offset:12
	buffer_load_dword v13, v6, s[0:3], 0 offen
	buffer_load_dword v14, v6, s[0:3], 0 offen offset:4
	ds_read_b128 v[7:10], v5
	v_add_nc_u32_e32 v0, 1, v0
	v_add_nc_u32_e32 v5, 16, v5
	;; [unrolled: 1-line block ×3, first 2 shown]
	v_cmp_lt_u32_e32 vcc_lo, 40, v0
	s_or_b32 s4, vcc_lo, s4
	s_waitcnt vmcnt(2) lgkmcnt(0)
	v_mul_f64 v[15:16], v[9:10], v[11:12]
	v_mul_f64 v[11:12], v[7:8], v[11:12]
	s_waitcnt vmcnt(0)
	v_fma_f64 v[7:8], v[7:8], v[13:14], -v[15:16]
	v_fma_f64 v[9:10], v[9:10], v[13:14], v[11:12]
	v_add_f64 v[1:2], v[1:2], v[7:8]
	v_add_f64 v[3:4], v[3:4], v[9:10]
	s_andn2_b32 exec_lo, exec_lo, s4
	s_cbranch_execnz .LBB42_668
; %bb.669:
	s_or_b32 exec_lo, exec_lo, s4
.LBB42_670:
	s_or_b32 exec_lo, exec_lo, s50
	v_mov_b32_e32 v0, 0
	s_movk_i32 s52, 0x2a8
	s_or_b32 s5, s5, exec_lo
	ds_read_b128 v[5:8], v0 offset:672
	s_waitcnt lgkmcnt(0)
	v_mul_f64 v[9:10], v[3:4], v[7:8]
	v_mul_f64 v[7:8], v[1:2], v[7:8]
	v_fma_f64 v[9:10], v[1:2], v[5:6], -v[9:10]
	v_fma_f64 v[1:2], v[3:4], v[5:6], v[7:8]
	buffer_store_dword v10, off, s[0:3], 0 offset:676
	buffer_store_dword v9, off, s[0:3], 0 offset:672
.LBB42_671:
	s_or_b32 exec_lo, exec_lo, s8
.LBB42_672:
	s_and_saveexec_b32 s4, s5
	s_cbranch_execz .LBB42_674
; %bb.673:
	v_mov_b32_e32 v0, s52
	buffer_store_dword v2, v0, s[0:3], 0 offen offset:4
	buffer_store_dword v1, v0, s[0:3], 0 offen
.LBB42_674:
	s_or_b32 exec_lo, exec_lo, s4
	s_clause 0x3
	buffer_load_dword v0, off, s[0:3], 0
	buffer_load_dword v1, off, s[0:3], 0 offset:4
	buffer_load_dword v2, off, s[0:3], 0 offset:8
	;; [unrolled: 1-line block ×3, first 2 shown]
	v_mov_b32_e32 v7, s49
	v_mov_b32_e32 v11, s48
	;; [unrolled: 1-line block ×4, first 2 shown]
	s_clause 0xf
	buffer_load_dword v4, v7, s[0:3], 0 offen
	buffer_load_dword v5, v7, s[0:3], 0 offen offset:4
	buffer_load_dword v6, v7, s[0:3], 0 offen offset:8
	buffer_load_dword v7, v7, s[0:3], 0 offen offset:12
	buffer_load_dword v8, v11, s[0:3], 0 offen
	buffer_load_dword v9, v11, s[0:3], 0 offen offset:4
	buffer_load_dword v10, v11, s[0:3], 0 offen offset:8
	buffer_load_dword v11, v11, s[0:3], 0 offen offset:12
	;; [unrolled: 4-line block ×4, first 2 shown]
	v_mov_b32_e32 v16, s45
	v_mov_b32_e32 v119, s7
	;; [unrolled: 1-line block ×3, first 2 shown]
	s_waitcnt vmcnt(16)
	global_store_dwordx4 v[21:22], v[0:3], off
	s_clause 0x3
	buffer_load_dword v0, v16, s[0:3], 0 offen
	buffer_load_dword v1, v16, s[0:3], 0 offen offset:4
	buffer_load_dword v2, v16, s[0:3], 0 offen offset:8
	;; [unrolled: 1-line block ×3, first 2 shown]
	v_mov_b32_e32 v16, s44
	v_mov_b32_e32 v22, s43
	s_waitcnt vmcnt(16)
	global_store_dwordx4 v[19:20], v[4:7], off
	s_clause 0x7
	buffer_load_dword v4, v16, s[0:3], 0 offen
	buffer_load_dword v5, v16, s[0:3], 0 offen offset:4
	buffer_load_dword v6, v16, s[0:3], 0 offen offset:8
	;; [unrolled: 1-line block ×3, first 2 shown]
	buffer_load_dword v19, v22, s[0:3], 0 offen
	buffer_load_dword v20, v22, s[0:3], 0 offen offset:4
	buffer_load_dword v21, v22, s[0:3], 0 offen offset:8
	;; [unrolled: 1-line block ×3, first 2 shown]
	v_mov_b32_e32 v16, s42
	s_waitcnt vmcnt(20)
	global_store_dwordx4 v[17:18], v[8:11], off
	s_clause 0x3
	buffer_load_dword v8, v16, s[0:3], 0 offen
	buffer_load_dword v9, v16, s[0:3], 0 offen offset:4
	buffer_load_dword v10, v16, s[0:3], 0 offen offset:8
	;; [unrolled: 1-line block ×3, first 2 shown]
	v_mov_b32_e32 v16, s41
	s_clause 0x3
	buffer_load_dword v107, v16, s[0:3], 0 offen
	buffer_load_dword v108, v16, s[0:3], 0 offen offset:4
	buffer_load_dword v109, v16, s[0:3], 0 offen offset:8
	;; [unrolled: 1-line block ×3, first 2 shown]
	s_waitcnt vmcnt(24)
	global_store_dwordx4 v[81:82], v[12:15], off
	v_mov_b32_e32 v15, s40
	s_clause 0x3
	buffer_load_dword v12, v15, s[0:3], 0 offen
	buffer_load_dword v13, v15, s[0:3], 0 offen offset:4
	buffer_load_dword v14, v15, s[0:3], 0 offen offset:8
	;; [unrolled: 1-line block ×3, first 2 shown]
	v_mov_b32_e32 v16, s39
	s_waitcnt vmcnt(24)
	global_store_dwordx4 v[77:78], v[103:106], off
	s_clause 0x3
	buffer_load_dword v103, v16, s[0:3], 0 offen
	buffer_load_dword v104, v16, s[0:3], 0 offen offset:4
	buffer_load_dword v105, v16, s[0:3], 0 offen offset:8
	;; [unrolled: 1-line block ×3, first 2 shown]
	v_mov_b32_e32 v16, s38
	s_clause 0x3
	buffer_load_dword v111, v16, s[0:3], 0 offen
	buffer_load_dword v112, v16, s[0:3], 0 offen offset:4
	buffer_load_dword v113, v16, s[0:3], 0 offen offset:8
	;; [unrolled: 1-line block ×3, first 2 shown]
	v_mov_b32_e32 v16, s36
	v_mov_b32_e32 v82, s9
	v_mov_b32_e32 v81, s10
	s_waitcnt vmcnt(28)
	global_store_dwordx4 v[75:76], v[0:3], off
	v_mov_b32_e32 v3, s37
	v_mov_b32_e32 v75, s35
	s_clause 0x3
	buffer_load_dword v0, v3, s[0:3], 0 offen
	buffer_load_dword v1, v3, s[0:3], 0 offen offset:4
	buffer_load_dword v2, v3, s[0:3], 0 offen offset:8
	buffer_load_dword v3, v3, s[0:3], 0 offen offset:12
	s_waitcnt vmcnt(28)
	global_store_dwordx4 v[71:72], v[4:7], off
	v_mov_b32_e32 v71, s34
	s_clause 0x3
	buffer_load_dword v4, v16, s[0:3], 0 offen
	buffer_load_dword v5, v16, s[0:3], 0 offen offset:4
	buffer_load_dword v6, v16, s[0:3], 0 offen offset:8
	;; [unrolled: 1-line block ×3, first 2 shown]
	s_waitcnt vmcnt(28)
	global_store_dwordx4 v[67:68], v[19:22], off
	v_mov_b32_e32 v20, s33
	s_clause 0x7
	buffer_load_dword v16, v75, s[0:3], 0 offen
	buffer_load_dword v17, v75, s[0:3], 0 offen offset:4
	buffer_load_dword v18, v75, s[0:3], 0 offen offset:8
	;; [unrolled: 1-line block ×3, first 2 shown]
	buffer_load_dword v75, v71, s[0:3], 0 offen
	buffer_load_dword v76, v71, s[0:3], 0 offen offset:4
	buffer_load_dword v77, v71, s[0:3], 0 offen offset:8
	;; [unrolled: 1-line block ×3, first 2 shown]
	v_mov_b32_e32 v21, s31
	s_waitcnt vmcnt(32)
	global_store_dwordx4 v[63:64], v[8:11], off
	s_clause 0x7
	buffer_load_dword v8, v20, s[0:3], 0 offen
	buffer_load_dword v9, v20, s[0:3], 0 offen offset:4
	buffer_load_dword v10, v20, s[0:3], 0 offen offset:8
	;; [unrolled: 1-line block ×3, first 2 shown]
	buffer_load_dword v115, v21, s[0:3], 0 offen
	buffer_load_dword v116, v21, s[0:3], 0 offen offset:4
	buffer_load_dword v117, v21, s[0:3], 0 offen offset:8
	;; [unrolled: 1-line block ×3, first 2 shown]
	v_mov_b32_e32 v20, s30
	s_waitcnt vmcnt(36)
	global_store_dwordx4 v[61:62], v[107:110], off
	s_clause 0x3
	buffer_load_dword v61, v20, s[0:3], 0 offen
	buffer_load_dword v62, v20, s[0:3], 0 offen offset:4
	buffer_load_dword v63, v20, s[0:3], 0 offen offset:8
	buffer_load_dword v64, v20, s[0:3], 0 offen offset:12
	v_mov_b32_e32 v20, s29
	v_mov_b32_e32 v21, s28
	s_waitcnt vmcnt(36)
	global_store_dwordx4 v[57:58], v[12:15], off
	s_clause 0x7
	buffer_load_dword v12, v20, s[0:3], 0 offen
	buffer_load_dword v13, v20, s[0:3], 0 offen offset:4
	buffer_load_dword v14, v20, s[0:3], 0 offen offset:8
	;; [unrolled: 1-line block ×3, first 2 shown]
	buffer_load_dword v107, v21, s[0:3], 0 offen
	buffer_load_dword v108, v21, s[0:3], 0 offen offset:4
	buffer_load_dword v109, v21, s[0:3], 0 offen offset:8
	;; [unrolled: 1-line block ×3, first 2 shown]
	v_mov_b32_e32 v20, s27
	v_mov_b32_e32 v22, s21
	s_waitcnt vmcnt(40)
	global_store_dwordx4 v[55:56], v[103:106], off
	s_clause 0x3
	buffer_load_dword v55, v20, s[0:3], 0 offen
	buffer_load_dword v56, v20, s[0:3], 0 offen offset:4
	buffer_load_dword v57, v20, s[0:3], 0 offen offset:8
	buffer_load_dword v58, v20, s[0:3], 0 offen offset:12
	v_mov_b32_e32 v20, s26
	v_mov_b32_e32 v21, s22
	s_waitcnt vmcnt(40)
	global_store_dwordx4 v[51:52], v[111:114], off
	s_clause 0x3
	buffer_load_dword v103, v20, s[0:3], 0 offen
	buffer_load_dword v104, v20, s[0:3], 0 offen offset:4
	buffer_load_dword v105, v20, s[0:3], 0 offen offset:8
	;; [unrolled: 1-line block ×3, first 2 shown]
	v_mov_b32_e32 v20, s25
	s_clause 0x3
	buffer_load_dword v111, v20, s[0:3], 0 offen
	buffer_load_dword v112, v20, s[0:3], 0 offen offset:4
	buffer_load_dword v113, v20, s[0:3], 0 offen offset:8
	;; [unrolled: 1-line block ×3, first 2 shown]
	v_mov_b32_e32 v20, s23
	v_mov_b32_e32 v52, s15
	;; [unrolled: 1-line block ×7, first 2 shown]
	s_waitcnt vmcnt(44)
	global_store_dwordx4 v[47:48], v[0:3], off
	v_mov_b32_e32 v3, s24
	v_mov_b32_e32 v48, s19
	s_waitcnt vmcnt(40)
	global_store_dwordx4 v[39:40], v[4:7], off
	v_mov_b32_e32 v40, s17
	v_mov_b32_e32 v47, s20
	s_waitcnt vmcnt(36)
	global_store_dwordx4 v[33:34], v[16:19], off
	s_waitcnt vmcnt(32)
	global_store_dwordx4 v[29:30], v[75:78], off
	s_clause 0x3
	buffer_load_dword v0, v3, s[0:3], 0 offen
	buffer_load_dword v1, v3, s[0:3], 0 offen offset:4
	buffer_load_dword v2, v3, s[0:3], 0 offen offset:8
	buffer_load_dword v3, v3, s[0:3], 0 offen offset:12
	s_waitcnt vmcnt(32)
	global_store_dwordx4 v[31:32], v[8:11], off
	s_clause 0x7
	buffer_load_dword v4, v20, s[0:3], 0 offen
	buffer_load_dword v5, v20, s[0:3], 0 offen offset:4
	buffer_load_dword v6, v20, s[0:3], 0 offen offset:8
	;; [unrolled: 1-line block ×3, first 2 shown]
	buffer_load_dword v8, v21, s[0:3], 0 offen
	buffer_load_dword v9, v21, s[0:3], 0 offen offset:4
	buffer_load_dword v10, v21, s[0:3], 0 offen offset:8
	;; [unrolled: 1-line block ×3, first 2 shown]
	s_waitcnt vmcnt(36)
	global_store_dwordx4 v[27:28], v[115:118], off
	v_mov_b32_e32 v39, s18
	s_clause 0x7
	buffer_load_dword v16, v22, s[0:3], 0 offen
	buffer_load_dword v17, v22, s[0:3], 0 offen offset:4
	buffer_load_dword v18, v22, s[0:3], 0 offen offset:8
	buffer_load_dword v19, v22, s[0:3], 0 offen offset:12
	buffer_load_dword v27, v47, s[0:3], 0 offen
	buffer_load_dword v28, v47, s[0:3], 0 offen offset:4
	buffer_load_dword v29, v47, s[0:3], 0 offen offset:8
	buffer_load_dword v30, v47, s[0:3], 0 offen offset:12
	s_waitcnt vmcnt(40)
	global_store_dwordx4 v[25:26], v[61:64], off
	s_clause 0x7
	buffer_load_dword v31, v48, s[0:3], 0 offen
	buffer_load_dword v32, v48, s[0:3], 0 offen offset:4
	buffer_load_dword v33, v48, s[0:3], 0 offen offset:8
	buffer_load_dword v34, v48, s[0:3], 0 offen offset:12
	buffer_load_dword v61, v39, s[0:3], 0 offen
	buffer_load_dword v62, v39, s[0:3], 0 offen offset:4
	buffer_load_dword v63, v39, s[0:3], 0 offen offset:8
	buffer_load_dword v64, v39, s[0:3], 0 offen offset:12
	s_waitcnt vmcnt(44)
	global_store_dwordx4 v[23:24], v[12:15], off
	;; [unrolled: 11-line block ×6, first 2 shown]
	s_clause 0xb
	buffer_load_dword v111, v82, s[0:3], 0 offen
	buffer_load_dword v112, v82, s[0:3], 0 offen offset:4
	buffer_load_dword v113, v82, s[0:3], 0 offen offset:8
	buffer_load_dword v114, v82, s[0:3], 0 offen offset:12
	buffer_load_dword v115, v119, s[0:3], 0 offen
	buffer_load_dword v116, v119, s[0:3], 0 offen offset:4
	buffer_load_dword v117, v119, s[0:3], 0 offen offset:8
	buffer_load_dword v118, v119, s[0:3], 0 offen offset:12
	;; [unrolled: 4-line block ×3, first 2 shown]
	s_waitcnt vmcnt(62)
	global_store_dwordx4 v[45:46], v[0:3], off
	global_store_dwordx4 v[49:50], v[4:7], off
	s_waitcnt vmcnt(60)
	global_store_dwordx4 v[53:54], v[8:11], off
	s_waitcnt vmcnt(56)
	;; [unrolled: 2-line block ×16, first 2 shown]
	global_store_dwordx4 v[99:100], v[119:122], off
.LBB42_675:
	s_endpgm
	.section	.rodata,"a",@progbits
	.p2align	6, 0x0
	.amdhsa_kernel _ZN9rocsolver6v33100L18trti2_kernel_smallILi43E19rocblas_complex_numIdEPS3_EEv13rocblas_fill_17rocblas_diagonal_T1_iil
		.amdhsa_group_segment_fixed_size 1376
		.amdhsa_private_segment_fixed_size 704
		.amdhsa_kernarg_size 32
		.amdhsa_user_sgpr_count 6
		.amdhsa_user_sgpr_private_segment_buffer 1
		.amdhsa_user_sgpr_dispatch_ptr 0
		.amdhsa_user_sgpr_queue_ptr 0
		.amdhsa_user_sgpr_kernarg_segment_ptr 1
		.amdhsa_user_sgpr_dispatch_id 0
		.amdhsa_user_sgpr_flat_scratch_init 0
		.amdhsa_user_sgpr_private_segment_size 0
		.amdhsa_wavefront_size32 1
		.amdhsa_uses_dynamic_stack 0
		.amdhsa_system_sgpr_private_segment_wavefront_offset 1
		.amdhsa_system_sgpr_workgroup_id_x 1
		.amdhsa_system_sgpr_workgroup_id_y 0
		.amdhsa_system_sgpr_workgroup_id_z 0
		.amdhsa_system_sgpr_workgroup_info 0
		.amdhsa_system_vgpr_workitem_id 0
		.amdhsa_next_free_vgpr 123
		.amdhsa_next_free_sgpr 69
		.amdhsa_reserve_vcc 1
		.amdhsa_reserve_flat_scratch 0
		.amdhsa_float_round_mode_32 0
		.amdhsa_float_round_mode_16_64 0
		.amdhsa_float_denorm_mode_32 3
		.amdhsa_float_denorm_mode_16_64 3
		.amdhsa_dx10_clamp 1
		.amdhsa_ieee_mode 1
		.amdhsa_fp16_overflow 0
		.amdhsa_workgroup_processor_mode 1
		.amdhsa_memory_ordered 1
		.amdhsa_forward_progress 1
		.amdhsa_shared_vgpr_count 0
		.amdhsa_exception_fp_ieee_invalid_op 0
		.amdhsa_exception_fp_denorm_src 0
		.amdhsa_exception_fp_ieee_div_zero 0
		.amdhsa_exception_fp_ieee_overflow 0
		.amdhsa_exception_fp_ieee_underflow 0
		.amdhsa_exception_fp_ieee_inexact 0
		.amdhsa_exception_int_div_zero 0
	.end_amdhsa_kernel
	.section	.text._ZN9rocsolver6v33100L18trti2_kernel_smallILi43E19rocblas_complex_numIdEPS3_EEv13rocblas_fill_17rocblas_diagonal_T1_iil,"axG",@progbits,_ZN9rocsolver6v33100L18trti2_kernel_smallILi43E19rocblas_complex_numIdEPS3_EEv13rocblas_fill_17rocblas_diagonal_T1_iil,comdat
.Lfunc_end42:
	.size	_ZN9rocsolver6v33100L18trti2_kernel_smallILi43E19rocblas_complex_numIdEPS3_EEv13rocblas_fill_17rocblas_diagonal_T1_iil, .Lfunc_end42-_ZN9rocsolver6v33100L18trti2_kernel_smallILi43E19rocblas_complex_numIdEPS3_EEv13rocblas_fill_17rocblas_diagonal_T1_iil
                                        ; -- End function
	.set _ZN9rocsolver6v33100L18trti2_kernel_smallILi43E19rocblas_complex_numIdEPS3_EEv13rocblas_fill_17rocblas_diagonal_T1_iil.num_vgpr, 123
	.set _ZN9rocsolver6v33100L18trti2_kernel_smallILi43E19rocblas_complex_numIdEPS3_EEv13rocblas_fill_17rocblas_diagonal_T1_iil.num_agpr, 0
	.set _ZN9rocsolver6v33100L18trti2_kernel_smallILi43E19rocblas_complex_numIdEPS3_EEv13rocblas_fill_17rocblas_diagonal_T1_iil.numbered_sgpr, 69
	.set _ZN9rocsolver6v33100L18trti2_kernel_smallILi43E19rocblas_complex_numIdEPS3_EEv13rocblas_fill_17rocblas_diagonal_T1_iil.num_named_barrier, 0
	.set _ZN9rocsolver6v33100L18trti2_kernel_smallILi43E19rocblas_complex_numIdEPS3_EEv13rocblas_fill_17rocblas_diagonal_T1_iil.private_seg_size, 704
	.set _ZN9rocsolver6v33100L18trti2_kernel_smallILi43E19rocblas_complex_numIdEPS3_EEv13rocblas_fill_17rocblas_diagonal_T1_iil.uses_vcc, 1
	.set _ZN9rocsolver6v33100L18trti2_kernel_smallILi43E19rocblas_complex_numIdEPS3_EEv13rocblas_fill_17rocblas_diagonal_T1_iil.uses_flat_scratch, 0
	.set _ZN9rocsolver6v33100L18trti2_kernel_smallILi43E19rocblas_complex_numIdEPS3_EEv13rocblas_fill_17rocblas_diagonal_T1_iil.has_dyn_sized_stack, 0
	.set _ZN9rocsolver6v33100L18trti2_kernel_smallILi43E19rocblas_complex_numIdEPS3_EEv13rocblas_fill_17rocblas_diagonal_T1_iil.has_recursion, 0
	.set _ZN9rocsolver6v33100L18trti2_kernel_smallILi43E19rocblas_complex_numIdEPS3_EEv13rocblas_fill_17rocblas_diagonal_T1_iil.has_indirect_call, 0
	.section	.AMDGPU.csdata,"",@progbits
; Kernel info:
; codeLenInByte = 43628
; TotalNumSgprs: 71
; NumVgprs: 123
; ScratchSize: 704
; MemoryBound: 0
; FloatMode: 240
; IeeeMode: 1
; LDSByteSize: 1376 bytes/workgroup (compile time only)
; SGPRBlocks: 0
; VGPRBlocks: 15
; NumSGPRsForWavesPerEU: 71
; NumVGPRsForWavesPerEU: 123
; Occupancy: 8
; WaveLimiterHint : 0
; COMPUTE_PGM_RSRC2:SCRATCH_EN: 1
; COMPUTE_PGM_RSRC2:USER_SGPR: 6
; COMPUTE_PGM_RSRC2:TRAP_HANDLER: 0
; COMPUTE_PGM_RSRC2:TGID_X_EN: 1
; COMPUTE_PGM_RSRC2:TGID_Y_EN: 0
; COMPUTE_PGM_RSRC2:TGID_Z_EN: 0
; COMPUTE_PGM_RSRC2:TIDIG_COMP_CNT: 0
	.section	.text._ZN9rocsolver6v33100L18trti2_kernel_smallILi44E19rocblas_complex_numIdEPS3_EEv13rocblas_fill_17rocblas_diagonal_T1_iil,"axG",@progbits,_ZN9rocsolver6v33100L18trti2_kernel_smallILi44E19rocblas_complex_numIdEPS3_EEv13rocblas_fill_17rocblas_diagonal_T1_iil,comdat
	.globl	_ZN9rocsolver6v33100L18trti2_kernel_smallILi44E19rocblas_complex_numIdEPS3_EEv13rocblas_fill_17rocblas_diagonal_T1_iil ; -- Begin function _ZN9rocsolver6v33100L18trti2_kernel_smallILi44E19rocblas_complex_numIdEPS3_EEv13rocblas_fill_17rocblas_diagonal_T1_iil
	.p2align	8
	.type	_ZN9rocsolver6v33100L18trti2_kernel_smallILi44E19rocblas_complex_numIdEPS3_EEv13rocblas_fill_17rocblas_diagonal_T1_iil,@function
_ZN9rocsolver6v33100L18trti2_kernel_smallILi44E19rocblas_complex_numIdEPS3_EEv13rocblas_fill_17rocblas_diagonal_T1_iil: ; @_ZN9rocsolver6v33100L18trti2_kernel_smallILi44E19rocblas_complex_numIdEPS3_EEv13rocblas_fill_17rocblas_diagonal_T1_iil
; %bb.0:
	s_add_u32 s0, s0, s7
	s_addc_u32 s1, s1, 0
	s_mov_b32 s7, exec_lo
	v_cmpx_gt_u32_e32 44, v0
	s_cbranch_execz .LBB43_691
; %bb.1:
	s_load_dwordx8 s[8:15], s[4:5], 0x0
	s_ashr_i32 s4, s6, 31
	v_lshlrev_b32_e32 v109, 4, v0
	s_movk_i32 s16, 0xf0
	s_movk_i32 s17, 0x100
	;; [unrolled: 1-line block ×17, first 2 shown]
	s_waitcnt lgkmcnt(0)
	s_mul_hi_u32 s5, s14, s6
	s_mul_i32 s4, s14, s4
	s_mul_i32 s7, s15, s6
	s_add_i32 s5, s5, s4
	s_mul_i32 s4, s14, s6
	s_add_i32 s5, s5, s7
	s_ashr_i32 s7, s12, 31
	s_lshl_b64 s[4:5], s[4:5], 4
	s_mov_b32 s6, s12
	s_add_u32 s10, s10, s4
	s_addc_u32 s11, s11, s5
	s_lshl_b64 s[4:5], s[6:7], 4
	v_add3_u32 v6, s13, s13, v0
	s_add_u32 s4, s10, s4
	s_addc_u32 s5, s11, s5
	v_add_co_u32 v93, s10, s4, v109
	global_load_dwordx4 v[1:4], v109, s[4:5]
	v_add_nc_u32_e32 v5, s13, v6
	v_ashrrev_i32_e32 v7, 31, v6
	s_mov_b32 s6, s13
	s_ashr_i32 s7, s13, 31
	v_add_co_ci_u32_e64 v94, null, s5, 0, s10
	v_add_nc_u32_e32 v11, s13, v5
	v_lshlrev_b64 v[7:8], 4, v[6:7]
	s_lshl_b64 s[6:7], s[6:7], 4
	v_ashrrev_i32_e32 v6, 31, v5
	v_add_co_u32 v95, vcc_lo, v93, s6
	v_add_nc_u32_e32 v13, s13, v11
	v_add_co_ci_u32_e64 v96, null, s7, v94, vcc_lo
	v_add_co_u32 v87, vcc_lo, s4, v7
	v_add_nc_u32_e32 v15, s13, v13
	v_add_co_ci_u32_e64 v88, null, s5, v8, vcc_lo
	v_lshlrev_b64 v[5:6], 4, v[5:6]
	global_load_dwordx4 v[66:69], v[95:96], off
	v_add_nc_u32_e32 v17, s13, v15
	global_load_dwordx4 v[70:73], v[87:88], off
	v_ashrrev_i32_e32 v12, 31, v11
	v_ashrrev_i32_e32 v14, 31, v13
	;; [unrolled: 1-line block ×3, first 2 shown]
	v_add_nc_u32_e32 v19, s13, v17
	v_ashrrev_i32_e32 v18, 31, v17
	v_lshlrev_b64 v[11:12], 4, v[11:12]
	v_lshlrev_b64 v[42:43], 4, v[13:14]
	;; [unrolled: 1-line block ×3, first 2 shown]
	v_add_nc_u32_e32 v21, s13, v19
	v_ashrrev_i32_e32 v20, 31, v19
	s_cmpk_lg_i32 s9, 0x84
	s_movk_i32 s6, 0x70
	s_movk_i32 s7, 0x80
	v_add_nc_u32_e32 v23, s13, v21
	v_ashrrev_i32_e32 v22, 31, v21
	s_movk_i32 s10, 0x90
	s_movk_i32 s11, 0xa0
	s_movk_i32 s12, 0xb0
	v_add_nc_u32_e32 v25, s13, v23
	v_ashrrev_i32_e32 v24, 31, v23
	s_movk_i32 s14, 0xd0
	;; [unrolled: 5-line block ×6, first 2 shown]
	s_movk_i32 s70, 0x2b0
	s_cselect_b32 s52, -1, 0
	v_add_nc_u32_e32 v35, s13, v33
	v_ashrrev_i32_e32 v34, 31, v33
	s_cmpk_eq_i32 s9, 0x84
	v_add_nc_u32_e32 v37, s13, v35
	v_ashrrev_i32_e32 v36, 31, v35
	v_add_nc_u32_e32 v39, s13, v37
	v_ashrrev_i32_e32 v38, 31, v37
	;; [unrolled: 2-line block ×3, first 2 shown]
	v_add_nc_u32_e32 v45, s13, v41
	v_add_nc_u32_e32 v47, s13, v45
	v_ashrrev_i32_e32 v46, 31, v45
	v_add_nc_u32_e32 v49, s13, v47
	v_ashrrev_i32_e32 v48, 31, v47
	;; [unrolled: 2-line block ×9, first 2 shown]
	v_add_nc_u32_e32 v97, s13, v65
	v_add_nc_u32_e32 v99, s13, v97
	v_ashrrev_i32_e32 v98, 31, v97
	v_add_nc_u32_e32 v101, s13, v99
	v_ashrrev_i32_e32 v100, 31, v99
	;; [unrolled: 2-line block ×13, first 2 shown]
	s_movk_i32 s13, 0xc0
	v_ashrrev_i32_e32 v10, 31, v9
	v_lshlrev_b64 v[7:8], 4, v[9:10]
	v_add_co_u32 v9, vcc_lo, s4, v7
	v_add_co_ci_u32_e64 v10, null, s5, v8, vcc_lo
	v_add_co_u32 v89, vcc_lo, s4, v5
	v_add_co_ci_u32_e64 v90, null, s5, v6, vcc_lo
	global_load_dwordx4 v[5:8], v[9:10], off
	v_add_co_u32 v91, vcc_lo, s4, v11
	v_add_co_ci_u32_e64 v92, null, s5, v12, vcc_lo
	v_add_co_u32 v85, vcc_lo, s4, v42
	v_add_co_ci_u32_e64 v86, null, s5, v43, vcc_lo
	v_add_co_u32 v83, vcc_lo, s4, v15
	v_add_co_ci_u32_e64 v84, null, s5, v16, vcc_lo
	v_lshlrev_b64 v[15:16], 4, v[17:18]
	v_lshlrev_b64 v[17:18], 4, v[19:20]
	;; [unrolled: 1-line block ×5, first 2 shown]
	v_ashrrev_i32_e32 v42, 31, v41
	v_add_co_u32 v81, vcc_lo, s4, v15
	v_add_co_ci_u32_e64 v82, null, s5, v16, vcc_lo
	v_add_co_u32 v79, vcc_lo, s4, v17
	v_add_co_ci_u32_e64 v80, null, s5, v18, vcc_lo
	v_add_co_u32 v75, vcc_lo, s4, v19
	v_add_co_ci_u32_e64 v76, null, s5, v20, vcc_lo
	v_lshlrev_b64 v[19:20], 4, v[23:24]
	s_waitcnt vmcnt(3)
	buffer_store_dword v4, off, s[0:3], 0 offset:12
	buffer_store_dword v3, off, s[0:3], 0 offset:8
	;; [unrolled: 1-line block ×3, first 2 shown]
	buffer_store_dword v1, off, s[0:3], 0
	global_load_dwordx4 v[1:4], v[89:90], off
	v_add_co_u32 v77, vcc_lo, s4, v19
	v_add_co_ci_u32_e64 v78, null, s5, v20, vcc_lo
	v_lshlrev_b64 v[19:20], 4, v[27:28]
	s_waitcnt vmcnt(3)
	buffer_store_dword v69, off, s[0:3], 0 offset:28
	buffer_store_dword v68, off, s[0:3], 0 offset:24
	;; [unrolled: 1-line block ×4, first 2 shown]
	global_load_dwordx4 v[11:14], v[91:92], off
	s_waitcnt vmcnt(3)
	buffer_store_dword v73, off, s[0:3], 0 offset:44
	buffer_store_dword v72, off, s[0:3], 0 offset:40
	;; [unrolled: 1-line block ×4, first 2 shown]
	global_load_dwordx4 v[66:69], v[85:86], off
	v_add_co_u32 v73, vcc_lo, s4, v21
	v_add_co_ci_u32_e64 v74, null, s5, v22, vcc_lo
	v_add_co_u32 v71, vcc_lo, s4, v19
	v_add_co_ci_u32_e64 v72, null, s5, v20, vcc_lo
	v_lshlrev_b64 v[19:20], 4, v[29:30]
	v_lshlrev_b64 v[21:22], 4, v[31:32]
	s_waitcnt vmcnt(2)
	buffer_store_dword v4, off, s[0:3], 0 offset:60
	buffer_store_dword v3, off, s[0:3], 0 offset:56
	buffer_store_dword v2, off, s[0:3], 0 offset:52
	buffer_store_dword v1, off, s[0:3], 0 offset:48
	global_load_dwordx4 v[1:4], v[83:84], off
	s_waitcnt vmcnt(2)
	buffer_store_dword v14, off, s[0:3], 0 offset:76
	buffer_store_dword v13, off, s[0:3], 0 offset:72
	buffer_store_dword v12, off, s[0:3], 0 offset:68
	buffer_store_dword v11, off, s[0:3], 0 offset:64
	global_load_dwordx4 v[11:14], v[81:82], off
	;; [unrolled: 6-line block ×3, first 2 shown]
	v_add_co_u32 v69, vcc_lo, s4, v19
	v_add_co_ci_u32_e64 v70, null, s5, v20, vcc_lo
	v_lshlrev_b64 v[19:20], 4, v[33:34]
	v_add_co_u32 v67, vcc_lo, s4, v21
	v_add_co_ci_u32_e64 v68, null, s5, v22, vcc_lo
	v_lshlrev_b64 v[21:22], 4, v[37:38]
	;; [unrolled: 3-line block ×3, first 2 shown]
	v_ashrrev_i32_e32 v66, 31, v65
	s_waitcnt vmcnt(2)
	buffer_store_dword v4, off, s[0:3], 0 offset:108
	buffer_store_dword v3, off, s[0:3], 0 offset:104
	;; [unrolled: 1-line block ×4, first 2 shown]
	global_load_dwordx4 v[1:4], v[75:76], off
	v_add_co_u32 v43, vcc_lo, s4, v19
	v_add_co_ci_u32_e64 v44, null, s5, v20, vcc_lo
	v_add_co_u32 v23, vcc_lo, s4, v21
	s_waitcnt vmcnt(2)
	buffer_store_dword v14, off, s[0:3], 0 offset:124
	buffer_store_dword v13, off, s[0:3], 0 offset:120
	;; [unrolled: 1-line block ×4, first 2 shown]
	global_load_dwordx4 v[11:14], v[77:78], off
	s_waitcnt vmcnt(2)
	buffer_store_dword v18, off, s[0:3], 0 offset:140
	buffer_store_dword v17, off, s[0:3], 0 offset:136
	buffer_store_dword v16, off, s[0:3], 0 offset:132
	buffer_store_dword v15, off, s[0:3], 0 offset:128
	global_load_dwordx4 v[15:18], v[73:74], off
	v_add_co_ci_u32_e64 v24, null, s5, v22, vcc_lo
	s_waitcnt vmcnt(2)
	buffer_store_dword v1, off, s[0:3], 0 offset:144
	buffer_store_dword v2, off, s[0:3], 0 offset:148
	buffer_store_dword v3, off, s[0:3], 0 offset:152
	buffer_store_dword v4, off, s[0:3], 0 offset:156
	global_load_dwordx4 v[1:4], v[71:72], off
	s_waitcnt vmcnt(2)
	buffer_store_dword v11, off, s[0:3], 0 offset:160
	buffer_store_dword v12, off, s[0:3], 0 offset:164
	buffer_store_dword v13, off, s[0:3], 0 offset:168
	buffer_store_dword v14, off, s[0:3], 0 offset:172
	global_load_dwordx4 v[11:14], v[69:70], off
	;; [unrolled: 6-line block ×5, first 2 shown]
	s_waitcnt vmcnt(2)
	buffer_store_dword v18, off, s[0:3], 0 offset:236
	buffer_store_dword v17, off, s[0:3], 0 offset:232
	;; [unrolled: 1-line block ×4, first 2 shown]
	v_add_co_u32 v17, vcc_lo, s4, v25
	global_load_dwordx4 v[19:22], v[23:24], off
	v_add_co_ci_u32_e64 v18, null, s5, v26, vcc_lo
	v_lshlrev_b64 v[15:16], 4, v[41:42]
	v_lshlrev_b64 v[25:26], 4, v[45:46]
	;; [unrolled: 1-line block ×3, first 2 shown]
	s_waitcnt vmcnt(2)
	buffer_store_dword v4, off, s[0:3], 0 offset:252
	buffer_store_dword v3, off, s[0:3], 0 offset:248
	;; [unrolled: 1-line block ×4, first 2 shown]
	global_load_dwordx4 v[1:4], v[17:18], off
	v_add_co_u32 v29, vcc_lo, s4, v15
	v_add_co_ci_u32_e64 v30, null, s5, v16, vcc_lo
	v_lshlrev_b64 v[15:16], 4, v[47:48]
	v_add_co_u32 v25, vcc_lo, s4, v25
	v_add_co_ci_u32_e64 v26, null, s5, v26, vcc_lo
	s_waitcnt vmcnt(2)
	buffer_store_dword v14, off, s[0:3], 0 offset:268
	buffer_store_dword v13, off, s[0:3], 0 offset:264
	;; [unrolled: 1-line block ×4, first 2 shown]
	global_load_dwordx4 v[11:14], v[29:30], off
	s_waitcnt vmcnt(2)
	buffer_store_dword v22, off, s[0:3], 0 offset:284
	buffer_store_dword v21, off, s[0:3], 0 offset:280
	;; [unrolled: 1-line block ×4, first 2 shown]
	v_add_co_u32 v19, vcc_lo, s4, v15
	global_load_dwordx4 v[33:36], v[25:26], off
	v_add_co_ci_u32_e64 v20, null, s5, v16, vcc_lo
	v_lshlrev_b64 v[15:16], 4, v[49:50]
	v_lshlrev_b64 v[21:22], 4, v[51:52]
	s_waitcnt vmcnt(2)
	buffer_store_dword v4, off, s[0:3], 0 offset:300
	buffer_store_dword v3, off, s[0:3], 0 offset:296
	;; [unrolled: 1-line block ×4, first 2 shown]
	global_load_dwordx4 v[1:4], v[19:20], off
	v_add_co_u32 v31, vcc_lo, s4, v15
	v_add_co_ci_u32_e64 v32, null, s5, v16, vcc_lo
	v_lshlrev_b64 v[15:16], 4, v[53:54]
	v_add_co_u32 v27, vcc_lo, s4, v21
	v_add_co_ci_u32_e64 v28, null, s5, v22, vcc_lo
	s_waitcnt vmcnt(2)
	buffer_store_dword v14, off, s[0:3], 0 offset:316
	buffer_store_dword v13, off, s[0:3], 0 offset:312
	;; [unrolled: 1-line block ×4, first 2 shown]
	global_load_dwordx4 v[37:40], v[31:32], off
	s_waitcnt vmcnt(2)
	buffer_store_dword v36, off, s[0:3], 0 offset:332
	buffer_store_dword v35, off, s[0:3], 0 offset:328
	;; [unrolled: 1-line block ×4, first 2 shown]
	v_add_co_u32 v21, vcc_lo, s4, v15
	global_load_dwordx4 v[33:36], v[27:28], off
	v_add_co_ci_u32_e64 v22, null, s5, v16, vcc_lo
	v_lshlrev_b64 v[11:12], 4, v[55:56]
	v_lshlrev_b64 v[15:16], 4, v[59:60]
	;; [unrolled: 1-line block ×3, first 2 shown]
	s_waitcnt vmcnt(2)
	buffer_store_dword v4, off, s[0:3], 0 offset:348
	buffer_store_dword v3, off, s[0:3], 0 offset:344
	;; [unrolled: 1-line block ×4, first 2 shown]
	global_load_dwordx4 v[1:4], v[21:22], off
	v_add_co_u32 v13, vcc_lo, s4, v11
	v_add_co_ci_u32_e64 v14, null, s5, v12, vcc_lo
	v_add_co_u32 v11, vcc_lo, s4, v15
	v_add_co_ci_u32_e64 v12, null, s5, v16, vcc_lo
	s_waitcnt vmcnt(2)
	buffer_store_dword v40, off, s[0:3], 0 offset:364
	buffer_store_dword v39, off, s[0:3], 0 offset:360
	;; [unrolled: 1-line block ×4, first 2 shown]
	global_load_dwordx4 v[37:40], v[13:14], off
	s_waitcnt vmcnt(2)
	buffer_store_dword v36, off, s[0:3], 0 offset:380
	buffer_store_dword v35, off, s[0:3], 0 offset:376
	;; [unrolled: 1-line block ×4, first 2 shown]
	v_add_co_u32 v15, vcc_lo, s4, v41
	global_load_dwordx4 v[45:48], v[11:12], off
	v_add_co_ci_u32_e64 v16, null, s5, v42, vcc_lo
	v_lshlrev_b64 v[33:34], 4, v[63:64]
	v_lshlrev_b64 v[35:36], 4, v[65:66]
	;; [unrolled: 1-line block ×5, first 2 shown]
	s_waitcnt vmcnt(2)
	buffer_store_dword v4, off, s[0:3], 0 offset:396
	buffer_store_dword v3, off, s[0:3], 0 offset:392
	;; [unrolled: 1-line block ×4, first 2 shown]
	global_load_dwordx4 v[1:4], v[15:16], off
	v_add_co_u32 v33, vcc_lo, s4, v33
	v_add_co_ci_u32_e64 v34, null, s5, v34, vcc_lo
	v_add_co_u32 v35, vcc_lo, s4, v35
	v_add_co_ci_u32_e64 v36, null, s5, v36, vcc_lo
	s_waitcnt vmcnt(2)
	buffer_store_dword v40, off, s[0:3], 0 offset:412
	buffer_store_dword v39, off, s[0:3], 0 offset:408
	;; [unrolled: 1-line block ×4, first 2 shown]
	global_load_dwordx4 v[49:52], v[33:34], off
	s_waitcnt vmcnt(2)
	buffer_store_dword v48, off, s[0:3], 0 offset:428
	buffer_store_dword v47, off, s[0:3], 0 offset:424
	;; [unrolled: 1-line block ×4, first 2 shown]
	v_add_co_u32 v37, vcc_lo, s4, v41
	global_load_dwordx4 v[45:48], v[35:36], off
	v_add_co_ci_u32_e64 v38, null, s5, v42, vcc_lo
	v_lshlrev_b64 v[39:40], 4, v[99:100]
	v_lshlrev_b64 v[41:42], 4, v[101:102]
	s_waitcnt vmcnt(2)
	buffer_store_dword v4, off, s[0:3], 0 offset:444
	buffer_store_dword v3, off, s[0:3], 0 offset:440
	;; [unrolled: 1-line block ×4, first 2 shown]
	global_load_dwordx4 v[1:4], v[37:38], off
	v_add_co_u32 v39, vcc_lo, s4, v39
	v_add_co_ci_u32_e64 v40, null, s5, v40, vcc_lo
	v_add_co_u32 v41, vcc_lo, s4, v41
	s_waitcnt vmcnt(2)
	buffer_store_dword v52, off, s[0:3], 0 offset:460
	buffer_store_dword v51, off, s[0:3], 0 offset:456
	;; [unrolled: 1-line block ×4, first 2 shown]
	global_load_dwordx4 v[49:52], v[39:40], off
	v_add_co_ci_u32_e64 v42, null, s5, v42, vcc_lo
	s_waitcnt vmcnt(2)
	buffer_store_dword v48, off, s[0:3], 0 offset:476
	buffer_store_dword v47, off, s[0:3], 0 offset:472
	;; [unrolled: 1-line block ×4, first 2 shown]
	v_add_co_u32 v45, vcc_lo, s4, v59
	v_add_co_ci_u32_e64 v46, null, s5, v60, vcc_lo
	global_load_dwordx4 v[53:56], v[41:42], off
	v_lshlrev_b64 v[47:48], 4, v[105:106]
	v_lshlrev_b64 v[105:106], 4, v[116:117]
	s_waitcnt vmcnt(2)
	buffer_store_dword v4, off, s[0:3], 0 offset:492
	buffer_store_dword v3, off, s[0:3], 0 offset:488
	buffer_store_dword v2, off, s[0:3], 0 offset:484
	buffer_store_dword v1, off, s[0:3], 0 offset:480
	global_load_dwordx4 v[1:4], v[45:46], off
	v_add_co_u32 v47, vcc_lo, s4, v47
	v_add_co_ci_u32_e64 v48, null, s5, v48, vcc_lo
	s_waitcnt vmcnt(2)
	buffer_store_dword v52, off, s[0:3], 0 offset:508
	buffer_store_dword v51, off, s[0:3], 0 offset:504
	;; [unrolled: 1-line block ×4, first 2 shown]
	v_add_co_u32 v49, vcc_lo, s4, v63
	v_add_co_ci_u32_e64 v50, null, s5, v64, vcc_lo
	v_add_co_u32 v51, vcc_lo, s4, v97
	global_load_dwordx4 v[59:62], v[47:48], off
	v_add_co_ci_u32_e64 v52, null, s5, v98, vcc_lo
	s_waitcnt vmcnt(2)
	buffer_store_dword v56, off, s[0:3], 0 offset:524
	buffer_store_dword v55, off, s[0:3], 0 offset:520
	;; [unrolled: 1-line block ×4, first 2 shown]
	global_load_dwordx4 v[63:66], v[49:50], off
	v_lshlrev_b64 v[53:54], 4, v[112:113]
	v_lshlrev_b64 v[55:56], 4, v[114:115]
	s_waitcnt vmcnt(2)
	buffer_store_dword v4, off, s[0:3], 0 offset:540
	buffer_store_dword v3, off, s[0:3], 0 offset:536
	;; [unrolled: 1-line block ×4, first 2 shown]
	global_load_dwordx4 v[1:4], v[51:52], off
	v_add_co_u32 v53, vcc_lo, s4, v53
	v_add_co_ci_u32_e64 v54, null, s5, v54, vcc_lo
	v_add_co_u32 v55, vcc_lo, s4, v55
	s_waitcnt vmcnt(2)
	buffer_store_dword v62, off, s[0:3], 0 offset:556
	buffer_store_dword v61, off, s[0:3], 0 offset:552
	;; [unrolled: 1-line block ×4, first 2 shown]
	v_add_co_ci_u32_e64 v56, null, s5, v56, vcc_lo
	v_add_co_u32 v59, vcc_lo, s4, v105
	v_add_co_ci_u32_e64 v60, null, s5, v106, vcc_lo
	global_load_dwordx4 v[97:100], v[53:54], off
	s_waitcnt vmcnt(2)
	buffer_store_dword v66, off, s[0:3], 0 offset:572
	buffer_store_dword v65, off, s[0:3], 0 offset:568
	;; [unrolled: 1-line block ×4, first 2 shown]
	global_load_dwordx4 v[101:104], v[55:56], off
	v_lshlrev_b64 v[61:62], 4, v[118:119]
	v_lshlrev_b64 v[63:64], 4, v[120:121]
	;; [unrolled: 1-line block ×3, first 2 shown]
	s_waitcnt vmcnt(2)
	buffer_store_dword v4, off, s[0:3], 0 offset:588
	buffer_store_dword v3, off, s[0:3], 0 offset:584
	;; [unrolled: 1-line block ×4, first 2 shown]
	global_load_dwordx4 v[1:4], v[59:60], off
	v_add_co_u32 v61, vcc_lo, s4, v61
	v_add_co_ci_u32_e64 v62, null, s5, v62, vcc_lo
	v_add_co_u32 v63, vcc_lo, s4, v63
	v_add_co_ci_u32_e64 v64, null, s5, v64, vcc_lo
	;; [unrolled: 2-line block ×3, first 2 shown]
	s_waitcnt vmcnt(2)
	buffer_store_dword v100, off, s[0:3], 0 offset:604
	buffer_store_dword v99, off, s[0:3], 0 offset:600
	;; [unrolled: 1-line block ×4, first 2 shown]
	global_load_dwordx4 v[97:100], v[61:62], off
	s_waitcnt vmcnt(2)
	buffer_store_dword v104, off, s[0:3], 0 offset:620
	buffer_store_dword v103, off, s[0:3], 0 offset:616
	;; [unrolled: 1-line block ×4, first 2 shown]
	global_load_dwordx4 v[101:104], v[63:64], off
	s_movk_i32 s4, 0x50
	s_movk_i32 s5, 0x60
	s_waitcnt vmcnt(2)
	buffer_store_dword v4, off, s[0:3], 0 offset:636
	buffer_store_dword v3, off, s[0:3], 0 offset:632
	;; [unrolled: 1-line block ×4, first 2 shown]
	global_load_dwordx4 v[1:4], v[65:66], off
	s_waitcnt vmcnt(2)
	buffer_store_dword v100, off, s[0:3], 0 offset:652
	buffer_store_dword v99, off, s[0:3], 0 offset:648
	buffer_store_dword v98, off, s[0:3], 0 offset:644
	buffer_store_dword v97, off, s[0:3], 0 offset:640
	s_waitcnt vmcnt(1)
	buffer_store_dword v104, off, s[0:3], 0 offset:668
	buffer_store_dword v103, off, s[0:3], 0 offset:664
	buffer_store_dword v102, off, s[0:3], 0 offset:660
	buffer_store_dword v101, off, s[0:3], 0 offset:656
	;; [unrolled: 5-line block ×3, first 2 shown]
	buffer_store_dword v8, off, s[0:3], 0 offset:700
	buffer_store_dword v7, off, s[0:3], 0 offset:696
	;; [unrolled: 1-line block ×4, first 2 shown]
	s_cbranch_scc1 .LBB43_7
; %bb.2:
	v_lshl_add_u32 v99, v0, 4, 0
                                        ; implicit-def: $vgpr7_vgpr8
                                        ; implicit-def: $vgpr3_vgpr4
	s_clause 0x3
	buffer_load_dword v5, v99, s[0:3], 0 offen
	buffer_load_dword v6, v99, s[0:3], 0 offen offset:4
	buffer_load_dword v97, v99, s[0:3], 0 offen offset:8
	;; [unrolled: 1-line block ×3, first 2 shown]
	s_waitcnt vmcnt(0)
	v_cmp_ngt_f64_e64 s9, |v[5:6]|, |v[97:98]|
	s_and_saveexec_b32 s27, s9
	s_xor_b32 s9, exec_lo, s27
	s_cbranch_execz .LBB43_4
; %bb.3:
	v_div_scale_f64 v[1:2], null, v[97:98], v[97:98], v[5:6]
	v_div_scale_f64 v[100:101], vcc_lo, v[5:6], v[97:98], v[5:6]
	v_rcp_f64_e32 v[3:4], v[1:2]
	v_fma_f64 v[7:8], -v[1:2], v[3:4], 1.0
	v_fma_f64 v[3:4], v[3:4], v[7:8], v[3:4]
	v_fma_f64 v[7:8], -v[1:2], v[3:4], 1.0
	v_fma_f64 v[3:4], v[3:4], v[7:8], v[3:4]
	v_mul_f64 v[7:8], v[100:101], v[3:4]
	v_fma_f64 v[1:2], -v[1:2], v[7:8], v[100:101]
	v_div_fmas_f64 v[1:2], v[1:2], v[3:4], v[7:8]
	v_div_fixup_f64 v[1:2], v[1:2], v[97:98], v[5:6]
	v_fma_f64 v[3:4], v[5:6], v[1:2], v[97:98]
	v_div_scale_f64 v[5:6], null, v[3:4], v[3:4], 1.0
	v_div_scale_f64 v[100:101], vcc_lo, 1.0, v[3:4], 1.0
	v_rcp_f64_e32 v[7:8], v[5:6]
	v_fma_f64 v[97:98], -v[5:6], v[7:8], 1.0
	v_fma_f64 v[7:8], v[7:8], v[97:98], v[7:8]
	v_fma_f64 v[97:98], -v[5:6], v[7:8], 1.0
	v_fma_f64 v[7:8], v[7:8], v[97:98], v[7:8]
	v_mul_f64 v[97:98], v[100:101], v[7:8]
	v_fma_f64 v[5:6], -v[5:6], v[97:98], v[100:101]
	v_div_fmas_f64 v[5:6], v[5:6], v[7:8], v[97:98]
                                        ; implicit-def: $vgpr97_vgpr98
	v_div_fixup_f64 v[3:4], v[5:6], v[3:4], 1.0
                                        ; implicit-def: $vgpr5_vgpr6
	v_mul_f64 v[7:8], v[1:2], v[3:4]
	v_xor_b32_e32 v4, 0x80000000, v4
	v_xor_b32_e32 v2, 0x80000000, v8
	v_mov_b32_e32 v1, v7
.LBB43_4:
	s_andn2_saveexec_b32 s9, s9
	s_cbranch_execz .LBB43_6
; %bb.5:
	v_div_scale_f64 v[1:2], null, v[5:6], v[5:6], v[97:98]
	v_div_scale_f64 v[100:101], vcc_lo, v[97:98], v[5:6], v[97:98]
	v_rcp_f64_e32 v[3:4], v[1:2]
	v_fma_f64 v[7:8], -v[1:2], v[3:4], 1.0
	v_fma_f64 v[3:4], v[3:4], v[7:8], v[3:4]
	v_fma_f64 v[7:8], -v[1:2], v[3:4], 1.0
	v_fma_f64 v[3:4], v[3:4], v[7:8], v[3:4]
	v_mul_f64 v[7:8], v[100:101], v[3:4]
	v_fma_f64 v[1:2], -v[1:2], v[7:8], v[100:101]
	v_div_fmas_f64 v[1:2], v[1:2], v[3:4], v[7:8]
	v_div_fixup_f64 v[1:2], v[1:2], v[5:6], v[97:98]
	v_fma_f64 v[3:4], v[97:98], v[1:2], v[5:6]
	v_div_scale_f64 v[5:6], null, v[3:4], v[3:4], 1.0
	v_rcp_f64_e32 v[7:8], v[5:6]
	v_fma_f64 v[97:98], -v[5:6], v[7:8], 1.0
	v_fma_f64 v[7:8], v[7:8], v[97:98], v[7:8]
	v_fma_f64 v[97:98], -v[5:6], v[7:8], 1.0
	v_fma_f64 v[7:8], v[7:8], v[97:98], v[7:8]
	v_div_scale_f64 v[97:98], vcc_lo, 1.0, v[3:4], 1.0
	v_mul_f64 v[100:101], v[97:98], v[7:8]
	v_fma_f64 v[5:6], -v[5:6], v[100:101], v[97:98]
	v_div_fmas_f64 v[5:6], v[5:6], v[7:8], v[100:101]
	v_div_fixup_f64 v[7:8], v[5:6], v[3:4], 1.0
	v_mul_f64 v[3:4], v[1:2], -v[7:8]
	v_xor_b32_e32 v2, 0x80000000, v8
	v_mov_b32_e32 v1, v7
.LBB43_6:
	s_or_b32 exec_lo, exec_lo, s9
	buffer_store_dword v4, v99, s[0:3], 0 offen offset:12
	v_xor_b32_e32 v4, 0x80000000, v4
	buffer_store_dword v8, v99, s[0:3], 0 offen offset:4
	buffer_store_dword v7, v99, s[0:3], 0 offen
	buffer_store_dword v3, v99, s[0:3], 0 offen offset:8
	s_branch .LBB43_8
.LBB43_7:
	v_mov_b32_e32 v1, 0
	v_mov_b32_e32 v3, 0
	;; [unrolled: 1-line block ×4, first 2 shown]
.LBB43_8:
	v_add_nc_u32_e32 v6, 0x2c0, v109
	v_mov_b32_e32 v5, v109
	s_mov_b32 s50, 16
	s_mov_b32 s51, 32
	;; [unrolled: 1-line block ×42, first 2 shown]
	s_cmpk_eq_i32 s8, 0x79
	ds_write_b128 v109, v[1:4]
	s_cbranch_scc1 .LBB43_348
; %bb.9:
	v_mov_b32_e32 v4, s9
	v_cmp_eq_u32_e64 s4, 43, v0
	s_clause 0x3
	buffer_load_dword v1, v4, s[0:3], 0 offen
	buffer_load_dword v2, v4, s[0:3], 0 offen offset:4
	buffer_load_dword v3, v4, s[0:3], 0 offen offset:8
	;; [unrolled: 1-line block ×3, first 2 shown]
	s_waitcnt vmcnt(0)
	ds_write_b128 v6, v[1:4]
	s_waitcnt lgkmcnt(0)
	s_waitcnt_vscnt null, 0x0
	s_barrier
	buffer_gl0_inv
	s_and_saveexec_b32 s5, s4
	s_cbranch_execz .LBB43_13
; %bb.10:
	ds_read_b128 v[1:4], v6
	s_andn2_b32 vcc_lo, exec_lo, s52
	s_cbranch_vccnz .LBB43_12
; %bb.11:
	s_clause 0x3
	buffer_load_dword v7, v5, s[0:3], 0 offen offset:8
	buffer_load_dword v8, v5, s[0:3], 0 offen offset:12
	buffer_load_dword v97, v5, s[0:3], 0 offen
	buffer_load_dword v98, v5, s[0:3], 0 offen offset:4
	s_waitcnt vmcnt(2) lgkmcnt(0)
	v_mul_f64 v[99:100], v[3:4], v[7:8]
	v_mul_f64 v[7:8], v[1:2], v[7:8]
	s_waitcnt vmcnt(0)
	v_fma_f64 v[1:2], v[1:2], v[97:98], -v[99:100]
	v_fma_f64 v[3:4], v[3:4], v[97:98], v[7:8]
.LBB43_12:
	v_mov_b32_e32 v7, 0
	ds_read_b128 v[97:100], v7 offset:672
	s_waitcnt lgkmcnt(0)
	v_mul_f64 v[7:8], v[3:4], v[99:100]
	v_mul_f64 v[99:100], v[1:2], v[99:100]
	v_fma_f64 v[1:2], v[1:2], v[97:98], -v[7:8]
	v_fma_f64 v[3:4], v[3:4], v[97:98], v[99:100]
	buffer_store_dword v2, off, s[0:3], 0 offset:676
	buffer_store_dword v1, off, s[0:3], 0 offset:672
	;; [unrolled: 1-line block ×4, first 2 shown]
.LBB43_13:
	s_or_b32 exec_lo, exec_lo, s5
	v_mov_b32_e32 v4, s10
	v_cmp_lt_u32_e64 s5, 41, v0
	s_clause 0x3
	buffer_load_dword v1, v4, s[0:3], 0 offen
	buffer_load_dword v2, v4, s[0:3], 0 offen offset:4
	buffer_load_dword v3, v4, s[0:3], 0 offen offset:8
	;; [unrolled: 1-line block ×3, first 2 shown]
	s_waitcnt vmcnt(0)
	ds_write_b128 v6, v[1:4]
	s_waitcnt lgkmcnt(0)
	s_waitcnt_vscnt null, 0x0
	s_barrier
	buffer_gl0_inv
	s_and_saveexec_b32 s6, s5
	s_cbranch_execz .LBB43_19
; %bb.14:
	ds_read_b128 v[1:4], v6
	s_andn2_b32 vcc_lo, exec_lo, s52
	s_cbranch_vccnz .LBB43_16
; %bb.15:
	s_clause 0x3
	buffer_load_dword v7, v5, s[0:3], 0 offen offset:8
	buffer_load_dword v8, v5, s[0:3], 0 offen offset:12
	buffer_load_dword v97, v5, s[0:3], 0 offen
	buffer_load_dword v98, v5, s[0:3], 0 offen offset:4
	s_waitcnt vmcnt(2) lgkmcnt(0)
	v_mul_f64 v[99:100], v[3:4], v[7:8]
	v_mul_f64 v[7:8], v[1:2], v[7:8]
	s_waitcnt vmcnt(0)
	v_fma_f64 v[1:2], v[1:2], v[97:98], -v[99:100]
	v_fma_f64 v[3:4], v[3:4], v[97:98], v[7:8]
.LBB43_16:
	s_and_saveexec_b32 s8, s4
	s_cbranch_execz .LBB43_18
; %bb.17:
	s_clause 0x3
	buffer_load_dword v7, off, s[0:3], 0 offset:680
	buffer_load_dword v8, off, s[0:3], 0 offset:684
	;; [unrolled: 1-line block ×4, first 2 shown]
	v_mov_b32_e32 v97, 0
	ds_read_b128 v[97:100], v97 offset:1376
	s_waitcnt vmcnt(2) lgkmcnt(0)
	v_mul_f64 v[103:104], v[97:98], v[7:8]
	v_mul_f64 v[7:8], v[99:100], v[7:8]
	s_waitcnt vmcnt(0)
	v_fma_f64 v[99:100], v[99:100], v[101:102], v[103:104]
	v_fma_f64 v[7:8], v[97:98], v[101:102], -v[7:8]
	v_add_f64 v[3:4], v[3:4], v[99:100]
	v_add_f64 v[1:2], v[1:2], v[7:8]
.LBB43_18:
	s_or_b32 exec_lo, exec_lo, s8
	v_mov_b32_e32 v7, 0
	ds_read_b128 v[97:100], v7 offset:656
	s_waitcnt lgkmcnt(0)
	v_mul_f64 v[7:8], v[3:4], v[99:100]
	v_mul_f64 v[99:100], v[1:2], v[99:100]
	v_fma_f64 v[1:2], v[1:2], v[97:98], -v[7:8]
	v_fma_f64 v[3:4], v[3:4], v[97:98], v[99:100]
	buffer_store_dword v2, off, s[0:3], 0 offset:660
	buffer_store_dword v1, off, s[0:3], 0 offset:656
	;; [unrolled: 1-line block ×4, first 2 shown]
.LBB43_19:
	s_or_b32 exec_lo, exec_lo, s6
	v_mov_b32_e32 v4, s11
	v_cmp_lt_u32_e64 s4, 40, v0
	s_clause 0x3
	buffer_load_dword v1, v4, s[0:3], 0 offen
	buffer_load_dword v2, v4, s[0:3], 0 offen offset:4
	buffer_load_dword v3, v4, s[0:3], 0 offen offset:8
	;; [unrolled: 1-line block ×3, first 2 shown]
	s_waitcnt vmcnt(0)
	ds_write_b128 v6, v[1:4]
	s_waitcnt lgkmcnt(0)
	s_waitcnt_vscnt null, 0x0
	s_barrier
	buffer_gl0_inv
	s_and_saveexec_b32 s6, s4
	s_cbranch_execz .LBB43_27
; %bb.20:
	ds_read_b128 v[1:4], v6
	s_andn2_b32 vcc_lo, exec_lo, s52
	s_cbranch_vccnz .LBB43_22
; %bb.21:
	s_clause 0x3
	buffer_load_dword v7, v5, s[0:3], 0 offen offset:8
	buffer_load_dword v8, v5, s[0:3], 0 offen offset:12
	buffer_load_dword v97, v5, s[0:3], 0 offen
	buffer_load_dword v98, v5, s[0:3], 0 offen offset:4
	s_waitcnt vmcnt(2) lgkmcnt(0)
	v_mul_f64 v[99:100], v[3:4], v[7:8]
	v_mul_f64 v[7:8], v[1:2], v[7:8]
	s_waitcnt vmcnt(0)
	v_fma_f64 v[1:2], v[1:2], v[97:98], -v[99:100]
	v_fma_f64 v[3:4], v[3:4], v[97:98], v[7:8]
.LBB43_22:
	s_and_saveexec_b32 s8, s5
	s_cbranch_execz .LBB43_26
; %bb.23:
	v_subrev_nc_u32_e32 v7, 41, v0
	s_movk_i32 s53, 0x550
	s_mov_b32 s5, 0
	s_mov_b32 s54, s10
	.p2align	6
.LBB43_24:                              ; =>This Inner Loop Header: Depth=1
	v_mov_b32_e32 v8, s54
	v_add_nc_u32_e32 v7, -1, v7
	s_add_i32 s54, s54, 16
	s_clause 0x3
	buffer_load_dword v101, v8, s[0:3], 0 offen offset:8
	buffer_load_dword v102, v8, s[0:3], 0 offen offset:12
	buffer_load_dword v103, v8, s[0:3], 0 offen
	buffer_load_dword v104, v8, s[0:3], 0 offen offset:4
	v_mov_b32_e32 v8, s53
	v_cmp_eq_u32_e32 vcc_lo, 0, v7
	s_add_i32 s53, s53, 16
	ds_read_b128 v[97:100], v8
	s_or_b32 s5, vcc_lo, s5
	s_waitcnt vmcnt(2) lgkmcnt(0)
	v_mul_f64 v[105:106], v[99:100], v[101:102]
	v_mul_f64 v[101:102], v[97:98], v[101:102]
	s_waitcnt vmcnt(0)
	v_fma_f64 v[97:98], v[97:98], v[103:104], -v[105:106]
	v_fma_f64 v[99:100], v[99:100], v[103:104], v[101:102]
	v_add_f64 v[1:2], v[1:2], v[97:98]
	v_add_f64 v[3:4], v[3:4], v[99:100]
	s_andn2_b32 exec_lo, exec_lo, s5
	s_cbranch_execnz .LBB43_24
; %bb.25:
	s_or_b32 exec_lo, exec_lo, s5
.LBB43_26:
	s_or_b32 exec_lo, exec_lo, s8
	v_mov_b32_e32 v7, 0
	ds_read_b128 v[97:100], v7 offset:640
	s_waitcnt lgkmcnt(0)
	v_mul_f64 v[7:8], v[3:4], v[99:100]
	v_mul_f64 v[99:100], v[1:2], v[99:100]
	v_fma_f64 v[1:2], v[1:2], v[97:98], -v[7:8]
	v_fma_f64 v[3:4], v[3:4], v[97:98], v[99:100]
	buffer_store_dword v2, off, s[0:3], 0 offset:644
	buffer_store_dword v1, off, s[0:3], 0 offset:640
	;; [unrolled: 1-line block ×4, first 2 shown]
.LBB43_27:
	s_or_b32 exec_lo, exec_lo, s6
	v_mov_b32_e32 v4, s12
	v_cmp_lt_u32_e64 s5, 39, v0
	s_clause 0x3
	buffer_load_dword v1, v4, s[0:3], 0 offen
	buffer_load_dword v2, v4, s[0:3], 0 offen offset:4
	buffer_load_dword v3, v4, s[0:3], 0 offen offset:8
	;; [unrolled: 1-line block ×3, first 2 shown]
	s_waitcnt vmcnt(0)
	ds_write_b128 v6, v[1:4]
	s_waitcnt lgkmcnt(0)
	s_waitcnt_vscnt null, 0x0
	s_barrier
	buffer_gl0_inv
	s_and_saveexec_b32 s6, s5
	s_cbranch_execz .LBB43_35
; %bb.28:
	ds_read_b128 v[1:4], v6
	s_andn2_b32 vcc_lo, exec_lo, s52
	s_cbranch_vccnz .LBB43_30
; %bb.29:
	s_clause 0x3
	buffer_load_dword v7, v5, s[0:3], 0 offen offset:8
	buffer_load_dword v8, v5, s[0:3], 0 offen offset:12
	buffer_load_dword v97, v5, s[0:3], 0 offen
	buffer_load_dword v98, v5, s[0:3], 0 offen offset:4
	s_waitcnt vmcnt(2) lgkmcnt(0)
	v_mul_f64 v[99:100], v[3:4], v[7:8]
	v_mul_f64 v[7:8], v[1:2], v[7:8]
	s_waitcnt vmcnt(0)
	v_fma_f64 v[1:2], v[1:2], v[97:98], -v[99:100]
	v_fma_f64 v[3:4], v[3:4], v[97:98], v[7:8]
.LBB43_30:
	s_and_saveexec_b32 s8, s4
	s_cbranch_execz .LBB43_34
; %bb.31:
	v_subrev_nc_u32_e32 v7, 40, v0
	s_movk_i32 s53, 0x540
	s_mov_b32 s4, 0
	s_mov_b32 s54, s11
	.p2align	6
.LBB43_32:                              ; =>This Inner Loop Header: Depth=1
	v_mov_b32_e32 v8, s54
	v_add_nc_u32_e32 v7, -1, v7
	s_add_i32 s54, s54, 16
	s_clause 0x3
	buffer_load_dword v101, v8, s[0:3], 0 offen offset:8
	buffer_load_dword v102, v8, s[0:3], 0 offen offset:12
	buffer_load_dword v103, v8, s[0:3], 0 offen
	buffer_load_dword v104, v8, s[0:3], 0 offen offset:4
	v_mov_b32_e32 v8, s53
	v_cmp_eq_u32_e32 vcc_lo, 0, v7
	s_add_i32 s53, s53, 16
	ds_read_b128 v[97:100], v8
	s_or_b32 s4, vcc_lo, s4
	s_waitcnt vmcnt(2) lgkmcnt(0)
	v_mul_f64 v[105:106], v[99:100], v[101:102]
	v_mul_f64 v[101:102], v[97:98], v[101:102]
	s_waitcnt vmcnt(0)
	v_fma_f64 v[97:98], v[97:98], v[103:104], -v[105:106]
	v_fma_f64 v[99:100], v[99:100], v[103:104], v[101:102]
	v_add_f64 v[1:2], v[1:2], v[97:98]
	v_add_f64 v[3:4], v[3:4], v[99:100]
	s_andn2_b32 exec_lo, exec_lo, s4
	s_cbranch_execnz .LBB43_32
; %bb.33:
	s_or_b32 exec_lo, exec_lo, s4
.LBB43_34:
	s_or_b32 exec_lo, exec_lo, s8
	v_mov_b32_e32 v7, 0
	ds_read_b128 v[97:100], v7 offset:624
	s_waitcnt lgkmcnt(0)
	v_mul_f64 v[7:8], v[3:4], v[99:100]
	v_mul_f64 v[99:100], v[1:2], v[99:100]
	v_fma_f64 v[1:2], v[1:2], v[97:98], -v[7:8]
	v_fma_f64 v[3:4], v[3:4], v[97:98], v[99:100]
	buffer_store_dword v2, off, s[0:3], 0 offset:628
	buffer_store_dword v1, off, s[0:3], 0 offset:624
	;; [unrolled: 1-line block ×4, first 2 shown]
.LBB43_35:
	s_or_b32 exec_lo, exec_lo, s6
	v_mov_b32_e32 v4, s13
	v_cmp_lt_u32_e64 s4, 38, v0
	s_clause 0x3
	buffer_load_dword v1, v4, s[0:3], 0 offen
	buffer_load_dword v2, v4, s[0:3], 0 offen offset:4
	buffer_load_dword v3, v4, s[0:3], 0 offen offset:8
	buffer_load_dword v4, v4, s[0:3], 0 offen offset:12
	s_waitcnt vmcnt(0)
	ds_write_b128 v6, v[1:4]
	s_waitcnt lgkmcnt(0)
	s_waitcnt_vscnt null, 0x0
	s_barrier
	buffer_gl0_inv
	s_and_saveexec_b32 s6, s4
	s_cbranch_execz .LBB43_43
; %bb.36:
	ds_read_b128 v[1:4], v6
	s_andn2_b32 vcc_lo, exec_lo, s52
	s_cbranch_vccnz .LBB43_38
; %bb.37:
	s_clause 0x3
	buffer_load_dword v7, v5, s[0:3], 0 offen offset:8
	buffer_load_dword v8, v5, s[0:3], 0 offen offset:12
	buffer_load_dword v97, v5, s[0:3], 0 offen
	buffer_load_dword v98, v5, s[0:3], 0 offen offset:4
	s_waitcnt vmcnt(2) lgkmcnt(0)
	v_mul_f64 v[99:100], v[3:4], v[7:8]
	v_mul_f64 v[7:8], v[1:2], v[7:8]
	s_waitcnt vmcnt(0)
	v_fma_f64 v[1:2], v[1:2], v[97:98], -v[99:100]
	v_fma_f64 v[3:4], v[3:4], v[97:98], v[7:8]
.LBB43_38:
	s_and_saveexec_b32 s8, s5
	s_cbranch_execz .LBB43_42
; %bb.39:
	v_subrev_nc_u32_e32 v7, 39, v0
	s_movk_i32 s53, 0x530
	s_mov_b32 s5, 0
	s_mov_b32 s54, s12
	.p2align	6
.LBB43_40:                              ; =>This Inner Loop Header: Depth=1
	v_mov_b32_e32 v8, s54
	v_add_nc_u32_e32 v7, -1, v7
	s_add_i32 s54, s54, 16
	s_clause 0x3
	buffer_load_dword v101, v8, s[0:3], 0 offen offset:8
	buffer_load_dword v102, v8, s[0:3], 0 offen offset:12
	buffer_load_dword v103, v8, s[0:3], 0 offen
	buffer_load_dword v104, v8, s[0:3], 0 offen offset:4
	v_mov_b32_e32 v8, s53
	v_cmp_eq_u32_e32 vcc_lo, 0, v7
	s_add_i32 s53, s53, 16
	ds_read_b128 v[97:100], v8
	s_or_b32 s5, vcc_lo, s5
	s_waitcnt vmcnt(2) lgkmcnt(0)
	v_mul_f64 v[105:106], v[99:100], v[101:102]
	v_mul_f64 v[101:102], v[97:98], v[101:102]
	s_waitcnt vmcnt(0)
	v_fma_f64 v[97:98], v[97:98], v[103:104], -v[105:106]
	v_fma_f64 v[99:100], v[99:100], v[103:104], v[101:102]
	v_add_f64 v[1:2], v[1:2], v[97:98]
	v_add_f64 v[3:4], v[3:4], v[99:100]
	s_andn2_b32 exec_lo, exec_lo, s5
	s_cbranch_execnz .LBB43_40
; %bb.41:
	s_or_b32 exec_lo, exec_lo, s5
.LBB43_42:
	s_or_b32 exec_lo, exec_lo, s8
	v_mov_b32_e32 v7, 0
	ds_read_b128 v[97:100], v7 offset:608
	s_waitcnt lgkmcnt(0)
	v_mul_f64 v[7:8], v[3:4], v[99:100]
	v_mul_f64 v[99:100], v[1:2], v[99:100]
	v_fma_f64 v[1:2], v[1:2], v[97:98], -v[7:8]
	v_fma_f64 v[3:4], v[3:4], v[97:98], v[99:100]
	buffer_store_dword v2, off, s[0:3], 0 offset:612
	buffer_store_dword v1, off, s[0:3], 0 offset:608
	;; [unrolled: 1-line block ×4, first 2 shown]
.LBB43_43:
	s_or_b32 exec_lo, exec_lo, s6
	v_mov_b32_e32 v4, s14
	v_cmp_lt_u32_e64 s5, 37, v0
	s_clause 0x3
	buffer_load_dword v1, v4, s[0:3], 0 offen
	buffer_load_dword v2, v4, s[0:3], 0 offen offset:4
	buffer_load_dword v3, v4, s[0:3], 0 offen offset:8
	buffer_load_dword v4, v4, s[0:3], 0 offen offset:12
	s_waitcnt vmcnt(0)
	ds_write_b128 v6, v[1:4]
	s_waitcnt lgkmcnt(0)
	s_waitcnt_vscnt null, 0x0
	s_barrier
	buffer_gl0_inv
	s_and_saveexec_b32 s6, s5
	s_cbranch_execz .LBB43_51
; %bb.44:
	ds_read_b128 v[1:4], v6
	s_andn2_b32 vcc_lo, exec_lo, s52
	s_cbranch_vccnz .LBB43_46
; %bb.45:
	s_clause 0x3
	buffer_load_dword v7, v5, s[0:3], 0 offen offset:8
	buffer_load_dword v8, v5, s[0:3], 0 offen offset:12
	buffer_load_dword v97, v5, s[0:3], 0 offen
	buffer_load_dword v98, v5, s[0:3], 0 offen offset:4
	s_waitcnt vmcnt(2) lgkmcnt(0)
	v_mul_f64 v[99:100], v[3:4], v[7:8]
	v_mul_f64 v[7:8], v[1:2], v[7:8]
	s_waitcnt vmcnt(0)
	v_fma_f64 v[1:2], v[1:2], v[97:98], -v[99:100]
	v_fma_f64 v[3:4], v[3:4], v[97:98], v[7:8]
.LBB43_46:
	s_and_saveexec_b32 s8, s4
	s_cbranch_execz .LBB43_50
; %bb.47:
	v_subrev_nc_u32_e32 v7, 38, v0
	s_movk_i32 s53, 0x520
	s_mov_b32 s4, 0
	s_mov_b32 s54, s13
	.p2align	6
.LBB43_48:                              ; =>This Inner Loop Header: Depth=1
	v_mov_b32_e32 v8, s54
	v_add_nc_u32_e32 v7, -1, v7
	s_add_i32 s54, s54, 16
	s_clause 0x3
	buffer_load_dword v101, v8, s[0:3], 0 offen offset:8
	buffer_load_dword v102, v8, s[0:3], 0 offen offset:12
	buffer_load_dword v103, v8, s[0:3], 0 offen
	buffer_load_dword v104, v8, s[0:3], 0 offen offset:4
	v_mov_b32_e32 v8, s53
	v_cmp_eq_u32_e32 vcc_lo, 0, v7
	s_add_i32 s53, s53, 16
	ds_read_b128 v[97:100], v8
	s_or_b32 s4, vcc_lo, s4
	s_waitcnt vmcnt(2) lgkmcnt(0)
	v_mul_f64 v[105:106], v[99:100], v[101:102]
	v_mul_f64 v[101:102], v[97:98], v[101:102]
	s_waitcnt vmcnt(0)
	v_fma_f64 v[97:98], v[97:98], v[103:104], -v[105:106]
	v_fma_f64 v[99:100], v[99:100], v[103:104], v[101:102]
	v_add_f64 v[1:2], v[1:2], v[97:98]
	v_add_f64 v[3:4], v[3:4], v[99:100]
	s_andn2_b32 exec_lo, exec_lo, s4
	s_cbranch_execnz .LBB43_48
; %bb.49:
	s_or_b32 exec_lo, exec_lo, s4
.LBB43_50:
	s_or_b32 exec_lo, exec_lo, s8
	v_mov_b32_e32 v7, 0
	ds_read_b128 v[97:100], v7 offset:592
	s_waitcnt lgkmcnt(0)
	v_mul_f64 v[7:8], v[3:4], v[99:100]
	v_mul_f64 v[99:100], v[1:2], v[99:100]
	v_fma_f64 v[1:2], v[1:2], v[97:98], -v[7:8]
	v_fma_f64 v[3:4], v[3:4], v[97:98], v[99:100]
	buffer_store_dword v2, off, s[0:3], 0 offset:596
	buffer_store_dword v1, off, s[0:3], 0 offset:592
	;; [unrolled: 1-line block ×4, first 2 shown]
.LBB43_51:
	s_or_b32 exec_lo, exec_lo, s6
	v_mov_b32_e32 v4, s15
	v_cmp_lt_u32_e64 s4, 36, v0
	s_clause 0x3
	buffer_load_dword v1, v4, s[0:3], 0 offen
	buffer_load_dword v2, v4, s[0:3], 0 offen offset:4
	buffer_load_dword v3, v4, s[0:3], 0 offen offset:8
	;; [unrolled: 1-line block ×3, first 2 shown]
	s_waitcnt vmcnt(0)
	ds_write_b128 v6, v[1:4]
	s_waitcnt lgkmcnt(0)
	s_waitcnt_vscnt null, 0x0
	s_barrier
	buffer_gl0_inv
	s_and_saveexec_b32 s6, s4
	s_cbranch_execz .LBB43_59
; %bb.52:
	ds_read_b128 v[1:4], v6
	s_andn2_b32 vcc_lo, exec_lo, s52
	s_cbranch_vccnz .LBB43_54
; %bb.53:
	s_clause 0x3
	buffer_load_dword v7, v5, s[0:3], 0 offen offset:8
	buffer_load_dword v8, v5, s[0:3], 0 offen offset:12
	buffer_load_dword v97, v5, s[0:3], 0 offen
	buffer_load_dword v98, v5, s[0:3], 0 offen offset:4
	s_waitcnt vmcnt(2) lgkmcnt(0)
	v_mul_f64 v[99:100], v[3:4], v[7:8]
	v_mul_f64 v[7:8], v[1:2], v[7:8]
	s_waitcnt vmcnt(0)
	v_fma_f64 v[1:2], v[1:2], v[97:98], -v[99:100]
	v_fma_f64 v[3:4], v[3:4], v[97:98], v[7:8]
.LBB43_54:
	s_and_saveexec_b32 s8, s5
	s_cbranch_execz .LBB43_58
; %bb.55:
	v_subrev_nc_u32_e32 v7, 37, v0
	s_movk_i32 s53, 0x510
	s_mov_b32 s5, 0
	s_mov_b32 s54, s14
	.p2align	6
.LBB43_56:                              ; =>This Inner Loop Header: Depth=1
	v_mov_b32_e32 v8, s54
	v_add_nc_u32_e32 v7, -1, v7
	s_add_i32 s54, s54, 16
	s_clause 0x3
	buffer_load_dword v101, v8, s[0:3], 0 offen offset:8
	buffer_load_dword v102, v8, s[0:3], 0 offen offset:12
	buffer_load_dword v103, v8, s[0:3], 0 offen
	buffer_load_dword v104, v8, s[0:3], 0 offen offset:4
	v_mov_b32_e32 v8, s53
	v_cmp_eq_u32_e32 vcc_lo, 0, v7
	s_add_i32 s53, s53, 16
	ds_read_b128 v[97:100], v8
	s_or_b32 s5, vcc_lo, s5
	s_waitcnt vmcnt(2) lgkmcnt(0)
	v_mul_f64 v[105:106], v[99:100], v[101:102]
	v_mul_f64 v[101:102], v[97:98], v[101:102]
	s_waitcnt vmcnt(0)
	v_fma_f64 v[97:98], v[97:98], v[103:104], -v[105:106]
	v_fma_f64 v[99:100], v[99:100], v[103:104], v[101:102]
	v_add_f64 v[1:2], v[1:2], v[97:98]
	v_add_f64 v[3:4], v[3:4], v[99:100]
	s_andn2_b32 exec_lo, exec_lo, s5
	s_cbranch_execnz .LBB43_56
; %bb.57:
	s_or_b32 exec_lo, exec_lo, s5
.LBB43_58:
	s_or_b32 exec_lo, exec_lo, s8
	v_mov_b32_e32 v7, 0
	ds_read_b128 v[97:100], v7 offset:576
	s_waitcnt lgkmcnt(0)
	v_mul_f64 v[7:8], v[3:4], v[99:100]
	v_mul_f64 v[99:100], v[1:2], v[99:100]
	v_fma_f64 v[1:2], v[1:2], v[97:98], -v[7:8]
	v_fma_f64 v[3:4], v[3:4], v[97:98], v[99:100]
	buffer_store_dword v2, off, s[0:3], 0 offset:580
	buffer_store_dword v1, off, s[0:3], 0 offset:576
	;; [unrolled: 1-line block ×4, first 2 shown]
.LBB43_59:
	s_or_b32 exec_lo, exec_lo, s6
	v_mov_b32_e32 v4, s16
	v_cmp_lt_u32_e64 s5, 35, v0
	s_clause 0x3
	buffer_load_dword v1, v4, s[0:3], 0 offen
	buffer_load_dword v2, v4, s[0:3], 0 offen offset:4
	buffer_load_dword v3, v4, s[0:3], 0 offen offset:8
	;; [unrolled: 1-line block ×3, first 2 shown]
	s_waitcnt vmcnt(0)
	ds_write_b128 v6, v[1:4]
	s_waitcnt lgkmcnt(0)
	s_waitcnt_vscnt null, 0x0
	s_barrier
	buffer_gl0_inv
	s_and_saveexec_b32 s6, s5
	s_cbranch_execz .LBB43_67
; %bb.60:
	ds_read_b128 v[1:4], v6
	s_andn2_b32 vcc_lo, exec_lo, s52
	s_cbranch_vccnz .LBB43_62
; %bb.61:
	s_clause 0x3
	buffer_load_dword v7, v5, s[0:3], 0 offen offset:8
	buffer_load_dword v8, v5, s[0:3], 0 offen offset:12
	buffer_load_dword v97, v5, s[0:3], 0 offen
	buffer_load_dword v98, v5, s[0:3], 0 offen offset:4
	s_waitcnt vmcnt(2) lgkmcnt(0)
	v_mul_f64 v[99:100], v[3:4], v[7:8]
	v_mul_f64 v[7:8], v[1:2], v[7:8]
	s_waitcnt vmcnt(0)
	v_fma_f64 v[1:2], v[1:2], v[97:98], -v[99:100]
	v_fma_f64 v[3:4], v[3:4], v[97:98], v[7:8]
.LBB43_62:
	s_and_saveexec_b32 s8, s4
	s_cbranch_execz .LBB43_66
; %bb.63:
	v_subrev_nc_u32_e32 v7, 36, v0
	s_movk_i32 s53, 0x500
	s_mov_b32 s4, 0
	s_mov_b32 s54, s15
	.p2align	6
.LBB43_64:                              ; =>This Inner Loop Header: Depth=1
	v_mov_b32_e32 v8, s54
	v_add_nc_u32_e32 v7, -1, v7
	s_add_i32 s54, s54, 16
	s_clause 0x3
	buffer_load_dword v101, v8, s[0:3], 0 offen offset:8
	buffer_load_dword v102, v8, s[0:3], 0 offen offset:12
	buffer_load_dword v103, v8, s[0:3], 0 offen
	buffer_load_dword v104, v8, s[0:3], 0 offen offset:4
	v_mov_b32_e32 v8, s53
	v_cmp_eq_u32_e32 vcc_lo, 0, v7
	s_add_i32 s53, s53, 16
	ds_read_b128 v[97:100], v8
	s_or_b32 s4, vcc_lo, s4
	s_waitcnt vmcnt(2) lgkmcnt(0)
	v_mul_f64 v[105:106], v[99:100], v[101:102]
	v_mul_f64 v[101:102], v[97:98], v[101:102]
	s_waitcnt vmcnt(0)
	v_fma_f64 v[97:98], v[97:98], v[103:104], -v[105:106]
	v_fma_f64 v[99:100], v[99:100], v[103:104], v[101:102]
	v_add_f64 v[1:2], v[1:2], v[97:98]
	v_add_f64 v[3:4], v[3:4], v[99:100]
	s_andn2_b32 exec_lo, exec_lo, s4
	s_cbranch_execnz .LBB43_64
; %bb.65:
	s_or_b32 exec_lo, exec_lo, s4
.LBB43_66:
	s_or_b32 exec_lo, exec_lo, s8
	v_mov_b32_e32 v7, 0
	ds_read_b128 v[97:100], v7 offset:560
	s_waitcnt lgkmcnt(0)
	v_mul_f64 v[7:8], v[3:4], v[99:100]
	v_mul_f64 v[99:100], v[1:2], v[99:100]
	v_fma_f64 v[1:2], v[1:2], v[97:98], -v[7:8]
	v_fma_f64 v[3:4], v[3:4], v[97:98], v[99:100]
	buffer_store_dword v2, off, s[0:3], 0 offset:564
	buffer_store_dword v1, off, s[0:3], 0 offset:560
	;; [unrolled: 1-line block ×4, first 2 shown]
.LBB43_67:
	s_or_b32 exec_lo, exec_lo, s6
	v_mov_b32_e32 v4, s17
	v_cmp_lt_u32_e64 s4, 34, v0
	s_clause 0x3
	buffer_load_dword v1, v4, s[0:3], 0 offen
	buffer_load_dword v2, v4, s[0:3], 0 offen offset:4
	buffer_load_dword v3, v4, s[0:3], 0 offen offset:8
	;; [unrolled: 1-line block ×3, first 2 shown]
	s_waitcnt vmcnt(0)
	ds_write_b128 v6, v[1:4]
	s_waitcnt lgkmcnt(0)
	s_waitcnt_vscnt null, 0x0
	s_barrier
	buffer_gl0_inv
	s_and_saveexec_b32 s6, s4
	s_cbranch_execz .LBB43_75
; %bb.68:
	ds_read_b128 v[1:4], v6
	s_andn2_b32 vcc_lo, exec_lo, s52
	s_cbranch_vccnz .LBB43_70
; %bb.69:
	s_clause 0x3
	buffer_load_dword v7, v5, s[0:3], 0 offen offset:8
	buffer_load_dword v8, v5, s[0:3], 0 offen offset:12
	buffer_load_dword v97, v5, s[0:3], 0 offen
	buffer_load_dword v98, v5, s[0:3], 0 offen offset:4
	s_waitcnt vmcnt(2) lgkmcnt(0)
	v_mul_f64 v[99:100], v[3:4], v[7:8]
	v_mul_f64 v[7:8], v[1:2], v[7:8]
	s_waitcnt vmcnt(0)
	v_fma_f64 v[1:2], v[1:2], v[97:98], -v[99:100]
	v_fma_f64 v[3:4], v[3:4], v[97:98], v[7:8]
.LBB43_70:
	s_and_saveexec_b32 s8, s5
	s_cbranch_execz .LBB43_74
; %bb.71:
	v_subrev_nc_u32_e32 v7, 35, v0
	s_movk_i32 s53, 0x4f0
	s_mov_b32 s5, 0
	s_mov_b32 s54, s16
	.p2align	6
.LBB43_72:                              ; =>This Inner Loop Header: Depth=1
	v_mov_b32_e32 v8, s54
	v_add_nc_u32_e32 v7, -1, v7
	s_add_i32 s54, s54, 16
	s_clause 0x3
	buffer_load_dword v101, v8, s[0:3], 0 offen offset:8
	buffer_load_dword v102, v8, s[0:3], 0 offen offset:12
	buffer_load_dword v103, v8, s[0:3], 0 offen
	buffer_load_dword v104, v8, s[0:3], 0 offen offset:4
	v_mov_b32_e32 v8, s53
	v_cmp_eq_u32_e32 vcc_lo, 0, v7
	s_add_i32 s53, s53, 16
	ds_read_b128 v[97:100], v8
	s_or_b32 s5, vcc_lo, s5
	s_waitcnt vmcnt(2) lgkmcnt(0)
	v_mul_f64 v[105:106], v[99:100], v[101:102]
	v_mul_f64 v[101:102], v[97:98], v[101:102]
	s_waitcnt vmcnt(0)
	v_fma_f64 v[97:98], v[97:98], v[103:104], -v[105:106]
	v_fma_f64 v[99:100], v[99:100], v[103:104], v[101:102]
	v_add_f64 v[1:2], v[1:2], v[97:98]
	v_add_f64 v[3:4], v[3:4], v[99:100]
	s_andn2_b32 exec_lo, exec_lo, s5
	s_cbranch_execnz .LBB43_72
; %bb.73:
	s_or_b32 exec_lo, exec_lo, s5
.LBB43_74:
	s_or_b32 exec_lo, exec_lo, s8
	v_mov_b32_e32 v7, 0
	ds_read_b128 v[97:100], v7 offset:544
	s_waitcnt lgkmcnt(0)
	v_mul_f64 v[7:8], v[3:4], v[99:100]
	v_mul_f64 v[99:100], v[1:2], v[99:100]
	v_fma_f64 v[1:2], v[1:2], v[97:98], -v[7:8]
	v_fma_f64 v[3:4], v[3:4], v[97:98], v[99:100]
	buffer_store_dword v2, off, s[0:3], 0 offset:548
	buffer_store_dword v1, off, s[0:3], 0 offset:544
	;; [unrolled: 1-line block ×4, first 2 shown]
.LBB43_75:
	s_or_b32 exec_lo, exec_lo, s6
	v_mov_b32_e32 v4, s18
	v_cmp_lt_u32_e64 s5, 33, v0
	s_clause 0x3
	buffer_load_dword v1, v4, s[0:3], 0 offen
	buffer_load_dword v2, v4, s[0:3], 0 offen offset:4
	buffer_load_dword v3, v4, s[0:3], 0 offen offset:8
	;; [unrolled: 1-line block ×3, first 2 shown]
	s_waitcnt vmcnt(0)
	ds_write_b128 v6, v[1:4]
	s_waitcnt lgkmcnt(0)
	s_waitcnt_vscnt null, 0x0
	s_barrier
	buffer_gl0_inv
	s_and_saveexec_b32 s6, s5
	s_cbranch_execz .LBB43_83
; %bb.76:
	ds_read_b128 v[1:4], v6
	s_andn2_b32 vcc_lo, exec_lo, s52
	s_cbranch_vccnz .LBB43_78
; %bb.77:
	s_clause 0x3
	buffer_load_dword v7, v5, s[0:3], 0 offen offset:8
	buffer_load_dword v8, v5, s[0:3], 0 offen offset:12
	buffer_load_dword v97, v5, s[0:3], 0 offen
	buffer_load_dword v98, v5, s[0:3], 0 offen offset:4
	s_waitcnt vmcnt(2) lgkmcnt(0)
	v_mul_f64 v[99:100], v[3:4], v[7:8]
	v_mul_f64 v[7:8], v[1:2], v[7:8]
	s_waitcnt vmcnt(0)
	v_fma_f64 v[1:2], v[1:2], v[97:98], -v[99:100]
	v_fma_f64 v[3:4], v[3:4], v[97:98], v[7:8]
.LBB43_78:
	s_and_saveexec_b32 s8, s4
	s_cbranch_execz .LBB43_82
; %bb.79:
	v_subrev_nc_u32_e32 v7, 34, v0
	s_movk_i32 s53, 0x4e0
	s_mov_b32 s4, 0
	s_mov_b32 s54, s17
	.p2align	6
.LBB43_80:                              ; =>This Inner Loop Header: Depth=1
	v_mov_b32_e32 v8, s54
	v_add_nc_u32_e32 v7, -1, v7
	s_add_i32 s54, s54, 16
	s_clause 0x3
	buffer_load_dword v101, v8, s[0:3], 0 offen offset:8
	buffer_load_dword v102, v8, s[0:3], 0 offen offset:12
	buffer_load_dword v103, v8, s[0:3], 0 offen
	buffer_load_dword v104, v8, s[0:3], 0 offen offset:4
	v_mov_b32_e32 v8, s53
	v_cmp_eq_u32_e32 vcc_lo, 0, v7
	s_add_i32 s53, s53, 16
	ds_read_b128 v[97:100], v8
	s_or_b32 s4, vcc_lo, s4
	s_waitcnt vmcnt(2) lgkmcnt(0)
	v_mul_f64 v[105:106], v[99:100], v[101:102]
	v_mul_f64 v[101:102], v[97:98], v[101:102]
	s_waitcnt vmcnt(0)
	v_fma_f64 v[97:98], v[97:98], v[103:104], -v[105:106]
	v_fma_f64 v[99:100], v[99:100], v[103:104], v[101:102]
	v_add_f64 v[1:2], v[1:2], v[97:98]
	v_add_f64 v[3:4], v[3:4], v[99:100]
	s_andn2_b32 exec_lo, exec_lo, s4
	s_cbranch_execnz .LBB43_80
; %bb.81:
	s_or_b32 exec_lo, exec_lo, s4
.LBB43_82:
	s_or_b32 exec_lo, exec_lo, s8
	v_mov_b32_e32 v7, 0
	ds_read_b128 v[97:100], v7 offset:528
	s_waitcnt lgkmcnt(0)
	v_mul_f64 v[7:8], v[3:4], v[99:100]
	v_mul_f64 v[99:100], v[1:2], v[99:100]
	v_fma_f64 v[1:2], v[1:2], v[97:98], -v[7:8]
	v_fma_f64 v[3:4], v[3:4], v[97:98], v[99:100]
	buffer_store_dword v2, off, s[0:3], 0 offset:532
	buffer_store_dword v1, off, s[0:3], 0 offset:528
	;; [unrolled: 1-line block ×4, first 2 shown]
.LBB43_83:
	s_or_b32 exec_lo, exec_lo, s6
	v_mov_b32_e32 v4, s19
	v_cmp_lt_u32_e64 s4, 32, v0
	s_clause 0x3
	buffer_load_dword v1, v4, s[0:3], 0 offen
	buffer_load_dword v2, v4, s[0:3], 0 offen offset:4
	buffer_load_dword v3, v4, s[0:3], 0 offen offset:8
	;; [unrolled: 1-line block ×3, first 2 shown]
	s_waitcnt vmcnt(0)
	ds_write_b128 v6, v[1:4]
	s_waitcnt lgkmcnt(0)
	s_waitcnt_vscnt null, 0x0
	s_barrier
	buffer_gl0_inv
	s_and_saveexec_b32 s6, s4
	s_cbranch_execz .LBB43_91
; %bb.84:
	ds_read_b128 v[1:4], v6
	s_andn2_b32 vcc_lo, exec_lo, s52
	s_cbranch_vccnz .LBB43_86
; %bb.85:
	s_clause 0x3
	buffer_load_dword v7, v5, s[0:3], 0 offen offset:8
	buffer_load_dword v8, v5, s[0:3], 0 offen offset:12
	buffer_load_dword v97, v5, s[0:3], 0 offen
	buffer_load_dword v98, v5, s[0:3], 0 offen offset:4
	s_waitcnt vmcnt(2) lgkmcnt(0)
	v_mul_f64 v[99:100], v[3:4], v[7:8]
	v_mul_f64 v[7:8], v[1:2], v[7:8]
	s_waitcnt vmcnt(0)
	v_fma_f64 v[1:2], v[1:2], v[97:98], -v[99:100]
	v_fma_f64 v[3:4], v[3:4], v[97:98], v[7:8]
.LBB43_86:
	s_and_saveexec_b32 s8, s5
	s_cbranch_execz .LBB43_90
; %bb.87:
	v_subrev_nc_u32_e32 v7, 33, v0
	s_movk_i32 s53, 0x4d0
	s_mov_b32 s5, 0
	s_mov_b32 s54, s18
	.p2align	6
.LBB43_88:                              ; =>This Inner Loop Header: Depth=1
	v_mov_b32_e32 v8, s54
	v_add_nc_u32_e32 v7, -1, v7
	s_add_i32 s54, s54, 16
	s_clause 0x3
	buffer_load_dword v101, v8, s[0:3], 0 offen offset:8
	buffer_load_dword v102, v8, s[0:3], 0 offen offset:12
	buffer_load_dword v103, v8, s[0:3], 0 offen
	buffer_load_dword v104, v8, s[0:3], 0 offen offset:4
	v_mov_b32_e32 v8, s53
	v_cmp_eq_u32_e32 vcc_lo, 0, v7
	s_add_i32 s53, s53, 16
	ds_read_b128 v[97:100], v8
	s_or_b32 s5, vcc_lo, s5
	s_waitcnt vmcnt(2) lgkmcnt(0)
	v_mul_f64 v[105:106], v[99:100], v[101:102]
	v_mul_f64 v[101:102], v[97:98], v[101:102]
	s_waitcnt vmcnt(0)
	v_fma_f64 v[97:98], v[97:98], v[103:104], -v[105:106]
	v_fma_f64 v[99:100], v[99:100], v[103:104], v[101:102]
	v_add_f64 v[1:2], v[1:2], v[97:98]
	v_add_f64 v[3:4], v[3:4], v[99:100]
	s_andn2_b32 exec_lo, exec_lo, s5
	s_cbranch_execnz .LBB43_88
; %bb.89:
	s_or_b32 exec_lo, exec_lo, s5
.LBB43_90:
	s_or_b32 exec_lo, exec_lo, s8
	v_mov_b32_e32 v7, 0
	ds_read_b128 v[97:100], v7 offset:512
	s_waitcnt lgkmcnt(0)
	v_mul_f64 v[7:8], v[3:4], v[99:100]
	v_mul_f64 v[99:100], v[1:2], v[99:100]
	v_fma_f64 v[1:2], v[1:2], v[97:98], -v[7:8]
	v_fma_f64 v[3:4], v[3:4], v[97:98], v[99:100]
	buffer_store_dword v2, off, s[0:3], 0 offset:516
	buffer_store_dword v1, off, s[0:3], 0 offset:512
	;; [unrolled: 1-line block ×4, first 2 shown]
.LBB43_91:
	s_or_b32 exec_lo, exec_lo, s6
	v_mov_b32_e32 v4, s20
	v_cmp_lt_u32_e64 s5, 31, v0
	s_clause 0x3
	buffer_load_dword v1, v4, s[0:3], 0 offen
	buffer_load_dword v2, v4, s[0:3], 0 offen offset:4
	buffer_load_dword v3, v4, s[0:3], 0 offen offset:8
	;; [unrolled: 1-line block ×3, first 2 shown]
	s_waitcnt vmcnt(0)
	ds_write_b128 v6, v[1:4]
	s_waitcnt lgkmcnt(0)
	s_waitcnt_vscnt null, 0x0
	s_barrier
	buffer_gl0_inv
	s_and_saveexec_b32 s6, s5
	s_cbranch_execz .LBB43_99
; %bb.92:
	ds_read_b128 v[1:4], v6
	s_andn2_b32 vcc_lo, exec_lo, s52
	s_cbranch_vccnz .LBB43_94
; %bb.93:
	s_clause 0x3
	buffer_load_dword v7, v5, s[0:3], 0 offen offset:8
	buffer_load_dword v8, v5, s[0:3], 0 offen offset:12
	buffer_load_dword v97, v5, s[0:3], 0 offen
	buffer_load_dword v98, v5, s[0:3], 0 offen offset:4
	s_waitcnt vmcnt(2) lgkmcnt(0)
	v_mul_f64 v[99:100], v[3:4], v[7:8]
	v_mul_f64 v[7:8], v[1:2], v[7:8]
	s_waitcnt vmcnt(0)
	v_fma_f64 v[1:2], v[1:2], v[97:98], -v[99:100]
	v_fma_f64 v[3:4], v[3:4], v[97:98], v[7:8]
.LBB43_94:
	s_and_saveexec_b32 s8, s4
	s_cbranch_execz .LBB43_98
; %bb.95:
	v_subrev_nc_u32_e32 v7, 32, v0
	s_movk_i32 s53, 0x4c0
	s_mov_b32 s4, 0
	s_mov_b32 s54, s19
	.p2align	6
.LBB43_96:                              ; =>This Inner Loop Header: Depth=1
	v_mov_b32_e32 v8, s54
	v_add_nc_u32_e32 v7, -1, v7
	s_add_i32 s54, s54, 16
	s_clause 0x3
	buffer_load_dword v101, v8, s[0:3], 0 offen offset:8
	buffer_load_dword v102, v8, s[0:3], 0 offen offset:12
	buffer_load_dword v103, v8, s[0:3], 0 offen
	buffer_load_dword v104, v8, s[0:3], 0 offen offset:4
	v_mov_b32_e32 v8, s53
	v_cmp_eq_u32_e32 vcc_lo, 0, v7
	s_add_i32 s53, s53, 16
	ds_read_b128 v[97:100], v8
	s_or_b32 s4, vcc_lo, s4
	s_waitcnt vmcnt(2) lgkmcnt(0)
	v_mul_f64 v[105:106], v[99:100], v[101:102]
	v_mul_f64 v[101:102], v[97:98], v[101:102]
	s_waitcnt vmcnt(0)
	v_fma_f64 v[97:98], v[97:98], v[103:104], -v[105:106]
	v_fma_f64 v[99:100], v[99:100], v[103:104], v[101:102]
	v_add_f64 v[1:2], v[1:2], v[97:98]
	v_add_f64 v[3:4], v[3:4], v[99:100]
	s_andn2_b32 exec_lo, exec_lo, s4
	s_cbranch_execnz .LBB43_96
; %bb.97:
	s_or_b32 exec_lo, exec_lo, s4
.LBB43_98:
	s_or_b32 exec_lo, exec_lo, s8
	v_mov_b32_e32 v7, 0
	ds_read_b128 v[97:100], v7 offset:496
	s_waitcnt lgkmcnt(0)
	v_mul_f64 v[7:8], v[3:4], v[99:100]
	v_mul_f64 v[99:100], v[1:2], v[99:100]
	v_fma_f64 v[1:2], v[1:2], v[97:98], -v[7:8]
	v_fma_f64 v[3:4], v[3:4], v[97:98], v[99:100]
	buffer_store_dword v2, off, s[0:3], 0 offset:500
	buffer_store_dword v1, off, s[0:3], 0 offset:496
	buffer_store_dword v4, off, s[0:3], 0 offset:508
	buffer_store_dword v3, off, s[0:3], 0 offset:504
.LBB43_99:
	s_or_b32 exec_lo, exec_lo, s6
	v_mov_b32_e32 v4, s21
	v_cmp_lt_u32_e64 s4, 30, v0
	s_clause 0x3
	buffer_load_dword v1, v4, s[0:3], 0 offen
	buffer_load_dword v2, v4, s[0:3], 0 offen offset:4
	buffer_load_dword v3, v4, s[0:3], 0 offen offset:8
	;; [unrolled: 1-line block ×3, first 2 shown]
	s_waitcnt vmcnt(0)
	ds_write_b128 v6, v[1:4]
	s_waitcnt lgkmcnt(0)
	s_waitcnt_vscnt null, 0x0
	s_barrier
	buffer_gl0_inv
	s_and_saveexec_b32 s6, s4
	s_cbranch_execz .LBB43_107
; %bb.100:
	ds_read_b128 v[1:4], v6
	s_andn2_b32 vcc_lo, exec_lo, s52
	s_cbranch_vccnz .LBB43_102
; %bb.101:
	s_clause 0x3
	buffer_load_dword v7, v5, s[0:3], 0 offen offset:8
	buffer_load_dword v8, v5, s[0:3], 0 offen offset:12
	buffer_load_dword v97, v5, s[0:3], 0 offen
	buffer_load_dword v98, v5, s[0:3], 0 offen offset:4
	s_waitcnt vmcnt(2) lgkmcnt(0)
	v_mul_f64 v[99:100], v[3:4], v[7:8]
	v_mul_f64 v[7:8], v[1:2], v[7:8]
	s_waitcnt vmcnt(0)
	v_fma_f64 v[1:2], v[1:2], v[97:98], -v[99:100]
	v_fma_f64 v[3:4], v[3:4], v[97:98], v[7:8]
.LBB43_102:
	s_and_saveexec_b32 s8, s5
	s_cbranch_execz .LBB43_106
; %bb.103:
	v_subrev_nc_u32_e32 v7, 31, v0
	s_movk_i32 s53, 0x4b0
	s_mov_b32 s5, 0
	s_mov_b32 s54, s20
	.p2align	6
.LBB43_104:                             ; =>This Inner Loop Header: Depth=1
	v_mov_b32_e32 v8, s54
	v_add_nc_u32_e32 v7, -1, v7
	s_add_i32 s54, s54, 16
	s_clause 0x3
	buffer_load_dword v101, v8, s[0:3], 0 offen offset:8
	buffer_load_dword v102, v8, s[0:3], 0 offen offset:12
	buffer_load_dword v103, v8, s[0:3], 0 offen
	buffer_load_dword v104, v8, s[0:3], 0 offen offset:4
	v_mov_b32_e32 v8, s53
	v_cmp_eq_u32_e32 vcc_lo, 0, v7
	s_add_i32 s53, s53, 16
	ds_read_b128 v[97:100], v8
	s_or_b32 s5, vcc_lo, s5
	s_waitcnt vmcnt(2) lgkmcnt(0)
	v_mul_f64 v[105:106], v[99:100], v[101:102]
	v_mul_f64 v[101:102], v[97:98], v[101:102]
	s_waitcnt vmcnt(0)
	v_fma_f64 v[97:98], v[97:98], v[103:104], -v[105:106]
	v_fma_f64 v[99:100], v[99:100], v[103:104], v[101:102]
	v_add_f64 v[1:2], v[1:2], v[97:98]
	v_add_f64 v[3:4], v[3:4], v[99:100]
	s_andn2_b32 exec_lo, exec_lo, s5
	s_cbranch_execnz .LBB43_104
; %bb.105:
	s_or_b32 exec_lo, exec_lo, s5
.LBB43_106:
	s_or_b32 exec_lo, exec_lo, s8
	v_mov_b32_e32 v7, 0
	ds_read_b128 v[97:100], v7 offset:480
	s_waitcnt lgkmcnt(0)
	v_mul_f64 v[7:8], v[3:4], v[99:100]
	v_mul_f64 v[99:100], v[1:2], v[99:100]
	v_fma_f64 v[1:2], v[1:2], v[97:98], -v[7:8]
	v_fma_f64 v[3:4], v[3:4], v[97:98], v[99:100]
	buffer_store_dword v2, off, s[0:3], 0 offset:484
	buffer_store_dword v1, off, s[0:3], 0 offset:480
	;; [unrolled: 1-line block ×4, first 2 shown]
.LBB43_107:
	s_or_b32 exec_lo, exec_lo, s6
	v_mov_b32_e32 v4, s22
	v_cmp_lt_u32_e64 s5, 29, v0
	s_clause 0x3
	buffer_load_dword v1, v4, s[0:3], 0 offen
	buffer_load_dword v2, v4, s[0:3], 0 offen offset:4
	buffer_load_dword v3, v4, s[0:3], 0 offen offset:8
	;; [unrolled: 1-line block ×3, first 2 shown]
	s_waitcnt vmcnt(0)
	ds_write_b128 v6, v[1:4]
	s_waitcnt lgkmcnt(0)
	s_waitcnt_vscnt null, 0x0
	s_barrier
	buffer_gl0_inv
	s_and_saveexec_b32 s6, s5
	s_cbranch_execz .LBB43_115
; %bb.108:
	ds_read_b128 v[1:4], v6
	s_andn2_b32 vcc_lo, exec_lo, s52
	s_cbranch_vccnz .LBB43_110
; %bb.109:
	s_clause 0x3
	buffer_load_dword v7, v5, s[0:3], 0 offen offset:8
	buffer_load_dword v8, v5, s[0:3], 0 offen offset:12
	buffer_load_dword v97, v5, s[0:3], 0 offen
	buffer_load_dword v98, v5, s[0:3], 0 offen offset:4
	s_waitcnt vmcnt(2) lgkmcnt(0)
	v_mul_f64 v[99:100], v[3:4], v[7:8]
	v_mul_f64 v[7:8], v[1:2], v[7:8]
	s_waitcnt vmcnt(0)
	v_fma_f64 v[1:2], v[1:2], v[97:98], -v[99:100]
	v_fma_f64 v[3:4], v[3:4], v[97:98], v[7:8]
.LBB43_110:
	s_and_saveexec_b32 s8, s4
	s_cbranch_execz .LBB43_114
; %bb.111:
	v_subrev_nc_u32_e32 v7, 30, v0
	s_movk_i32 s53, 0x4a0
	s_mov_b32 s4, 0
	s_mov_b32 s54, s21
	.p2align	6
.LBB43_112:                             ; =>This Inner Loop Header: Depth=1
	v_mov_b32_e32 v8, s54
	v_add_nc_u32_e32 v7, -1, v7
	s_add_i32 s54, s54, 16
	s_clause 0x3
	buffer_load_dword v101, v8, s[0:3], 0 offen offset:8
	buffer_load_dword v102, v8, s[0:3], 0 offen offset:12
	buffer_load_dword v103, v8, s[0:3], 0 offen
	buffer_load_dword v104, v8, s[0:3], 0 offen offset:4
	v_mov_b32_e32 v8, s53
	v_cmp_eq_u32_e32 vcc_lo, 0, v7
	s_add_i32 s53, s53, 16
	ds_read_b128 v[97:100], v8
	s_or_b32 s4, vcc_lo, s4
	s_waitcnt vmcnt(2) lgkmcnt(0)
	v_mul_f64 v[105:106], v[99:100], v[101:102]
	v_mul_f64 v[101:102], v[97:98], v[101:102]
	s_waitcnt vmcnt(0)
	v_fma_f64 v[97:98], v[97:98], v[103:104], -v[105:106]
	v_fma_f64 v[99:100], v[99:100], v[103:104], v[101:102]
	v_add_f64 v[1:2], v[1:2], v[97:98]
	v_add_f64 v[3:4], v[3:4], v[99:100]
	s_andn2_b32 exec_lo, exec_lo, s4
	s_cbranch_execnz .LBB43_112
; %bb.113:
	s_or_b32 exec_lo, exec_lo, s4
.LBB43_114:
	s_or_b32 exec_lo, exec_lo, s8
	v_mov_b32_e32 v7, 0
	ds_read_b128 v[97:100], v7 offset:464
	s_waitcnt lgkmcnt(0)
	v_mul_f64 v[7:8], v[3:4], v[99:100]
	v_mul_f64 v[99:100], v[1:2], v[99:100]
	v_fma_f64 v[1:2], v[1:2], v[97:98], -v[7:8]
	v_fma_f64 v[3:4], v[3:4], v[97:98], v[99:100]
	buffer_store_dword v2, off, s[0:3], 0 offset:468
	buffer_store_dword v1, off, s[0:3], 0 offset:464
	;; [unrolled: 1-line block ×4, first 2 shown]
.LBB43_115:
	s_or_b32 exec_lo, exec_lo, s6
	v_mov_b32_e32 v4, s23
	v_cmp_lt_u32_e64 s4, 28, v0
	s_clause 0x3
	buffer_load_dword v1, v4, s[0:3], 0 offen
	buffer_load_dword v2, v4, s[0:3], 0 offen offset:4
	buffer_load_dword v3, v4, s[0:3], 0 offen offset:8
	;; [unrolled: 1-line block ×3, first 2 shown]
	s_waitcnt vmcnt(0)
	ds_write_b128 v6, v[1:4]
	s_waitcnt lgkmcnt(0)
	s_waitcnt_vscnt null, 0x0
	s_barrier
	buffer_gl0_inv
	s_and_saveexec_b32 s6, s4
	s_cbranch_execz .LBB43_123
; %bb.116:
	ds_read_b128 v[1:4], v6
	s_andn2_b32 vcc_lo, exec_lo, s52
	s_cbranch_vccnz .LBB43_118
; %bb.117:
	s_clause 0x3
	buffer_load_dword v7, v5, s[0:3], 0 offen offset:8
	buffer_load_dword v8, v5, s[0:3], 0 offen offset:12
	buffer_load_dword v97, v5, s[0:3], 0 offen
	buffer_load_dword v98, v5, s[0:3], 0 offen offset:4
	s_waitcnt vmcnt(2) lgkmcnt(0)
	v_mul_f64 v[99:100], v[3:4], v[7:8]
	v_mul_f64 v[7:8], v[1:2], v[7:8]
	s_waitcnt vmcnt(0)
	v_fma_f64 v[1:2], v[1:2], v[97:98], -v[99:100]
	v_fma_f64 v[3:4], v[3:4], v[97:98], v[7:8]
.LBB43_118:
	s_and_saveexec_b32 s8, s5
	s_cbranch_execz .LBB43_122
; %bb.119:
	v_subrev_nc_u32_e32 v7, 29, v0
	s_movk_i32 s53, 0x490
	s_mov_b32 s5, 0
	s_mov_b32 s54, s22
	.p2align	6
.LBB43_120:                             ; =>This Inner Loop Header: Depth=1
	v_mov_b32_e32 v8, s54
	v_add_nc_u32_e32 v7, -1, v7
	s_add_i32 s54, s54, 16
	s_clause 0x3
	buffer_load_dword v101, v8, s[0:3], 0 offen offset:8
	buffer_load_dword v102, v8, s[0:3], 0 offen offset:12
	buffer_load_dword v103, v8, s[0:3], 0 offen
	buffer_load_dword v104, v8, s[0:3], 0 offen offset:4
	v_mov_b32_e32 v8, s53
	v_cmp_eq_u32_e32 vcc_lo, 0, v7
	s_add_i32 s53, s53, 16
	ds_read_b128 v[97:100], v8
	s_or_b32 s5, vcc_lo, s5
	s_waitcnt vmcnt(2) lgkmcnt(0)
	v_mul_f64 v[105:106], v[99:100], v[101:102]
	v_mul_f64 v[101:102], v[97:98], v[101:102]
	s_waitcnt vmcnt(0)
	v_fma_f64 v[97:98], v[97:98], v[103:104], -v[105:106]
	v_fma_f64 v[99:100], v[99:100], v[103:104], v[101:102]
	v_add_f64 v[1:2], v[1:2], v[97:98]
	v_add_f64 v[3:4], v[3:4], v[99:100]
	s_andn2_b32 exec_lo, exec_lo, s5
	s_cbranch_execnz .LBB43_120
; %bb.121:
	s_or_b32 exec_lo, exec_lo, s5
.LBB43_122:
	s_or_b32 exec_lo, exec_lo, s8
	v_mov_b32_e32 v7, 0
	ds_read_b128 v[97:100], v7 offset:448
	s_waitcnt lgkmcnt(0)
	v_mul_f64 v[7:8], v[3:4], v[99:100]
	v_mul_f64 v[99:100], v[1:2], v[99:100]
	v_fma_f64 v[1:2], v[1:2], v[97:98], -v[7:8]
	v_fma_f64 v[3:4], v[3:4], v[97:98], v[99:100]
	buffer_store_dword v2, off, s[0:3], 0 offset:452
	buffer_store_dword v1, off, s[0:3], 0 offset:448
	;; [unrolled: 1-line block ×4, first 2 shown]
.LBB43_123:
	s_or_b32 exec_lo, exec_lo, s6
	v_mov_b32_e32 v4, s24
	v_cmp_lt_u32_e64 s5, 27, v0
	s_clause 0x3
	buffer_load_dword v1, v4, s[0:3], 0 offen
	buffer_load_dword v2, v4, s[0:3], 0 offen offset:4
	buffer_load_dword v3, v4, s[0:3], 0 offen offset:8
	;; [unrolled: 1-line block ×3, first 2 shown]
	s_waitcnt vmcnt(0)
	ds_write_b128 v6, v[1:4]
	s_waitcnt lgkmcnt(0)
	s_waitcnt_vscnt null, 0x0
	s_barrier
	buffer_gl0_inv
	s_and_saveexec_b32 s6, s5
	s_cbranch_execz .LBB43_131
; %bb.124:
	ds_read_b128 v[1:4], v6
	s_andn2_b32 vcc_lo, exec_lo, s52
	s_cbranch_vccnz .LBB43_126
; %bb.125:
	s_clause 0x3
	buffer_load_dword v7, v5, s[0:3], 0 offen offset:8
	buffer_load_dword v8, v5, s[0:3], 0 offen offset:12
	buffer_load_dword v97, v5, s[0:3], 0 offen
	buffer_load_dword v98, v5, s[0:3], 0 offen offset:4
	s_waitcnt vmcnt(2) lgkmcnt(0)
	v_mul_f64 v[99:100], v[3:4], v[7:8]
	v_mul_f64 v[7:8], v[1:2], v[7:8]
	s_waitcnt vmcnt(0)
	v_fma_f64 v[1:2], v[1:2], v[97:98], -v[99:100]
	v_fma_f64 v[3:4], v[3:4], v[97:98], v[7:8]
.LBB43_126:
	s_and_saveexec_b32 s8, s4
	s_cbranch_execz .LBB43_130
; %bb.127:
	v_subrev_nc_u32_e32 v7, 28, v0
	s_movk_i32 s53, 0x480
	s_mov_b32 s4, 0
	s_mov_b32 s54, s23
	.p2align	6
.LBB43_128:                             ; =>This Inner Loop Header: Depth=1
	v_mov_b32_e32 v8, s54
	v_add_nc_u32_e32 v7, -1, v7
	s_add_i32 s54, s54, 16
	s_clause 0x3
	buffer_load_dword v101, v8, s[0:3], 0 offen offset:8
	buffer_load_dword v102, v8, s[0:3], 0 offen offset:12
	buffer_load_dword v103, v8, s[0:3], 0 offen
	buffer_load_dword v104, v8, s[0:3], 0 offen offset:4
	v_mov_b32_e32 v8, s53
	v_cmp_eq_u32_e32 vcc_lo, 0, v7
	s_add_i32 s53, s53, 16
	ds_read_b128 v[97:100], v8
	s_or_b32 s4, vcc_lo, s4
	s_waitcnt vmcnt(2) lgkmcnt(0)
	v_mul_f64 v[105:106], v[99:100], v[101:102]
	v_mul_f64 v[101:102], v[97:98], v[101:102]
	s_waitcnt vmcnt(0)
	v_fma_f64 v[97:98], v[97:98], v[103:104], -v[105:106]
	v_fma_f64 v[99:100], v[99:100], v[103:104], v[101:102]
	v_add_f64 v[1:2], v[1:2], v[97:98]
	v_add_f64 v[3:4], v[3:4], v[99:100]
	s_andn2_b32 exec_lo, exec_lo, s4
	s_cbranch_execnz .LBB43_128
; %bb.129:
	s_or_b32 exec_lo, exec_lo, s4
.LBB43_130:
	s_or_b32 exec_lo, exec_lo, s8
	v_mov_b32_e32 v7, 0
	ds_read_b128 v[97:100], v7 offset:432
	s_waitcnt lgkmcnt(0)
	v_mul_f64 v[7:8], v[3:4], v[99:100]
	v_mul_f64 v[99:100], v[1:2], v[99:100]
	v_fma_f64 v[1:2], v[1:2], v[97:98], -v[7:8]
	v_fma_f64 v[3:4], v[3:4], v[97:98], v[99:100]
	buffer_store_dword v2, off, s[0:3], 0 offset:436
	buffer_store_dword v1, off, s[0:3], 0 offset:432
	;; [unrolled: 1-line block ×4, first 2 shown]
.LBB43_131:
	s_or_b32 exec_lo, exec_lo, s6
	v_mov_b32_e32 v4, s25
	v_cmp_lt_u32_e64 s4, 26, v0
	s_clause 0x3
	buffer_load_dword v1, v4, s[0:3], 0 offen
	buffer_load_dword v2, v4, s[0:3], 0 offen offset:4
	buffer_load_dword v3, v4, s[0:3], 0 offen offset:8
	;; [unrolled: 1-line block ×3, first 2 shown]
	s_waitcnt vmcnt(0)
	ds_write_b128 v6, v[1:4]
	s_waitcnt lgkmcnt(0)
	s_waitcnt_vscnt null, 0x0
	s_barrier
	buffer_gl0_inv
	s_and_saveexec_b32 s6, s4
	s_cbranch_execz .LBB43_139
; %bb.132:
	ds_read_b128 v[1:4], v6
	s_andn2_b32 vcc_lo, exec_lo, s52
	s_cbranch_vccnz .LBB43_134
; %bb.133:
	s_clause 0x3
	buffer_load_dword v7, v5, s[0:3], 0 offen offset:8
	buffer_load_dword v8, v5, s[0:3], 0 offen offset:12
	buffer_load_dword v97, v5, s[0:3], 0 offen
	buffer_load_dword v98, v5, s[0:3], 0 offen offset:4
	s_waitcnt vmcnt(2) lgkmcnt(0)
	v_mul_f64 v[99:100], v[3:4], v[7:8]
	v_mul_f64 v[7:8], v[1:2], v[7:8]
	s_waitcnt vmcnt(0)
	v_fma_f64 v[1:2], v[1:2], v[97:98], -v[99:100]
	v_fma_f64 v[3:4], v[3:4], v[97:98], v[7:8]
.LBB43_134:
	s_and_saveexec_b32 s8, s5
	s_cbranch_execz .LBB43_138
; %bb.135:
	v_subrev_nc_u32_e32 v7, 27, v0
	s_movk_i32 s53, 0x470
	s_mov_b32 s5, 0
	s_mov_b32 s54, s24
	.p2align	6
.LBB43_136:                             ; =>This Inner Loop Header: Depth=1
	v_mov_b32_e32 v8, s54
	v_add_nc_u32_e32 v7, -1, v7
	s_add_i32 s54, s54, 16
	s_clause 0x3
	buffer_load_dword v101, v8, s[0:3], 0 offen offset:8
	buffer_load_dword v102, v8, s[0:3], 0 offen offset:12
	buffer_load_dword v103, v8, s[0:3], 0 offen
	buffer_load_dword v104, v8, s[0:3], 0 offen offset:4
	v_mov_b32_e32 v8, s53
	v_cmp_eq_u32_e32 vcc_lo, 0, v7
	s_add_i32 s53, s53, 16
	ds_read_b128 v[97:100], v8
	s_or_b32 s5, vcc_lo, s5
	s_waitcnt vmcnt(2) lgkmcnt(0)
	v_mul_f64 v[105:106], v[99:100], v[101:102]
	v_mul_f64 v[101:102], v[97:98], v[101:102]
	s_waitcnt vmcnt(0)
	v_fma_f64 v[97:98], v[97:98], v[103:104], -v[105:106]
	v_fma_f64 v[99:100], v[99:100], v[103:104], v[101:102]
	v_add_f64 v[1:2], v[1:2], v[97:98]
	v_add_f64 v[3:4], v[3:4], v[99:100]
	s_andn2_b32 exec_lo, exec_lo, s5
	s_cbranch_execnz .LBB43_136
; %bb.137:
	s_or_b32 exec_lo, exec_lo, s5
.LBB43_138:
	s_or_b32 exec_lo, exec_lo, s8
	v_mov_b32_e32 v7, 0
	ds_read_b128 v[97:100], v7 offset:416
	s_waitcnt lgkmcnt(0)
	v_mul_f64 v[7:8], v[3:4], v[99:100]
	v_mul_f64 v[99:100], v[1:2], v[99:100]
	v_fma_f64 v[1:2], v[1:2], v[97:98], -v[7:8]
	v_fma_f64 v[3:4], v[3:4], v[97:98], v[99:100]
	buffer_store_dword v2, off, s[0:3], 0 offset:420
	buffer_store_dword v1, off, s[0:3], 0 offset:416
	;; [unrolled: 1-line block ×4, first 2 shown]
.LBB43_139:
	s_or_b32 exec_lo, exec_lo, s6
	v_mov_b32_e32 v4, s26
	v_cmp_lt_u32_e64 s5, 25, v0
	s_clause 0x3
	buffer_load_dword v1, v4, s[0:3], 0 offen
	buffer_load_dword v2, v4, s[0:3], 0 offen offset:4
	buffer_load_dword v3, v4, s[0:3], 0 offen offset:8
	;; [unrolled: 1-line block ×3, first 2 shown]
	s_waitcnt vmcnt(0)
	ds_write_b128 v6, v[1:4]
	s_waitcnt lgkmcnt(0)
	s_waitcnt_vscnt null, 0x0
	s_barrier
	buffer_gl0_inv
	s_and_saveexec_b32 s6, s5
	s_cbranch_execz .LBB43_147
; %bb.140:
	ds_read_b128 v[1:4], v6
	s_andn2_b32 vcc_lo, exec_lo, s52
	s_cbranch_vccnz .LBB43_142
; %bb.141:
	s_clause 0x3
	buffer_load_dword v7, v5, s[0:3], 0 offen offset:8
	buffer_load_dword v8, v5, s[0:3], 0 offen offset:12
	buffer_load_dword v97, v5, s[0:3], 0 offen
	buffer_load_dword v98, v5, s[0:3], 0 offen offset:4
	s_waitcnt vmcnt(2) lgkmcnt(0)
	v_mul_f64 v[99:100], v[3:4], v[7:8]
	v_mul_f64 v[7:8], v[1:2], v[7:8]
	s_waitcnt vmcnt(0)
	v_fma_f64 v[1:2], v[1:2], v[97:98], -v[99:100]
	v_fma_f64 v[3:4], v[3:4], v[97:98], v[7:8]
.LBB43_142:
	s_and_saveexec_b32 s8, s4
	s_cbranch_execz .LBB43_146
; %bb.143:
	v_subrev_nc_u32_e32 v7, 26, v0
	s_movk_i32 s53, 0x460
	s_mov_b32 s4, 0
	s_mov_b32 s54, s25
	.p2align	6
.LBB43_144:                             ; =>This Inner Loop Header: Depth=1
	v_mov_b32_e32 v8, s54
	v_add_nc_u32_e32 v7, -1, v7
	s_add_i32 s54, s54, 16
	s_clause 0x3
	buffer_load_dword v101, v8, s[0:3], 0 offen offset:8
	buffer_load_dword v102, v8, s[0:3], 0 offen offset:12
	buffer_load_dword v103, v8, s[0:3], 0 offen
	buffer_load_dword v104, v8, s[0:3], 0 offen offset:4
	v_mov_b32_e32 v8, s53
	v_cmp_eq_u32_e32 vcc_lo, 0, v7
	s_add_i32 s53, s53, 16
	ds_read_b128 v[97:100], v8
	s_or_b32 s4, vcc_lo, s4
	s_waitcnt vmcnt(2) lgkmcnt(0)
	v_mul_f64 v[105:106], v[99:100], v[101:102]
	v_mul_f64 v[101:102], v[97:98], v[101:102]
	s_waitcnt vmcnt(0)
	v_fma_f64 v[97:98], v[97:98], v[103:104], -v[105:106]
	v_fma_f64 v[99:100], v[99:100], v[103:104], v[101:102]
	v_add_f64 v[1:2], v[1:2], v[97:98]
	v_add_f64 v[3:4], v[3:4], v[99:100]
	s_andn2_b32 exec_lo, exec_lo, s4
	s_cbranch_execnz .LBB43_144
; %bb.145:
	s_or_b32 exec_lo, exec_lo, s4
.LBB43_146:
	s_or_b32 exec_lo, exec_lo, s8
	v_mov_b32_e32 v7, 0
	ds_read_b128 v[97:100], v7 offset:400
	s_waitcnt lgkmcnt(0)
	v_mul_f64 v[7:8], v[3:4], v[99:100]
	v_mul_f64 v[99:100], v[1:2], v[99:100]
	v_fma_f64 v[1:2], v[1:2], v[97:98], -v[7:8]
	v_fma_f64 v[3:4], v[3:4], v[97:98], v[99:100]
	buffer_store_dword v2, off, s[0:3], 0 offset:404
	buffer_store_dword v1, off, s[0:3], 0 offset:400
	buffer_store_dword v4, off, s[0:3], 0 offset:412
	buffer_store_dword v3, off, s[0:3], 0 offset:408
.LBB43_147:
	s_or_b32 exec_lo, exec_lo, s6
	v_mov_b32_e32 v4, s27
	v_cmp_lt_u32_e64 s4, 24, v0
	s_clause 0x3
	buffer_load_dword v1, v4, s[0:3], 0 offen
	buffer_load_dword v2, v4, s[0:3], 0 offen offset:4
	buffer_load_dword v3, v4, s[0:3], 0 offen offset:8
	;; [unrolled: 1-line block ×3, first 2 shown]
	s_waitcnt vmcnt(0)
	ds_write_b128 v6, v[1:4]
	s_waitcnt lgkmcnt(0)
	s_waitcnt_vscnt null, 0x0
	s_barrier
	buffer_gl0_inv
	s_and_saveexec_b32 s6, s4
	s_cbranch_execz .LBB43_155
; %bb.148:
	ds_read_b128 v[1:4], v6
	s_andn2_b32 vcc_lo, exec_lo, s52
	s_cbranch_vccnz .LBB43_150
; %bb.149:
	s_clause 0x3
	buffer_load_dword v7, v5, s[0:3], 0 offen offset:8
	buffer_load_dword v8, v5, s[0:3], 0 offen offset:12
	buffer_load_dword v97, v5, s[0:3], 0 offen
	buffer_load_dword v98, v5, s[0:3], 0 offen offset:4
	s_waitcnt vmcnt(2) lgkmcnt(0)
	v_mul_f64 v[99:100], v[3:4], v[7:8]
	v_mul_f64 v[7:8], v[1:2], v[7:8]
	s_waitcnt vmcnt(0)
	v_fma_f64 v[1:2], v[1:2], v[97:98], -v[99:100]
	v_fma_f64 v[3:4], v[3:4], v[97:98], v[7:8]
.LBB43_150:
	s_and_saveexec_b32 s8, s5
	s_cbranch_execz .LBB43_154
; %bb.151:
	v_subrev_nc_u32_e32 v7, 25, v0
	s_movk_i32 s53, 0x450
	s_mov_b32 s5, 0
	s_mov_b32 s54, s26
	.p2align	6
.LBB43_152:                             ; =>This Inner Loop Header: Depth=1
	v_mov_b32_e32 v8, s54
	v_add_nc_u32_e32 v7, -1, v7
	s_add_i32 s54, s54, 16
	s_clause 0x3
	buffer_load_dword v101, v8, s[0:3], 0 offen offset:8
	buffer_load_dword v102, v8, s[0:3], 0 offen offset:12
	buffer_load_dword v103, v8, s[0:3], 0 offen
	buffer_load_dword v104, v8, s[0:3], 0 offen offset:4
	v_mov_b32_e32 v8, s53
	v_cmp_eq_u32_e32 vcc_lo, 0, v7
	s_add_i32 s53, s53, 16
	ds_read_b128 v[97:100], v8
	s_or_b32 s5, vcc_lo, s5
	s_waitcnt vmcnt(2) lgkmcnt(0)
	v_mul_f64 v[105:106], v[99:100], v[101:102]
	v_mul_f64 v[101:102], v[97:98], v[101:102]
	s_waitcnt vmcnt(0)
	v_fma_f64 v[97:98], v[97:98], v[103:104], -v[105:106]
	v_fma_f64 v[99:100], v[99:100], v[103:104], v[101:102]
	v_add_f64 v[1:2], v[1:2], v[97:98]
	v_add_f64 v[3:4], v[3:4], v[99:100]
	s_andn2_b32 exec_lo, exec_lo, s5
	s_cbranch_execnz .LBB43_152
; %bb.153:
	s_or_b32 exec_lo, exec_lo, s5
.LBB43_154:
	s_or_b32 exec_lo, exec_lo, s8
	v_mov_b32_e32 v7, 0
	ds_read_b128 v[97:100], v7 offset:384
	s_waitcnt lgkmcnt(0)
	v_mul_f64 v[7:8], v[3:4], v[99:100]
	v_mul_f64 v[99:100], v[1:2], v[99:100]
	v_fma_f64 v[1:2], v[1:2], v[97:98], -v[7:8]
	v_fma_f64 v[3:4], v[3:4], v[97:98], v[99:100]
	buffer_store_dword v2, off, s[0:3], 0 offset:388
	buffer_store_dword v1, off, s[0:3], 0 offset:384
	;; [unrolled: 1-line block ×4, first 2 shown]
.LBB43_155:
	s_or_b32 exec_lo, exec_lo, s6
	v_mov_b32_e32 v4, s28
	v_cmp_lt_u32_e64 s5, 23, v0
	s_clause 0x3
	buffer_load_dword v1, v4, s[0:3], 0 offen
	buffer_load_dword v2, v4, s[0:3], 0 offen offset:4
	buffer_load_dword v3, v4, s[0:3], 0 offen offset:8
	;; [unrolled: 1-line block ×3, first 2 shown]
	s_waitcnt vmcnt(0)
	ds_write_b128 v6, v[1:4]
	s_waitcnt lgkmcnt(0)
	s_waitcnt_vscnt null, 0x0
	s_barrier
	buffer_gl0_inv
	s_and_saveexec_b32 s6, s5
	s_cbranch_execz .LBB43_163
; %bb.156:
	ds_read_b128 v[1:4], v6
	s_andn2_b32 vcc_lo, exec_lo, s52
	s_cbranch_vccnz .LBB43_158
; %bb.157:
	s_clause 0x3
	buffer_load_dword v7, v5, s[0:3], 0 offen offset:8
	buffer_load_dword v8, v5, s[0:3], 0 offen offset:12
	buffer_load_dword v97, v5, s[0:3], 0 offen
	buffer_load_dword v98, v5, s[0:3], 0 offen offset:4
	s_waitcnt vmcnt(2) lgkmcnt(0)
	v_mul_f64 v[99:100], v[3:4], v[7:8]
	v_mul_f64 v[7:8], v[1:2], v[7:8]
	s_waitcnt vmcnt(0)
	v_fma_f64 v[1:2], v[1:2], v[97:98], -v[99:100]
	v_fma_f64 v[3:4], v[3:4], v[97:98], v[7:8]
.LBB43_158:
	s_and_saveexec_b32 s8, s4
	s_cbranch_execz .LBB43_162
; %bb.159:
	v_subrev_nc_u32_e32 v7, 24, v0
	s_movk_i32 s53, 0x440
	s_mov_b32 s4, 0
	s_mov_b32 s54, s27
	.p2align	6
.LBB43_160:                             ; =>This Inner Loop Header: Depth=1
	v_mov_b32_e32 v8, s54
	v_add_nc_u32_e32 v7, -1, v7
	s_add_i32 s54, s54, 16
	s_clause 0x3
	buffer_load_dword v101, v8, s[0:3], 0 offen offset:8
	buffer_load_dword v102, v8, s[0:3], 0 offen offset:12
	buffer_load_dword v103, v8, s[0:3], 0 offen
	buffer_load_dword v104, v8, s[0:3], 0 offen offset:4
	v_mov_b32_e32 v8, s53
	v_cmp_eq_u32_e32 vcc_lo, 0, v7
	s_add_i32 s53, s53, 16
	ds_read_b128 v[97:100], v8
	s_or_b32 s4, vcc_lo, s4
	s_waitcnt vmcnt(2) lgkmcnt(0)
	v_mul_f64 v[105:106], v[99:100], v[101:102]
	v_mul_f64 v[101:102], v[97:98], v[101:102]
	s_waitcnt vmcnt(0)
	v_fma_f64 v[97:98], v[97:98], v[103:104], -v[105:106]
	v_fma_f64 v[99:100], v[99:100], v[103:104], v[101:102]
	v_add_f64 v[1:2], v[1:2], v[97:98]
	v_add_f64 v[3:4], v[3:4], v[99:100]
	s_andn2_b32 exec_lo, exec_lo, s4
	s_cbranch_execnz .LBB43_160
; %bb.161:
	s_or_b32 exec_lo, exec_lo, s4
.LBB43_162:
	s_or_b32 exec_lo, exec_lo, s8
	v_mov_b32_e32 v7, 0
	ds_read_b128 v[97:100], v7 offset:368
	s_waitcnt lgkmcnt(0)
	v_mul_f64 v[7:8], v[3:4], v[99:100]
	v_mul_f64 v[99:100], v[1:2], v[99:100]
	v_fma_f64 v[1:2], v[1:2], v[97:98], -v[7:8]
	v_fma_f64 v[3:4], v[3:4], v[97:98], v[99:100]
	buffer_store_dword v2, off, s[0:3], 0 offset:372
	buffer_store_dword v1, off, s[0:3], 0 offset:368
	;; [unrolled: 1-line block ×4, first 2 shown]
.LBB43_163:
	s_or_b32 exec_lo, exec_lo, s6
	v_mov_b32_e32 v4, s29
	v_cmp_lt_u32_e64 s4, 22, v0
	s_clause 0x3
	buffer_load_dword v1, v4, s[0:3], 0 offen
	buffer_load_dword v2, v4, s[0:3], 0 offen offset:4
	buffer_load_dword v3, v4, s[0:3], 0 offen offset:8
	buffer_load_dword v4, v4, s[0:3], 0 offen offset:12
	s_waitcnt vmcnt(0)
	ds_write_b128 v6, v[1:4]
	s_waitcnt lgkmcnt(0)
	s_waitcnt_vscnt null, 0x0
	s_barrier
	buffer_gl0_inv
	s_and_saveexec_b32 s6, s4
	s_cbranch_execz .LBB43_171
; %bb.164:
	ds_read_b128 v[1:4], v6
	s_andn2_b32 vcc_lo, exec_lo, s52
	s_cbranch_vccnz .LBB43_166
; %bb.165:
	s_clause 0x3
	buffer_load_dword v7, v5, s[0:3], 0 offen offset:8
	buffer_load_dword v8, v5, s[0:3], 0 offen offset:12
	buffer_load_dword v97, v5, s[0:3], 0 offen
	buffer_load_dword v98, v5, s[0:3], 0 offen offset:4
	s_waitcnt vmcnt(2) lgkmcnt(0)
	v_mul_f64 v[99:100], v[3:4], v[7:8]
	v_mul_f64 v[7:8], v[1:2], v[7:8]
	s_waitcnt vmcnt(0)
	v_fma_f64 v[1:2], v[1:2], v[97:98], -v[99:100]
	v_fma_f64 v[3:4], v[3:4], v[97:98], v[7:8]
.LBB43_166:
	s_and_saveexec_b32 s8, s5
	s_cbranch_execz .LBB43_170
; %bb.167:
	v_subrev_nc_u32_e32 v7, 23, v0
	s_movk_i32 s53, 0x430
	s_mov_b32 s5, 0
	s_mov_b32 s54, s28
	.p2align	6
.LBB43_168:                             ; =>This Inner Loop Header: Depth=1
	v_mov_b32_e32 v8, s54
	v_add_nc_u32_e32 v7, -1, v7
	s_add_i32 s54, s54, 16
	s_clause 0x3
	buffer_load_dword v101, v8, s[0:3], 0 offen offset:8
	buffer_load_dword v102, v8, s[0:3], 0 offen offset:12
	buffer_load_dword v103, v8, s[0:3], 0 offen
	buffer_load_dword v104, v8, s[0:3], 0 offen offset:4
	v_mov_b32_e32 v8, s53
	v_cmp_eq_u32_e32 vcc_lo, 0, v7
	s_add_i32 s53, s53, 16
	ds_read_b128 v[97:100], v8
	s_or_b32 s5, vcc_lo, s5
	s_waitcnt vmcnt(2) lgkmcnt(0)
	v_mul_f64 v[105:106], v[99:100], v[101:102]
	v_mul_f64 v[101:102], v[97:98], v[101:102]
	s_waitcnt vmcnt(0)
	v_fma_f64 v[97:98], v[97:98], v[103:104], -v[105:106]
	v_fma_f64 v[99:100], v[99:100], v[103:104], v[101:102]
	v_add_f64 v[1:2], v[1:2], v[97:98]
	v_add_f64 v[3:4], v[3:4], v[99:100]
	s_andn2_b32 exec_lo, exec_lo, s5
	s_cbranch_execnz .LBB43_168
; %bb.169:
	s_or_b32 exec_lo, exec_lo, s5
.LBB43_170:
	s_or_b32 exec_lo, exec_lo, s8
	v_mov_b32_e32 v7, 0
	ds_read_b128 v[97:100], v7 offset:352
	s_waitcnt lgkmcnt(0)
	v_mul_f64 v[7:8], v[3:4], v[99:100]
	v_mul_f64 v[99:100], v[1:2], v[99:100]
	v_fma_f64 v[1:2], v[1:2], v[97:98], -v[7:8]
	v_fma_f64 v[3:4], v[3:4], v[97:98], v[99:100]
	buffer_store_dword v2, off, s[0:3], 0 offset:356
	buffer_store_dword v1, off, s[0:3], 0 offset:352
	;; [unrolled: 1-line block ×4, first 2 shown]
.LBB43_171:
	s_or_b32 exec_lo, exec_lo, s6
	v_mov_b32_e32 v4, s30
	v_cmp_lt_u32_e64 s5, 21, v0
	s_clause 0x3
	buffer_load_dword v1, v4, s[0:3], 0 offen
	buffer_load_dword v2, v4, s[0:3], 0 offen offset:4
	buffer_load_dword v3, v4, s[0:3], 0 offen offset:8
	;; [unrolled: 1-line block ×3, first 2 shown]
	s_waitcnt vmcnt(0)
	ds_write_b128 v6, v[1:4]
	s_waitcnt lgkmcnt(0)
	s_waitcnt_vscnt null, 0x0
	s_barrier
	buffer_gl0_inv
	s_and_saveexec_b32 s6, s5
	s_cbranch_execz .LBB43_179
; %bb.172:
	ds_read_b128 v[1:4], v6
	s_andn2_b32 vcc_lo, exec_lo, s52
	s_cbranch_vccnz .LBB43_174
; %bb.173:
	s_clause 0x3
	buffer_load_dword v7, v5, s[0:3], 0 offen offset:8
	buffer_load_dword v8, v5, s[0:3], 0 offen offset:12
	buffer_load_dword v97, v5, s[0:3], 0 offen
	buffer_load_dword v98, v5, s[0:3], 0 offen offset:4
	s_waitcnt vmcnt(2) lgkmcnt(0)
	v_mul_f64 v[99:100], v[3:4], v[7:8]
	v_mul_f64 v[7:8], v[1:2], v[7:8]
	s_waitcnt vmcnt(0)
	v_fma_f64 v[1:2], v[1:2], v[97:98], -v[99:100]
	v_fma_f64 v[3:4], v[3:4], v[97:98], v[7:8]
.LBB43_174:
	s_and_saveexec_b32 s8, s4
	s_cbranch_execz .LBB43_178
; %bb.175:
	v_subrev_nc_u32_e32 v7, 22, v0
	s_movk_i32 s53, 0x420
	s_mov_b32 s4, 0
	s_mov_b32 s54, s29
	.p2align	6
.LBB43_176:                             ; =>This Inner Loop Header: Depth=1
	v_mov_b32_e32 v8, s54
	v_add_nc_u32_e32 v7, -1, v7
	s_add_i32 s54, s54, 16
	s_clause 0x3
	buffer_load_dword v101, v8, s[0:3], 0 offen offset:8
	buffer_load_dword v102, v8, s[0:3], 0 offen offset:12
	buffer_load_dword v103, v8, s[0:3], 0 offen
	buffer_load_dword v104, v8, s[0:3], 0 offen offset:4
	v_mov_b32_e32 v8, s53
	v_cmp_eq_u32_e32 vcc_lo, 0, v7
	s_add_i32 s53, s53, 16
	ds_read_b128 v[97:100], v8
	s_or_b32 s4, vcc_lo, s4
	s_waitcnt vmcnt(2) lgkmcnt(0)
	v_mul_f64 v[105:106], v[99:100], v[101:102]
	v_mul_f64 v[101:102], v[97:98], v[101:102]
	s_waitcnt vmcnt(0)
	v_fma_f64 v[97:98], v[97:98], v[103:104], -v[105:106]
	v_fma_f64 v[99:100], v[99:100], v[103:104], v[101:102]
	v_add_f64 v[1:2], v[1:2], v[97:98]
	v_add_f64 v[3:4], v[3:4], v[99:100]
	s_andn2_b32 exec_lo, exec_lo, s4
	s_cbranch_execnz .LBB43_176
; %bb.177:
	s_or_b32 exec_lo, exec_lo, s4
.LBB43_178:
	s_or_b32 exec_lo, exec_lo, s8
	v_mov_b32_e32 v7, 0
	ds_read_b128 v[97:100], v7 offset:336
	s_waitcnt lgkmcnt(0)
	v_mul_f64 v[7:8], v[3:4], v[99:100]
	v_mul_f64 v[99:100], v[1:2], v[99:100]
	v_fma_f64 v[1:2], v[1:2], v[97:98], -v[7:8]
	v_fma_f64 v[3:4], v[3:4], v[97:98], v[99:100]
	buffer_store_dword v2, off, s[0:3], 0 offset:340
	buffer_store_dword v1, off, s[0:3], 0 offset:336
	;; [unrolled: 1-line block ×4, first 2 shown]
.LBB43_179:
	s_or_b32 exec_lo, exec_lo, s6
	v_mov_b32_e32 v4, s31
	v_cmp_lt_u32_e64 s4, 20, v0
	s_clause 0x3
	buffer_load_dword v1, v4, s[0:3], 0 offen
	buffer_load_dword v2, v4, s[0:3], 0 offen offset:4
	buffer_load_dword v3, v4, s[0:3], 0 offen offset:8
	;; [unrolled: 1-line block ×3, first 2 shown]
	s_waitcnt vmcnt(0)
	ds_write_b128 v6, v[1:4]
	s_waitcnt lgkmcnt(0)
	s_waitcnt_vscnt null, 0x0
	s_barrier
	buffer_gl0_inv
	s_and_saveexec_b32 s6, s4
	s_cbranch_execz .LBB43_187
; %bb.180:
	ds_read_b128 v[1:4], v6
	s_andn2_b32 vcc_lo, exec_lo, s52
	s_cbranch_vccnz .LBB43_182
; %bb.181:
	s_clause 0x3
	buffer_load_dword v7, v5, s[0:3], 0 offen offset:8
	buffer_load_dword v8, v5, s[0:3], 0 offen offset:12
	buffer_load_dword v97, v5, s[0:3], 0 offen
	buffer_load_dword v98, v5, s[0:3], 0 offen offset:4
	s_waitcnt vmcnt(2) lgkmcnt(0)
	v_mul_f64 v[99:100], v[3:4], v[7:8]
	v_mul_f64 v[7:8], v[1:2], v[7:8]
	s_waitcnt vmcnt(0)
	v_fma_f64 v[1:2], v[1:2], v[97:98], -v[99:100]
	v_fma_f64 v[3:4], v[3:4], v[97:98], v[7:8]
.LBB43_182:
	s_and_saveexec_b32 s8, s5
	s_cbranch_execz .LBB43_186
; %bb.183:
	v_subrev_nc_u32_e32 v7, 21, v0
	s_movk_i32 s53, 0x410
	s_mov_b32 s5, 0
	s_mov_b32 s54, s30
	.p2align	6
.LBB43_184:                             ; =>This Inner Loop Header: Depth=1
	v_mov_b32_e32 v8, s54
	v_add_nc_u32_e32 v7, -1, v7
	s_add_i32 s54, s54, 16
	s_clause 0x3
	buffer_load_dword v101, v8, s[0:3], 0 offen offset:8
	buffer_load_dword v102, v8, s[0:3], 0 offen offset:12
	buffer_load_dword v103, v8, s[0:3], 0 offen
	buffer_load_dword v104, v8, s[0:3], 0 offen offset:4
	v_mov_b32_e32 v8, s53
	v_cmp_eq_u32_e32 vcc_lo, 0, v7
	s_add_i32 s53, s53, 16
	ds_read_b128 v[97:100], v8
	s_or_b32 s5, vcc_lo, s5
	s_waitcnt vmcnt(2) lgkmcnt(0)
	v_mul_f64 v[105:106], v[99:100], v[101:102]
	v_mul_f64 v[101:102], v[97:98], v[101:102]
	s_waitcnt vmcnt(0)
	v_fma_f64 v[97:98], v[97:98], v[103:104], -v[105:106]
	v_fma_f64 v[99:100], v[99:100], v[103:104], v[101:102]
	v_add_f64 v[1:2], v[1:2], v[97:98]
	v_add_f64 v[3:4], v[3:4], v[99:100]
	s_andn2_b32 exec_lo, exec_lo, s5
	s_cbranch_execnz .LBB43_184
; %bb.185:
	s_or_b32 exec_lo, exec_lo, s5
.LBB43_186:
	s_or_b32 exec_lo, exec_lo, s8
	v_mov_b32_e32 v7, 0
	ds_read_b128 v[97:100], v7 offset:320
	s_waitcnt lgkmcnt(0)
	v_mul_f64 v[7:8], v[3:4], v[99:100]
	v_mul_f64 v[99:100], v[1:2], v[99:100]
	v_fma_f64 v[1:2], v[1:2], v[97:98], -v[7:8]
	v_fma_f64 v[3:4], v[3:4], v[97:98], v[99:100]
	buffer_store_dword v2, off, s[0:3], 0 offset:324
	buffer_store_dword v1, off, s[0:3], 0 offset:320
	;; [unrolled: 1-line block ×4, first 2 shown]
.LBB43_187:
	s_or_b32 exec_lo, exec_lo, s6
	v_mov_b32_e32 v4, s33
	v_cmp_lt_u32_e64 s5, 19, v0
	s_clause 0x3
	buffer_load_dword v1, v4, s[0:3], 0 offen
	buffer_load_dword v2, v4, s[0:3], 0 offen offset:4
	buffer_load_dword v3, v4, s[0:3], 0 offen offset:8
	;; [unrolled: 1-line block ×3, first 2 shown]
	s_waitcnt vmcnt(0)
	ds_write_b128 v6, v[1:4]
	s_waitcnt lgkmcnt(0)
	s_waitcnt_vscnt null, 0x0
	s_barrier
	buffer_gl0_inv
	s_and_saveexec_b32 s6, s5
	s_cbranch_execz .LBB43_195
; %bb.188:
	ds_read_b128 v[1:4], v6
	s_andn2_b32 vcc_lo, exec_lo, s52
	s_cbranch_vccnz .LBB43_190
; %bb.189:
	s_clause 0x3
	buffer_load_dword v7, v5, s[0:3], 0 offen offset:8
	buffer_load_dword v8, v5, s[0:3], 0 offen offset:12
	buffer_load_dword v97, v5, s[0:3], 0 offen
	buffer_load_dword v98, v5, s[0:3], 0 offen offset:4
	s_waitcnt vmcnt(2) lgkmcnt(0)
	v_mul_f64 v[99:100], v[3:4], v[7:8]
	v_mul_f64 v[7:8], v[1:2], v[7:8]
	s_waitcnt vmcnt(0)
	v_fma_f64 v[1:2], v[1:2], v[97:98], -v[99:100]
	v_fma_f64 v[3:4], v[3:4], v[97:98], v[7:8]
.LBB43_190:
	s_and_saveexec_b32 s8, s4
	s_cbranch_execz .LBB43_194
; %bb.191:
	v_subrev_nc_u32_e32 v7, 20, v0
	s_movk_i32 s53, 0x400
	s_mov_b32 s4, 0
	s_mov_b32 s54, s31
	.p2align	6
.LBB43_192:                             ; =>This Inner Loop Header: Depth=1
	v_mov_b32_e32 v8, s54
	v_add_nc_u32_e32 v7, -1, v7
	s_add_i32 s54, s54, 16
	s_clause 0x3
	buffer_load_dword v101, v8, s[0:3], 0 offen offset:8
	buffer_load_dword v102, v8, s[0:3], 0 offen offset:12
	buffer_load_dword v103, v8, s[0:3], 0 offen
	buffer_load_dword v104, v8, s[0:3], 0 offen offset:4
	v_mov_b32_e32 v8, s53
	v_cmp_eq_u32_e32 vcc_lo, 0, v7
	s_add_i32 s53, s53, 16
	ds_read_b128 v[97:100], v8
	s_or_b32 s4, vcc_lo, s4
	s_waitcnt vmcnt(2) lgkmcnt(0)
	v_mul_f64 v[105:106], v[99:100], v[101:102]
	v_mul_f64 v[101:102], v[97:98], v[101:102]
	s_waitcnt vmcnt(0)
	v_fma_f64 v[97:98], v[97:98], v[103:104], -v[105:106]
	v_fma_f64 v[99:100], v[99:100], v[103:104], v[101:102]
	v_add_f64 v[1:2], v[1:2], v[97:98]
	v_add_f64 v[3:4], v[3:4], v[99:100]
	s_andn2_b32 exec_lo, exec_lo, s4
	s_cbranch_execnz .LBB43_192
; %bb.193:
	s_or_b32 exec_lo, exec_lo, s4
.LBB43_194:
	s_or_b32 exec_lo, exec_lo, s8
	v_mov_b32_e32 v7, 0
	ds_read_b128 v[97:100], v7 offset:304
	s_waitcnt lgkmcnt(0)
	v_mul_f64 v[7:8], v[3:4], v[99:100]
	v_mul_f64 v[99:100], v[1:2], v[99:100]
	v_fma_f64 v[1:2], v[1:2], v[97:98], -v[7:8]
	v_fma_f64 v[3:4], v[3:4], v[97:98], v[99:100]
	buffer_store_dword v2, off, s[0:3], 0 offset:308
	buffer_store_dword v1, off, s[0:3], 0 offset:304
	;; [unrolled: 1-line block ×4, first 2 shown]
.LBB43_195:
	s_or_b32 exec_lo, exec_lo, s6
	v_mov_b32_e32 v4, s34
	v_cmp_lt_u32_e64 s4, 18, v0
	s_clause 0x3
	buffer_load_dword v1, v4, s[0:3], 0 offen
	buffer_load_dword v2, v4, s[0:3], 0 offen offset:4
	buffer_load_dword v3, v4, s[0:3], 0 offen offset:8
	;; [unrolled: 1-line block ×3, first 2 shown]
	s_waitcnt vmcnt(0)
	ds_write_b128 v6, v[1:4]
	s_waitcnt lgkmcnt(0)
	s_waitcnt_vscnt null, 0x0
	s_barrier
	buffer_gl0_inv
	s_and_saveexec_b32 s6, s4
	s_cbranch_execz .LBB43_203
; %bb.196:
	ds_read_b128 v[1:4], v6
	s_andn2_b32 vcc_lo, exec_lo, s52
	s_cbranch_vccnz .LBB43_198
; %bb.197:
	s_clause 0x3
	buffer_load_dword v7, v5, s[0:3], 0 offen offset:8
	buffer_load_dword v8, v5, s[0:3], 0 offen offset:12
	buffer_load_dword v97, v5, s[0:3], 0 offen
	buffer_load_dword v98, v5, s[0:3], 0 offen offset:4
	s_waitcnt vmcnt(2) lgkmcnt(0)
	v_mul_f64 v[99:100], v[3:4], v[7:8]
	v_mul_f64 v[7:8], v[1:2], v[7:8]
	s_waitcnt vmcnt(0)
	v_fma_f64 v[1:2], v[1:2], v[97:98], -v[99:100]
	v_fma_f64 v[3:4], v[3:4], v[97:98], v[7:8]
.LBB43_198:
	s_and_saveexec_b32 s8, s5
	s_cbranch_execz .LBB43_202
; %bb.199:
	v_subrev_nc_u32_e32 v7, 19, v0
	s_movk_i32 s53, 0x3f0
	s_mov_b32 s5, 0
	s_mov_b32 s54, s33
	.p2align	6
.LBB43_200:                             ; =>This Inner Loop Header: Depth=1
	v_mov_b32_e32 v8, s54
	v_add_nc_u32_e32 v7, -1, v7
	s_add_i32 s54, s54, 16
	s_clause 0x3
	buffer_load_dword v101, v8, s[0:3], 0 offen offset:8
	buffer_load_dword v102, v8, s[0:3], 0 offen offset:12
	buffer_load_dword v103, v8, s[0:3], 0 offen
	buffer_load_dword v104, v8, s[0:3], 0 offen offset:4
	v_mov_b32_e32 v8, s53
	v_cmp_eq_u32_e32 vcc_lo, 0, v7
	s_add_i32 s53, s53, 16
	ds_read_b128 v[97:100], v8
	s_or_b32 s5, vcc_lo, s5
	s_waitcnt vmcnt(2) lgkmcnt(0)
	v_mul_f64 v[105:106], v[99:100], v[101:102]
	v_mul_f64 v[101:102], v[97:98], v[101:102]
	s_waitcnt vmcnt(0)
	v_fma_f64 v[97:98], v[97:98], v[103:104], -v[105:106]
	v_fma_f64 v[99:100], v[99:100], v[103:104], v[101:102]
	v_add_f64 v[1:2], v[1:2], v[97:98]
	v_add_f64 v[3:4], v[3:4], v[99:100]
	s_andn2_b32 exec_lo, exec_lo, s5
	s_cbranch_execnz .LBB43_200
; %bb.201:
	s_or_b32 exec_lo, exec_lo, s5
.LBB43_202:
	s_or_b32 exec_lo, exec_lo, s8
	v_mov_b32_e32 v7, 0
	ds_read_b128 v[97:100], v7 offset:288
	s_waitcnt lgkmcnt(0)
	v_mul_f64 v[7:8], v[3:4], v[99:100]
	v_mul_f64 v[99:100], v[1:2], v[99:100]
	v_fma_f64 v[1:2], v[1:2], v[97:98], -v[7:8]
	v_fma_f64 v[3:4], v[3:4], v[97:98], v[99:100]
	buffer_store_dword v2, off, s[0:3], 0 offset:292
	buffer_store_dword v1, off, s[0:3], 0 offset:288
	;; [unrolled: 1-line block ×4, first 2 shown]
.LBB43_203:
	s_or_b32 exec_lo, exec_lo, s6
	v_mov_b32_e32 v4, s35
	v_cmp_lt_u32_e64 s5, 17, v0
	s_clause 0x3
	buffer_load_dword v1, v4, s[0:3], 0 offen
	buffer_load_dword v2, v4, s[0:3], 0 offen offset:4
	buffer_load_dword v3, v4, s[0:3], 0 offen offset:8
	buffer_load_dword v4, v4, s[0:3], 0 offen offset:12
	s_waitcnt vmcnt(0)
	ds_write_b128 v6, v[1:4]
	s_waitcnt lgkmcnt(0)
	s_waitcnt_vscnt null, 0x0
	s_barrier
	buffer_gl0_inv
	s_and_saveexec_b32 s6, s5
	s_cbranch_execz .LBB43_211
; %bb.204:
	ds_read_b128 v[1:4], v6
	s_andn2_b32 vcc_lo, exec_lo, s52
	s_cbranch_vccnz .LBB43_206
; %bb.205:
	s_clause 0x3
	buffer_load_dword v7, v5, s[0:3], 0 offen offset:8
	buffer_load_dword v8, v5, s[0:3], 0 offen offset:12
	buffer_load_dword v97, v5, s[0:3], 0 offen
	buffer_load_dword v98, v5, s[0:3], 0 offen offset:4
	s_waitcnt vmcnt(2) lgkmcnt(0)
	v_mul_f64 v[99:100], v[3:4], v[7:8]
	v_mul_f64 v[7:8], v[1:2], v[7:8]
	s_waitcnt vmcnt(0)
	v_fma_f64 v[1:2], v[1:2], v[97:98], -v[99:100]
	v_fma_f64 v[3:4], v[3:4], v[97:98], v[7:8]
.LBB43_206:
	s_and_saveexec_b32 s8, s4
	s_cbranch_execz .LBB43_210
; %bb.207:
	v_subrev_nc_u32_e32 v7, 18, v0
	s_movk_i32 s53, 0x3e0
	s_mov_b32 s4, 0
	s_mov_b32 s54, s34
	.p2align	6
.LBB43_208:                             ; =>This Inner Loop Header: Depth=1
	v_mov_b32_e32 v8, s54
	v_add_nc_u32_e32 v7, -1, v7
	s_add_i32 s54, s54, 16
	s_clause 0x3
	buffer_load_dword v101, v8, s[0:3], 0 offen offset:8
	buffer_load_dword v102, v8, s[0:3], 0 offen offset:12
	buffer_load_dword v103, v8, s[0:3], 0 offen
	buffer_load_dword v104, v8, s[0:3], 0 offen offset:4
	v_mov_b32_e32 v8, s53
	v_cmp_eq_u32_e32 vcc_lo, 0, v7
	s_add_i32 s53, s53, 16
	ds_read_b128 v[97:100], v8
	s_or_b32 s4, vcc_lo, s4
	s_waitcnt vmcnt(2) lgkmcnt(0)
	v_mul_f64 v[105:106], v[99:100], v[101:102]
	v_mul_f64 v[101:102], v[97:98], v[101:102]
	s_waitcnt vmcnt(0)
	v_fma_f64 v[97:98], v[97:98], v[103:104], -v[105:106]
	v_fma_f64 v[99:100], v[99:100], v[103:104], v[101:102]
	v_add_f64 v[1:2], v[1:2], v[97:98]
	v_add_f64 v[3:4], v[3:4], v[99:100]
	s_andn2_b32 exec_lo, exec_lo, s4
	s_cbranch_execnz .LBB43_208
; %bb.209:
	s_or_b32 exec_lo, exec_lo, s4
.LBB43_210:
	s_or_b32 exec_lo, exec_lo, s8
	v_mov_b32_e32 v7, 0
	ds_read_b128 v[97:100], v7 offset:272
	s_waitcnt lgkmcnt(0)
	v_mul_f64 v[7:8], v[3:4], v[99:100]
	v_mul_f64 v[99:100], v[1:2], v[99:100]
	v_fma_f64 v[1:2], v[1:2], v[97:98], -v[7:8]
	v_fma_f64 v[3:4], v[3:4], v[97:98], v[99:100]
	buffer_store_dword v2, off, s[0:3], 0 offset:276
	buffer_store_dword v1, off, s[0:3], 0 offset:272
	;; [unrolled: 1-line block ×4, first 2 shown]
.LBB43_211:
	s_or_b32 exec_lo, exec_lo, s6
	v_mov_b32_e32 v4, s36
	v_cmp_lt_u32_e64 s4, 16, v0
	s_clause 0x3
	buffer_load_dword v1, v4, s[0:3], 0 offen
	buffer_load_dword v2, v4, s[0:3], 0 offen offset:4
	buffer_load_dword v3, v4, s[0:3], 0 offen offset:8
	;; [unrolled: 1-line block ×3, first 2 shown]
	s_waitcnt vmcnt(0)
	ds_write_b128 v6, v[1:4]
	s_waitcnt lgkmcnt(0)
	s_waitcnt_vscnt null, 0x0
	s_barrier
	buffer_gl0_inv
	s_and_saveexec_b32 s6, s4
	s_cbranch_execz .LBB43_219
; %bb.212:
	ds_read_b128 v[1:4], v6
	s_andn2_b32 vcc_lo, exec_lo, s52
	s_cbranch_vccnz .LBB43_214
; %bb.213:
	s_clause 0x3
	buffer_load_dword v7, v5, s[0:3], 0 offen offset:8
	buffer_load_dword v8, v5, s[0:3], 0 offen offset:12
	buffer_load_dword v97, v5, s[0:3], 0 offen
	buffer_load_dword v98, v5, s[0:3], 0 offen offset:4
	s_waitcnt vmcnt(2) lgkmcnt(0)
	v_mul_f64 v[99:100], v[3:4], v[7:8]
	v_mul_f64 v[7:8], v[1:2], v[7:8]
	s_waitcnt vmcnt(0)
	v_fma_f64 v[1:2], v[1:2], v[97:98], -v[99:100]
	v_fma_f64 v[3:4], v[3:4], v[97:98], v[7:8]
.LBB43_214:
	s_and_saveexec_b32 s8, s5
	s_cbranch_execz .LBB43_218
; %bb.215:
	v_subrev_nc_u32_e32 v7, 17, v0
	s_movk_i32 s53, 0x3d0
	s_mov_b32 s5, 0
	s_mov_b32 s54, s35
	.p2align	6
.LBB43_216:                             ; =>This Inner Loop Header: Depth=1
	v_mov_b32_e32 v8, s54
	v_add_nc_u32_e32 v7, -1, v7
	s_add_i32 s54, s54, 16
	s_clause 0x3
	buffer_load_dword v101, v8, s[0:3], 0 offen offset:8
	buffer_load_dword v102, v8, s[0:3], 0 offen offset:12
	buffer_load_dword v103, v8, s[0:3], 0 offen
	buffer_load_dword v104, v8, s[0:3], 0 offen offset:4
	v_mov_b32_e32 v8, s53
	v_cmp_eq_u32_e32 vcc_lo, 0, v7
	s_add_i32 s53, s53, 16
	ds_read_b128 v[97:100], v8
	s_or_b32 s5, vcc_lo, s5
	s_waitcnt vmcnt(2) lgkmcnt(0)
	v_mul_f64 v[105:106], v[99:100], v[101:102]
	v_mul_f64 v[101:102], v[97:98], v[101:102]
	s_waitcnt vmcnt(0)
	v_fma_f64 v[97:98], v[97:98], v[103:104], -v[105:106]
	v_fma_f64 v[99:100], v[99:100], v[103:104], v[101:102]
	v_add_f64 v[1:2], v[1:2], v[97:98]
	v_add_f64 v[3:4], v[3:4], v[99:100]
	s_andn2_b32 exec_lo, exec_lo, s5
	s_cbranch_execnz .LBB43_216
; %bb.217:
	s_or_b32 exec_lo, exec_lo, s5
.LBB43_218:
	s_or_b32 exec_lo, exec_lo, s8
	v_mov_b32_e32 v7, 0
	ds_read_b128 v[97:100], v7 offset:256
	s_waitcnt lgkmcnt(0)
	v_mul_f64 v[7:8], v[3:4], v[99:100]
	v_mul_f64 v[99:100], v[1:2], v[99:100]
	v_fma_f64 v[1:2], v[1:2], v[97:98], -v[7:8]
	v_fma_f64 v[3:4], v[3:4], v[97:98], v[99:100]
	buffer_store_dword v2, off, s[0:3], 0 offset:260
	buffer_store_dword v1, off, s[0:3], 0 offset:256
	;; [unrolled: 1-line block ×4, first 2 shown]
.LBB43_219:
	s_or_b32 exec_lo, exec_lo, s6
	v_mov_b32_e32 v4, s37
	v_cmp_lt_u32_e64 s5, 15, v0
	s_clause 0x3
	buffer_load_dword v1, v4, s[0:3], 0 offen
	buffer_load_dword v2, v4, s[0:3], 0 offen offset:4
	buffer_load_dword v3, v4, s[0:3], 0 offen offset:8
	;; [unrolled: 1-line block ×3, first 2 shown]
	s_waitcnt vmcnt(0)
	ds_write_b128 v6, v[1:4]
	s_waitcnt lgkmcnt(0)
	s_waitcnt_vscnt null, 0x0
	s_barrier
	buffer_gl0_inv
	s_and_saveexec_b32 s6, s5
	s_cbranch_execz .LBB43_227
; %bb.220:
	ds_read_b128 v[1:4], v6
	s_andn2_b32 vcc_lo, exec_lo, s52
	s_cbranch_vccnz .LBB43_222
; %bb.221:
	s_clause 0x3
	buffer_load_dword v7, v5, s[0:3], 0 offen offset:8
	buffer_load_dword v8, v5, s[0:3], 0 offen offset:12
	buffer_load_dword v97, v5, s[0:3], 0 offen
	buffer_load_dword v98, v5, s[0:3], 0 offen offset:4
	s_waitcnt vmcnt(2) lgkmcnt(0)
	v_mul_f64 v[99:100], v[3:4], v[7:8]
	v_mul_f64 v[7:8], v[1:2], v[7:8]
	s_waitcnt vmcnt(0)
	v_fma_f64 v[1:2], v[1:2], v[97:98], -v[99:100]
	v_fma_f64 v[3:4], v[3:4], v[97:98], v[7:8]
.LBB43_222:
	s_and_saveexec_b32 s8, s4
	s_cbranch_execz .LBB43_226
; %bb.223:
	v_add_nc_u32_e32 v7, -16, v0
	s_movk_i32 s53, 0x3c0
	s_mov_b32 s4, 0
	s_mov_b32 s54, s36
	.p2align	6
.LBB43_224:                             ; =>This Inner Loop Header: Depth=1
	v_mov_b32_e32 v8, s54
	v_add_nc_u32_e32 v7, -1, v7
	s_add_i32 s54, s54, 16
	s_clause 0x3
	buffer_load_dword v101, v8, s[0:3], 0 offen offset:8
	buffer_load_dword v102, v8, s[0:3], 0 offen offset:12
	buffer_load_dword v103, v8, s[0:3], 0 offen
	buffer_load_dword v104, v8, s[0:3], 0 offen offset:4
	v_mov_b32_e32 v8, s53
	v_cmp_eq_u32_e32 vcc_lo, 0, v7
	s_add_i32 s53, s53, 16
	ds_read_b128 v[97:100], v8
	s_or_b32 s4, vcc_lo, s4
	s_waitcnt vmcnt(2) lgkmcnt(0)
	v_mul_f64 v[105:106], v[99:100], v[101:102]
	v_mul_f64 v[101:102], v[97:98], v[101:102]
	s_waitcnt vmcnt(0)
	v_fma_f64 v[97:98], v[97:98], v[103:104], -v[105:106]
	v_fma_f64 v[99:100], v[99:100], v[103:104], v[101:102]
	v_add_f64 v[1:2], v[1:2], v[97:98]
	v_add_f64 v[3:4], v[3:4], v[99:100]
	s_andn2_b32 exec_lo, exec_lo, s4
	s_cbranch_execnz .LBB43_224
; %bb.225:
	s_or_b32 exec_lo, exec_lo, s4
.LBB43_226:
	s_or_b32 exec_lo, exec_lo, s8
	v_mov_b32_e32 v7, 0
	ds_read_b128 v[97:100], v7 offset:240
	s_waitcnt lgkmcnt(0)
	v_mul_f64 v[7:8], v[3:4], v[99:100]
	v_mul_f64 v[99:100], v[1:2], v[99:100]
	v_fma_f64 v[1:2], v[1:2], v[97:98], -v[7:8]
	v_fma_f64 v[3:4], v[3:4], v[97:98], v[99:100]
	buffer_store_dword v2, off, s[0:3], 0 offset:244
	buffer_store_dword v1, off, s[0:3], 0 offset:240
	;; [unrolled: 1-line block ×4, first 2 shown]
.LBB43_227:
	s_or_b32 exec_lo, exec_lo, s6
	v_mov_b32_e32 v4, s38
	v_cmp_lt_u32_e64 s4, 14, v0
	s_clause 0x3
	buffer_load_dword v1, v4, s[0:3], 0 offen
	buffer_load_dword v2, v4, s[0:3], 0 offen offset:4
	buffer_load_dword v3, v4, s[0:3], 0 offen offset:8
	buffer_load_dword v4, v4, s[0:3], 0 offen offset:12
	s_waitcnt vmcnt(0)
	ds_write_b128 v6, v[1:4]
	s_waitcnt lgkmcnt(0)
	s_waitcnt_vscnt null, 0x0
	s_barrier
	buffer_gl0_inv
	s_and_saveexec_b32 s6, s4
	s_cbranch_execz .LBB43_235
; %bb.228:
	ds_read_b128 v[1:4], v6
	s_andn2_b32 vcc_lo, exec_lo, s52
	s_cbranch_vccnz .LBB43_230
; %bb.229:
	s_clause 0x3
	buffer_load_dword v7, v5, s[0:3], 0 offen offset:8
	buffer_load_dword v8, v5, s[0:3], 0 offen offset:12
	buffer_load_dword v97, v5, s[0:3], 0 offen
	buffer_load_dword v98, v5, s[0:3], 0 offen offset:4
	s_waitcnt vmcnt(2) lgkmcnt(0)
	v_mul_f64 v[99:100], v[3:4], v[7:8]
	v_mul_f64 v[7:8], v[1:2], v[7:8]
	s_waitcnt vmcnt(0)
	v_fma_f64 v[1:2], v[1:2], v[97:98], -v[99:100]
	v_fma_f64 v[3:4], v[3:4], v[97:98], v[7:8]
.LBB43_230:
	s_and_saveexec_b32 s8, s5
	s_cbranch_execz .LBB43_234
; %bb.231:
	v_add_nc_u32_e32 v7, -15, v0
	s_movk_i32 s53, 0x3b0
	s_mov_b32 s5, 0
	s_mov_b32 s54, s37
	.p2align	6
.LBB43_232:                             ; =>This Inner Loop Header: Depth=1
	v_mov_b32_e32 v8, s54
	v_add_nc_u32_e32 v7, -1, v7
	s_add_i32 s54, s54, 16
	s_clause 0x3
	buffer_load_dword v101, v8, s[0:3], 0 offen offset:8
	buffer_load_dword v102, v8, s[0:3], 0 offen offset:12
	buffer_load_dword v103, v8, s[0:3], 0 offen
	buffer_load_dword v104, v8, s[0:3], 0 offen offset:4
	v_mov_b32_e32 v8, s53
	v_cmp_eq_u32_e32 vcc_lo, 0, v7
	s_add_i32 s53, s53, 16
	ds_read_b128 v[97:100], v8
	s_or_b32 s5, vcc_lo, s5
	s_waitcnt vmcnt(2) lgkmcnt(0)
	v_mul_f64 v[105:106], v[99:100], v[101:102]
	v_mul_f64 v[101:102], v[97:98], v[101:102]
	s_waitcnt vmcnt(0)
	v_fma_f64 v[97:98], v[97:98], v[103:104], -v[105:106]
	v_fma_f64 v[99:100], v[99:100], v[103:104], v[101:102]
	v_add_f64 v[1:2], v[1:2], v[97:98]
	v_add_f64 v[3:4], v[3:4], v[99:100]
	s_andn2_b32 exec_lo, exec_lo, s5
	s_cbranch_execnz .LBB43_232
; %bb.233:
	s_or_b32 exec_lo, exec_lo, s5
.LBB43_234:
	s_or_b32 exec_lo, exec_lo, s8
	v_mov_b32_e32 v7, 0
	ds_read_b128 v[97:100], v7 offset:224
	s_waitcnt lgkmcnt(0)
	v_mul_f64 v[7:8], v[3:4], v[99:100]
	v_mul_f64 v[99:100], v[1:2], v[99:100]
	v_fma_f64 v[1:2], v[1:2], v[97:98], -v[7:8]
	v_fma_f64 v[3:4], v[3:4], v[97:98], v[99:100]
	buffer_store_dword v2, off, s[0:3], 0 offset:228
	buffer_store_dword v1, off, s[0:3], 0 offset:224
	;; [unrolled: 1-line block ×4, first 2 shown]
.LBB43_235:
	s_or_b32 exec_lo, exec_lo, s6
	v_mov_b32_e32 v4, s39
	v_cmp_lt_u32_e64 s5, 13, v0
	s_clause 0x3
	buffer_load_dword v1, v4, s[0:3], 0 offen
	buffer_load_dword v2, v4, s[0:3], 0 offen offset:4
	buffer_load_dword v3, v4, s[0:3], 0 offen offset:8
	;; [unrolled: 1-line block ×3, first 2 shown]
	s_waitcnt vmcnt(0)
	ds_write_b128 v6, v[1:4]
	s_waitcnt lgkmcnt(0)
	s_waitcnt_vscnt null, 0x0
	s_barrier
	buffer_gl0_inv
	s_and_saveexec_b32 s6, s5
	s_cbranch_execz .LBB43_243
; %bb.236:
	ds_read_b128 v[1:4], v6
	s_andn2_b32 vcc_lo, exec_lo, s52
	s_cbranch_vccnz .LBB43_238
; %bb.237:
	s_clause 0x3
	buffer_load_dword v7, v5, s[0:3], 0 offen offset:8
	buffer_load_dword v8, v5, s[0:3], 0 offen offset:12
	buffer_load_dword v97, v5, s[0:3], 0 offen
	buffer_load_dword v98, v5, s[0:3], 0 offen offset:4
	s_waitcnt vmcnt(2) lgkmcnt(0)
	v_mul_f64 v[99:100], v[3:4], v[7:8]
	v_mul_f64 v[7:8], v[1:2], v[7:8]
	s_waitcnt vmcnt(0)
	v_fma_f64 v[1:2], v[1:2], v[97:98], -v[99:100]
	v_fma_f64 v[3:4], v[3:4], v[97:98], v[7:8]
.LBB43_238:
	s_and_saveexec_b32 s8, s4
	s_cbranch_execz .LBB43_242
; %bb.239:
	v_add_nc_u32_e32 v7, -14, v0
	s_movk_i32 s53, 0x3a0
	s_mov_b32 s4, 0
	s_mov_b32 s54, s38
	.p2align	6
.LBB43_240:                             ; =>This Inner Loop Header: Depth=1
	v_mov_b32_e32 v8, s54
	v_add_nc_u32_e32 v7, -1, v7
	s_add_i32 s54, s54, 16
	s_clause 0x3
	buffer_load_dword v101, v8, s[0:3], 0 offen offset:8
	buffer_load_dword v102, v8, s[0:3], 0 offen offset:12
	buffer_load_dword v103, v8, s[0:3], 0 offen
	buffer_load_dword v104, v8, s[0:3], 0 offen offset:4
	v_mov_b32_e32 v8, s53
	v_cmp_eq_u32_e32 vcc_lo, 0, v7
	s_add_i32 s53, s53, 16
	ds_read_b128 v[97:100], v8
	s_or_b32 s4, vcc_lo, s4
	s_waitcnt vmcnt(2) lgkmcnt(0)
	v_mul_f64 v[105:106], v[99:100], v[101:102]
	v_mul_f64 v[101:102], v[97:98], v[101:102]
	s_waitcnt vmcnt(0)
	v_fma_f64 v[97:98], v[97:98], v[103:104], -v[105:106]
	v_fma_f64 v[99:100], v[99:100], v[103:104], v[101:102]
	v_add_f64 v[1:2], v[1:2], v[97:98]
	v_add_f64 v[3:4], v[3:4], v[99:100]
	s_andn2_b32 exec_lo, exec_lo, s4
	s_cbranch_execnz .LBB43_240
; %bb.241:
	s_or_b32 exec_lo, exec_lo, s4
.LBB43_242:
	s_or_b32 exec_lo, exec_lo, s8
	v_mov_b32_e32 v7, 0
	ds_read_b128 v[97:100], v7 offset:208
	s_waitcnt lgkmcnt(0)
	v_mul_f64 v[7:8], v[3:4], v[99:100]
	v_mul_f64 v[99:100], v[1:2], v[99:100]
	v_fma_f64 v[1:2], v[1:2], v[97:98], -v[7:8]
	v_fma_f64 v[3:4], v[3:4], v[97:98], v[99:100]
	buffer_store_dword v2, off, s[0:3], 0 offset:212
	buffer_store_dword v1, off, s[0:3], 0 offset:208
	;; [unrolled: 1-line block ×4, first 2 shown]
.LBB43_243:
	s_or_b32 exec_lo, exec_lo, s6
	v_mov_b32_e32 v4, s40
	v_cmp_lt_u32_e64 s4, 12, v0
	s_clause 0x3
	buffer_load_dword v1, v4, s[0:3], 0 offen
	buffer_load_dword v2, v4, s[0:3], 0 offen offset:4
	buffer_load_dword v3, v4, s[0:3], 0 offen offset:8
	;; [unrolled: 1-line block ×3, first 2 shown]
	s_waitcnt vmcnt(0)
	ds_write_b128 v6, v[1:4]
	s_waitcnt lgkmcnt(0)
	s_waitcnt_vscnt null, 0x0
	s_barrier
	buffer_gl0_inv
	s_and_saveexec_b32 s6, s4
	s_cbranch_execz .LBB43_251
; %bb.244:
	ds_read_b128 v[1:4], v6
	s_andn2_b32 vcc_lo, exec_lo, s52
	s_cbranch_vccnz .LBB43_246
; %bb.245:
	s_clause 0x3
	buffer_load_dword v7, v5, s[0:3], 0 offen offset:8
	buffer_load_dword v8, v5, s[0:3], 0 offen offset:12
	buffer_load_dword v97, v5, s[0:3], 0 offen
	buffer_load_dword v98, v5, s[0:3], 0 offen offset:4
	s_waitcnt vmcnt(2) lgkmcnt(0)
	v_mul_f64 v[99:100], v[3:4], v[7:8]
	v_mul_f64 v[7:8], v[1:2], v[7:8]
	s_waitcnt vmcnt(0)
	v_fma_f64 v[1:2], v[1:2], v[97:98], -v[99:100]
	v_fma_f64 v[3:4], v[3:4], v[97:98], v[7:8]
.LBB43_246:
	s_and_saveexec_b32 s8, s5
	s_cbranch_execz .LBB43_250
; %bb.247:
	v_add_nc_u32_e32 v7, -13, v0
	s_movk_i32 s53, 0x390
	s_mov_b32 s5, 0
	s_mov_b32 s54, s39
	.p2align	6
.LBB43_248:                             ; =>This Inner Loop Header: Depth=1
	v_mov_b32_e32 v8, s54
	v_add_nc_u32_e32 v7, -1, v7
	s_add_i32 s54, s54, 16
	s_clause 0x3
	buffer_load_dword v101, v8, s[0:3], 0 offen offset:8
	buffer_load_dword v102, v8, s[0:3], 0 offen offset:12
	buffer_load_dword v103, v8, s[0:3], 0 offen
	buffer_load_dword v104, v8, s[0:3], 0 offen offset:4
	v_mov_b32_e32 v8, s53
	v_cmp_eq_u32_e32 vcc_lo, 0, v7
	s_add_i32 s53, s53, 16
	ds_read_b128 v[97:100], v8
	s_or_b32 s5, vcc_lo, s5
	s_waitcnt vmcnt(2) lgkmcnt(0)
	v_mul_f64 v[105:106], v[99:100], v[101:102]
	v_mul_f64 v[101:102], v[97:98], v[101:102]
	s_waitcnt vmcnt(0)
	v_fma_f64 v[97:98], v[97:98], v[103:104], -v[105:106]
	v_fma_f64 v[99:100], v[99:100], v[103:104], v[101:102]
	v_add_f64 v[1:2], v[1:2], v[97:98]
	v_add_f64 v[3:4], v[3:4], v[99:100]
	s_andn2_b32 exec_lo, exec_lo, s5
	s_cbranch_execnz .LBB43_248
; %bb.249:
	s_or_b32 exec_lo, exec_lo, s5
.LBB43_250:
	s_or_b32 exec_lo, exec_lo, s8
	v_mov_b32_e32 v7, 0
	ds_read_b128 v[97:100], v7 offset:192
	s_waitcnt lgkmcnt(0)
	v_mul_f64 v[7:8], v[3:4], v[99:100]
	v_mul_f64 v[99:100], v[1:2], v[99:100]
	v_fma_f64 v[1:2], v[1:2], v[97:98], -v[7:8]
	v_fma_f64 v[3:4], v[3:4], v[97:98], v[99:100]
	buffer_store_dword v2, off, s[0:3], 0 offset:196
	buffer_store_dword v1, off, s[0:3], 0 offset:192
	;; [unrolled: 1-line block ×4, first 2 shown]
.LBB43_251:
	s_or_b32 exec_lo, exec_lo, s6
	v_mov_b32_e32 v4, s41
	v_cmp_lt_u32_e64 s5, 11, v0
	s_clause 0x3
	buffer_load_dword v1, v4, s[0:3], 0 offen
	buffer_load_dword v2, v4, s[0:3], 0 offen offset:4
	buffer_load_dword v3, v4, s[0:3], 0 offen offset:8
	;; [unrolled: 1-line block ×3, first 2 shown]
	s_waitcnt vmcnt(0)
	ds_write_b128 v6, v[1:4]
	s_waitcnt lgkmcnt(0)
	s_waitcnt_vscnt null, 0x0
	s_barrier
	buffer_gl0_inv
	s_and_saveexec_b32 s6, s5
	s_cbranch_execz .LBB43_259
; %bb.252:
	ds_read_b128 v[1:4], v6
	s_andn2_b32 vcc_lo, exec_lo, s52
	s_cbranch_vccnz .LBB43_254
; %bb.253:
	s_clause 0x3
	buffer_load_dword v7, v5, s[0:3], 0 offen offset:8
	buffer_load_dword v8, v5, s[0:3], 0 offen offset:12
	buffer_load_dword v97, v5, s[0:3], 0 offen
	buffer_load_dword v98, v5, s[0:3], 0 offen offset:4
	s_waitcnt vmcnt(2) lgkmcnt(0)
	v_mul_f64 v[99:100], v[3:4], v[7:8]
	v_mul_f64 v[7:8], v[1:2], v[7:8]
	s_waitcnt vmcnt(0)
	v_fma_f64 v[1:2], v[1:2], v[97:98], -v[99:100]
	v_fma_f64 v[3:4], v[3:4], v[97:98], v[7:8]
.LBB43_254:
	s_and_saveexec_b32 s8, s4
	s_cbranch_execz .LBB43_258
; %bb.255:
	v_add_nc_u32_e32 v7, -12, v0
	s_movk_i32 s53, 0x380
	s_mov_b32 s4, 0
	s_mov_b32 s54, s40
	.p2align	6
.LBB43_256:                             ; =>This Inner Loop Header: Depth=1
	v_mov_b32_e32 v8, s54
	v_add_nc_u32_e32 v7, -1, v7
	s_add_i32 s54, s54, 16
	s_clause 0x3
	buffer_load_dword v101, v8, s[0:3], 0 offen offset:8
	buffer_load_dword v102, v8, s[0:3], 0 offen offset:12
	buffer_load_dword v103, v8, s[0:3], 0 offen
	buffer_load_dword v104, v8, s[0:3], 0 offen offset:4
	v_mov_b32_e32 v8, s53
	v_cmp_eq_u32_e32 vcc_lo, 0, v7
	s_add_i32 s53, s53, 16
	ds_read_b128 v[97:100], v8
	s_or_b32 s4, vcc_lo, s4
	s_waitcnt vmcnt(2) lgkmcnt(0)
	v_mul_f64 v[105:106], v[99:100], v[101:102]
	v_mul_f64 v[101:102], v[97:98], v[101:102]
	s_waitcnt vmcnt(0)
	v_fma_f64 v[97:98], v[97:98], v[103:104], -v[105:106]
	v_fma_f64 v[99:100], v[99:100], v[103:104], v[101:102]
	v_add_f64 v[1:2], v[1:2], v[97:98]
	v_add_f64 v[3:4], v[3:4], v[99:100]
	s_andn2_b32 exec_lo, exec_lo, s4
	s_cbranch_execnz .LBB43_256
; %bb.257:
	s_or_b32 exec_lo, exec_lo, s4
.LBB43_258:
	s_or_b32 exec_lo, exec_lo, s8
	v_mov_b32_e32 v7, 0
	ds_read_b128 v[97:100], v7 offset:176
	s_waitcnt lgkmcnt(0)
	v_mul_f64 v[7:8], v[3:4], v[99:100]
	v_mul_f64 v[99:100], v[1:2], v[99:100]
	v_fma_f64 v[1:2], v[1:2], v[97:98], -v[7:8]
	v_fma_f64 v[3:4], v[3:4], v[97:98], v[99:100]
	buffer_store_dword v2, off, s[0:3], 0 offset:180
	buffer_store_dword v1, off, s[0:3], 0 offset:176
	;; [unrolled: 1-line block ×4, first 2 shown]
.LBB43_259:
	s_or_b32 exec_lo, exec_lo, s6
	v_mov_b32_e32 v4, s42
	v_cmp_lt_u32_e64 s4, 10, v0
	s_clause 0x3
	buffer_load_dword v1, v4, s[0:3], 0 offen
	buffer_load_dword v2, v4, s[0:3], 0 offen offset:4
	buffer_load_dword v3, v4, s[0:3], 0 offen offset:8
	;; [unrolled: 1-line block ×3, first 2 shown]
	s_waitcnt vmcnt(0)
	ds_write_b128 v6, v[1:4]
	s_waitcnt lgkmcnt(0)
	s_waitcnt_vscnt null, 0x0
	s_barrier
	buffer_gl0_inv
	s_and_saveexec_b32 s6, s4
	s_cbranch_execz .LBB43_267
; %bb.260:
	ds_read_b128 v[1:4], v6
	s_andn2_b32 vcc_lo, exec_lo, s52
	s_cbranch_vccnz .LBB43_262
; %bb.261:
	s_clause 0x3
	buffer_load_dword v7, v5, s[0:3], 0 offen offset:8
	buffer_load_dword v8, v5, s[0:3], 0 offen offset:12
	buffer_load_dword v97, v5, s[0:3], 0 offen
	buffer_load_dword v98, v5, s[0:3], 0 offen offset:4
	s_waitcnt vmcnt(2) lgkmcnt(0)
	v_mul_f64 v[99:100], v[3:4], v[7:8]
	v_mul_f64 v[7:8], v[1:2], v[7:8]
	s_waitcnt vmcnt(0)
	v_fma_f64 v[1:2], v[1:2], v[97:98], -v[99:100]
	v_fma_f64 v[3:4], v[3:4], v[97:98], v[7:8]
.LBB43_262:
	s_and_saveexec_b32 s8, s5
	s_cbranch_execz .LBB43_266
; %bb.263:
	v_add_nc_u32_e32 v7, -11, v0
	s_movk_i32 s53, 0x370
	s_mov_b32 s5, 0
	s_mov_b32 s54, s41
	.p2align	6
.LBB43_264:                             ; =>This Inner Loop Header: Depth=1
	v_mov_b32_e32 v8, s54
	v_add_nc_u32_e32 v7, -1, v7
	s_add_i32 s54, s54, 16
	s_clause 0x3
	buffer_load_dword v101, v8, s[0:3], 0 offen offset:8
	buffer_load_dword v102, v8, s[0:3], 0 offen offset:12
	buffer_load_dword v103, v8, s[0:3], 0 offen
	buffer_load_dword v104, v8, s[0:3], 0 offen offset:4
	v_mov_b32_e32 v8, s53
	v_cmp_eq_u32_e32 vcc_lo, 0, v7
	s_add_i32 s53, s53, 16
	ds_read_b128 v[97:100], v8
	s_or_b32 s5, vcc_lo, s5
	s_waitcnt vmcnt(2) lgkmcnt(0)
	v_mul_f64 v[105:106], v[99:100], v[101:102]
	v_mul_f64 v[101:102], v[97:98], v[101:102]
	s_waitcnt vmcnt(0)
	v_fma_f64 v[97:98], v[97:98], v[103:104], -v[105:106]
	v_fma_f64 v[99:100], v[99:100], v[103:104], v[101:102]
	v_add_f64 v[1:2], v[1:2], v[97:98]
	v_add_f64 v[3:4], v[3:4], v[99:100]
	s_andn2_b32 exec_lo, exec_lo, s5
	s_cbranch_execnz .LBB43_264
; %bb.265:
	s_or_b32 exec_lo, exec_lo, s5
.LBB43_266:
	s_or_b32 exec_lo, exec_lo, s8
	v_mov_b32_e32 v7, 0
	ds_read_b128 v[97:100], v7 offset:160
	s_waitcnt lgkmcnt(0)
	v_mul_f64 v[7:8], v[3:4], v[99:100]
	v_mul_f64 v[99:100], v[1:2], v[99:100]
	v_fma_f64 v[1:2], v[1:2], v[97:98], -v[7:8]
	v_fma_f64 v[3:4], v[3:4], v[97:98], v[99:100]
	buffer_store_dword v2, off, s[0:3], 0 offset:164
	buffer_store_dword v1, off, s[0:3], 0 offset:160
	;; [unrolled: 1-line block ×4, first 2 shown]
.LBB43_267:
	s_or_b32 exec_lo, exec_lo, s6
	v_mov_b32_e32 v4, s43
	v_cmp_lt_u32_e64 s5, 9, v0
	s_clause 0x3
	buffer_load_dword v1, v4, s[0:3], 0 offen
	buffer_load_dword v2, v4, s[0:3], 0 offen offset:4
	buffer_load_dword v3, v4, s[0:3], 0 offen offset:8
	;; [unrolled: 1-line block ×3, first 2 shown]
	s_waitcnt vmcnt(0)
	ds_write_b128 v6, v[1:4]
	s_waitcnt lgkmcnt(0)
	s_waitcnt_vscnt null, 0x0
	s_barrier
	buffer_gl0_inv
	s_and_saveexec_b32 s6, s5
	s_cbranch_execz .LBB43_275
; %bb.268:
	ds_read_b128 v[1:4], v6
	s_andn2_b32 vcc_lo, exec_lo, s52
	s_cbranch_vccnz .LBB43_270
; %bb.269:
	s_clause 0x3
	buffer_load_dword v7, v5, s[0:3], 0 offen offset:8
	buffer_load_dword v8, v5, s[0:3], 0 offen offset:12
	buffer_load_dword v97, v5, s[0:3], 0 offen
	buffer_load_dword v98, v5, s[0:3], 0 offen offset:4
	s_waitcnt vmcnt(2) lgkmcnt(0)
	v_mul_f64 v[99:100], v[3:4], v[7:8]
	v_mul_f64 v[7:8], v[1:2], v[7:8]
	s_waitcnt vmcnt(0)
	v_fma_f64 v[1:2], v[1:2], v[97:98], -v[99:100]
	v_fma_f64 v[3:4], v[3:4], v[97:98], v[7:8]
.LBB43_270:
	s_and_saveexec_b32 s8, s4
	s_cbranch_execz .LBB43_274
; %bb.271:
	v_add_nc_u32_e32 v7, -10, v0
	s_movk_i32 s53, 0x360
	s_mov_b32 s4, 0
	s_mov_b32 s54, s42
	.p2align	6
.LBB43_272:                             ; =>This Inner Loop Header: Depth=1
	v_mov_b32_e32 v8, s54
	v_add_nc_u32_e32 v7, -1, v7
	s_add_i32 s54, s54, 16
	s_clause 0x3
	buffer_load_dword v101, v8, s[0:3], 0 offen offset:8
	buffer_load_dword v102, v8, s[0:3], 0 offen offset:12
	buffer_load_dword v103, v8, s[0:3], 0 offen
	buffer_load_dword v104, v8, s[0:3], 0 offen offset:4
	v_mov_b32_e32 v8, s53
	v_cmp_eq_u32_e32 vcc_lo, 0, v7
	s_add_i32 s53, s53, 16
	ds_read_b128 v[97:100], v8
	s_or_b32 s4, vcc_lo, s4
	s_waitcnt vmcnt(2) lgkmcnt(0)
	v_mul_f64 v[105:106], v[99:100], v[101:102]
	v_mul_f64 v[101:102], v[97:98], v[101:102]
	s_waitcnt vmcnt(0)
	v_fma_f64 v[97:98], v[97:98], v[103:104], -v[105:106]
	v_fma_f64 v[99:100], v[99:100], v[103:104], v[101:102]
	v_add_f64 v[1:2], v[1:2], v[97:98]
	v_add_f64 v[3:4], v[3:4], v[99:100]
	s_andn2_b32 exec_lo, exec_lo, s4
	s_cbranch_execnz .LBB43_272
; %bb.273:
	s_or_b32 exec_lo, exec_lo, s4
.LBB43_274:
	s_or_b32 exec_lo, exec_lo, s8
	v_mov_b32_e32 v7, 0
	ds_read_b128 v[97:100], v7 offset:144
	s_waitcnt lgkmcnt(0)
	v_mul_f64 v[7:8], v[3:4], v[99:100]
	v_mul_f64 v[99:100], v[1:2], v[99:100]
	v_fma_f64 v[1:2], v[1:2], v[97:98], -v[7:8]
	v_fma_f64 v[3:4], v[3:4], v[97:98], v[99:100]
	buffer_store_dword v2, off, s[0:3], 0 offset:148
	buffer_store_dword v1, off, s[0:3], 0 offset:144
	;; [unrolled: 1-line block ×4, first 2 shown]
.LBB43_275:
	s_or_b32 exec_lo, exec_lo, s6
	v_mov_b32_e32 v4, s44
	v_cmp_lt_u32_e64 s4, 8, v0
	s_clause 0x3
	buffer_load_dword v1, v4, s[0:3], 0 offen
	buffer_load_dword v2, v4, s[0:3], 0 offen offset:4
	buffer_load_dword v3, v4, s[0:3], 0 offen offset:8
	;; [unrolled: 1-line block ×3, first 2 shown]
	s_waitcnt vmcnt(0)
	ds_write_b128 v6, v[1:4]
	s_waitcnt lgkmcnt(0)
	s_waitcnt_vscnt null, 0x0
	s_barrier
	buffer_gl0_inv
	s_and_saveexec_b32 s6, s4
	s_cbranch_execz .LBB43_283
; %bb.276:
	ds_read_b128 v[1:4], v6
	s_andn2_b32 vcc_lo, exec_lo, s52
	s_cbranch_vccnz .LBB43_278
; %bb.277:
	s_clause 0x3
	buffer_load_dword v7, v5, s[0:3], 0 offen offset:8
	buffer_load_dword v8, v5, s[0:3], 0 offen offset:12
	buffer_load_dword v97, v5, s[0:3], 0 offen
	buffer_load_dword v98, v5, s[0:3], 0 offen offset:4
	s_waitcnt vmcnt(2) lgkmcnt(0)
	v_mul_f64 v[99:100], v[3:4], v[7:8]
	v_mul_f64 v[7:8], v[1:2], v[7:8]
	s_waitcnt vmcnt(0)
	v_fma_f64 v[1:2], v[1:2], v[97:98], -v[99:100]
	v_fma_f64 v[3:4], v[3:4], v[97:98], v[7:8]
.LBB43_278:
	s_and_saveexec_b32 s8, s5
	s_cbranch_execz .LBB43_282
; %bb.279:
	v_add_nc_u32_e32 v7, -9, v0
	s_movk_i32 s53, 0x350
	s_mov_b32 s5, 0
	s_mov_b32 s54, s43
	.p2align	6
.LBB43_280:                             ; =>This Inner Loop Header: Depth=1
	v_mov_b32_e32 v8, s54
	v_add_nc_u32_e32 v7, -1, v7
	s_add_i32 s54, s54, 16
	s_clause 0x3
	buffer_load_dword v101, v8, s[0:3], 0 offen offset:8
	buffer_load_dword v102, v8, s[0:3], 0 offen offset:12
	buffer_load_dword v103, v8, s[0:3], 0 offen
	buffer_load_dword v104, v8, s[0:3], 0 offen offset:4
	v_mov_b32_e32 v8, s53
	v_cmp_eq_u32_e32 vcc_lo, 0, v7
	s_add_i32 s53, s53, 16
	ds_read_b128 v[97:100], v8
	s_or_b32 s5, vcc_lo, s5
	s_waitcnt vmcnt(2) lgkmcnt(0)
	v_mul_f64 v[105:106], v[99:100], v[101:102]
	v_mul_f64 v[101:102], v[97:98], v[101:102]
	s_waitcnt vmcnt(0)
	v_fma_f64 v[97:98], v[97:98], v[103:104], -v[105:106]
	v_fma_f64 v[99:100], v[99:100], v[103:104], v[101:102]
	v_add_f64 v[1:2], v[1:2], v[97:98]
	v_add_f64 v[3:4], v[3:4], v[99:100]
	s_andn2_b32 exec_lo, exec_lo, s5
	s_cbranch_execnz .LBB43_280
; %bb.281:
	s_or_b32 exec_lo, exec_lo, s5
.LBB43_282:
	s_or_b32 exec_lo, exec_lo, s8
	v_mov_b32_e32 v7, 0
	ds_read_b128 v[97:100], v7 offset:128
	s_waitcnt lgkmcnt(0)
	v_mul_f64 v[7:8], v[3:4], v[99:100]
	v_mul_f64 v[99:100], v[1:2], v[99:100]
	v_fma_f64 v[1:2], v[1:2], v[97:98], -v[7:8]
	v_fma_f64 v[3:4], v[3:4], v[97:98], v[99:100]
	buffer_store_dword v2, off, s[0:3], 0 offset:132
	buffer_store_dword v1, off, s[0:3], 0 offset:128
	;; [unrolled: 1-line block ×4, first 2 shown]
.LBB43_283:
	s_or_b32 exec_lo, exec_lo, s6
	v_mov_b32_e32 v4, s45
	v_cmp_lt_u32_e64 s5, 7, v0
	s_clause 0x3
	buffer_load_dword v1, v4, s[0:3], 0 offen
	buffer_load_dword v2, v4, s[0:3], 0 offen offset:4
	buffer_load_dword v3, v4, s[0:3], 0 offen offset:8
	buffer_load_dword v4, v4, s[0:3], 0 offen offset:12
	s_waitcnt vmcnt(0)
	ds_write_b128 v6, v[1:4]
	s_waitcnt lgkmcnt(0)
	s_waitcnt_vscnt null, 0x0
	s_barrier
	buffer_gl0_inv
	s_and_saveexec_b32 s6, s5
	s_cbranch_execz .LBB43_291
; %bb.284:
	ds_read_b128 v[1:4], v6
	s_andn2_b32 vcc_lo, exec_lo, s52
	s_cbranch_vccnz .LBB43_286
; %bb.285:
	s_clause 0x3
	buffer_load_dword v7, v5, s[0:3], 0 offen offset:8
	buffer_load_dword v8, v5, s[0:3], 0 offen offset:12
	buffer_load_dword v97, v5, s[0:3], 0 offen
	buffer_load_dword v98, v5, s[0:3], 0 offen offset:4
	s_waitcnt vmcnt(2) lgkmcnt(0)
	v_mul_f64 v[99:100], v[3:4], v[7:8]
	v_mul_f64 v[7:8], v[1:2], v[7:8]
	s_waitcnt vmcnt(0)
	v_fma_f64 v[1:2], v[1:2], v[97:98], -v[99:100]
	v_fma_f64 v[3:4], v[3:4], v[97:98], v[7:8]
.LBB43_286:
	s_and_saveexec_b32 s8, s4
	s_cbranch_execz .LBB43_290
; %bb.287:
	v_add_nc_u32_e32 v7, -8, v0
	s_movk_i32 s53, 0x340
	s_mov_b32 s4, 0
	s_mov_b32 s54, s44
	.p2align	6
.LBB43_288:                             ; =>This Inner Loop Header: Depth=1
	v_mov_b32_e32 v8, s54
	v_add_nc_u32_e32 v7, -1, v7
	s_add_i32 s54, s54, 16
	s_clause 0x3
	buffer_load_dword v101, v8, s[0:3], 0 offen offset:8
	buffer_load_dword v102, v8, s[0:3], 0 offen offset:12
	buffer_load_dword v103, v8, s[0:3], 0 offen
	buffer_load_dword v104, v8, s[0:3], 0 offen offset:4
	v_mov_b32_e32 v8, s53
	v_cmp_eq_u32_e32 vcc_lo, 0, v7
	s_add_i32 s53, s53, 16
	ds_read_b128 v[97:100], v8
	s_or_b32 s4, vcc_lo, s4
	s_waitcnt vmcnt(2) lgkmcnt(0)
	v_mul_f64 v[105:106], v[99:100], v[101:102]
	v_mul_f64 v[101:102], v[97:98], v[101:102]
	s_waitcnt vmcnt(0)
	v_fma_f64 v[97:98], v[97:98], v[103:104], -v[105:106]
	v_fma_f64 v[99:100], v[99:100], v[103:104], v[101:102]
	v_add_f64 v[1:2], v[1:2], v[97:98]
	v_add_f64 v[3:4], v[3:4], v[99:100]
	s_andn2_b32 exec_lo, exec_lo, s4
	s_cbranch_execnz .LBB43_288
; %bb.289:
	s_or_b32 exec_lo, exec_lo, s4
.LBB43_290:
	s_or_b32 exec_lo, exec_lo, s8
	v_mov_b32_e32 v7, 0
	ds_read_b128 v[97:100], v7 offset:112
	s_waitcnt lgkmcnt(0)
	v_mul_f64 v[7:8], v[3:4], v[99:100]
	v_mul_f64 v[99:100], v[1:2], v[99:100]
	v_fma_f64 v[1:2], v[1:2], v[97:98], -v[7:8]
	v_fma_f64 v[3:4], v[3:4], v[97:98], v[99:100]
	buffer_store_dword v2, off, s[0:3], 0 offset:116
	buffer_store_dword v1, off, s[0:3], 0 offset:112
	;; [unrolled: 1-line block ×4, first 2 shown]
.LBB43_291:
	s_or_b32 exec_lo, exec_lo, s6
	v_mov_b32_e32 v4, s46
	v_cmp_lt_u32_e64 s4, 6, v0
	s_clause 0x3
	buffer_load_dword v1, v4, s[0:3], 0 offen
	buffer_load_dword v2, v4, s[0:3], 0 offen offset:4
	buffer_load_dword v3, v4, s[0:3], 0 offen offset:8
	;; [unrolled: 1-line block ×3, first 2 shown]
	s_waitcnt vmcnt(0)
	ds_write_b128 v6, v[1:4]
	s_waitcnt lgkmcnt(0)
	s_waitcnt_vscnt null, 0x0
	s_barrier
	buffer_gl0_inv
	s_and_saveexec_b32 s6, s4
	s_cbranch_execz .LBB43_299
; %bb.292:
	ds_read_b128 v[1:4], v6
	s_andn2_b32 vcc_lo, exec_lo, s52
	s_cbranch_vccnz .LBB43_294
; %bb.293:
	s_clause 0x3
	buffer_load_dword v7, v5, s[0:3], 0 offen offset:8
	buffer_load_dword v8, v5, s[0:3], 0 offen offset:12
	buffer_load_dword v97, v5, s[0:3], 0 offen
	buffer_load_dword v98, v5, s[0:3], 0 offen offset:4
	s_waitcnt vmcnt(2) lgkmcnt(0)
	v_mul_f64 v[99:100], v[3:4], v[7:8]
	v_mul_f64 v[7:8], v[1:2], v[7:8]
	s_waitcnt vmcnt(0)
	v_fma_f64 v[1:2], v[1:2], v[97:98], -v[99:100]
	v_fma_f64 v[3:4], v[3:4], v[97:98], v[7:8]
.LBB43_294:
	s_and_saveexec_b32 s8, s5
	s_cbranch_execz .LBB43_298
; %bb.295:
	v_add_nc_u32_e32 v7, -7, v0
	s_movk_i32 s53, 0x330
	s_mov_b32 s5, 0
	s_mov_b32 s54, s45
	.p2align	6
.LBB43_296:                             ; =>This Inner Loop Header: Depth=1
	v_mov_b32_e32 v8, s54
	v_add_nc_u32_e32 v7, -1, v7
	s_add_i32 s54, s54, 16
	s_clause 0x3
	buffer_load_dword v101, v8, s[0:3], 0 offen offset:8
	buffer_load_dword v102, v8, s[0:3], 0 offen offset:12
	buffer_load_dword v103, v8, s[0:3], 0 offen
	buffer_load_dword v104, v8, s[0:3], 0 offen offset:4
	v_mov_b32_e32 v8, s53
	v_cmp_eq_u32_e32 vcc_lo, 0, v7
	s_add_i32 s53, s53, 16
	ds_read_b128 v[97:100], v8
	s_or_b32 s5, vcc_lo, s5
	s_waitcnt vmcnt(2) lgkmcnt(0)
	v_mul_f64 v[105:106], v[99:100], v[101:102]
	v_mul_f64 v[101:102], v[97:98], v[101:102]
	s_waitcnt vmcnt(0)
	v_fma_f64 v[97:98], v[97:98], v[103:104], -v[105:106]
	v_fma_f64 v[99:100], v[99:100], v[103:104], v[101:102]
	v_add_f64 v[1:2], v[1:2], v[97:98]
	v_add_f64 v[3:4], v[3:4], v[99:100]
	s_andn2_b32 exec_lo, exec_lo, s5
	s_cbranch_execnz .LBB43_296
; %bb.297:
	s_or_b32 exec_lo, exec_lo, s5
.LBB43_298:
	s_or_b32 exec_lo, exec_lo, s8
	v_mov_b32_e32 v7, 0
	ds_read_b128 v[97:100], v7 offset:96
	s_waitcnt lgkmcnt(0)
	v_mul_f64 v[7:8], v[3:4], v[99:100]
	v_mul_f64 v[99:100], v[1:2], v[99:100]
	v_fma_f64 v[1:2], v[1:2], v[97:98], -v[7:8]
	v_fma_f64 v[3:4], v[3:4], v[97:98], v[99:100]
	buffer_store_dword v2, off, s[0:3], 0 offset:100
	buffer_store_dword v1, off, s[0:3], 0 offset:96
	;; [unrolled: 1-line block ×4, first 2 shown]
.LBB43_299:
	s_or_b32 exec_lo, exec_lo, s6
	v_mov_b32_e32 v4, s47
	v_cmp_lt_u32_e64 s5, 5, v0
	s_clause 0x3
	buffer_load_dword v1, v4, s[0:3], 0 offen
	buffer_load_dword v2, v4, s[0:3], 0 offen offset:4
	buffer_load_dword v3, v4, s[0:3], 0 offen offset:8
	;; [unrolled: 1-line block ×3, first 2 shown]
	s_waitcnt vmcnt(0)
	ds_write_b128 v6, v[1:4]
	s_waitcnt lgkmcnt(0)
	s_waitcnt_vscnt null, 0x0
	s_barrier
	buffer_gl0_inv
	s_and_saveexec_b32 s6, s5
	s_cbranch_execz .LBB43_307
; %bb.300:
	ds_read_b128 v[1:4], v6
	s_andn2_b32 vcc_lo, exec_lo, s52
	s_cbranch_vccnz .LBB43_302
; %bb.301:
	s_clause 0x3
	buffer_load_dword v7, v5, s[0:3], 0 offen offset:8
	buffer_load_dword v8, v5, s[0:3], 0 offen offset:12
	buffer_load_dword v97, v5, s[0:3], 0 offen
	buffer_load_dword v98, v5, s[0:3], 0 offen offset:4
	s_waitcnt vmcnt(2) lgkmcnt(0)
	v_mul_f64 v[99:100], v[3:4], v[7:8]
	v_mul_f64 v[7:8], v[1:2], v[7:8]
	s_waitcnt vmcnt(0)
	v_fma_f64 v[1:2], v[1:2], v[97:98], -v[99:100]
	v_fma_f64 v[3:4], v[3:4], v[97:98], v[7:8]
.LBB43_302:
	s_and_saveexec_b32 s8, s4
	s_cbranch_execz .LBB43_306
; %bb.303:
	v_add_nc_u32_e32 v7, -6, v0
	s_movk_i32 s53, 0x320
	s_mov_b32 s4, 0
	s_mov_b32 s54, s46
	.p2align	6
.LBB43_304:                             ; =>This Inner Loop Header: Depth=1
	v_mov_b32_e32 v8, s54
	v_add_nc_u32_e32 v7, -1, v7
	s_add_i32 s54, s54, 16
	s_clause 0x3
	buffer_load_dword v101, v8, s[0:3], 0 offen offset:8
	buffer_load_dword v102, v8, s[0:3], 0 offen offset:12
	buffer_load_dword v103, v8, s[0:3], 0 offen
	buffer_load_dword v104, v8, s[0:3], 0 offen offset:4
	v_mov_b32_e32 v8, s53
	v_cmp_eq_u32_e32 vcc_lo, 0, v7
	s_add_i32 s53, s53, 16
	ds_read_b128 v[97:100], v8
	s_or_b32 s4, vcc_lo, s4
	s_waitcnt vmcnt(2) lgkmcnt(0)
	v_mul_f64 v[105:106], v[99:100], v[101:102]
	v_mul_f64 v[101:102], v[97:98], v[101:102]
	s_waitcnt vmcnt(0)
	v_fma_f64 v[97:98], v[97:98], v[103:104], -v[105:106]
	v_fma_f64 v[99:100], v[99:100], v[103:104], v[101:102]
	v_add_f64 v[1:2], v[1:2], v[97:98]
	v_add_f64 v[3:4], v[3:4], v[99:100]
	s_andn2_b32 exec_lo, exec_lo, s4
	s_cbranch_execnz .LBB43_304
; %bb.305:
	s_or_b32 exec_lo, exec_lo, s4
.LBB43_306:
	s_or_b32 exec_lo, exec_lo, s8
	v_mov_b32_e32 v7, 0
	ds_read_b128 v[97:100], v7 offset:80
	s_waitcnt lgkmcnt(0)
	v_mul_f64 v[7:8], v[3:4], v[99:100]
	v_mul_f64 v[99:100], v[1:2], v[99:100]
	v_fma_f64 v[1:2], v[1:2], v[97:98], -v[7:8]
	v_fma_f64 v[3:4], v[3:4], v[97:98], v[99:100]
	buffer_store_dword v2, off, s[0:3], 0 offset:84
	buffer_store_dword v1, off, s[0:3], 0 offset:80
	;; [unrolled: 1-line block ×4, first 2 shown]
.LBB43_307:
	s_or_b32 exec_lo, exec_lo, s6
	v_mov_b32_e32 v4, s48
	v_cmp_lt_u32_e64 s4, 4, v0
	s_clause 0x3
	buffer_load_dword v1, v4, s[0:3], 0 offen
	buffer_load_dword v2, v4, s[0:3], 0 offen offset:4
	buffer_load_dword v3, v4, s[0:3], 0 offen offset:8
	;; [unrolled: 1-line block ×3, first 2 shown]
	s_waitcnt vmcnt(0)
	ds_write_b128 v6, v[1:4]
	s_waitcnt lgkmcnt(0)
	s_waitcnt_vscnt null, 0x0
	s_barrier
	buffer_gl0_inv
	s_and_saveexec_b32 s6, s4
	s_cbranch_execz .LBB43_315
; %bb.308:
	ds_read_b128 v[1:4], v6
	s_andn2_b32 vcc_lo, exec_lo, s52
	s_cbranch_vccnz .LBB43_310
; %bb.309:
	s_clause 0x3
	buffer_load_dword v7, v5, s[0:3], 0 offen offset:8
	buffer_load_dword v8, v5, s[0:3], 0 offen offset:12
	buffer_load_dword v97, v5, s[0:3], 0 offen
	buffer_load_dword v98, v5, s[0:3], 0 offen offset:4
	s_waitcnt vmcnt(2) lgkmcnt(0)
	v_mul_f64 v[99:100], v[3:4], v[7:8]
	v_mul_f64 v[7:8], v[1:2], v[7:8]
	s_waitcnt vmcnt(0)
	v_fma_f64 v[1:2], v[1:2], v[97:98], -v[99:100]
	v_fma_f64 v[3:4], v[3:4], v[97:98], v[7:8]
.LBB43_310:
	s_and_saveexec_b32 s8, s5
	s_cbranch_execz .LBB43_314
; %bb.311:
	v_add_nc_u32_e32 v7, -5, v0
	s_movk_i32 s53, 0x310
	s_mov_b32 s5, 0
	s_mov_b32 s54, s47
	.p2align	6
.LBB43_312:                             ; =>This Inner Loop Header: Depth=1
	v_mov_b32_e32 v8, s54
	v_add_nc_u32_e32 v7, -1, v7
	s_add_i32 s54, s54, 16
	s_clause 0x3
	buffer_load_dword v101, v8, s[0:3], 0 offen offset:8
	buffer_load_dword v102, v8, s[0:3], 0 offen offset:12
	buffer_load_dword v103, v8, s[0:3], 0 offen
	buffer_load_dword v104, v8, s[0:3], 0 offen offset:4
	v_mov_b32_e32 v8, s53
	v_cmp_eq_u32_e32 vcc_lo, 0, v7
	s_add_i32 s53, s53, 16
	ds_read_b128 v[97:100], v8
	s_or_b32 s5, vcc_lo, s5
	s_waitcnt vmcnt(2) lgkmcnt(0)
	v_mul_f64 v[105:106], v[99:100], v[101:102]
	v_mul_f64 v[101:102], v[97:98], v[101:102]
	s_waitcnt vmcnt(0)
	v_fma_f64 v[97:98], v[97:98], v[103:104], -v[105:106]
	v_fma_f64 v[99:100], v[99:100], v[103:104], v[101:102]
	v_add_f64 v[1:2], v[1:2], v[97:98]
	v_add_f64 v[3:4], v[3:4], v[99:100]
	s_andn2_b32 exec_lo, exec_lo, s5
	s_cbranch_execnz .LBB43_312
; %bb.313:
	s_or_b32 exec_lo, exec_lo, s5
.LBB43_314:
	s_or_b32 exec_lo, exec_lo, s8
	v_mov_b32_e32 v7, 0
	ds_read_b128 v[97:100], v7 offset:64
	s_waitcnt lgkmcnt(0)
	v_mul_f64 v[7:8], v[3:4], v[99:100]
	v_mul_f64 v[99:100], v[1:2], v[99:100]
	v_fma_f64 v[1:2], v[1:2], v[97:98], -v[7:8]
	v_fma_f64 v[3:4], v[3:4], v[97:98], v[99:100]
	buffer_store_dword v2, off, s[0:3], 0 offset:68
	buffer_store_dword v1, off, s[0:3], 0 offset:64
	;; [unrolled: 1-line block ×4, first 2 shown]
.LBB43_315:
	s_or_b32 exec_lo, exec_lo, s6
	v_mov_b32_e32 v4, s49
	v_cmp_lt_u32_e64 s5, 3, v0
	s_clause 0x3
	buffer_load_dword v1, v4, s[0:3], 0 offen
	buffer_load_dword v2, v4, s[0:3], 0 offen offset:4
	buffer_load_dword v3, v4, s[0:3], 0 offen offset:8
	;; [unrolled: 1-line block ×3, first 2 shown]
	s_waitcnt vmcnt(0)
	ds_write_b128 v6, v[1:4]
	s_waitcnt lgkmcnt(0)
	s_waitcnt_vscnt null, 0x0
	s_barrier
	buffer_gl0_inv
	s_and_saveexec_b32 s6, s5
	s_cbranch_execz .LBB43_323
; %bb.316:
	ds_read_b128 v[1:4], v6
	s_andn2_b32 vcc_lo, exec_lo, s52
	s_cbranch_vccnz .LBB43_318
; %bb.317:
	s_clause 0x3
	buffer_load_dword v7, v5, s[0:3], 0 offen offset:8
	buffer_load_dword v8, v5, s[0:3], 0 offen offset:12
	buffer_load_dword v97, v5, s[0:3], 0 offen
	buffer_load_dword v98, v5, s[0:3], 0 offen offset:4
	s_waitcnt vmcnt(2) lgkmcnt(0)
	v_mul_f64 v[99:100], v[3:4], v[7:8]
	v_mul_f64 v[7:8], v[1:2], v[7:8]
	s_waitcnt vmcnt(0)
	v_fma_f64 v[1:2], v[1:2], v[97:98], -v[99:100]
	v_fma_f64 v[3:4], v[3:4], v[97:98], v[7:8]
.LBB43_318:
	s_and_saveexec_b32 s8, s4
	s_cbranch_execz .LBB43_322
; %bb.319:
	v_add_nc_u32_e32 v7, -4, v0
	s_movk_i32 s53, 0x300
	s_mov_b32 s4, 0
	s_mov_b32 s54, s48
	.p2align	6
.LBB43_320:                             ; =>This Inner Loop Header: Depth=1
	v_mov_b32_e32 v8, s54
	v_add_nc_u32_e32 v7, -1, v7
	s_add_i32 s54, s54, 16
	s_clause 0x3
	buffer_load_dword v101, v8, s[0:3], 0 offen offset:8
	buffer_load_dword v102, v8, s[0:3], 0 offen offset:12
	buffer_load_dword v103, v8, s[0:3], 0 offen
	buffer_load_dword v104, v8, s[0:3], 0 offen offset:4
	v_mov_b32_e32 v8, s53
	v_cmp_eq_u32_e32 vcc_lo, 0, v7
	s_add_i32 s53, s53, 16
	ds_read_b128 v[97:100], v8
	s_or_b32 s4, vcc_lo, s4
	s_waitcnt vmcnt(2) lgkmcnt(0)
	v_mul_f64 v[105:106], v[99:100], v[101:102]
	v_mul_f64 v[101:102], v[97:98], v[101:102]
	s_waitcnt vmcnt(0)
	v_fma_f64 v[97:98], v[97:98], v[103:104], -v[105:106]
	v_fma_f64 v[99:100], v[99:100], v[103:104], v[101:102]
	v_add_f64 v[1:2], v[1:2], v[97:98]
	v_add_f64 v[3:4], v[3:4], v[99:100]
	s_andn2_b32 exec_lo, exec_lo, s4
	s_cbranch_execnz .LBB43_320
; %bb.321:
	s_or_b32 exec_lo, exec_lo, s4
.LBB43_322:
	s_or_b32 exec_lo, exec_lo, s8
	v_mov_b32_e32 v7, 0
	ds_read_b128 v[97:100], v7 offset:48
	s_waitcnt lgkmcnt(0)
	v_mul_f64 v[7:8], v[3:4], v[99:100]
	v_mul_f64 v[99:100], v[1:2], v[99:100]
	v_fma_f64 v[1:2], v[1:2], v[97:98], -v[7:8]
	v_fma_f64 v[3:4], v[3:4], v[97:98], v[99:100]
	buffer_store_dword v2, off, s[0:3], 0 offset:52
	buffer_store_dword v1, off, s[0:3], 0 offset:48
	;; [unrolled: 1-line block ×4, first 2 shown]
.LBB43_323:
	s_or_b32 exec_lo, exec_lo, s6
	v_mov_b32_e32 v4, s51
	v_cmp_lt_u32_e64 s6, 2, v0
	s_clause 0x3
	buffer_load_dword v1, v4, s[0:3], 0 offen
	buffer_load_dword v2, v4, s[0:3], 0 offen offset:4
	buffer_load_dword v3, v4, s[0:3], 0 offen offset:8
	;; [unrolled: 1-line block ×3, first 2 shown]
	s_waitcnt vmcnt(0)
	ds_write_b128 v6, v[1:4]
	s_waitcnt lgkmcnt(0)
	s_waitcnt_vscnt null, 0x0
	s_barrier
	buffer_gl0_inv
	s_and_saveexec_b32 s4, s6
	s_cbranch_execz .LBB43_331
; %bb.324:
	ds_read_b128 v[1:4], v6
	s_andn2_b32 vcc_lo, exec_lo, s52
	s_cbranch_vccnz .LBB43_326
; %bb.325:
	s_clause 0x3
	buffer_load_dword v7, v5, s[0:3], 0 offen offset:8
	buffer_load_dword v8, v5, s[0:3], 0 offen offset:12
	buffer_load_dword v97, v5, s[0:3], 0 offen
	buffer_load_dword v98, v5, s[0:3], 0 offen offset:4
	s_waitcnt vmcnt(2) lgkmcnt(0)
	v_mul_f64 v[99:100], v[3:4], v[7:8]
	v_mul_f64 v[7:8], v[1:2], v[7:8]
	s_waitcnt vmcnt(0)
	v_fma_f64 v[1:2], v[1:2], v[97:98], -v[99:100]
	v_fma_f64 v[3:4], v[3:4], v[97:98], v[7:8]
.LBB43_326:
	s_and_saveexec_b32 s8, s5
	s_cbranch_execz .LBB43_330
; %bb.327:
	v_add_nc_u32_e32 v7, -3, v0
	s_movk_i32 s53, 0x2f0
	s_mov_b32 s5, 0
	s_mov_b32 s54, s49
	.p2align	6
.LBB43_328:                             ; =>This Inner Loop Header: Depth=1
	v_mov_b32_e32 v8, s54
	v_add_nc_u32_e32 v7, -1, v7
	s_add_i32 s54, s54, 16
	s_clause 0x3
	buffer_load_dword v101, v8, s[0:3], 0 offen offset:8
	buffer_load_dword v102, v8, s[0:3], 0 offen offset:12
	buffer_load_dword v103, v8, s[0:3], 0 offen
	buffer_load_dword v104, v8, s[0:3], 0 offen offset:4
	v_mov_b32_e32 v8, s53
	v_cmp_eq_u32_e32 vcc_lo, 0, v7
	s_add_i32 s53, s53, 16
	ds_read_b128 v[97:100], v8
	s_or_b32 s5, vcc_lo, s5
	s_waitcnt vmcnt(2) lgkmcnt(0)
	v_mul_f64 v[105:106], v[99:100], v[101:102]
	v_mul_f64 v[101:102], v[97:98], v[101:102]
	s_waitcnt vmcnt(0)
	v_fma_f64 v[97:98], v[97:98], v[103:104], -v[105:106]
	v_fma_f64 v[99:100], v[99:100], v[103:104], v[101:102]
	v_add_f64 v[1:2], v[1:2], v[97:98]
	v_add_f64 v[3:4], v[3:4], v[99:100]
	s_andn2_b32 exec_lo, exec_lo, s5
	s_cbranch_execnz .LBB43_328
; %bb.329:
	s_or_b32 exec_lo, exec_lo, s5
.LBB43_330:
	s_or_b32 exec_lo, exec_lo, s8
	v_mov_b32_e32 v7, 0
	ds_read_b128 v[97:100], v7 offset:32
	s_waitcnt lgkmcnt(0)
	v_mul_f64 v[7:8], v[3:4], v[99:100]
	v_mul_f64 v[99:100], v[1:2], v[99:100]
	v_fma_f64 v[1:2], v[1:2], v[97:98], -v[7:8]
	v_fma_f64 v[3:4], v[3:4], v[97:98], v[99:100]
	buffer_store_dword v2, off, s[0:3], 0 offset:36
	buffer_store_dword v1, off, s[0:3], 0 offset:32
	;; [unrolled: 1-line block ×4, first 2 shown]
.LBB43_331:
	s_or_b32 exec_lo, exec_lo, s4
	v_mov_b32_e32 v4, s50
	v_cmp_lt_u32_e64 s4, 1, v0
	s_clause 0x3
	buffer_load_dword v1, v4, s[0:3], 0 offen
	buffer_load_dword v2, v4, s[0:3], 0 offen offset:4
	buffer_load_dword v3, v4, s[0:3], 0 offen offset:8
	buffer_load_dword v4, v4, s[0:3], 0 offen offset:12
	s_waitcnt vmcnt(0)
	ds_write_b128 v6, v[1:4]
	s_waitcnt lgkmcnt(0)
	s_waitcnt_vscnt null, 0x0
	s_barrier
	buffer_gl0_inv
	s_and_saveexec_b32 s5, s4
	s_cbranch_execz .LBB43_339
; %bb.332:
	ds_read_b128 v[1:4], v6
	s_andn2_b32 vcc_lo, exec_lo, s52
	s_cbranch_vccnz .LBB43_334
; %bb.333:
	s_clause 0x3
	buffer_load_dword v7, v5, s[0:3], 0 offen offset:8
	buffer_load_dword v8, v5, s[0:3], 0 offen offset:12
	buffer_load_dword v97, v5, s[0:3], 0 offen
	buffer_load_dword v98, v5, s[0:3], 0 offen offset:4
	s_waitcnt vmcnt(2) lgkmcnt(0)
	v_mul_f64 v[99:100], v[3:4], v[7:8]
	v_mul_f64 v[7:8], v[1:2], v[7:8]
	s_waitcnt vmcnt(0)
	v_fma_f64 v[1:2], v[1:2], v[97:98], -v[99:100]
	v_fma_f64 v[3:4], v[3:4], v[97:98], v[7:8]
.LBB43_334:
	s_and_saveexec_b32 s8, s6
	s_cbranch_execz .LBB43_338
; %bb.335:
	v_add_nc_u32_e32 v7, -2, v0
	s_movk_i32 s53, 0x2e0
	s_mov_b32 s6, 0
	s_mov_b32 s54, s51
	.p2align	6
.LBB43_336:                             ; =>This Inner Loop Header: Depth=1
	v_mov_b32_e32 v8, s54
	v_add_nc_u32_e32 v7, -1, v7
	s_add_i32 s54, s54, 16
	s_clause 0x3
	buffer_load_dword v101, v8, s[0:3], 0 offen offset:8
	buffer_load_dword v102, v8, s[0:3], 0 offen offset:12
	buffer_load_dword v103, v8, s[0:3], 0 offen
	buffer_load_dword v104, v8, s[0:3], 0 offen offset:4
	v_mov_b32_e32 v8, s53
	v_cmp_eq_u32_e32 vcc_lo, 0, v7
	s_add_i32 s53, s53, 16
	ds_read_b128 v[97:100], v8
	s_or_b32 s6, vcc_lo, s6
	s_waitcnt vmcnt(2) lgkmcnt(0)
	v_mul_f64 v[105:106], v[99:100], v[101:102]
	v_mul_f64 v[101:102], v[97:98], v[101:102]
	s_waitcnt vmcnt(0)
	v_fma_f64 v[97:98], v[97:98], v[103:104], -v[105:106]
	v_fma_f64 v[99:100], v[99:100], v[103:104], v[101:102]
	v_add_f64 v[1:2], v[1:2], v[97:98]
	v_add_f64 v[3:4], v[3:4], v[99:100]
	s_andn2_b32 exec_lo, exec_lo, s6
	s_cbranch_execnz .LBB43_336
; %bb.337:
	s_or_b32 exec_lo, exec_lo, s6
.LBB43_338:
	s_or_b32 exec_lo, exec_lo, s8
	v_mov_b32_e32 v7, 0
	ds_read_b128 v[97:100], v7 offset:16
	s_waitcnt lgkmcnt(0)
	v_mul_f64 v[7:8], v[3:4], v[99:100]
	v_mul_f64 v[99:100], v[1:2], v[99:100]
	v_fma_f64 v[1:2], v[1:2], v[97:98], -v[7:8]
	v_fma_f64 v[3:4], v[3:4], v[97:98], v[99:100]
	buffer_store_dword v2, off, s[0:3], 0 offset:20
	buffer_store_dword v1, off, s[0:3], 0 offset:16
	;; [unrolled: 1-line block ×4, first 2 shown]
.LBB43_339:
	s_or_b32 exec_lo, exec_lo, s5
	s_clause 0x3
	buffer_load_dword v1, off, s[0:3], 0
	buffer_load_dword v2, off, s[0:3], 0 offset:4
	buffer_load_dword v3, off, s[0:3], 0 offset:8
	;; [unrolled: 1-line block ×3, first 2 shown]
	s_mov_b32 s6, 0
	s_mov_b32 s5, 0
	s_mov_b32 s8, exec_lo
                                        ; implicit-def: $sgpr53
	s_waitcnt vmcnt(0)
	ds_write_b128 v6, v[1:4]
	s_waitcnt lgkmcnt(0)
	s_waitcnt_vscnt null, 0x0
	s_barrier
	buffer_gl0_inv
                                        ; implicit-def: $vgpr1_vgpr2
	v_cmpx_ne_u32_e32 0, v0
	s_cbranch_execz .LBB43_347
; %bb.340:
	ds_read_b128 v[1:4], v6
	s_andn2_b32 vcc_lo, exec_lo, s52
	s_cbranch_vccnz .LBB43_342
; %bb.341:
	s_clause 0x3
	buffer_load_dword v7, v5, s[0:3], 0 offen offset:8
	buffer_load_dword v8, v5, s[0:3], 0 offen offset:12
	buffer_load_dword v97, v5, s[0:3], 0 offen
	buffer_load_dword v98, v5, s[0:3], 0 offen offset:4
	s_waitcnt vmcnt(2) lgkmcnt(0)
	v_mul_f64 v[99:100], v[3:4], v[7:8]
	v_mul_f64 v[7:8], v[1:2], v[7:8]
	s_waitcnt vmcnt(0)
	v_fma_f64 v[1:2], v[1:2], v[97:98], -v[99:100]
	v_fma_f64 v[3:4], v[3:4], v[97:98], v[7:8]
.LBB43_342:
	s_and_saveexec_b32 s5, s4
	s_cbranch_execz .LBB43_346
; %bb.343:
	v_add_nc_u32_e32 v7, -1, v0
	s_movk_i32 s53, 0x2d0
	s_mov_b32 s4, 0
	s_mov_b32 s54, s50
	.p2align	6
.LBB43_344:                             ; =>This Inner Loop Header: Depth=1
	v_mov_b32_e32 v8, s54
	v_add_nc_u32_e32 v7, -1, v7
	s_add_i32 s54, s54, 16
	s_clause 0x3
	buffer_load_dword v101, v8, s[0:3], 0 offen offset:8
	buffer_load_dword v102, v8, s[0:3], 0 offen offset:12
	buffer_load_dword v103, v8, s[0:3], 0 offen
	buffer_load_dword v104, v8, s[0:3], 0 offen offset:4
	v_mov_b32_e32 v8, s53
	v_cmp_eq_u32_e32 vcc_lo, 0, v7
	s_add_i32 s53, s53, 16
	ds_read_b128 v[97:100], v8
	s_or_b32 s4, vcc_lo, s4
	s_waitcnt vmcnt(2) lgkmcnt(0)
	v_mul_f64 v[105:106], v[99:100], v[101:102]
	v_mul_f64 v[101:102], v[97:98], v[101:102]
	s_waitcnt vmcnt(0)
	v_fma_f64 v[97:98], v[97:98], v[103:104], -v[105:106]
	v_fma_f64 v[99:100], v[99:100], v[103:104], v[101:102]
	v_add_f64 v[1:2], v[1:2], v[97:98]
	v_add_f64 v[3:4], v[3:4], v[99:100]
	s_andn2_b32 exec_lo, exec_lo, s4
	s_cbranch_execnz .LBB43_344
; %bb.345:
	s_or_b32 exec_lo, exec_lo, s4
.LBB43_346:
	s_or_b32 exec_lo, exec_lo, s5
	v_mov_b32_e32 v7, 0
	s_mov_b32 s5, exec_lo
	s_or_b32 s53, 0, 8
	ds_read_b128 v[97:100], v7
	s_waitcnt lgkmcnt(0)
	v_mul_f64 v[7:8], v[3:4], v[99:100]
	v_mul_f64 v[99:100], v[1:2], v[99:100]
	v_fma_f64 v[7:8], v[1:2], v[97:98], -v[7:8]
	v_fma_f64 v[1:2], v[3:4], v[97:98], v[99:100]
	buffer_store_dword v8, off, s[0:3], 0 offset:4
	buffer_store_dword v7, off, s[0:3], 0
.LBB43_347:
	s_or_b32 exec_lo, exec_lo, s8
	s_and_b32 vcc_lo, exec_lo, s6
	s_cbranch_vccnz .LBB43_349
	s_branch .LBB43_688
.LBB43_348:
	s_mov_b32 s5, 0
                                        ; implicit-def: $vgpr1_vgpr2
                                        ; implicit-def: $sgpr53
	s_cbranch_execz .LBB43_688
.LBB43_349:
	v_mov_b32_e32 v4, s50
	v_cmp_eq_u32_e64 s4, 0, v0
	v_cndmask_b32_e64 v7, 0, 1, s52
	s_clause 0x3
	buffer_load_dword v1, v4, s[0:3], 0 offen
	buffer_load_dword v2, v4, s[0:3], 0 offen offset:4
	buffer_load_dword v3, v4, s[0:3], 0 offen offset:8
	;; [unrolled: 1-line block ×3, first 2 shown]
	s_waitcnt vmcnt(0)
	ds_write_b128 v6, v[1:4]
	s_waitcnt lgkmcnt(0)
	s_waitcnt_vscnt null, 0x0
	s_barrier
	buffer_gl0_inv
	s_and_saveexec_b32 s6, s4
	s_cbranch_execz .LBB43_353
; %bb.350:
	ds_read_b128 v[1:4], v6
	s_andn2_b32 vcc_lo, exec_lo, s52
	s_cbranch_vccnz .LBB43_352
; %bb.351:
	s_clause 0x3
	buffer_load_dword v97, v5, s[0:3], 0 offen offset:8
	buffer_load_dword v98, v5, s[0:3], 0 offen offset:12
	buffer_load_dword v99, v5, s[0:3], 0 offen
	buffer_load_dword v100, v5, s[0:3], 0 offen offset:4
	s_waitcnt vmcnt(2) lgkmcnt(0)
	v_mul_f64 v[101:102], v[3:4], v[97:98]
	v_mul_f64 v[97:98], v[1:2], v[97:98]
	s_waitcnt vmcnt(0)
	v_fma_f64 v[1:2], v[1:2], v[99:100], -v[101:102]
	v_fma_f64 v[3:4], v[3:4], v[99:100], v[97:98]
.LBB43_352:
	v_mov_b32_e32 v8, 0
	ds_read_b128 v[97:100], v8 offset:16
	s_waitcnt lgkmcnt(0)
	v_mul_f64 v[101:102], v[3:4], v[99:100]
	v_mul_f64 v[99:100], v[1:2], v[99:100]
	v_fma_f64 v[1:2], v[1:2], v[97:98], -v[101:102]
	v_fma_f64 v[3:4], v[3:4], v[97:98], v[99:100]
	buffer_store_dword v2, off, s[0:3], 0 offset:20
	buffer_store_dword v1, off, s[0:3], 0 offset:16
	;; [unrolled: 1-line block ×4, first 2 shown]
.LBB43_353:
	s_or_b32 exec_lo, exec_lo, s6
	v_mov_b32_e32 v4, s51
	s_mov_b32 s6, exec_lo
	s_clause 0x3
	buffer_load_dword v1, v4, s[0:3], 0 offen
	buffer_load_dword v2, v4, s[0:3], 0 offen offset:4
	buffer_load_dword v3, v4, s[0:3], 0 offen offset:8
	;; [unrolled: 1-line block ×3, first 2 shown]
	s_waitcnt vmcnt(0)
	ds_write_b128 v6, v[1:4]
	s_waitcnt lgkmcnt(0)
	s_waitcnt_vscnt null, 0x0
	s_barrier
	buffer_gl0_inv
	v_cmpx_gt_u32_e32 2, v0
	s_cbranch_execz .LBB43_359
; %bb.354:
	ds_read_b128 v[1:4], v6
	v_cmp_ne_u32_e32 vcc_lo, 1, v7
	s_cbranch_vccnz .LBB43_356
; %bb.355:
	s_clause 0x3
	buffer_load_dword v97, v5, s[0:3], 0 offen offset:8
	buffer_load_dword v98, v5, s[0:3], 0 offen offset:12
	buffer_load_dword v99, v5, s[0:3], 0 offen
	buffer_load_dword v100, v5, s[0:3], 0 offen offset:4
	s_waitcnt vmcnt(2) lgkmcnt(0)
	v_mul_f64 v[101:102], v[3:4], v[97:98]
	v_mul_f64 v[97:98], v[1:2], v[97:98]
	s_waitcnt vmcnt(0)
	v_fma_f64 v[1:2], v[1:2], v[99:100], -v[101:102]
	v_fma_f64 v[3:4], v[3:4], v[99:100], v[97:98]
.LBB43_356:
	s_and_saveexec_b32 s8, s4
	s_cbranch_execz .LBB43_358
; %bb.357:
	s_clause 0x3
	buffer_load_dword v101, off, s[0:3], 0 offset:24
	buffer_load_dword v102, off, s[0:3], 0 offset:28
	;; [unrolled: 1-line block ×4, first 2 shown]
	v_mov_b32_e32 v8, 0
	ds_read_b128 v[97:100], v8 offset:720
	s_waitcnt vmcnt(2) lgkmcnt(0)
	v_mul_f64 v[105:106], v[99:100], v[101:102]
	v_mul_f64 v[101:102], v[97:98], v[101:102]
	s_waitcnt vmcnt(0)
	v_fma_f64 v[97:98], v[97:98], v[103:104], -v[105:106]
	v_fma_f64 v[99:100], v[99:100], v[103:104], v[101:102]
	v_add_f64 v[1:2], v[1:2], v[97:98]
	v_add_f64 v[3:4], v[3:4], v[99:100]
.LBB43_358:
	s_or_b32 exec_lo, exec_lo, s8
	v_mov_b32_e32 v8, 0
	ds_read_b128 v[97:100], v8 offset:32
	s_waitcnt lgkmcnt(0)
	v_mul_f64 v[101:102], v[3:4], v[99:100]
	v_mul_f64 v[99:100], v[1:2], v[99:100]
	v_fma_f64 v[1:2], v[1:2], v[97:98], -v[101:102]
	v_fma_f64 v[3:4], v[3:4], v[97:98], v[99:100]
	buffer_store_dword v2, off, s[0:3], 0 offset:36
	buffer_store_dword v1, off, s[0:3], 0 offset:32
	;; [unrolled: 1-line block ×4, first 2 shown]
.LBB43_359:
	s_or_b32 exec_lo, exec_lo, s6
	v_mov_b32_e32 v4, s49
	s_mov_b32 s6, exec_lo
	s_clause 0x3
	buffer_load_dword v1, v4, s[0:3], 0 offen
	buffer_load_dword v2, v4, s[0:3], 0 offen offset:4
	buffer_load_dword v3, v4, s[0:3], 0 offen offset:8
	;; [unrolled: 1-line block ×3, first 2 shown]
	s_waitcnt vmcnt(0)
	ds_write_b128 v6, v[1:4]
	s_waitcnt lgkmcnt(0)
	s_waitcnt_vscnt null, 0x0
	s_barrier
	buffer_gl0_inv
	v_cmpx_gt_u32_e32 3, v0
	s_cbranch_execz .LBB43_367
; %bb.360:
	ds_read_b128 v[1:4], v6
	v_cmp_ne_u32_e32 vcc_lo, 1, v7
	s_cbranch_vccnz .LBB43_362
; %bb.361:
	s_clause 0x3
	buffer_load_dword v97, v5, s[0:3], 0 offen offset:8
	buffer_load_dword v98, v5, s[0:3], 0 offen offset:12
	buffer_load_dword v99, v5, s[0:3], 0 offen
	buffer_load_dword v100, v5, s[0:3], 0 offen offset:4
	s_waitcnt vmcnt(2) lgkmcnt(0)
	v_mul_f64 v[101:102], v[3:4], v[97:98]
	v_mul_f64 v[97:98], v[1:2], v[97:98]
	s_waitcnt vmcnt(0)
	v_fma_f64 v[1:2], v[1:2], v[99:100], -v[101:102]
	v_fma_f64 v[3:4], v[3:4], v[99:100], v[97:98]
.LBB43_362:
	s_mov_b32 s8, exec_lo
	v_cmpx_ne_u32_e32 2, v0
	s_cbranch_execz .LBB43_366
; %bb.363:
	s_clause 0x3
	buffer_load_dword v101, v5, s[0:3], 0 offen offset:24
	buffer_load_dword v102, v5, s[0:3], 0 offen offset:28
	;; [unrolled: 1-line block ×4, first 2 shown]
	ds_read_b128 v[97:100], v6 offset:16
	s_waitcnt vmcnt(2) lgkmcnt(0)
	v_mul_f64 v[105:106], v[99:100], v[101:102]
	v_mul_f64 v[101:102], v[97:98], v[101:102]
	s_waitcnt vmcnt(0)
	v_fma_f64 v[97:98], v[97:98], v[103:104], -v[105:106]
	v_fma_f64 v[99:100], v[99:100], v[103:104], v[101:102]
	v_add_f64 v[1:2], v[1:2], v[97:98]
	v_add_f64 v[3:4], v[3:4], v[99:100]
	s_and_saveexec_b32 s52, s4
	s_cbranch_execz .LBB43_365
; %bb.364:
	s_clause 0x3
	buffer_load_dword v101, off, s[0:3], 0 offset:40
	buffer_load_dword v102, off, s[0:3], 0 offset:44
	buffer_load_dword v103, off, s[0:3], 0 offset:32
	buffer_load_dword v104, off, s[0:3], 0 offset:36
	v_mov_b32_e32 v8, 0
	ds_read_b128 v[97:100], v8 offset:736
	s_waitcnt vmcnt(2) lgkmcnt(0)
	v_mul_f64 v[105:106], v[97:98], v[101:102]
	v_mul_f64 v[101:102], v[99:100], v[101:102]
	s_waitcnt vmcnt(0)
	v_fma_f64 v[99:100], v[99:100], v[103:104], v[105:106]
	v_fma_f64 v[97:98], v[97:98], v[103:104], -v[101:102]
	v_add_f64 v[3:4], v[3:4], v[99:100]
	v_add_f64 v[1:2], v[1:2], v[97:98]
.LBB43_365:
	s_or_b32 exec_lo, exec_lo, s52
.LBB43_366:
	s_or_b32 exec_lo, exec_lo, s8
	v_mov_b32_e32 v8, 0
	ds_read_b128 v[97:100], v8 offset:48
	s_waitcnt lgkmcnt(0)
	v_mul_f64 v[101:102], v[3:4], v[99:100]
	v_mul_f64 v[99:100], v[1:2], v[99:100]
	v_fma_f64 v[1:2], v[1:2], v[97:98], -v[101:102]
	v_fma_f64 v[3:4], v[3:4], v[97:98], v[99:100]
	buffer_store_dword v2, off, s[0:3], 0 offset:52
	buffer_store_dword v1, off, s[0:3], 0 offset:48
	;; [unrolled: 1-line block ×4, first 2 shown]
.LBB43_367:
	s_or_b32 exec_lo, exec_lo, s6
	v_mov_b32_e32 v4, s48
	s_mov_b32 s4, exec_lo
	s_clause 0x3
	buffer_load_dword v1, v4, s[0:3], 0 offen
	buffer_load_dword v2, v4, s[0:3], 0 offen offset:4
	buffer_load_dword v3, v4, s[0:3], 0 offen offset:8
	;; [unrolled: 1-line block ×3, first 2 shown]
	s_waitcnt vmcnt(0)
	ds_write_b128 v6, v[1:4]
	s_waitcnt lgkmcnt(0)
	s_waitcnt_vscnt null, 0x0
	s_barrier
	buffer_gl0_inv
	v_cmpx_gt_u32_e32 4, v0
	s_cbranch_execz .LBB43_375
; %bb.368:
	ds_read_b128 v[1:4], v6
	v_cmp_ne_u32_e32 vcc_lo, 1, v7
	s_cbranch_vccnz .LBB43_370
; %bb.369:
	s_clause 0x3
	buffer_load_dword v97, v5, s[0:3], 0 offen offset:8
	buffer_load_dword v98, v5, s[0:3], 0 offen offset:12
	buffer_load_dword v99, v5, s[0:3], 0 offen
	buffer_load_dword v100, v5, s[0:3], 0 offen offset:4
	s_waitcnt vmcnt(2) lgkmcnt(0)
	v_mul_f64 v[101:102], v[3:4], v[97:98]
	v_mul_f64 v[97:98], v[1:2], v[97:98]
	s_waitcnt vmcnt(0)
	v_fma_f64 v[1:2], v[1:2], v[99:100], -v[101:102]
	v_fma_f64 v[3:4], v[3:4], v[99:100], v[97:98]
.LBB43_370:
	s_mov_b32 s6, exec_lo
	v_cmpx_ne_u32_e32 3, v0
	s_cbranch_execz .LBB43_374
; %bb.371:
	v_add_nc_u32_e32 v8, 0x2d0, v109
	v_add3_u32 v97, 0, v109, 16
	v_mov_b32_e32 v98, v0
	s_mov_b32 s8, 0
	.p2align	6
.LBB43_372:                             ; =>This Inner Loop Header: Depth=1
	s_clause 0x3
	buffer_load_dword v103, v97, s[0:3], 0 offen offset:8
	buffer_load_dword v104, v97, s[0:3], 0 offen offset:12
	buffer_load_dword v105, v97, s[0:3], 0 offen
	buffer_load_dword v106, v97, s[0:3], 0 offen offset:4
	ds_read_b128 v[99:102], v8
	v_add_nc_u32_e32 v98, 1, v98
	v_add_nc_u32_e32 v8, 16, v8
	;; [unrolled: 1-line block ×3, first 2 shown]
	v_cmp_lt_u32_e32 vcc_lo, 2, v98
	s_or_b32 s8, vcc_lo, s8
	s_waitcnt vmcnt(2) lgkmcnt(0)
	v_mul_f64 v[107:108], v[101:102], v[103:104]
	v_mul_f64 v[103:104], v[99:100], v[103:104]
	s_waitcnt vmcnt(0)
	v_fma_f64 v[99:100], v[99:100], v[105:106], -v[107:108]
	v_fma_f64 v[101:102], v[101:102], v[105:106], v[103:104]
	v_add_f64 v[1:2], v[1:2], v[99:100]
	v_add_f64 v[3:4], v[3:4], v[101:102]
	s_andn2_b32 exec_lo, exec_lo, s8
	s_cbranch_execnz .LBB43_372
; %bb.373:
	s_or_b32 exec_lo, exec_lo, s8
.LBB43_374:
	s_or_b32 exec_lo, exec_lo, s6
	v_mov_b32_e32 v8, 0
	ds_read_b128 v[97:100], v8 offset:64
	s_waitcnt lgkmcnt(0)
	v_mul_f64 v[101:102], v[3:4], v[99:100]
	v_mul_f64 v[99:100], v[1:2], v[99:100]
	v_fma_f64 v[1:2], v[1:2], v[97:98], -v[101:102]
	v_fma_f64 v[3:4], v[3:4], v[97:98], v[99:100]
	buffer_store_dword v2, off, s[0:3], 0 offset:68
	buffer_store_dword v1, off, s[0:3], 0 offset:64
	;; [unrolled: 1-line block ×4, first 2 shown]
.LBB43_375:
	s_or_b32 exec_lo, exec_lo, s4
	v_mov_b32_e32 v4, s47
	s_mov_b32 s4, exec_lo
	s_clause 0x3
	buffer_load_dword v1, v4, s[0:3], 0 offen
	buffer_load_dword v2, v4, s[0:3], 0 offen offset:4
	buffer_load_dword v3, v4, s[0:3], 0 offen offset:8
	;; [unrolled: 1-line block ×3, first 2 shown]
	s_waitcnt vmcnt(0)
	ds_write_b128 v6, v[1:4]
	s_waitcnt lgkmcnt(0)
	s_waitcnt_vscnt null, 0x0
	s_barrier
	buffer_gl0_inv
	v_cmpx_gt_u32_e32 5, v0
	s_cbranch_execz .LBB43_383
; %bb.376:
	ds_read_b128 v[1:4], v6
	v_cmp_ne_u32_e32 vcc_lo, 1, v7
	s_cbranch_vccnz .LBB43_378
; %bb.377:
	s_clause 0x3
	buffer_load_dword v97, v5, s[0:3], 0 offen offset:8
	buffer_load_dword v98, v5, s[0:3], 0 offen offset:12
	buffer_load_dword v99, v5, s[0:3], 0 offen
	buffer_load_dword v100, v5, s[0:3], 0 offen offset:4
	s_waitcnt vmcnt(2) lgkmcnt(0)
	v_mul_f64 v[101:102], v[3:4], v[97:98]
	v_mul_f64 v[97:98], v[1:2], v[97:98]
	s_waitcnt vmcnt(0)
	v_fma_f64 v[1:2], v[1:2], v[99:100], -v[101:102]
	v_fma_f64 v[3:4], v[3:4], v[99:100], v[97:98]
.LBB43_378:
	s_mov_b32 s6, exec_lo
	v_cmpx_ne_u32_e32 4, v0
	s_cbranch_execz .LBB43_382
; %bb.379:
	v_add_nc_u32_e32 v8, 0x2d0, v109
	v_add3_u32 v97, 0, v109, 16
	v_mov_b32_e32 v98, v0
	s_mov_b32 s8, 0
	.p2align	6
.LBB43_380:                             ; =>This Inner Loop Header: Depth=1
	s_clause 0x3
	buffer_load_dword v103, v97, s[0:3], 0 offen offset:8
	buffer_load_dword v104, v97, s[0:3], 0 offen offset:12
	buffer_load_dword v105, v97, s[0:3], 0 offen
	buffer_load_dword v106, v97, s[0:3], 0 offen offset:4
	ds_read_b128 v[99:102], v8
	v_add_nc_u32_e32 v98, 1, v98
	v_add_nc_u32_e32 v8, 16, v8
	;; [unrolled: 1-line block ×3, first 2 shown]
	v_cmp_lt_u32_e32 vcc_lo, 3, v98
	s_or_b32 s8, vcc_lo, s8
	s_waitcnt vmcnt(2) lgkmcnt(0)
	v_mul_f64 v[107:108], v[101:102], v[103:104]
	v_mul_f64 v[103:104], v[99:100], v[103:104]
	s_waitcnt vmcnt(0)
	v_fma_f64 v[99:100], v[99:100], v[105:106], -v[107:108]
	v_fma_f64 v[101:102], v[101:102], v[105:106], v[103:104]
	v_add_f64 v[1:2], v[1:2], v[99:100]
	v_add_f64 v[3:4], v[3:4], v[101:102]
	s_andn2_b32 exec_lo, exec_lo, s8
	s_cbranch_execnz .LBB43_380
; %bb.381:
	s_or_b32 exec_lo, exec_lo, s8
.LBB43_382:
	s_or_b32 exec_lo, exec_lo, s6
	v_mov_b32_e32 v8, 0
	ds_read_b128 v[97:100], v8 offset:80
	s_waitcnt lgkmcnt(0)
	v_mul_f64 v[101:102], v[3:4], v[99:100]
	v_mul_f64 v[99:100], v[1:2], v[99:100]
	v_fma_f64 v[1:2], v[1:2], v[97:98], -v[101:102]
	v_fma_f64 v[3:4], v[3:4], v[97:98], v[99:100]
	buffer_store_dword v2, off, s[0:3], 0 offset:84
	buffer_store_dword v1, off, s[0:3], 0 offset:80
	buffer_store_dword v4, off, s[0:3], 0 offset:92
	buffer_store_dword v3, off, s[0:3], 0 offset:88
.LBB43_383:
	s_or_b32 exec_lo, exec_lo, s4
	v_mov_b32_e32 v4, s46
	s_mov_b32 s4, exec_lo
	s_clause 0x3
	buffer_load_dword v1, v4, s[0:3], 0 offen
	buffer_load_dword v2, v4, s[0:3], 0 offen offset:4
	buffer_load_dword v3, v4, s[0:3], 0 offen offset:8
	;; [unrolled: 1-line block ×3, first 2 shown]
	s_waitcnt vmcnt(0)
	ds_write_b128 v6, v[1:4]
	s_waitcnt lgkmcnt(0)
	s_waitcnt_vscnt null, 0x0
	s_barrier
	buffer_gl0_inv
	v_cmpx_gt_u32_e32 6, v0
	s_cbranch_execz .LBB43_391
; %bb.384:
	ds_read_b128 v[1:4], v6
	v_cmp_ne_u32_e32 vcc_lo, 1, v7
	s_cbranch_vccnz .LBB43_386
; %bb.385:
	s_clause 0x3
	buffer_load_dword v97, v5, s[0:3], 0 offen offset:8
	buffer_load_dword v98, v5, s[0:3], 0 offen offset:12
	buffer_load_dword v99, v5, s[0:3], 0 offen
	buffer_load_dword v100, v5, s[0:3], 0 offen offset:4
	s_waitcnt vmcnt(2) lgkmcnt(0)
	v_mul_f64 v[101:102], v[3:4], v[97:98]
	v_mul_f64 v[97:98], v[1:2], v[97:98]
	s_waitcnt vmcnt(0)
	v_fma_f64 v[1:2], v[1:2], v[99:100], -v[101:102]
	v_fma_f64 v[3:4], v[3:4], v[99:100], v[97:98]
.LBB43_386:
	s_mov_b32 s6, exec_lo
	v_cmpx_ne_u32_e32 5, v0
	s_cbranch_execz .LBB43_390
; %bb.387:
	v_add_nc_u32_e32 v8, 0x2d0, v109
	v_add3_u32 v97, 0, v109, 16
	v_mov_b32_e32 v98, v0
	s_mov_b32 s8, 0
	.p2align	6
.LBB43_388:                             ; =>This Inner Loop Header: Depth=1
	s_clause 0x3
	buffer_load_dword v103, v97, s[0:3], 0 offen offset:8
	buffer_load_dword v104, v97, s[0:3], 0 offen offset:12
	buffer_load_dword v105, v97, s[0:3], 0 offen
	buffer_load_dword v106, v97, s[0:3], 0 offen offset:4
	ds_read_b128 v[99:102], v8
	v_add_nc_u32_e32 v98, 1, v98
	v_add_nc_u32_e32 v8, 16, v8
	;; [unrolled: 1-line block ×3, first 2 shown]
	v_cmp_lt_u32_e32 vcc_lo, 4, v98
	s_or_b32 s8, vcc_lo, s8
	s_waitcnt vmcnt(2) lgkmcnt(0)
	v_mul_f64 v[107:108], v[101:102], v[103:104]
	v_mul_f64 v[103:104], v[99:100], v[103:104]
	s_waitcnt vmcnt(0)
	v_fma_f64 v[99:100], v[99:100], v[105:106], -v[107:108]
	v_fma_f64 v[101:102], v[101:102], v[105:106], v[103:104]
	v_add_f64 v[1:2], v[1:2], v[99:100]
	v_add_f64 v[3:4], v[3:4], v[101:102]
	s_andn2_b32 exec_lo, exec_lo, s8
	s_cbranch_execnz .LBB43_388
; %bb.389:
	s_or_b32 exec_lo, exec_lo, s8
.LBB43_390:
	s_or_b32 exec_lo, exec_lo, s6
	v_mov_b32_e32 v8, 0
	ds_read_b128 v[97:100], v8 offset:96
	s_waitcnt lgkmcnt(0)
	v_mul_f64 v[101:102], v[3:4], v[99:100]
	v_mul_f64 v[99:100], v[1:2], v[99:100]
	v_fma_f64 v[1:2], v[1:2], v[97:98], -v[101:102]
	v_fma_f64 v[3:4], v[3:4], v[97:98], v[99:100]
	buffer_store_dword v2, off, s[0:3], 0 offset:100
	buffer_store_dword v1, off, s[0:3], 0 offset:96
	;; [unrolled: 1-line block ×4, first 2 shown]
.LBB43_391:
	s_or_b32 exec_lo, exec_lo, s4
	v_mov_b32_e32 v4, s45
	s_mov_b32 s4, exec_lo
	s_clause 0x3
	buffer_load_dword v1, v4, s[0:3], 0 offen
	buffer_load_dword v2, v4, s[0:3], 0 offen offset:4
	buffer_load_dword v3, v4, s[0:3], 0 offen offset:8
	;; [unrolled: 1-line block ×3, first 2 shown]
	s_waitcnt vmcnt(0)
	ds_write_b128 v6, v[1:4]
	s_waitcnt lgkmcnt(0)
	s_waitcnt_vscnt null, 0x0
	s_barrier
	buffer_gl0_inv
	v_cmpx_gt_u32_e32 7, v0
	s_cbranch_execz .LBB43_399
; %bb.392:
	ds_read_b128 v[1:4], v6
	v_cmp_ne_u32_e32 vcc_lo, 1, v7
	s_cbranch_vccnz .LBB43_394
; %bb.393:
	s_clause 0x3
	buffer_load_dword v97, v5, s[0:3], 0 offen offset:8
	buffer_load_dword v98, v5, s[0:3], 0 offen offset:12
	buffer_load_dword v99, v5, s[0:3], 0 offen
	buffer_load_dword v100, v5, s[0:3], 0 offen offset:4
	s_waitcnt vmcnt(2) lgkmcnt(0)
	v_mul_f64 v[101:102], v[3:4], v[97:98]
	v_mul_f64 v[97:98], v[1:2], v[97:98]
	s_waitcnt vmcnt(0)
	v_fma_f64 v[1:2], v[1:2], v[99:100], -v[101:102]
	v_fma_f64 v[3:4], v[3:4], v[99:100], v[97:98]
.LBB43_394:
	s_mov_b32 s6, exec_lo
	v_cmpx_ne_u32_e32 6, v0
	s_cbranch_execz .LBB43_398
; %bb.395:
	v_add_nc_u32_e32 v8, 0x2d0, v109
	v_add3_u32 v97, 0, v109, 16
	v_mov_b32_e32 v98, v0
	s_mov_b32 s8, 0
	.p2align	6
.LBB43_396:                             ; =>This Inner Loop Header: Depth=1
	s_clause 0x3
	buffer_load_dword v103, v97, s[0:3], 0 offen offset:8
	buffer_load_dword v104, v97, s[0:3], 0 offen offset:12
	buffer_load_dword v105, v97, s[0:3], 0 offen
	buffer_load_dword v106, v97, s[0:3], 0 offen offset:4
	ds_read_b128 v[99:102], v8
	v_add_nc_u32_e32 v98, 1, v98
	v_add_nc_u32_e32 v8, 16, v8
	;; [unrolled: 1-line block ×3, first 2 shown]
	v_cmp_lt_u32_e32 vcc_lo, 5, v98
	s_or_b32 s8, vcc_lo, s8
	s_waitcnt vmcnt(2) lgkmcnt(0)
	v_mul_f64 v[107:108], v[101:102], v[103:104]
	v_mul_f64 v[103:104], v[99:100], v[103:104]
	s_waitcnt vmcnt(0)
	v_fma_f64 v[99:100], v[99:100], v[105:106], -v[107:108]
	v_fma_f64 v[101:102], v[101:102], v[105:106], v[103:104]
	v_add_f64 v[1:2], v[1:2], v[99:100]
	v_add_f64 v[3:4], v[3:4], v[101:102]
	s_andn2_b32 exec_lo, exec_lo, s8
	s_cbranch_execnz .LBB43_396
; %bb.397:
	s_or_b32 exec_lo, exec_lo, s8
.LBB43_398:
	s_or_b32 exec_lo, exec_lo, s6
	v_mov_b32_e32 v8, 0
	ds_read_b128 v[97:100], v8 offset:112
	s_waitcnt lgkmcnt(0)
	v_mul_f64 v[101:102], v[3:4], v[99:100]
	v_mul_f64 v[99:100], v[1:2], v[99:100]
	v_fma_f64 v[1:2], v[1:2], v[97:98], -v[101:102]
	v_fma_f64 v[3:4], v[3:4], v[97:98], v[99:100]
	buffer_store_dword v2, off, s[0:3], 0 offset:116
	buffer_store_dword v1, off, s[0:3], 0 offset:112
	;; [unrolled: 1-line block ×4, first 2 shown]
.LBB43_399:
	s_or_b32 exec_lo, exec_lo, s4
	v_mov_b32_e32 v4, s44
	s_mov_b32 s4, exec_lo
	s_clause 0x3
	buffer_load_dword v1, v4, s[0:3], 0 offen
	buffer_load_dword v2, v4, s[0:3], 0 offen offset:4
	buffer_load_dword v3, v4, s[0:3], 0 offen offset:8
	;; [unrolled: 1-line block ×3, first 2 shown]
	s_waitcnt vmcnt(0)
	ds_write_b128 v6, v[1:4]
	s_waitcnt lgkmcnt(0)
	s_waitcnt_vscnt null, 0x0
	s_barrier
	buffer_gl0_inv
	v_cmpx_gt_u32_e32 8, v0
	s_cbranch_execz .LBB43_407
; %bb.400:
	ds_read_b128 v[1:4], v6
	v_cmp_ne_u32_e32 vcc_lo, 1, v7
	s_cbranch_vccnz .LBB43_402
; %bb.401:
	s_clause 0x3
	buffer_load_dword v97, v5, s[0:3], 0 offen offset:8
	buffer_load_dword v98, v5, s[0:3], 0 offen offset:12
	buffer_load_dword v99, v5, s[0:3], 0 offen
	buffer_load_dword v100, v5, s[0:3], 0 offen offset:4
	s_waitcnt vmcnt(2) lgkmcnt(0)
	v_mul_f64 v[101:102], v[3:4], v[97:98]
	v_mul_f64 v[97:98], v[1:2], v[97:98]
	s_waitcnt vmcnt(0)
	v_fma_f64 v[1:2], v[1:2], v[99:100], -v[101:102]
	v_fma_f64 v[3:4], v[3:4], v[99:100], v[97:98]
.LBB43_402:
	s_mov_b32 s6, exec_lo
	v_cmpx_ne_u32_e32 7, v0
	s_cbranch_execz .LBB43_406
; %bb.403:
	v_add_nc_u32_e32 v8, 0x2d0, v109
	v_add3_u32 v97, 0, v109, 16
	v_mov_b32_e32 v98, v0
	s_mov_b32 s8, 0
	.p2align	6
.LBB43_404:                             ; =>This Inner Loop Header: Depth=1
	s_clause 0x3
	buffer_load_dword v103, v97, s[0:3], 0 offen offset:8
	buffer_load_dword v104, v97, s[0:3], 0 offen offset:12
	buffer_load_dword v105, v97, s[0:3], 0 offen
	buffer_load_dword v106, v97, s[0:3], 0 offen offset:4
	ds_read_b128 v[99:102], v8
	v_add_nc_u32_e32 v98, 1, v98
	v_add_nc_u32_e32 v8, 16, v8
	;; [unrolled: 1-line block ×3, first 2 shown]
	v_cmp_lt_u32_e32 vcc_lo, 6, v98
	s_or_b32 s8, vcc_lo, s8
	s_waitcnt vmcnt(2) lgkmcnt(0)
	v_mul_f64 v[107:108], v[101:102], v[103:104]
	v_mul_f64 v[103:104], v[99:100], v[103:104]
	s_waitcnt vmcnt(0)
	v_fma_f64 v[99:100], v[99:100], v[105:106], -v[107:108]
	v_fma_f64 v[101:102], v[101:102], v[105:106], v[103:104]
	v_add_f64 v[1:2], v[1:2], v[99:100]
	v_add_f64 v[3:4], v[3:4], v[101:102]
	s_andn2_b32 exec_lo, exec_lo, s8
	s_cbranch_execnz .LBB43_404
; %bb.405:
	s_or_b32 exec_lo, exec_lo, s8
.LBB43_406:
	s_or_b32 exec_lo, exec_lo, s6
	v_mov_b32_e32 v8, 0
	ds_read_b128 v[97:100], v8 offset:128
	s_waitcnt lgkmcnt(0)
	v_mul_f64 v[101:102], v[3:4], v[99:100]
	v_mul_f64 v[99:100], v[1:2], v[99:100]
	v_fma_f64 v[1:2], v[1:2], v[97:98], -v[101:102]
	v_fma_f64 v[3:4], v[3:4], v[97:98], v[99:100]
	buffer_store_dword v2, off, s[0:3], 0 offset:132
	buffer_store_dword v1, off, s[0:3], 0 offset:128
	;; [unrolled: 1-line block ×4, first 2 shown]
.LBB43_407:
	s_or_b32 exec_lo, exec_lo, s4
	v_mov_b32_e32 v4, s43
	s_mov_b32 s4, exec_lo
	s_clause 0x3
	buffer_load_dword v1, v4, s[0:3], 0 offen
	buffer_load_dword v2, v4, s[0:3], 0 offen offset:4
	buffer_load_dword v3, v4, s[0:3], 0 offen offset:8
	;; [unrolled: 1-line block ×3, first 2 shown]
	s_waitcnt vmcnt(0)
	ds_write_b128 v6, v[1:4]
	s_waitcnt lgkmcnt(0)
	s_waitcnt_vscnt null, 0x0
	s_barrier
	buffer_gl0_inv
	v_cmpx_gt_u32_e32 9, v0
	s_cbranch_execz .LBB43_415
; %bb.408:
	ds_read_b128 v[1:4], v6
	v_cmp_ne_u32_e32 vcc_lo, 1, v7
	s_cbranch_vccnz .LBB43_410
; %bb.409:
	s_clause 0x3
	buffer_load_dword v97, v5, s[0:3], 0 offen offset:8
	buffer_load_dword v98, v5, s[0:3], 0 offen offset:12
	buffer_load_dword v99, v5, s[0:3], 0 offen
	buffer_load_dword v100, v5, s[0:3], 0 offen offset:4
	s_waitcnt vmcnt(2) lgkmcnt(0)
	v_mul_f64 v[101:102], v[3:4], v[97:98]
	v_mul_f64 v[97:98], v[1:2], v[97:98]
	s_waitcnt vmcnt(0)
	v_fma_f64 v[1:2], v[1:2], v[99:100], -v[101:102]
	v_fma_f64 v[3:4], v[3:4], v[99:100], v[97:98]
.LBB43_410:
	s_mov_b32 s6, exec_lo
	v_cmpx_ne_u32_e32 8, v0
	s_cbranch_execz .LBB43_414
; %bb.411:
	v_add_nc_u32_e32 v8, 0x2d0, v109
	v_add3_u32 v97, 0, v109, 16
	v_mov_b32_e32 v98, v0
	s_mov_b32 s8, 0
	.p2align	6
.LBB43_412:                             ; =>This Inner Loop Header: Depth=1
	s_clause 0x3
	buffer_load_dword v103, v97, s[0:3], 0 offen offset:8
	buffer_load_dword v104, v97, s[0:3], 0 offen offset:12
	buffer_load_dword v105, v97, s[0:3], 0 offen
	buffer_load_dword v106, v97, s[0:3], 0 offen offset:4
	ds_read_b128 v[99:102], v8
	v_add_nc_u32_e32 v98, 1, v98
	v_add_nc_u32_e32 v8, 16, v8
	;; [unrolled: 1-line block ×3, first 2 shown]
	v_cmp_lt_u32_e32 vcc_lo, 7, v98
	s_or_b32 s8, vcc_lo, s8
	s_waitcnt vmcnt(2) lgkmcnt(0)
	v_mul_f64 v[107:108], v[101:102], v[103:104]
	v_mul_f64 v[103:104], v[99:100], v[103:104]
	s_waitcnt vmcnt(0)
	v_fma_f64 v[99:100], v[99:100], v[105:106], -v[107:108]
	v_fma_f64 v[101:102], v[101:102], v[105:106], v[103:104]
	v_add_f64 v[1:2], v[1:2], v[99:100]
	v_add_f64 v[3:4], v[3:4], v[101:102]
	s_andn2_b32 exec_lo, exec_lo, s8
	s_cbranch_execnz .LBB43_412
; %bb.413:
	s_or_b32 exec_lo, exec_lo, s8
.LBB43_414:
	s_or_b32 exec_lo, exec_lo, s6
	v_mov_b32_e32 v8, 0
	ds_read_b128 v[97:100], v8 offset:144
	s_waitcnt lgkmcnt(0)
	v_mul_f64 v[101:102], v[3:4], v[99:100]
	v_mul_f64 v[99:100], v[1:2], v[99:100]
	v_fma_f64 v[1:2], v[1:2], v[97:98], -v[101:102]
	v_fma_f64 v[3:4], v[3:4], v[97:98], v[99:100]
	buffer_store_dword v2, off, s[0:3], 0 offset:148
	buffer_store_dword v1, off, s[0:3], 0 offset:144
	;; [unrolled: 1-line block ×4, first 2 shown]
.LBB43_415:
	s_or_b32 exec_lo, exec_lo, s4
	v_mov_b32_e32 v4, s42
	s_mov_b32 s4, exec_lo
	s_clause 0x3
	buffer_load_dword v1, v4, s[0:3], 0 offen
	buffer_load_dword v2, v4, s[0:3], 0 offen offset:4
	buffer_load_dword v3, v4, s[0:3], 0 offen offset:8
	;; [unrolled: 1-line block ×3, first 2 shown]
	s_waitcnt vmcnt(0)
	ds_write_b128 v6, v[1:4]
	s_waitcnt lgkmcnt(0)
	s_waitcnt_vscnt null, 0x0
	s_barrier
	buffer_gl0_inv
	v_cmpx_gt_u32_e32 10, v0
	s_cbranch_execz .LBB43_423
; %bb.416:
	ds_read_b128 v[1:4], v6
	v_cmp_ne_u32_e32 vcc_lo, 1, v7
	s_cbranch_vccnz .LBB43_418
; %bb.417:
	s_clause 0x3
	buffer_load_dword v97, v5, s[0:3], 0 offen offset:8
	buffer_load_dword v98, v5, s[0:3], 0 offen offset:12
	buffer_load_dword v99, v5, s[0:3], 0 offen
	buffer_load_dword v100, v5, s[0:3], 0 offen offset:4
	s_waitcnt vmcnt(2) lgkmcnt(0)
	v_mul_f64 v[101:102], v[3:4], v[97:98]
	v_mul_f64 v[97:98], v[1:2], v[97:98]
	s_waitcnt vmcnt(0)
	v_fma_f64 v[1:2], v[1:2], v[99:100], -v[101:102]
	v_fma_f64 v[3:4], v[3:4], v[99:100], v[97:98]
.LBB43_418:
	s_mov_b32 s6, exec_lo
	v_cmpx_ne_u32_e32 9, v0
	s_cbranch_execz .LBB43_422
; %bb.419:
	v_add_nc_u32_e32 v8, 0x2d0, v109
	v_add3_u32 v97, 0, v109, 16
	v_mov_b32_e32 v98, v0
	s_mov_b32 s8, 0
	.p2align	6
.LBB43_420:                             ; =>This Inner Loop Header: Depth=1
	s_clause 0x3
	buffer_load_dword v103, v97, s[0:3], 0 offen offset:8
	buffer_load_dword v104, v97, s[0:3], 0 offen offset:12
	buffer_load_dword v105, v97, s[0:3], 0 offen
	buffer_load_dword v106, v97, s[0:3], 0 offen offset:4
	ds_read_b128 v[99:102], v8
	v_add_nc_u32_e32 v98, 1, v98
	v_add_nc_u32_e32 v8, 16, v8
	v_add_nc_u32_e32 v97, 16, v97
	v_cmp_lt_u32_e32 vcc_lo, 8, v98
	s_or_b32 s8, vcc_lo, s8
	s_waitcnt vmcnt(2) lgkmcnt(0)
	v_mul_f64 v[107:108], v[101:102], v[103:104]
	v_mul_f64 v[103:104], v[99:100], v[103:104]
	s_waitcnt vmcnt(0)
	v_fma_f64 v[99:100], v[99:100], v[105:106], -v[107:108]
	v_fma_f64 v[101:102], v[101:102], v[105:106], v[103:104]
	v_add_f64 v[1:2], v[1:2], v[99:100]
	v_add_f64 v[3:4], v[3:4], v[101:102]
	s_andn2_b32 exec_lo, exec_lo, s8
	s_cbranch_execnz .LBB43_420
; %bb.421:
	s_or_b32 exec_lo, exec_lo, s8
.LBB43_422:
	s_or_b32 exec_lo, exec_lo, s6
	v_mov_b32_e32 v8, 0
	ds_read_b128 v[97:100], v8 offset:160
	s_waitcnt lgkmcnt(0)
	v_mul_f64 v[101:102], v[3:4], v[99:100]
	v_mul_f64 v[99:100], v[1:2], v[99:100]
	v_fma_f64 v[1:2], v[1:2], v[97:98], -v[101:102]
	v_fma_f64 v[3:4], v[3:4], v[97:98], v[99:100]
	buffer_store_dword v2, off, s[0:3], 0 offset:164
	buffer_store_dword v1, off, s[0:3], 0 offset:160
	;; [unrolled: 1-line block ×4, first 2 shown]
.LBB43_423:
	s_or_b32 exec_lo, exec_lo, s4
	v_mov_b32_e32 v4, s41
	s_mov_b32 s4, exec_lo
	s_clause 0x3
	buffer_load_dword v1, v4, s[0:3], 0 offen
	buffer_load_dword v2, v4, s[0:3], 0 offen offset:4
	buffer_load_dword v3, v4, s[0:3], 0 offen offset:8
	;; [unrolled: 1-line block ×3, first 2 shown]
	s_waitcnt vmcnt(0)
	ds_write_b128 v6, v[1:4]
	s_waitcnt lgkmcnt(0)
	s_waitcnt_vscnt null, 0x0
	s_barrier
	buffer_gl0_inv
	v_cmpx_gt_u32_e32 11, v0
	s_cbranch_execz .LBB43_431
; %bb.424:
	ds_read_b128 v[1:4], v6
	v_cmp_ne_u32_e32 vcc_lo, 1, v7
	s_cbranch_vccnz .LBB43_426
; %bb.425:
	s_clause 0x3
	buffer_load_dword v97, v5, s[0:3], 0 offen offset:8
	buffer_load_dword v98, v5, s[0:3], 0 offen offset:12
	buffer_load_dword v99, v5, s[0:3], 0 offen
	buffer_load_dword v100, v5, s[0:3], 0 offen offset:4
	s_waitcnt vmcnt(2) lgkmcnt(0)
	v_mul_f64 v[101:102], v[3:4], v[97:98]
	v_mul_f64 v[97:98], v[1:2], v[97:98]
	s_waitcnt vmcnt(0)
	v_fma_f64 v[1:2], v[1:2], v[99:100], -v[101:102]
	v_fma_f64 v[3:4], v[3:4], v[99:100], v[97:98]
.LBB43_426:
	s_mov_b32 s6, exec_lo
	v_cmpx_ne_u32_e32 10, v0
	s_cbranch_execz .LBB43_430
; %bb.427:
	v_add_nc_u32_e32 v8, 0x2d0, v109
	v_add3_u32 v97, 0, v109, 16
	v_mov_b32_e32 v98, v0
	s_mov_b32 s8, 0
	.p2align	6
.LBB43_428:                             ; =>This Inner Loop Header: Depth=1
	s_clause 0x3
	buffer_load_dword v103, v97, s[0:3], 0 offen offset:8
	buffer_load_dword v104, v97, s[0:3], 0 offen offset:12
	buffer_load_dword v105, v97, s[0:3], 0 offen
	buffer_load_dword v106, v97, s[0:3], 0 offen offset:4
	ds_read_b128 v[99:102], v8
	v_add_nc_u32_e32 v98, 1, v98
	v_add_nc_u32_e32 v8, 16, v8
	;; [unrolled: 1-line block ×3, first 2 shown]
	v_cmp_lt_u32_e32 vcc_lo, 9, v98
	s_or_b32 s8, vcc_lo, s8
	s_waitcnt vmcnt(2) lgkmcnt(0)
	v_mul_f64 v[107:108], v[101:102], v[103:104]
	v_mul_f64 v[103:104], v[99:100], v[103:104]
	s_waitcnt vmcnt(0)
	v_fma_f64 v[99:100], v[99:100], v[105:106], -v[107:108]
	v_fma_f64 v[101:102], v[101:102], v[105:106], v[103:104]
	v_add_f64 v[1:2], v[1:2], v[99:100]
	v_add_f64 v[3:4], v[3:4], v[101:102]
	s_andn2_b32 exec_lo, exec_lo, s8
	s_cbranch_execnz .LBB43_428
; %bb.429:
	s_or_b32 exec_lo, exec_lo, s8
.LBB43_430:
	s_or_b32 exec_lo, exec_lo, s6
	v_mov_b32_e32 v8, 0
	ds_read_b128 v[97:100], v8 offset:176
	s_waitcnt lgkmcnt(0)
	v_mul_f64 v[101:102], v[3:4], v[99:100]
	v_mul_f64 v[99:100], v[1:2], v[99:100]
	v_fma_f64 v[1:2], v[1:2], v[97:98], -v[101:102]
	v_fma_f64 v[3:4], v[3:4], v[97:98], v[99:100]
	buffer_store_dword v2, off, s[0:3], 0 offset:180
	buffer_store_dword v1, off, s[0:3], 0 offset:176
	buffer_store_dword v4, off, s[0:3], 0 offset:188
	buffer_store_dword v3, off, s[0:3], 0 offset:184
.LBB43_431:
	s_or_b32 exec_lo, exec_lo, s4
	v_mov_b32_e32 v4, s40
	s_mov_b32 s4, exec_lo
	s_clause 0x3
	buffer_load_dword v1, v4, s[0:3], 0 offen
	buffer_load_dword v2, v4, s[0:3], 0 offen offset:4
	buffer_load_dword v3, v4, s[0:3], 0 offen offset:8
	;; [unrolled: 1-line block ×3, first 2 shown]
	s_waitcnt vmcnt(0)
	ds_write_b128 v6, v[1:4]
	s_waitcnt lgkmcnt(0)
	s_waitcnt_vscnt null, 0x0
	s_barrier
	buffer_gl0_inv
	v_cmpx_gt_u32_e32 12, v0
	s_cbranch_execz .LBB43_439
; %bb.432:
	ds_read_b128 v[1:4], v6
	v_cmp_ne_u32_e32 vcc_lo, 1, v7
	s_cbranch_vccnz .LBB43_434
; %bb.433:
	s_clause 0x3
	buffer_load_dword v97, v5, s[0:3], 0 offen offset:8
	buffer_load_dword v98, v5, s[0:3], 0 offen offset:12
	buffer_load_dword v99, v5, s[0:3], 0 offen
	buffer_load_dword v100, v5, s[0:3], 0 offen offset:4
	s_waitcnt vmcnt(2) lgkmcnt(0)
	v_mul_f64 v[101:102], v[3:4], v[97:98]
	v_mul_f64 v[97:98], v[1:2], v[97:98]
	s_waitcnt vmcnt(0)
	v_fma_f64 v[1:2], v[1:2], v[99:100], -v[101:102]
	v_fma_f64 v[3:4], v[3:4], v[99:100], v[97:98]
.LBB43_434:
	s_mov_b32 s6, exec_lo
	v_cmpx_ne_u32_e32 11, v0
	s_cbranch_execz .LBB43_438
; %bb.435:
	v_add_nc_u32_e32 v8, 0x2d0, v109
	v_add3_u32 v97, 0, v109, 16
	v_mov_b32_e32 v98, v0
	s_mov_b32 s8, 0
	.p2align	6
.LBB43_436:                             ; =>This Inner Loop Header: Depth=1
	s_clause 0x3
	buffer_load_dword v103, v97, s[0:3], 0 offen offset:8
	buffer_load_dword v104, v97, s[0:3], 0 offen offset:12
	buffer_load_dword v105, v97, s[0:3], 0 offen
	buffer_load_dword v106, v97, s[0:3], 0 offen offset:4
	ds_read_b128 v[99:102], v8
	v_add_nc_u32_e32 v98, 1, v98
	v_add_nc_u32_e32 v8, 16, v8
	v_add_nc_u32_e32 v97, 16, v97
	v_cmp_lt_u32_e32 vcc_lo, 10, v98
	s_or_b32 s8, vcc_lo, s8
	s_waitcnt vmcnt(2) lgkmcnt(0)
	v_mul_f64 v[107:108], v[101:102], v[103:104]
	v_mul_f64 v[103:104], v[99:100], v[103:104]
	s_waitcnt vmcnt(0)
	v_fma_f64 v[99:100], v[99:100], v[105:106], -v[107:108]
	v_fma_f64 v[101:102], v[101:102], v[105:106], v[103:104]
	v_add_f64 v[1:2], v[1:2], v[99:100]
	v_add_f64 v[3:4], v[3:4], v[101:102]
	s_andn2_b32 exec_lo, exec_lo, s8
	s_cbranch_execnz .LBB43_436
; %bb.437:
	s_or_b32 exec_lo, exec_lo, s8
.LBB43_438:
	s_or_b32 exec_lo, exec_lo, s6
	v_mov_b32_e32 v8, 0
	ds_read_b128 v[97:100], v8 offset:192
	s_waitcnt lgkmcnt(0)
	v_mul_f64 v[101:102], v[3:4], v[99:100]
	v_mul_f64 v[99:100], v[1:2], v[99:100]
	v_fma_f64 v[1:2], v[1:2], v[97:98], -v[101:102]
	v_fma_f64 v[3:4], v[3:4], v[97:98], v[99:100]
	buffer_store_dword v2, off, s[0:3], 0 offset:196
	buffer_store_dword v1, off, s[0:3], 0 offset:192
	;; [unrolled: 1-line block ×4, first 2 shown]
.LBB43_439:
	s_or_b32 exec_lo, exec_lo, s4
	v_mov_b32_e32 v4, s39
	s_mov_b32 s4, exec_lo
	s_clause 0x3
	buffer_load_dword v1, v4, s[0:3], 0 offen
	buffer_load_dword v2, v4, s[0:3], 0 offen offset:4
	buffer_load_dword v3, v4, s[0:3], 0 offen offset:8
	;; [unrolled: 1-line block ×3, first 2 shown]
	s_waitcnt vmcnt(0)
	ds_write_b128 v6, v[1:4]
	s_waitcnt lgkmcnt(0)
	s_waitcnt_vscnt null, 0x0
	s_barrier
	buffer_gl0_inv
	v_cmpx_gt_u32_e32 13, v0
	s_cbranch_execz .LBB43_447
; %bb.440:
	ds_read_b128 v[1:4], v6
	v_cmp_ne_u32_e32 vcc_lo, 1, v7
	s_cbranch_vccnz .LBB43_442
; %bb.441:
	s_clause 0x3
	buffer_load_dword v97, v5, s[0:3], 0 offen offset:8
	buffer_load_dword v98, v5, s[0:3], 0 offen offset:12
	buffer_load_dword v99, v5, s[0:3], 0 offen
	buffer_load_dword v100, v5, s[0:3], 0 offen offset:4
	s_waitcnt vmcnt(2) lgkmcnt(0)
	v_mul_f64 v[101:102], v[3:4], v[97:98]
	v_mul_f64 v[97:98], v[1:2], v[97:98]
	s_waitcnt vmcnt(0)
	v_fma_f64 v[1:2], v[1:2], v[99:100], -v[101:102]
	v_fma_f64 v[3:4], v[3:4], v[99:100], v[97:98]
.LBB43_442:
	s_mov_b32 s6, exec_lo
	v_cmpx_ne_u32_e32 12, v0
	s_cbranch_execz .LBB43_446
; %bb.443:
	v_add_nc_u32_e32 v8, 0x2d0, v109
	v_add3_u32 v97, 0, v109, 16
	v_mov_b32_e32 v98, v0
	s_mov_b32 s8, 0
	.p2align	6
.LBB43_444:                             ; =>This Inner Loop Header: Depth=1
	s_clause 0x3
	buffer_load_dword v103, v97, s[0:3], 0 offen offset:8
	buffer_load_dword v104, v97, s[0:3], 0 offen offset:12
	buffer_load_dword v105, v97, s[0:3], 0 offen
	buffer_load_dword v106, v97, s[0:3], 0 offen offset:4
	ds_read_b128 v[99:102], v8
	v_add_nc_u32_e32 v98, 1, v98
	v_add_nc_u32_e32 v8, 16, v8
	;; [unrolled: 1-line block ×3, first 2 shown]
	v_cmp_lt_u32_e32 vcc_lo, 11, v98
	s_or_b32 s8, vcc_lo, s8
	s_waitcnt vmcnt(2) lgkmcnt(0)
	v_mul_f64 v[107:108], v[101:102], v[103:104]
	v_mul_f64 v[103:104], v[99:100], v[103:104]
	s_waitcnt vmcnt(0)
	v_fma_f64 v[99:100], v[99:100], v[105:106], -v[107:108]
	v_fma_f64 v[101:102], v[101:102], v[105:106], v[103:104]
	v_add_f64 v[1:2], v[1:2], v[99:100]
	v_add_f64 v[3:4], v[3:4], v[101:102]
	s_andn2_b32 exec_lo, exec_lo, s8
	s_cbranch_execnz .LBB43_444
; %bb.445:
	s_or_b32 exec_lo, exec_lo, s8
.LBB43_446:
	s_or_b32 exec_lo, exec_lo, s6
	v_mov_b32_e32 v8, 0
	ds_read_b128 v[97:100], v8 offset:208
	s_waitcnt lgkmcnt(0)
	v_mul_f64 v[101:102], v[3:4], v[99:100]
	v_mul_f64 v[99:100], v[1:2], v[99:100]
	v_fma_f64 v[1:2], v[1:2], v[97:98], -v[101:102]
	v_fma_f64 v[3:4], v[3:4], v[97:98], v[99:100]
	buffer_store_dword v2, off, s[0:3], 0 offset:212
	buffer_store_dword v1, off, s[0:3], 0 offset:208
	;; [unrolled: 1-line block ×4, first 2 shown]
.LBB43_447:
	s_or_b32 exec_lo, exec_lo, s4
	v_mov_b32_e32 v4, s38
	s_mov_b32 s4, exec_lo
	s_clause 0x3
	buffer_load_dword v1, v4, s[0:3], 0 offen
	buffer_load_dword v2, v4, s[0:3], 0 offen offset:4
	buffer_load_dword v3, v4, s[0:3], 0 offen offset:8
	;; [unrolled: 1-line block ×3, first 2 shown]
	s_waitcnt vmcnt(0)
	ds_write_b128 v6, v[1:4]
	s_waitcnt lgkmcnt(0)
	s_waitcnt_vscnt null, 0x0
	s_barrier
	buffer_gl0_inv
	v_cmpx_gt_u32_e32 14, v0
	s_cbranch_execz .LBB43_455
; %bb.448:
	ds_read_b128 v[1:4], v6
	v_cmp_ne_u32_e32 vcc_lo, 1, v7
	s_cbranch_vccnz .LBB43_450
; %bb.449:
	s_clause 0x3
	buffer_load_dword v97, v5, s[0:3], 0 offen offset:8
	buffer_load_dword v98, v5, s[0:3], 0 offen offset:12
	buffer_load_dword v99, v5, s[0:3], 0 offen
	buffer_load_dword v100, v5, s[0:3], 0 offen offset:4
	s_waitcnt vmcnt(2) lgkmcnt(0)
	v_mul_f64 v[101:102], v[3:4], v[97:98]
	v_mul_f64 v[97:98], v[1:2], v[97:98]
	s_waitcnt vmcnt(0)
	v_fma_f64 v[1:2], v[1:2], v[99:100], -v[101:102]
	v_fma_f64 v[3:4], v[3:4], v[99:100], v[97:98]
.LBB43_450:
	s_mov_b32 s6, exec_lo
	v_cmpx_ne_u32_e32 13, v0
	s_cbranch_execz .LBB43_454
; %bb.451:
	v_add_nc_u32_e32 v8, 0x2d0, v109
	v_add3_u32 v97, 0, v109, 16
	v_mov_b32_e32 v98, v0
	s_mov_b32 s8, 0
	.p2align	6
.LBB43_452:                             ; =>This Inner Loop Header: Depth=1
	s_clause 0x3
	buffer_load_dword v103, v97, s[0:3], 0 offen offset:8
	buffer_load_dword v104, v97, s[0:3], 0 offen offset:12
	buffer_load_dword v105, v97, s[0:3], 0 offen
	buffer_load_dword v106, v97, s[0:3], 0 offen offset:4
	ds_read_b128 v[99:102], v8
	v_add_nc_u32_e32 v98, 1, v98
	v_add_nc_u32_e32 v8, 16, v8
	;; [unrolled: 1-line block ×3, first 2 shown]
	v_cmp_lt_u32_e32 vcc_lo, 12, v98
	s_or_b32 s8, vcc_lo, s8
	s_waitcnt vmcnt(2) lgkmcnt(0)
	v_mul_f64 v[107:108], v[101:102], v[103:104]
	v_mul_f64 v[103:104], v[99:100], v[103:104]
	s_waitcnt vmcnt(0)
	v_fma_f64 v[99:100], v[99:100], v[105:106], -v[107:108]
	v_fma_f64 v[101:102], v[101:102], v[105:106], v[103:104]
	v_add_f64 v[1:2], v[1:2], v[99:100]
	v_add_f64 v[3:4], v[3:4], v[101:102]
	s_andn2_b32 exec_lo, exec_lo, s8
	s_cbranch_execnz .LBB43_452
; %bb.453:
	s_or_b32 exec_lo, exec_lo, s8
.LBB43_454:
	s_or_b32 exec_lo, exec_lo, s6
	v_mov_b32_e32 v8, 0
	ds_read_b128 v[97:100], v8 offset:224
	s_waitcnt lgkmcnt(0)
	v_mul_f64 v[101:102], v[3:4], v[99:100]
	v_mul_f64 v[99:100], v[1:2], v[99:100]
	v_fma_f64 v[1:2], v[1:2], v[97:98], -v[101:102]
	v_fma_f64 v[3:4], v[3:4], v[97:98], v[99:100]
	buffer_store_dword v2, off, s[0:3], 0 offset:228
	buffer_store_dword v1, off, s[0:3], 0 offset:224
	;; [unrolled: 1-line block ×4, first 2 shown]
.LBB43_455:
	s_or_b32 exec_lo, exec_lo, s4
	v_mov_b32_e32 v4, s37
	s_mov_b32 s4, exec_lo
	s_clause 0x3
	buffer_load_dword v1, v4, s[0:3], 0 offen
	buffer_load_dword v2, v4, s[0:3], 0 offen offset:4
	buffer_load_dword v3, v4, s[0:3], 0 offen offset:8
	;; [unrolled: 1-line block ×3, first 2 shown]
	s_waitcnt vmcnt(0)
	ds_write_b128 v6, v[1:4]
	s_waitcnt lgkmcnt(0)
	s_waitcnt_vscnt null, 0x0
	s_barrier
	buffer_gl0_inv
	v_cmpx_gt_u32_e32 15, v0
	s_cbranch_execz .LBB43_463
; %bb.456:
	ds_read_b128 v[1:4], v6
	v_cmp_ne_u32_e32 vcc_lo, 1, v7
	s_cbranch_vccnz .LBB43_458
; %bb.457:
	s_clause 0x3
	buffer_load_dword v97, v5, s[0:3], 0 offen offset:8
	buffer_load_dword v98, v5, s[0:3], 0 offen offset:12
	buffer_load_dword v99, v5, s[0:3], 0 offen
	buffer_load_dword v100, v5, s[0:3], 0 offen offset:4
	s_waitcnt vmcnt(2) lgkmcnt(0)
	v_mul_f64 v[101:102], v[3:4], v[97:98]
	v_mul_f64 v[97:98], v[1:2], v[97:98]
	s_waitcnt vmcnt(0)
	v_fma_f64 v[1:2], v[1:2], v[99:100], -v[101:102]
	v_fma_f64 v[3:4], v[3:4], v[99:100], v[97:98]
.LBB43_458:
	s_mov_b32 s6, exec_lo
	v_cmpx_ne_u32_e32 14, v0
	s_cbranch_execz .LBB43_462
; %bb.459:
	v_add_nc_u32_e32 v8, 0x2d0, v109
	v_add3_u32 v97, 0, v109, 16
	v_mov_b32_e32 v98, v0
	s_mov_b32 s8, 0
	.p2align	6
.LBB43_460:                             ; =>This Inner Loop Header: Depth=1
	s_clause 0x3
	buffer_load_dword v103, v97, s[0:3], 0 offen offset:8
	buffer_load_dword v104, v97, s[0:3], 0 offen offset:12
	buffer_load_dword v105, v97, s[0:3], 0 offen
	buffer_load_dword v106, v97, s[0:3], 0 offen offset:4
	ds_read_b128 v[99:102], v8
	v_add_nc_u32_e32 v98, 1, v98
	v_add_nc_u32_e32 v8, 16, v8
	;; [unrolled: 1-line block ×3, first 2 shown]
	v_cmp_lt_u32_e32 vcc_lo, 13, v98
	s_or_b32 s8, vcc_lo, s8
	s_waitcnt vmcnt(2) lgkmcnt(0)
	v_mul_f64 v[107:108], v[101:102], v[103:104]
	v_mul_f64 v[103:104], v[99:100], v[103:104]
	s_waitcnt vmcnt(0)
	v_fma_f64 v[99:100], v[99:100], v[105:106], -v[107:108]
	v_fma_f64 v[101:102], v[101:102], v[105:106], v[103:104]
	v_add_f64 v[1:2], v[1:2], v[99:100]
	v_add_f64 v[3:4], v[3:4], v[101:102]
	s_andn2_b32 exec_lo, exec_lo, s8
	s_cbranch_execnz .LBB43_460
; %bb.461:
	s_or_b32 exec_lo, exec_lo, s8
.LBB43_462:
	s_or_b32 exec_lo, exec_lo, s6
	v_mov_b32_e32 v8, 0
	ds_read_b128 v[97:100], v8 offset:240
	s_waitcnt lgkmcnt(0)
	v_mul_f64 v[101:102], v[3:4], v[99:100]
	v_mul_f64 v[99:100], v[1:2], v[99:100]
	v_fma_f64 v[1:2], v[1:2], v[97:98], -v[101:102]
	v_fma_f64 v[3:4], v[3:4], v[97:98], v[99:100]
	buffer_store_dword v2, off, s[0:3], 0 offset:244
	buffer_store_dword v1, off, s[0:3], 0 offset:240
	;; [unrolled: 1-line block ×4, first 2 shown]
.LBB43_463:
	s_or_b32 exec_lo, exec_lo, s4
	v_mov_b32_e32 v4, s36
	s_mov_b32 s4, exec_lo
	s_clause 0x3
	buffer_load_dword v1, v4, s[0:3], 0 offen
	buffer_load_dword v2, v4, s[0:3], 0 offen offset:4
	buffer_load_dword v3, v4, s[0:3], 0 offen offset:8
	;; [unrolled: 1-line block ×3, first 2 shown]
	s_waitcnt vmcnt(0)
	ds_write_b128 v6, v[1:4]
	s_waitcnt lgkmcnt(0)
	s_waitcnt_vscnt null, 0x0
	s_barrier
	buffer_gl0_inv
	v_cmpx_gt_u32_e32 16, v0
	s_cbranch_execz .LBB43_471
; %bb.464:
	ds_read_b128 v[1:4], v6
	v_cmp_ne_u32_e32 vcc_lo, 1, v7
	s_cbranch_vccnz .LBB43_466
; %bb.465:
	s_clause 0x3
	buffer_load_dword v97, v5, s[0:3], 0 offen offset:8
	buffer_load_dword v98, v5, s[0:3], 0 offen offset:12
	buffer_load_dword v99, v5, s[0:3], 0 offen
	buffer_load_dword v100, v5, s[0:3], 0 offen offset:4
	s_waitcnt vmcnt(2) lgkmcnt(0)
	v_mul_f64 v[101:102], v[3:4], v[97:98]
	v_mul_f64 v[97:98], v[1:2], v[97:98]
	s_waitcnt vmcnt(0)
	v_fma_f64 v[1:2], v[1:2], v[99:100], -v[101:102]
	v_fma_f64 v[3:4], v[3:4], v[99:100], v[97:98]
.LBB43_466:
	s_mov_b32 s6, exec_lo
	v_cmpx_ne_u32_e32 15, v0
	s_cbranch_execz .LBB43_470
; %bb.467:
	v_add_nc_u32_e32 v8, 0x2d0, v109
	v_add3_u32 v97, 0, v109, 16
	v_mov_b32_e32 v98, v0
	s_mov_b32 s8, 0
	.p2align	6
.LBB43_468:                             ; =>This Inner Loop Header: Depth=1
	s_clause 0x3
	buffer_load_dword v103, v97, s[0:3], 0 offen offset:8
	buffer_load_dword v104, v97, s[0:3], 0 offen offset:12
	buffer_load_dword v105, v97, s[0:3], 0 offen
	buffer_load_dword v106, v97, s[0:3], 0 offen offset:4
	ds_read_b128 v[99:102], v8
	v_add_nc_u32_e32 v98, 1, v98
	v_add_nc_u32_e32 v8, 16, v8
	;; [unrolled: 1-line block ×3, first 2 shown]
	v_cmp_lt_u32_e32 vcc_lo, 14, v98
	s_or_b32 s8, vcc_lo, s8
	s_waitcnt vmcnt(2) lgkmcnt(0)
	v_mul_f64 v[107:108], v[101:102], v[103:104]
	v_mul_f64 v[103:104], v[99:100], v[103:104]
	s_waitcnt vmcnt(0)
	v_fma_f64 v[99:100], v[99:100], v[105:106], -v[107:108]
	v_fma_f64 v[101:102], v[101:102], v[105:106], v[103:104]
	v_add_f64 v[1:2], v[1:2], v[99:100]
	v_add_f64 v[3:4], v[3:4], v[101:102]
	s_andn2_b32 exec_lo, exec_lo, s8
	s_cbranch_execnz .LBB43_468
; %bb.469:
	s_or_b32 exec_lo, exec_lo, s8
.LBB43_470:
	s_or_b32 exec_lo, exec_lo, s6
	v_mov_b32_e32 v8, 0
	ds_read_b128 v[97:100], v8 offset:256
	s_waitcnt lgkmcnt(0)
	v_mul_f64 v[101:102], v[3:4], v[99:100]
	v_mul_f64 v[99:100], v[1:2], v[99:100]
	v_fma_f64 v[1:2], v[1:2], v[97:98], -v[101:102]
	v_fma_f64 v[3:4], v[3:4], v[97:98], v[99:100]
	buffer_store_dword v2, off, s[0:3], 0 offset:260
	buffer_store_dword v1, off, s[0:3], 0 offset:256
	;; [unrolled: 1-line block ×4, first 2 shown]
.LBB43_471:
	s_or_b32 exec_lo, exec_lo, s4
	v_mov_b32_e32 v4, s35
	s_mov_b32 s4, exec_lo
	s_clause 0x3
	buffer_load_dword v1, v4, s[0:3], 0 offen
	buffer_load_dword v2, v4, s[0:3], 0 offen offset:4
	buffer_load_dword v3, v4, s[0:3], 0 offen offset:8
	;; [unrolled: 1-line block ×3, first 2 shown]
	s_waitcnt vmcnt(0)
	ds_write_b128 v6, v[1:4]
	s_waitcnt lgkmcnt(0)
	s_waitcnt_vscnt null, 0x0
	s_barrier
	buffer_gl0_inv
	v_cmpx_gt_u32_e32 17, v0
	s_cbranch_execz .LBB43_479
; %bb.472:
	ds_read_b128 v[1:4], v6
	v_cmp_ne_u32_e32 vcc_lo, 1, v7
	s_cbranch_vccnz .LBB43_474
; %bb.473:
	s_clause 0x3
	buffer_load_dword v97, v5, s[0:3], 0 offen offset:8
	buffer_load_dword v98, v5, s[0:3], 0 offen offset:12
	buffer_load_dword v99, v5, s[0:3], 0 offen
	buffer_load_dword v100, v5, s[0:3], 0 offen offset:4
	s_waitcnt vmcnt(2) lgkmcnt(0)
	v_mul_f64 v[101:102], v[3:4], v[97:98]
	v_mul_f64 v[97:98], v[1:2], v[97:98]
	s_waitcnt vmcnt(0)
	v_fma_f64 v[1:2], v[1:2], v[99:100], -v[101:102]
	v_fma_f64 v[3:4], v[3:4], v[99:100], v[97:98]
.LBB43_474:
	s_mov_b32 s6, exec_lo
	v_cmpx_ne_u32_e32 16, v0
	s_cbranch_execz .LBB43_478
; %bb.475:
	v_add_nc_u32_e32 v8, 0x2d0, v109
	v_add3_u32 v97, 0, v109, 16
	v_mov_b32_e32 v98, v0
	s_mov_b32 s8, 0
	.p2align	6
.LBB43_476:                             ; =>This Inner Loop Header: Depth=1
	s_clause 0x3
	buffer_load_dword v103, v97, s[0:3], 0 offen offset:8
	buffer_load_dword v104, v97, s[0:3], 0 offen offset:12
	buffer_load_dword v105, v97, s[0:3], 0 offen
	buffer_load_dword v106, v97, s[0:3], 0 offen offset:4
	ds_read_b128 v[99:102], v8
	v_add_nc_u32_e32 v98, 1, v98
	v_add_nc_u32_e32 v8, 16, v8
	;; [unrolled: 1-line block ×3, first 2 shown]
	v_cmp_lt_u32_e32 vcc_lo, 15, v98
	s_or_b32 s8, vcc_lo, s8
	s_waitcnt vmcnt(2) lgkmcnt(0)
	v_mul_f64 v[107:108], v[101:102], v[103:104]
	v_mul_f64 v[103:104], v[99:100], v[103:104]
	s_waitcnt vmcnt(0)
	v_fma_f64 v[99:100], v[99:100], v[105:106], -v[107:108]
	v_fma_f64 v[101:102], v[101:102], v[105:106], v[103:104]
	v_add_f64 v[1:2], v[1:2], v[99:100]
	v_add_f64 v[3:4], v[3:4], v[101:102]
	s_andn2_b32 exec_lo, exec_lo, s8
	s_cbranch_execnz .LBB43_476
; %bb.477:
	s_or_b32 exec_lo, exec_lo, s8
.LBB43_478:
	s_or_b32 exec_lo, exec_lo, s6
	v_mov_b32_e32 v8, 0
	ds_read_b128 v[97:100], v8 offset:272
	s_waitcnt lgkmcnt(0)
	v_mul_f64 v[101:102], v[3:4], v[99:100]
	v_mul_f64 v[99:100], v[1:2], v[99:100]
	v_fma_f64 v[1:2], v[1:2], v[97:98], -v[101:102]
	v_fma_f64 v[3:4], v[3:4], v[97:98], v[99:100]
	buffer_store_dword v2, off, s[0:3], 0 offset:276
	buffer_store_dword v1, off, s[0:3], 0 offset:272
	;; [unrolled: 1-line block ×4, first 2 shown]
.LBB43_479:
	s_or_b32 exec_lo, exec_lo, s4
	v_mov_b32_e32 v4, s34
	s_mov_b32 s4, exec_lo
	s_clause 0x3
	buffer_load_dword v1, v4, s[0:3], 0 offen
	buffer_load_dword v2, v4, s[0:3], 0 offen offset:4
	buffer_load_dword v3, v4, s[0:3], 0 offen offset:8
	;; [unrolled: 1-line block ×3, first 2 shown]
	s_waitcnt vmcnt(0)
	ds_write_b128 v6, v[1:4]
	s_waitcnt lgkmcnt(0)
	s_waitcnt_vscnt null, 0x0
	s_barrier
	buffer_gl0_inv
	v_cmpx_gt_u32_e32 18, v0
	s_cbranch_execz .LBB43_487
; %bb.480:
	ds_read_b128 v[1:4], v6
	v_cmp_ne_u32_e32 vcc_lo, 1, v7
	s_cbranch_vccnz .LBB43_482
; %bb.481:
	s_clause 0x3
	buffer_load_dword v97, v5, s[0:3], 0 offen offset:8
	buffer_load_dword v98, v5, s[0:3], 0 offen offset:12
	buffer_load_dword v99, v5, s[0:3], 0 offen
	buffer_load_dword v100, v5, s[0:3], 0 offen offset:4
	s_waitcnt vmcnt(2) lgkmcnt(0)
	v_mul_f64 v[101:102], v[3:4], v[97:98]
	v_mul_f64 v[97:98], v[1:2], v[97:98]
	s_waitcnt vmcnt(0)
	v_fma_f64 v[1:2], v[1:2], v[99:100], -v[101:102]
	v_fma_f64 v[3:4], v[3:4], v[99:100], v[97:98]
.LBB43_482:
	s_mov_b32 s6, exec_lo
	v_cmpx_ne_u32_e32 17, v0
	s_cbranch_execz .LBB43_486
; %bb.483:
	v_add_nc_u32_e32 v8, 0x2d0, v109
	v_add3_u32 v97, 0, v109, 16
	v_mov_b32_e32 v98, v0
	s_mov_b32 s8, 0
	.p2align	6
.LBB43_484:                             ; =>This Inner Loop Header: Depth=1
	s_clause 0x3
	buffer_load_dword v103, v97, s[0:3], 0 offen offset:8
	buffer_load_dword v104, v97, s[0:3], 0 offen offset:12
	buffer_load_dword v105, v97, s[0:3], 0 offen
	buffer_load_dword v106, v97, s[0:3], 0 offen offset:4
	ds_read_b128 v[99:102], v8
	v_add_nc_u32_e32 v98, 1, v98
	v_add_nc_u32_e32 v8, 16, v8
	;; [unrolled: 1-line block ×3, first 2 shown]
	v_cmp_lt_u32_e32 vcc_lo, 16, v98
	s_or_b32 s8, vcc_lo, s8
	s_waitcnt vmcnt(2) lgkmcnt(0)
	v_mul_f64 v[107:108], v[101:102], v[103:104]
	v_mul_f64 v[103:104], v[99:100], v[103:104]
	s_waitcnt vmcnt(0)
	v_fma_f64 v[99:100], v[99:100], v[105:106], -v[107:108]
	v_fma_f64 v[101:102], v[101:102], v[105:106], v[103:104]
	v_add_f64 v[1:2], v[1:2], v[99:100]
	v_add_f64 v[3:4], v[3:4], v[101:102]
	s_andn2_b32 exec_lo, exec_lo, s8
	s_cbranch_execnz .LBB43_484
; %bb.485:
	s_or_b32 exec_lo, exec_lo, s8
.LBB43_486:
	s_or_b32 exec_lo, exec_lo, s6
	v_mov_b32_e32 v8, 0
	ds_read_b128 v[97:100], v8 offset:288
	s_waitcnt lgkmcnt(0)
	v_mul_f64 v[101:102], v[3:4], v[99:100]
	v_mul_f64 v[99:100], v[1:2], v[99:100]
	v_fma_f64 v[1:2], v[1:2], v[97:98], -v[101:102]
	v_fma_f64 v[3:4], v[3:4], v[97:98], v[99:100]
	buffer_store_dword v2, off, s[0:3], 0 offset:292
	buffer_store_dword v1, off, s[0:3], 0 offset:288
	;; [unrolled: 1-line block ×4, first 2 shown]
.LBB43_487:
	s_or_b32 exec_lo, exec_lo, s4
	v_mov_b32_e32 v4, s33
	s_mov_b32 s4, exec_lo
	s_clause 0x3
	buffer_load_dword v1, v4, s[0:3], 0 offen
	buffer_load_dword v2, v4, s[0:3], 0 offen offset:4
	buffer_load_dword v3, v4, s[0:3], 0 offen offset:8
	;; [unrolled: 1-line block ×3, first 2 shown]
	s_waitcnt vmcnt(0)
	ds_write_b128 v6, v[1:4]
	s_waitcnt lgkmcnt(0)
	s_waitcnt_vscnt null, 0x0
	s_barrier
	buffer_gl0_inv
	v_cmpx_gt_u32_e32 19, v0
	s_cbranch_execz .LBB43_495
; %bb.488:
	ds_read_b128 v[1:4], v6
	v_cmp_ne_u32_e32 vcc_lo, 1, v7
	s_cbranch_vccnz .LBB43_490
; %bb.489:
	s_clause 0x3
	buffer_load_dword v97, v5, s[0:3], 0 offen offset:8
	buffer_load_dword v98, v5, s[0:3], 0 offen offset:12
	buffer_load_dword v99, v5, s[0:3], 0 offen
	buffer_load_dword v100, v5, s[0:3], 0 offen offset:4
	s_waitcnt vmcnt(2) lgkmcnt(0)
	v_mul_f64 v[101:102], v[3:4], v[97:98]
	v_mul_f64 v[97:98], v[1:2], v[97:98]
	s_waitcnt vmcnt(0)
	v_fma_f64 v[1:2], v[1:2], v[99:100], -v[101:102]
	v_fma_f64 v[3:4], v[3:4], v[99:100], v[97:98]
.LBB43_490:
	s_mov_b32 s6, exec_lo
	v_cmpx_ne_u32_e32 18, v0
	s_cbranch_execz .LBB43_494
; %bb.491:
	v_add_nc_u32_e32 v8, 0x2d0, v109
	v_add3_u32 v97, 0, v109, 16
	v_mov_b32_e32 v98, v0
	s_mov_b32 s8, 0
	.p2align	6
.LBB43_492:                             ; =>This Inner Loop Header: Depth=1
	s_clause 0x3
	buffer_load_dword v103, v97, s[0:3], 0 offen offset:8
	buffer_load_dword v104, v97, s[0:3], 0 offen offset:12
	buffer_load_dword v105, v97, s[0:3], 0 offen
	buffer_load_dword v106, v97, s[0:3], 0 offen offset:4
	ds_read_b128 v[99:102], v8
	v_add_nc_u32_e32 v98, 1, v98
	v_add_nc_u32_e32 v8, 16, v8
	;; [unrolled: 1-line block ×3, first 2 shown]
	v_cmp_lt_u32_e32 vcc_lo, 17, v98
	s_or_b32 s8, vcc_lo, s8
	s_waitcnt vmcnt(2) lgkmcnt(0)
	v_mul_f64 v[107:108], v[101:102], v[103:104]
	v_mul_f64 v[103:104], v[99:100], v[103:104]
	s_waitcnt vmcnt(0)
	v_fma_f64 v[99:100], v[99:100], v[105:106], -v[107:108]
	v_fma_f64 v[101:102], v[101:102], v[105:106], v[103:104]
	v_add_f64 v[1:2], v[1:2], v[99:100]
	v_add_f64 v[3:4], v[3:4], v[101:102]
	s_andn2_b32 exec_lo, exec_lo, s8
	s_cbranch_execnz .LBB43_492
; %bb.493:
	s_or_b32 exec_lo, exec_lo, s8
.LBB43_494:
	s_or_b32 exec_lo, exec_lo, s6
	v_mov_b32_e32 v8, 0
	ds_read_b128 v[97:100], v8 offset:304
	s_waitcnt lgkmcnt(0)
	v_mul_f64 v[101:102], v[3:4], v[99:100]
	v_mul_f64 v[99:100], v[1:2], v[99:100]
	v_fma_f64 v[1:2], v[1:2], v[97:98], -v[101:102]
	v_fma_f64 v[3:4], v[3:4], v[97:98], v[99:100]
	buffer_store_dword v2, off, s[0:3], 0 offset:308
	buffer_store_dword v1, off, s[0:3], 0 offset:304
	;; [unrolled: 1-line block ×4, first 2 shown]
.LBB43_495:
	s_or_b32 exec_lo, exec_lo, s4
	v_mov_b32_e32 v4, s31
	s_mov_b32 s4, exec_lo
	s_clause 0x3
	buffer_load_dword v1, v4, s[0:3], 0 offen
	buffer_load_dword v2, v4, s[0:3], 0 offen offset:4
	buffer_load_dword v3, v4, s[0:3], 0 offen offset:8
	;; [unrolled: 1-line block ×3, first 2 shown]
	s_waitcnt vmcnt(0)
	ds_write_b128 v6, v[1:4]
	s_waitcnt lgkmcnt(0)
	s_waitcnt_vscnt null, 0x0
	s_barrier
	buffer_gl0_inv
	v_cmpx_gt_u32_e32 20, v0
	s_cbranch_execz .LBB43_503
; %bb.496:
	ds_read_b128 v[1:4], v6
	v_cmp_ne_u32_e32 vcc_lo, 1, v7
	s_cbranch_vccnz .LBB43_498
; %bb.497:
	s_clause 0x3
	buffer_load_dword v97, v5, s[0:3], 0 offen offset:8
	buffer_load_dword v98, v5, s[0:3], 0 offen offset:12
	buffer_load_dword v99, v5, s[0:3], 0 offen
	buffer_load_dword v100, v5, s[0:3], 0 offen offset:4
	s_waitcnt vmcnt(2) lgkmcnt(0)
	v_mul_f64 v[101:102], v[3:4], v[97:98]
	v_mul_f64 v[97:98], v[1:2], v[97:98]
	s_waitcnt vmcnt(0)
	v_fma_f64 v[1:2], v[1:2], v[99:100], -v[101:102]
	v_fma_f64 v[3:4], v[3:4], v[99:100], v[97:98]
.LBB43_498:
	s_mov_b32 s6, exec_lo
	v_cmpx_ne_u32_e32 19, v0
	s_cbranch_execz .LBB43_502
; %bb.499:
	v_add_nc_u32_e32 v8, 0x2d0, v109
	v_add3_u32 v97, 0, v109, 16
	v_mov_b32_e32 v98, v0
	s_mov_b32 s8, 0
	.p2align	6
.LBB43_500:                             ; =>This Inner Loop Header: Depth=1
	s_clause 0x3
	buffer_load_dword v103, v97, s[0:3], 0 offen offset:8
	buffer_load_dword v104, v97, s[0:3], 0 offen offset:12
	buffer_load_dword v105, v97, s[0:3], 0 offen
	buffer_load_dword v106, v97, s[0:3], 0 offen offset:4
	ds_read_b128 v[99:102], v8
	v_add_nc_u32_e32 v98, 1, v98
	v_add_nc_u32_e32 v8, 16, v8
	;; [unrolled: 1-line block ×3, first 2 shown]
	v_cmp_lt_u32_e32 vcc_lo, 18, v98
	s_or_b32 s8, vcc_lo, s8
	s_waitcnt vmcnt(2) lgkmcnt(0)
	v_mul_f64 v[107:108], v[101:102], v[103:104]
	v_mul_f64 v[103:104], v[99:100], v[103:104]
	s_waitcnt vmcnt(0)
	v_fma_f64 v[99:100], v[99:100], v[105:106], -v[107:108]
	v_fma_f64 v[101:102], v[101:102], v[105:106], v[103:104]
	v_add_f64 v[1:2], v[1:2], v[99:100]
	v_add_f64 v[3:4], v[3:4], v[101:102]
	s_andn2_b32 exec_lo, exec_lo, s8
	s_cbranch_execnz .LBB43_500
; %bb.501:
	s_or_b32 exec_lo, exec_lo, s8
.LBB43_502:
	s_or_b32 exec_lo, exec_lo, s6
	v_mov_b32_e32 v8, 0
	ds_read_b128 v[97:100], v8 offset:320
	s_waitcnt lgkmcnt(0)
	v_mul_f64 v[101:102], v[3:4], v[99:100]
	v_mul_f64 v[99:100], v[1:2], v[99:100]
	v_fma_f64 v[1:2], v[1:2], v[97:98], -v[101:102]
	v_fma_f64 v[3:4], v[3:4], v[97:98], v[99:100]
	buffer_store_dword v2, off, s[0:3], 0 offset:324
	buffer_store_dword v1, off, s[0:3], 0 offset:320
	;; [unrolled: 1-line block ×4, first 2 shown]
.LBB43_503:
	s_or_b32 exec_lo, exec_lo, s4
	v_mov_b32_e32 v4, s30
	s_mov_b32 s4, exec_lo
	s_clause 0x3
	buffer_load_dword v1, v4, s[0:3], 0 offen
	buffer_load_dword v2, v4, s[0:3], 0 offen offset:4
	buffer_load_dword v3, v4, s[0:3], 0 offen offset:8
	;; [unrolled: 1-line block ×3, first 2 shown]
	s_waitcnt vmcnt(0)
	ds_write_b128 v6, v[1:4]
	s_waitcnt lgkmcnt(0)
	s_waitcnt_vscnt null, 0x0
	s_barrier
	buffer_gl0_inv
	v_cmpx_gt_u32_e32 21, v0
	s_cbranch_execz .LBB43_511
; %bb.504:
	ds_read_b128 v[1:4], v6
	v_cmp_ne_u32_e32 vcc_lo, 1, v7
	s_cbranch_vccnz .LBB43_506
; %bb.505:
	s_clause 0x3
	buffer_load_dword v97, v5, s[0:3], 0 offen offset:8
	buffer_load_dword v98, v5, s[0:3], 0 offen offset:12
	buffer_load_dword v99, v5, s[0:3], 0 offen
	buffer_load_dword v100, v5, s[0:3], 0 offen offset:4
	s_waitcnt vmcnt(2) lgkmcnt(0)
	v_mul_f64 v[101:102], v[3:4], v[97:98]
	v_mul_f64 v[97:98], v[1:2], v[97:98]
	s_waitcnt vmcnt(0)
	v_fma_f64 v[1:2], v[1:2], v[99:100], -v[101:102]
	v_fma_f64 v[3:4], v[3:4], v[99:100], v[97:98]
.LBB43_506:
	s_mov_b32 s6, exec_lo
	v_cmpx_ne_u32_e32 20, v0
	s_cbranch_execz .LBB43_510
; %bb.507:
	v_add_nc_u32_e32 v8, 0x2d0, v109
	v_add3_u32 v97, 0, v109, 16
	v_mov_b32_e32 v98, v0
	s_mov_b32 s8, 0
	.p2align	6
.LBB43_508:                             ; =>This Inner Loop Header: Depth=1
	s_clause 0x3
	buffer_load_dword v103, v97, s[0:3], 0 offen offset:8
	buffer_load_dword v104, v97, s[0:3], 0 offen offset:12
	buffer_load_dword v105, v97, s[0:3], 0 offen
	buffer_load_dword v106, v97, s[0:3], 0 offen offset:4
	ds_read_b128 v[99:102], v8
	v_add_nc_u32_e32 v98, 1, v98
	v_add_nc_u32_e32 v8, 16, v8
	;; [unrolled: 1-line block ×3, first 2 shown]
	v_cmp_lt_u32_e32 vcc_lo, 19, v98
	s_or_b32 s8, vcc_lo, s8
	s_waitcnt vmcnt(2) lgkmcnt(0)
	v_mul_f64 v[107:108], v[101:102], v[103:104]
	v_mul_f64 v[103:104], v[99:100], v[103:104]
	s_waitcnt vmcnt(0)
	v_fma_f64 v[99:100], v[99:100], v[105:106], -v[107:108]
	v_fma_f64 v[101:102], v[101:102], v[105:106], v[103:104]
	v_add_f64 v[1:2], v[1:2], v[99:100]
	v_add_f64 v[3:4], v[3:4], v[101:102]
	s_andn2_b32 exec_lo, exec_lo, s8
	s_cbranch_execnz .LBB43_508
; %bb.509:
	s_or_b32 exec_lo, exec_lo, s8
.LBB43_510:
	s_or_b32 exec_lo, exec_lo, s6
	v_mov_b32_e32 v8, 0
	ds_read_b128 v[97:100], v8 offset:336
	s_waitcnt lgkmcnt(0)
	v_mul_f64 v[101:102], v[3:4], v[99:100]
	v_mul_f64 v[99:100], v[1:2], v[99:100]
	v_fma_f64 v[1:2], v[1:2], v[97:98], -v[101:102]
	v_fma_f64 v[3:4], v[3:4], v[97:98], v[99:100]
	buffer_store_dword v2, off, s[0:3], 0 offset:340
	buffer_store_dword v1, off, s[0:3], 0 offset:336
	buffer_store_dword v4, off, s[0:3], 0 offset:348
	buffer_store_dword v3, off, s[0:3], 0 offset:344
.LBB43_511:
	s_or_b32 exec_lo, exec_lo, s4
	v_mov_b32_e32 v4, s29
	s_mov_b32 s4, exec_lo
	s_clause 0x3
	buffer_load_dword v1, v4, s[0:3], 0 offen
	buffer_load_dword v2, v4, s[0:3], 0 offen offset:4
	buffer_load_dword v3, v4, s[0:3], 0 offen offset:8
	;; [unrolled: 1-line block ×3, first 2 shown]
	s_waitcnt vmcnt(0)
	ds_write_b128 v6, v[1:4]
	s_waitcnt lgkmcnt(0)
	s_waitcnt_vscnt null, 0x0
	s_barrier
	buffer_gl0_inv
	v_cmpx_gt_u32_e32 22, v0
	s_cbranch_execz .LBB43_519
; %bb.512:
	ds_read_b128 v[1:4], v6
	v_cmp_ne_u32_e32 vcc_lo, 1, v7
	s_cbranch_vccnz .LBB43_514
; %bb.513:
	s_clause 0x3
	buffer_load_dword v97, v5, s[0:3], 0 offen offset:8
	buffer_load_dword v98, v5, s[0:3], 0 offen offset:12
	buffer_load_dword v99, v5, s[0:3], 0 offen
	buffer_load_dword v100, v5, s[0:3], 0 offen offset:4
	s_waitcnt vmcnt(2) lgkmcnt(0)
	v_mul_f64 v[101:102], v[3:4], v[97:98]
	v_mul_f64 v[97:98], v[1:2], v[97:98]
	s_waitcnt vmcnt(0)
	v_fma_f64 v[1:2], v[1:2], v[99:100], -v[101:102]
	v_fma_f64 v[3:4], v[3:4], v[99:100], v[97:98]
.LBB43_514:
	s_mov_b32 s6, exec_lo
	v_cmpx_ne_u32_e32 21, v0
	s_cbranch_execz .LBB43_518
; %bb.515:
	v_add_nc_u32_e32 v8, 0x2d0, v109
	v_add3_u32 v97, 0, v109, 16
	v_mov_b32_e32 v98, v0
	s_mov_b32 s8, 0
	.p2align	6
.LBB43_516:                             ; =>This Inner Loop Header: Depth=1
	s_clause 0x3
	buffer_load_dword v103, v97, s[0:3], 0 offen offset:8
	buffer_load_dword v104, v97, s[0:3], 0 offen offset:12
	buffer_load_dword v105, v97, s[0:3], 0 offen
	buffer_load_dword v106, v97, s[0:3], 0 offen offset:4
	ds_read_b128 v[99:102], v8
	v_add_nc_u32_e32 v98, 1, v98
	v_add_nc_u32_e32 v8, 16, v8
	;; [unrolled: 1-line block ×3, first 2 shown]
	v_cmp_lt_u32_e32 vcc_lo, 20, v98
	s_or_b32 s8, vcc_lo, s8
	s_waitcnt vmcnt(2) lgkmcnt(0)
	v_mul_f64 v[107:108], v[101:102], v[103:104]
	v_mul_f64 v[103:104], v[99:100], v[103:104]
	s_waitcnt vmcnt(0)
	v_fma_f64 v[99:100], v[99:100], v[105:106], -v[107:108]
	v_fma_f64 v[101:102], v[101:102], v[105:106], v[103:104]
	v_add_f64 v[1:2], v[1:2], v[99:100]
	v_add_f64 v[3:4], v[3:4], v[101:102]
	s_andn2_b32 exec_lo, exec_lo, s8
	s_cbranch_execnz .LBB43_516
; %bb.517:
	s_or_b32 exec_lo, exec_lo, s8
.LBB43_518:
	s_or_b32 exec_lo, exec_lo, s6
	v_mov_b32_e32 v8, 0
	ds_read_b128 v[97:100], v8 offset:352
	s_waitcnt lgkmcnt(0)
	v_mul_f64 v[101:102], v[3:4], v[99:100]
	v_mul_f64 v[99:100], v[1:2], v[99:100]
	v_fma_f64 v[1:2], v[1:2], v[97:98], -v[101:102]
	v_fma_f64 v[3:4], v[3:4], v[97:98], v[99:100]
	buffer_store_dword v2, off, s[0:3], 0 offset:356
	buffer_store_dword v1, off, s[0:3], 0 offset:352
	;; [unrolled: 1-line block ×4, first 2 shown]
.LBB43_519:
	s_or_b32 exec_lo, exec_lo, s4
	v_mov_b32_e32 v4, s28
	s_mov_b32 s4, exec_lo
	s_clause 0x3
	buffer_load_dword v1, v4, s[0:3], 0 offen
	buffer_load_dword v2, v4, s[0:3], 0 offen offset:4
	buffer_load_dword v3, v4, s[0:3], 0 offen offset:8
	;; [unrolled: 1-line block ×3, first 2 shown]
	s_waitcnt vmcnt(0)
	ds_write_b128 v6, v[1:4]
	s_waitcnt lgkmcnt(0)
	s_waitcnt_vscnt null, 0x0
	s_barrier
	buffer_gl0_inv
	v_cmpx_gt_u32_e32 23, v0
	s_cbranch_execz .LBB43_527
; %bb.520:
	ds_read_b128 v[1:4], v6
	v_cmp_ne_u32_e32 vcc_lo, 1, v7
	s_cbranch_vccnz .LBB43_522
; %bb.521:
	s_clause 0x3
	buffer_load_dword v97, v5, s[0:3], 0 offen offset:8
	buffer_load_dword v98, v5, s[0:3], 0 offen offset:12
	buffer_load_dword v99, v5, s[0:3], 0 offen
	buffer_load_dword v100, v5, s[0:3], 0 offen offset:4
	s_waitcnt vmcnt(2) lgkmcnt(0)
	v_mul_f64 v[101:102], v[3:4], v[97:98]
	v_mul_f64 v[97:98], v[1:2], v[97:98]
	s_waitcnt vmcnt(0)
	v_fma_f64 v[1:2], v[1:2], v[99:100], -v[101:102]
	v_fma_f64 v[3:4], v[3:4], v[99:100], v[97:98]
.LBB43_522:
	s_mov_b32 s6, exec_lo
	v_cmpx_ne_u32_e32 22, v0
	s_cbranch_execz .LBB43_526
; %bb.523:
	v_add_nc_u32_e32 v8, 0x2d0, v109
	v_add3_u32 v97, 0, v109, 16
	v_mov_b32_e32 v98, v0
	s_mov_b32 s8, 0
	.p2align	6
.LBB43_524:                             ; =>This Inner Loop Header: Depth=1
	s_clause 0x3
	buffer_load_dword v103, v97, s[0:3], 0 offen offset:8
	buffer_load_dword v104, v97, s[0:3], 0 offen offset:12
	buffer_load_dword v105, v97, s[0:3], 0 offen
	buffer_load_dword v106, v97, s[0:3], 0 offen offset:4
	ds_read_b128 v[99:102], v8
	v_add_nc_u32_e32 v98, 1, v98
	v_add_nc_u32_e32 v8, 16, v8
	;; [unrolled: 1-line block ×3, first 2 shown]
	v_cmp_lt_u32_e32 vcc_lo, 21, v98
	s_or_b32 s8, vcc_lo, s8
	s_waitcnt vmcnt(2) lgkmcnt(0)
	v_mul_f64 v[107:108], v[101:102], v[103:104]
	v_mul_f64 v[103:104], v[99:100], v[103:104]
	s_waitcnt vmcnt(0)
	v_fma_f64 v[99:100], v[99:100], v[105:106], -v[107:108]
	v_fma_f64 v[101:102], v[101:102], v[105:106], v[103:104]
	v_add_f64 v[1:2], v[1:2], v[99:100]
	v_add_f64 v[3:4], v[3:4], v[101:102]
	s_andn2_b32 exec_lo, exec_lo, s8
	s_cbranch_execnz .LBB43_524
; %bb.525:
	s_or_b32 exec_lo, exec_lo, s8
.LBB43_526:
	s_or_b32 exec_lo, exec_lo, s6
	v_mov_b32_e32 v8, 0
	ds_read_b128 v[97:100], v8 offset:368
	s_waitcnt lgkmcnt(0)
	v_mul_f64 v[101:102], v[3:4], v[99:100]
	v_mul_f64 v[99:100], v[1:2], v[99:100]
	v_fma_f64 v[1:2], v[1:2], v[97:98], -v[101:102]
	v_fma_f64 v[3:4], v[3:4], v[97:98], v[99:100]
	buffer_store_dword v2, off, s[0:3], 0 offset:372
	buffer_store_dword v1, off, s[0:3], 0 offset:368
	buffer_store_dword v4, off, s[0:3], 0 offset:380
	buffer_store_dword v3, off, s[0:3], 0 offset:376
.LBB43_527:
	s_or_b32 exec_lo, exec_lo, s4
	v_mov_b32_e32 v4, s27
	s_mov_b32 s4, exec_lo
	s_clause 0x3
	buffer_load_dword v1, v4, s[0:3], 0 offen
	buffer_load_dword v2, v4, s[0:3], 0 offen offset:4
	buffer_load_dword v3, v4, s[0:3], 0 offen offset:8
	;; [unrolled: 1-line block ×3, first 2 shown]
	s_waitcnt vmcnt(0)
	ds_write_b128 v6, v[1:4]
	s_waitcnt lgkmcnt(0)
	s_waitcnt_vscnt null, 0x0
	s_barrier
	buffer_gl0_inv
	v_cmpx_gt_u32_e32 24, v0
	s_cbranch_execz .LBB43_535
; %bb.528:
	ds_read_b128 v[1:4], v6
	v_cmp_ne_u32_e32 vcc_lo, 1, v7
	s_cbranch_vccnz .LBB43_530
; %bb.529:
	s_clause 0x3
	buffer_load_dword v97, v5, s[0:3], 0 offen offset:8
	buffer_load_dword v98, v5, s[0:3], 0 offen offset:12
	buffer_load_dword v99, v5, s[0:3], 0 offen
	buffer_load_dword v100, v5, s[0:3], 0 offen offset:4
	s_waitcnt vmcnt(2) lgkmcnt(0)
	v_mul_f64 v[101:102], v[3:4], v[97:98]
	v_mul_f64 v[97:98], v[1:2], v[97:98]
	s_waitcnt vmcnt(0)
	v_fma_f64 v[1:2], v[1:2], v[99:100], -v[101:102]
	v_fma_f64 v[3:4], v[3:4], v[99:100], v[97:98]
.LBB43_530:
	s_mov_b32 s6, exec_lo
	v_cmpx_ne_u32_e32 23, v0
	s_cbranch_execz .LBB43_534
; %bb.531:
	v_add_nc_u32_e32 v8, 0x2d0, v109
	v_add3_u32 v97, 0, v109, 16
	v_mov_b32_e32 v98, v0
	s_mov_b32 s8, 0
	.p2align	6
.LBB43_532:                             ; =>This Inner Loop Header: Depth=1
	s_clause 0x3
	buffer_load_dword v103, v97, s[0:3], 0 offen offset:8
	buffer_load_dword v104, v97, s[0:3], 0 offen offset:12
	buffer_load_dword v105, v97, s[0:3], 0 offen
	buffer_load_dword v106, v97, s[0:3], 0 offen offset:4
	ds_read_b128 v[99:102], v8
	v_add_nc_u32_e32 v98, 1, v98
	v_add_nc_u32_e32 v8, 16, v8
	;; [unrolled: 1-line block ×3, first 2 shown]
	v_cmp_lt_u32_e32 vcc_lo, 22, v98
	s_or_b32 s8, vcc_lo, s8
	s_waitcnt vmcnt(2) lgkmcnt(0)
	v_mul_f64 v[107:108], v[101:102], v[103:104]
	v_mul_f64 v[103:104], v[99:100], v[103:104]
	s_waitcnt vmcnt(0)
	v_fma_f64 v[99:100], v[99:100], v[105:106], -v[107:108]
	v_fma_f64 v[101:102], v[101:102], v[105:106], v[103:104]
	v_add_f64 v[1:2], v[1:2], v[99:100]
	v_add_f64 v[3:4], v[3:4], v[101:102]
	s_andn2_b32 exec_lo, exec_lo, s8
	s_cbranch_execnz .LBB43_532
; %bb.533:
	s_or_b32 exec_lo, exec_lo, s8
.LBB43_534:
	s_or_b32 exec_lo, exec_lo, s6
	v_mov_b32_e32 v8, 0
	ds_read_b128 v[97:100], v8 offset:384
	s_waitcnt lgkmcnt(0)
	v_mul_f64 v[101:102], v[3:4], v[99:100]
	v_mul_f64 v[99:100], v[1:2], v[99:100]
	v_fma_f64 v[1:2], v[1:2], v[97:98], -v[101:102]
	v_fma_f64 v[3:4], v[3:4], v[97:98], v[99:100]
	buffer_store_dword v2, off, s[0:3], 0 offset:388
	buffer_store_dword v1, off, s[0:3], 0 offset:384
	;; [unrolled: 1-line block ×4, first 2 shown]
.LBB43_535:
	s_or_b32 exec_lo, exec_lo, s4
	v_mov_b32_e32 v4, s26
	s_mov_b32 s4, exec_lo
	s_clause 0x3
	buffer_load_dword v1, v4, s[0:3], 0 offen
	buffer_load_dword v2, v4, s[0:3], 0 offen offset:4
	buffer_load_dword v3, v4, s[0:3], 0 offen offset:8
	;; [unrolled: 1-line block ×3, first 2 shown]
	s_waitcnt vmcnt(0)
	ds_write_b128 v6, v[1:4]
	s_waitcnt lgkmcnt(0)
	s_waitcnt_vscnt null, 0x0
	s_barrier
	buffer_gl0_inv
	v_cmpx_gt_u32_e32 25, v0
	s_cbranch_execz .LBB43_543
; %bb.536:
	ds_read_b128 v[1:4], v6
	v_cmp_ne_u32_e32 vcc_lo, 1, v7
	s_cbranch_vccnz .LBB43_538
; %bb.537:
	s_clause 0x3
	buffer_load_dword v97, v5, s[0:3], 0 offen offset:8
	buffer_load_dword v98, v5, s[0:3], 0 offen offset:12
	buffer_load_dword v99, v5, s[0:3], 0 offen
	buffer_load_dword v100, v5, s[0:3], 0 offen offset:4
	s_waitcnt vmcnt(2) lgkmcnt(0)
	v_mul_f64 v[101:102], v[3:4], v[97:98]
	v_mul_f64 v[97:98], v[1:2], v[97:98]
	s_waitcnt vmcnt(0)
	v_fma_f64 v[1:2], v[1:2], v[99:100], -v[101:102]
	v_fma_f64 v[3:4], v[3:4], v[99:100], v[97:98]
.LBB43_538:
	s_mov_b32 s6, exec_lo
	v_cmpx_ne_u32_e32 24, v0
	s_cbranch_execz .LBB43_542
; %bb.539:
	v_add_nc_u32_e32 v8, 0x2d0, v109
	v_add3_u32 v97, 0, v109, 16
	v_mov_b32_e32 v98, v0
	s_mov_b32 s8, 0
	.p2align	6
.LBB43_540:                             ; =>This Inner Loop Header: Depth=1
	s_clause 0x3
	buffer_load_dword v103, v97, s[0:3], 0 offen offset:8
	buffer_load_dword v104, v97, s[0:3], 0 offen offset:12
	buffer_load_dword v105, v97, s[0:3], 0 offen
	buffer_load_dword v106, v97, s[0:3], 0 offen offset:4
	ds_read_b128 v[99:102], v8
	v_add_nc_u32_e32 v98, 1, v98
	v_add_nc_u32_e32 v8, 16, v8
	;; [unrolled: 1-line block ×3, first 2 shown]
	v_cmp_lt_u32_e32 vcc_lo, 23, v98
	s_or_b32 s8, vcc_lo, s8
	s_waitcnt vmcnt(2) lgkmcnt(0)
	v_mul_f64 v[107:108], v[101:102], v[103:104]
	v_mul_f64 v[103:104], v[99:100], v[103:104]
	s_waitcnt vmcnt(0)
	v_fma_f64 v[99:100], v[99:100], v[105:106], -v[107:108]
	v_fma_f64 v[101:102], v[101:102], v[105:106], v[103:104]
	v_add_f64 v[1:2], v[1:2], v[99:100]
	v_add_f64 v[3:4], v[3:4], v[101:102]
	s_andn2_b32 exec_lo, exec_lo, s8
	s_cbranch_execnz .LBB43_540
; %bb.541:
	s_or_b32 exec_lo, exec_lo, s8
.LBB43_542:
	s_or_b32 exec_lo, exec_lo, s6
	v_mov_b32_e32 v8, 0
	ds_read_b128 v[97:100], v8 offset:400
	s_waitcnt lgkmcnt(0)
	v_mul_f64 v[101:102], v[3:4], v[99:100]
	v_mul_f64 v[99:100], v[1:2], v[99:100]
	v_fma_f64 v[1:2], v[1:2], v[97:98], -v[101:102]
	v_fma_f64 v[3:4], v[3:4], v[97:98], v[99:100]
	buffer_store_dword v2, off, s[0:3], 0 offset:404
	buffer_store_dword v1, off, s[0:3], 0 offset:400
	;; [unrolled: 1-line block ×4, first 2 shown]
.LBB43_543:
	s_or_b32 exec_lo, exec_lo, s4
	v_mov_b32_e32 v4, s25
	s_mov_b32 s4, exec_lo
	s_clause 0x3
	buffer_load_dword v1, v4, s[0:3], 0 offen
	buffer_load_dword v2, v4, s[0:3], 0 offen offset:4
	buffer_load_dword v3, v4, s[0:3], 0 offen offset:8
	;; [unrolled: 1-line block ×3, first 2 shown]
	s_waitcnt vmcnt(0)
	ds_write_b128 v6, v[1:4]
	s_waitcnt lgkmcnt(0)
	s_waitcnt_vscnt null, 0x0
	s_barrier
	buffer_gl0_inv
	v_cmpx_gt_u32_e32 26, v0
	s_cbranch_execz .LBB43_551
; %bb.544:
	ds_read_b128 v[1:4], v6
	v_cmp_ne_u32_e32 vcc_lo, 1, v7
	s_cbranch_vccnz .LBB43_546
; %bb.545:
	s_clause 0x3
	buffer_load_dword v97, v5, s[0:3], 0 offen offset:8
	buffer_load_dword v98, v5, s[0:3], 0 offen offset:12
	buffer_load_dword v99, v5, s[0:3], 0 offen
	buffer_load_dword v100, v5, s[0:3], 0 offen offset:4
	s_waitcnt vmcnt(2) lgkmcnt(0)
	v_mul_f64 v[101:102], v[3:4], v[97:98]
	v_mul_f64 v[97:98], v[1:2], v[97:98]
	s_waitcnt vmcnt(0)
	v_fma_f64 v[1:2], v[1:2], v[99:100], -v[101:102]
	v_fma_f64 v[3:4], v[3:4], v[99:100], v[97:98]
.LBB43_546:
	s_mov_b32 s6, exec_lo
	v_cmpx_ne_u32_e32 25, v0
	s_cbranch_execz .LBB43_550
; %bb.547:
	v_add_nc_u32_e32 v8, 0x2d0, v109
	v_add3_u32 v97, 0, v109, 16
	v_mov_b32_e32 v98, v0
	s_mov_b32 s8, 0
	.p2align	6
.LBB43_548:                             ; =>This Inner Loop Header: Depth=1
	s_clause 0x3
	buffer_load_dword v103, v97, s[0:3], 0 offen offset:8
	buffer_load_dword v104, v97, s[0:3], 0 offen offset:12
	buffer_load_dword v105, v97, s[0:3], 0 offen
	buffer_load_dword v106, v97, s[0:3], 0 offen offset:4
	ds_read_b128 v[99:102], v8
	v_add_nc_u32_e32 v98, 1, v98
	v_add_nc_u32_e32 v8, 16, v8
	;; [unrolled: 1-line block ×3, first 2 shown]
	v_cmp_lt_u32_e32 vcc_lo, 24, v98
	s_or_b32 s8, vcc_lo, s8
	s_waitcnt vmcnt(2) lgkmcnt(0)
	v_mul_f64 v[107:108], v[101:102], v[103:104]
	v_mul_f64 v[103:104], v[99:100], v[103:104]
	s_waitcnt vmcnt(0)
	v_fma_f64 v[99:100], v[99:100], v[105:106], -v[107:108]
	v_fma_f64 v[101:102], v[101:102], v[105:106], v[103:104]
	v_add_f64 v[1:2], v[1:2], v[99:100]
	v_add_f64 v[3:4], v[3:4], v[101:102]
	s_andn2_b32 exec_lo, exec_lo, s8
	s_cbranch_execnz .LBB43_548
; %bb.549:
	s_or_b32 exec_lo, exec_lo, s8
.LBB43_550:
	s_or_b32 exec_lo, exec_lo, s6
	v_mov_b32_e32 v8, 0
	ds_read_b128 v[97:100], v8 offset:416
	s_waitcnt lgkmcnt(0)
	v_mul_f64 v[101:102], v[3:4], v[99:100]
	v_mul_f64 v[99:100], v[1:2], v[99:100]
	v_fma_f64 v[1:2], v[1:2], v[97:98], -v[101:102]
	v_fma_f64 v[3:4], v[3:4], v[97:98], v[99:100]
	buffer_store_dword v2, off, s[0:3], 0 offset:420
	buffer_store_dword v1, off, s[0:3], 0 offset:416
	;; [unrolled: 1-line block ×4, first 2 shown]
.LBB43_551:
	s_or_b32 exec_lo, exec_lo, s4
	v_mov_b32_e32 v4, s24
	s_mov_b32 s4, exec_lo
	s_clause 0x3
	buffer_load_dword v1, v4, s[0:3], 0 offen
	buffer_load_dword v2, v4, s[0:3], 0 offen offset:4
	buffer_load_dword v3, v4, s[0:3], 0 offen offset:8
	;; [unrolled: 1-line block ×3, first 2 shown]
	s_waitcnt vmcnt(0)
	ds_write_b128 v6, v[1:4]
	s_waitcnt lgkmcnt(0)
	s_waitcnt_vscnt null, 0x0
	s_barrier
	buffer_gl0_inv
	v_cmpx_gt_u32_e32 27, v0
	s_cbranch_execz .LBB43_559
; %bb.552:
	ds_read_b128 v[1:4], v6
	v_cmp_ne_u32_e32 vcc_lo, 1, v7
	s_cbranch_vccnz .LBB43_554
; %bb.553:
	s_clause 0x3
	buffer_load_dword v97, v5, s[0:3], 0 offen offset:8
	buffer_load_dword v98, v5, s[0:3], 0 offen offset:12
	buffer_load_dword v99, v5, s[0:3], 0 offen
	buffer_load_dword v100, v5, s[0:3], 0 offen offset:4
	s_waitcnt vmcnt(2) lgkmcnt(0)
	v_mul_f64 v[101:102], v[3:4], v[97:98]
	v_mul_f64 v[97:98], v[1:2], v[97:98]
	s_waitcnt vmcnt(0)
	v_fma_f64 v[1:2], v[1:2], v[99:100], -v[101:102]
	v_fma_f64 v[3:4], v[3:4], v[99:100], v[97:98]
.LBB43_554:
	s_mov_b32 s6, exec_lo
	v_cmpx_ne_u32_e32 26, v0
	s_cbranch_execz .LBB43_558
; %bb.555:
	v_add_nc_u32_e32 v8, 0x2d0, v109
	v_add3_u32 v97, 0, v109, 16
	v_mov_b32_e32 v98, v0
	s_mov_b32 s8, 0
	.p2align	6
.LBB43_556:                             ; =>This Inner Loop Header: Depth=1
	s_clause 0x3
	buffer_load_dword v103, v97, s[0:3], 0 offen offset:8
	buffer_load_dword v104, v97, s[0:3], 0 offen offset:12
	buffer_load_dword v105, v97, s[0:3], 0 offen
	buffer_load_dword v106, v97, s[0:3], 0 offen offset:4
	ds_read_b128 v[99:102], v8
	v_add_nc_u32_e32 v98, 1, v98
	v_add_nc_u32_e32 v8, 16, v8
	;; [unrolled: 1-line block ×3, first 2 shown]
	v_cmp_lt_u32_e32 vcc_lo, 25, v98
	s_or_b32 s8, vcc_lo, s8
	s_waitcnt vmcnt(2) lgkmcnt(0)
	v_mul_f64 v[107:108], v[101:102], v[103:104]
	v_mul_f64 v[103:104], v[99:100], v[103:104]
	s_waitcnt vmcnt(0)
	v_fma_f64 v[99:100], v[99:100], v[105:106], -v[107:108]
	v_fma_f64 v[101:102], v[101:102], v[105:106], v[103:104]
	v_add_f64 v[1:2], v[1:2], v[99:100]
	v_add_f64 v[3:4], v[3:4], v[101:102]
	s_andn2_b32 exec_lo, exec_lo, s8
	s_cbranch_execnz .LBB43_556
; %bb.557:
	s_or_b32 exec_lo, exec_lo, s8
.LBB43_558:
	s_or_b32 exec_lo, exec_lo, s6
	v_mov_b32_e32 v8, 0
	ds_read_b128 v[97:100], v8 offset:432
	s_waitcnt lgkmcnt(0)
	v_mul_f64 v[101:102], v[3:4], v[99:100]
	v_mul_f64 v[99:100], v[1:2], v[99:100]
	v_fma_f64 v[1:2], v[1:2], v[97:98], -v[101:102]
	v_fma_f64 v[3:4], v[3:4], v[97:98], v[99:100]
	buffer_store_dword v2, off, s[0:3], 0 offset:436
	buffer_store_dword v1, off, s[0:3], 0 offset:432
	;; [unrolled: 1-line block ×4, first 2 shown]
.LBB43_559:
	s_or_b32 exec_lo, exec_lo, s4
	v_mov_b32_e32 v4, s23
	s_mov_b32 s4, exec_lo
	s_clause 0x3
	buffer_load_dword v1, v4, s[0:3], 0 offen
	buffer_load_dword v2, v4, s[0:3], 0 offen offset:4
	buffer_load_dword v3, v4, s[0:3], 0 offen offset:8
	;; [unrolled: 1-line block ×3, first 2 shown]
	s_waitcnt vmcnt(0)
	ds_write_b128 v6, v[1:4]
	s_waitcnt lgkmcnt(0)
	s_waitcnt_vscnt null, 0x0
	s_barrier
	buffer_gl0_inv
	v_cmpx_gt_u32_e32 28, v0
	s_cbranch_execz .LBB43_567
; %bb.560:
	ds_read_b128 v[1:4], v6
	v_cmp_ne_u32_e32 vcc_lo, 1, v7
	s_cbranch_vccnz .LBB43_562
; %bb.561:
	s_clause 0x3
	buffer_load_dword v97, v5, s[0:3], 0 offen offset:8
	buffer_load_dword v98, v5, s[0:3], 0 offen offset:12
	buffer_load_dword v99, v5, s[0:3], 0 offen
	buffer_load_dword v100, v5, s[0:3], 0 offen offset:4
	s_waitcnt vmcnt(2) lgkmcnt(0)
	v_mul_f64 v[101:102], v[3:4], v[97:98]
	v_mul_f64 v[97:98], v[1:2], v[97:98]
	s_waitcnt vmcnt(0)
	v_fma_f64 v[1:2], v[1:2], v[99:100], -v[101:102]
	v_fma_f64 v[3:4], v[3:4], v[99:100], v[97:98]
.LBB43_562:
	s_mov_b32 s6, exec_lo
	v_cmpx_ne_u32_e32 27, v0
	s_cbranch_execz .LBB43_566
; %bb.563:
	v_add_nc_u32_e32 v8, 0x2d0, v109
	v_add3_u32 v97, 0, v109, 16
	v_mov_b32_e32 v98, v0
	s_mov_b32 s8, 0
	.p2align	6
.LBB43_564:                             ; =>This Inner Loop Header: Depth=1
	s_clause 0x3
	buffer_load_dword v103, v97, s[0:3], 0 offen offset:8
	buffer_load_dword v104, v97, s[0:3], 0 offen offset:12
	buffer_load_dword v105, v97, s[0:3], 0 offen
	buffer_load_dword v106, v97, s[0:3], 0 offen offset:4
	ds_read_b128 v[99:102], v8
	v_add_nc_u32_e32 v98, 1, v98
	v_add_nc_u32_e32 v8, 16, v8
	;; [unrolled: 1-line block ×3, first 2 shown]
	v_cmp_lt_u32_e32 vcc_lo, 26, v98
	s_or_b32 s8, vcc_lo, s8
	s_waitcnt vmcnt(2) lgkmcnt(0)
	v_mul_f64 v[107:108], v[101:102], v[103:104]
	v_mul_f64 v[103:104], v[99:100], v[103:104]
	s_waitcnt vmcnt(0)
	v_fma_f64 v[99:100], v[99:100], v[105:106], -v[107:108]
	v_fma_f64 v[101:102], v[101:102], v[105:106], v[103:104]
	v_add_f64 v[1:2], v[1:2], v[99:100]
	v_add_f64 v[3:4], v[3:4], v[101:102]
	s_andn2_b32 exec_lo, exec_lo, s8
	s_cbranch_execnz .LBB43_564
; %bb.565:
	s_or_b32 exec_lo, exec_lo, s8
.LBB43_566:
	s_or_b32 exec_lo, exec_lo, s6
	v_mov_b32_e32 v8, 0
	ds_read_b128 v[97:100], v8 offset:448
	s_waitcnt lgkmcnt(0)
	v_mul_f64 v[101:102], v[3:4], v[99:100]
	v_mul_f64 v[99:100], v[1:2], v[99:100]
	v_fma_f64 v[1:2], v[1:2], v[97:98], -v[101:102]
	v_fma_f64 v[3:4], v[3:4], v[97:98], v[99:100]
	buffer_store_dword v2, off, s[0:3], 0 offset:452
	buffer_store_dword v1, off, s[0:3], 0 offset:448
	;; [unrolled: 1-line block ×4, first 2 shown]
.LBB43_567:
	s_or_b32 exec_lo, exec_lo, s4
	v_mov_b32_e32 v4, s22
	s_mov_b32 s4, exec_lo
	s_clause 0x3
	buffer_load_dword v1, v4, s[0:3], 0 offen
	buffer_load_dword v2, v4, s[0:3], 0 offen offset:4
	buffer_load_dword v3, v4, s[0:3], 0 offen offset:8
	;; [unrolled: 1-line block ×3, first 2 shown]
	s_waitcnt vmcnt(0)
	ds_write_b128 v6, v[1:4]
	s_waitcnt lgkmcnt(0)
	s_waitcnt_vscnt null, 0x0
	s_barrier
	buffer_gl0_inv
	v_cmpx_gt_u32_e32 29, v0
	s_cbranch_execz .LBB43_575
; %bb.568:
	ds_read_b128 v[1:4], v6
	v_cmp_ne_u32_e32 vcc_lo, 1, v7
	s_cbranch_vccnz .LBB43_570
; %bb.569:
	s_clause 0x3
	buffer_load_dword v97, v5, s[0:3], 0 offen offset:8
	buffer_load_dword v98, v5, s[0:3], 0 offen offset:12
	buffer_load_dword v99, v5, s[0:3], 0 offen
	buffer_load_dword v100, v5, s[0:3], 0 offen offset:4
	s_waitcnt vmcnt(2) lgkmcnt(0)
	v_mul_f64 v[101:102], v[3:4], v[97:98]
	v_mul_f64 v[97:98], v[1:2], v[97:98]
	s_waitcnt vmcnt(0)
	v_fma_f64 v[1:2], v[1:2], v[99:100], -v[101:102]
	v_fma_f64 v[3:4], v[3:4], v[99:100], v[97:98]
.LBB43_570:
	s_mov_b32 s6, exec_lo
	v_cmpx_ne_u32_e32 28, v0
	s_cbranch_execz .LBB43_574
; %bb.571:
	v_add_nc_u32_e32 v8, 0x2d0, v109
	v_add3_u32 v97, 0, v109, 16
	v_mov_b32_e32 v98, v0
	s_mov_b32 s8, 0
	.p2align	6
.LBB43_572:                             ; =>This Inner Loop Header: Depth=1
	s_clause 0x3
	buffer_load_dword v103, v97, s[0:3], 0 offen offset:8
	buffer_load_dword v104, v97, s[0:3], 0 offen offset:12
	buffer_load_dword v105, v97, s[0:3], 0 offen
	buffer_load_dword v106, v97, s[0:3], 0 offen offset:4
	ds_read_b128 v[99:102], v8
	v_add_nc_u32_e32 v98, 1, v98
	v_add_nc_u32_e32 v8, 16, v8
	;; [unrolled: 1-line block ×3, first 2 shown]
	v_cmp_lt_u32_e32 vcc_lo, 27, v98
	s_or_b32 s8, vcc_lo, s8
	s_waitcnt vmcnt(2) lgkmcnt(0)
	v_mul_f64 v[107:108], v[101:102], v[103:104]
	v_mul_f64 v[103:104], v[99:100], v[103:104]
	s_waitcnt vmcnt(0)
	v_fma_f64 v[99:100], v[99:100], v[105:106], -v[107:108]
	v_fma_f64 v[101:102], v[101:102], v[105:106], v[103:104]
	v_add_f64 v[1:2], v[1:2], v[99:100]
	v_add_f64 v[3:4], v[3:4], v[101:102]
	s_andn2_b32 exec_lo, exec_lo, s8
	s_cbranch_execnz .LBB43_572
; %bb.573:
	s_or_b32 exec_lo, exec_lo, s8
.LBB43_574:
	s_or_b32 exec_lo, exec_lo, s6
	v_mov_b32_e32 v8, 0
	ds_read_b128 v[97:100], v8 offset:464
	s_waitcnt lgkmcnt(0)
	v_mul_f64 v[101:102], v[3:4], v[99:100]
	v_mul_f64 v[99:100], v[1:2], v[99:100]
	v_fma_f64 v[1:2], v[1:2], v[97:98], -v[101:102]
	v_fma_f64 v[3:4], v[3:4], v[97:98], v[99:100]
	buffer_store_dword v2, off, s[0:3], 0 offset:468
	buffer_store_dword v1, off, s[0:3], 0 offset:464
	;; [unrolled: 1-line block ×4, first 2 shown]
.LBB43_575:
	s_or_b32 exec_lo, exec_lo, s4
	v_mov_b32_e32 v4, s21
	s_mov_b32 s4, exec_lo
	s_clause 0x3
	buffer_load_dword v1, v4, s[0:3], 0 offen
	buffer_load_dword v2, v4, s[0:3], 0 offen offset:4
	buffer_load_dword v3, v4, s[0:3], 0 offen offset:8
	;; [unrolled: 1-line block ×3, first 2 shown]
	s_waitcnt vmcnt(0)
	ds_write_b128 v6, v[1:4]
	s_waitcnt lgkmcnt(0)
	s_waitcnt_vscnt null, 0x0
	s_barrier
	buffer_gl0_inv
	v_cmpx_gt_u32_e32 30, v0
	s_cbranch_execz .LBB43_583
; %bb.576:
	ds_read_b128 v[1:4], v6
	v_cmp_ne_u32_e32 vcc_lo, 1, v7
	s_cbranch_vccnz .LBB43_578
; %bb.577:
	s_clause 0x3
	buffer_load_dword v97, v5, s[0:3], 0 offen offset:8
	buffer_load_dword v98, v5, s[0:3], 0 offen offset:12
	buffer_load_dword v99, v5, s[0:3], 0 offen
	buffer_load_dword v100, v5, s[0:3], 0 offen offset:4
	s_waitcnt vmcnt(2) lgkmcnt(0)
	v_mul_f64 v[101:102], v[3:4], v[97:98]
	v_mul_f64 v[97:98], v[1:2], v[97:98]
	s_waitcnt vmcnt(0)
	v_fma_f64 v[1:2], v[1:2], v[99:100], -v[101:102]
	v_fma_f64 v[3:4], v[3:4], v[99:100], v[97:98]
.LBB43_578:
	s_mov_b32 s6, exec_lo
	v_cmpx_ne_u32_e32 29, v0
	s_cbranch_execz .LBB43_582
; %bb.579:
	v_add_nc_u32_e32 v8, 0x2d0, v109
	v_add3_u32 v97, 0, v109, 16
	v_mov_b32_e32 v98, v0
	s_mov_b32 s8, 0
	.p2align	6
.LBB43_580:                             ; =>This Inner Loop Header: Depth=1
	s_clause 0x3
	buffer_load_dword v103, v97, s[0:3], 0 offen offset:8
	buffer_load_dword v104, v97, s[0:3], 0 offen offset:12
	buffer_load_dword v105, v97, s[0:3], 0 offen
	buffer_load_dword v106, v97, s[0:3], 0 offen offset:4
	ds_read_b128 v[99:102], v8
	v_add_nc_u32_e32 v98, 1, v98
	v_add_nc_u32_e32 v8, 16, v8
	;; [unrolled: 1-line block ×3, first 2 shown]
	v_cmp_lt_u32_e32 vcc_lo, 28, v98
	s_or_b32 s8, vcc_lo, s8
	s_waitcnt vmcnt(2) lgkmcnt(0)
	v_mul_f64 v[107:108], v[101:102], v[103:104]
	v_mul_f64 v[103:104], v[99:100], v[103:104]
	s_waitcnt vmcnt(0)
	v_fma_f64 v[99:100], v[99:100], v[105:106], -v[107:108]
	v_fma_f64 v[101:102], v[101:102], v[105:106], v[103:104]
	v_add_f64 v[1:2], v[1:2], v[99:100]
	v_add_f64 v[3:4], v[3:4], v[101:102]
	s_andn2_b32 exec_lo, exec_lo, s8
	s_cbranch_execnz .LBB43_580
; %bb.581:
	s_or_b32 exec_lo, exec_lo, s8
.LBB43_582:
	s_or_b32 exec_lo, exec_lo, s6
	v_mov_b32_e32 v8, 0
	ds_read_b128 v[97:100], v8 offset:480
	s_waitcnt lgkmcnt(0)
	v_mul_f64 v[101:102], v[3:4], v[99:100]
	v_mul_f64 v[99:100], v[1:2], v[99:100]
	v_fma_f64 v[1:2], v[1:2], v[97:98], -v[101:102]
	v_fma_f64 v[3:4], v[3:4], v[97:98], v[99:100]
	buffer_store_dword v2, off, s[0:3], 0 offset:484
	buffer_store_dword v1, off, s[0:3], 0 offset:480
	;; [unrolled: 1-line block ×4, first 2 shown]
.LBB43_583:
	s_or_b32 exec_lo, exec_lo, s4
	v_mov_b32_e32 v4, s20
	s_mov_b32 s4, exec_lo
	s_clause 0x3
	buffer_load_dword v1, v4, s[0:3], 0 offen
	buffer_load_dword v2, v4, s[0:3], 0 offen offset:4
	buffer_load_dword v3, v4, s[0:3], 0 offen offset:8
	;; [unrolled: 1-line block ×3, first 2 shown]
	s_waitcnt vmcnt(0)
	ds_write_b128 v6, v[1:4]
	s_waitcnt lgkmcnt(0)
	s_waitcnt_vscnt null, 0x0
	s_barrier
	buffer_gl0_inv
	v_cmpx_gt_u32_e32 31, v0
	s_cbranch_execz .LBB43_591
; %bb.584:
	ds_read_b128 v[1:4], v6
	v_cmp_ne_u32_e32 vcc_lo, 1, v7
	s_cbranch_vccnz .LBB43_586
; %bb.585:
	s_clause 0x3
	buffer_load_dword v97, v5, s[0:3], 0 offen offset:8
	buffer_load_dword v98, v5, s[0:3], 0 offen offset:12
	buffer_load_dword v99, v5, s[0:3], 0 offen
	buffer_load_dword v100, v5, s[0:3], 0 offen offset:4
	s_waitcnt vmcnt(2) lgkmcnt(0)
	v_mul_f64 v[101:102], v[3:4], v[97:98]
	v_mul_f64 v[97:98], v[1:2], v[97:98]
	s_waitcnt vmcnt(0)
	v_fma_f64 v[1:2], v[1:2], v[99:100], -v[101:102]
	v_fma_f64 v[3:4], v[3:4], v[99:100], v[97:98]
.LBB43_586:
	s_mov_b32 s6, exec_lo
	v_cmpx_ne_u32_e32 30, v0
	s_cbranch_execz .LBB43_590
; %bb.587:
	v_add_nc_u32_e32 v8, 0x2d0, v109
	v_add3_u32 v97, 0, v109, 16
	v_mov_b32_e32 v98, v0
	s_mov_b32 s8, 0
	.p2align	6
.LBB43_588:                             ; =>This Inner Loop Header: Depth=1
	s_clause 0x3
	buffer_load_dword v103, v97, s[0:3], 0 offen offset:8
	buffer_load_dword v104, v97, s[0:3], 0 offen offset:12
	buffer_load_dword v105, v97, s[0:3], 0 offen
	buffer_load_dword v106, v97, s[0:3], 0 offen offset:4
	ds_read_b128 v[99:102], v8
	v_add_nc_u32_e32 v98, 1, v98
	v_add_nc_u32_e32 v8, 16, v8
	;; [unrolled: 1-line block ×3, first 2 shown]
	v_cmp_lt_u32_e32 vcc_lo, 29, v98
	s_or_b32 s8, vcc_lo, s8
	s_waitcnt vmcnt(2) lgkmcnt(0)
	v_mul_f64 v[107:108], v[101:102], v[103:104]
	v_mul_f64 v[103:104], v[99:100], v[103:104]
	s_waitcnt vmcnt(0)
	v_fma_f64 v[99:100], v[99:100], v[105:106], -v[107:108]
	v_fma_f64 v[101:102], v[101:102], v[105:106], v[103:104]
	v_add_f64 v[1:2], v[1:2], v[99:100]
	v_add_f64 v[3:4], v[3:4], v[101:102]
	s_andn2_b32 exec_lo, exec_lo, s8
	s_cbranch_execnz .LBB43_588
; %bb.589:
	s_or_b32 exec_lo, exec_lo, s8
.LBB43_590:
	s_or_b32 exec_lo, exec_lo, s6
	v_mov_b32_e32 v8, 0
	ds_read_b128 v[97:100], v8 offset:496
	s_waitcnt lgkmcnt(0)
	v_mul_f64 v[101:102], v[3:4], v[99:100]
	v_mul_f64 v[99:100], v[1:2], v[99:100]
	v_fma_f64 v[1:2], v[1:2], v[97:98], -v[101:102]
	v_fma_f64 v[3:4], v[3:4], v[97:98], v[99:100]
	buffer_store_dword v2, off, s[0:3], 0 offset:500
	buffer_store_dword v1, off, s[0:3], 0 offset:496
	;; [unrolled: 1-line block ×4, first 2 shown]
.LBB43_591:
	s_or_b32 exec_lo, exec_lo, s4
	v_mov_b32_e32 v4, s19
	s_mov_b32 s4, exec_lo
	s_clause 0x3
	buffer_load_dword v1, v4, s[0:3], 0 offen
	buffer_load_dword v2, v4, s[0:3], 0 offen offset:4
	buffer_load_dword v3, v4, s[0:3], 0 offen offset:8
	;; [unrolled: 1-line block ×3, first 2 shown]
	s_waitcnt vmcnt(0)
	ds_write_b128 v6, v[1:4]
	s_waitcnt lgkmcnt(0)
	s_waitcnt_vscnt null, 0x0
	s_barrier
	buffer_gl0_inv
	v_cmpx_gt_u32_e32 32, v0
	s_cbranch_execz .LBB43_599
; %bb.592:
	ds_read_b128 v[1:4], v6
	v_cmp_ne_u32_e32 vcc_lo, 1, v7
	s_cbranch_vccnz .LBB43_594
; %bb.593:
	s_clause 0x3
	buffer_load_dword v97, v5, s[0:3], 0 offen offset:8
	buffer_load_dword v98, v5, s[0:3], 0 offen offset:12
	buffer_load_dword v99, v5, s[0:3], 0 offen
	buffer_load_dword v100, v5, s[0:3], 0 offen offset:4
	s_waitcnt vmcnt(2) lgkmcnt(0)
	v_mul_f64 v[101:102], v[3:4], v[97:98]
	v_mul_f64 v[97:98], v[1:2], v[97:98]
	s_waitcnt vmcnt(0)
	v_fma_f64 v[1:2], v[1:2], v[99:100], -v[101:102]
	v_fma_f64 v[3:4], v[3:4], v[99:100], v[97:98]
.LBB43_594:
	s_mov_b32 s6, exec_lo
	v_cmpx_ne_u32_e32 31, v0
	s_cbranch_execz .LBB43_598
; %bb.595:
	v_add_nc_u32_e32 v8, 0x2d0, v109
	v_add3_u32 v97, 0, v109, 16
	v_mov_b32_e32 v98, v0
	s_mov_b32 s8, 0
	.p2align	6
.LBB43_596:                             ; =>This Inner Loop Header: Depth=1
	s_clause 0x3
	buffer_load_dword v103, v97, s[0:3], 0 offen offset:8
	buffer_load_dword v104, v97, s[0:3], 0 offen offset:12
	buffer_load_dword v105, v97, s[0:3], 0 offen
	buffer_load_dword v106, v97, s[0:3], 0 offen offset:4
	ds_read_b128 v[99:102], v8
	v_add_nc_u32_e32 v98, 1, v98
	v_add_nc_u32_e32 v8, 16, v8
	;; [unrolled: 1-line block ×3, first 2 shown]
	v_cmp_lt_u32_e32 vcc_lo, 30, v98
	s_or_b32 s8, vcc_lo, s8
	s_waitcnt vmcnt(2) lgkmcnt(0)
	v_mul_f64 v[107:108], v[101:102], v[103:104]
	v_mul_f64 v[103:104], v[99:100], v[103:104]
	s_waitcnt vmcnt(0)
	v_fma_f64 v[99:100], v[99:100], v[105:106], -v[107:108]
	v_fma_f64 v[101:102], v[101:102], v[105:106], v[103:104]
	v_add_f64 v[1:2], v[1:2], v[99:100]
	v_add_f64 v[3:4], v[3:4], v[101:102]
	s_andn2_b32 exec_lo, exec_lo, s8
	s_cbranch_execnz .LBB43_596
; %bb.597:
	s_or_b32 exec_lo, exec_lo, s8
.LBB43_598:
	s_or_b32 exec_lo, exec_lo, s6
	v_mov_b32_e32 v8, 0
	ds_read_b128 v[97:100], v8 offset:512
	s_waitcnt lgkmcnt(0)
	v_mul_f64 v[101:102], v[3:4], v[99:100]
	v_mul_f64 v[99:100], v[1:2], v[99:100]
	v_fma_f64 v[1:2], v[1:2], v[97:98], -v[101:102]
	v_fma_f64 v[3:4], v[3:4], v[97:98], v[99:100]
	buffer_store_dword v2, off, s[0:3], 0 offset:516
	buffer_store_dword v1, off, s[0:3], 0 offset:512
	;; [unrolled: 1-line block ×4, first 2 shown]
.LBB43_599:
	s_or_b32 exec_lo, exec_lo, s4
	v_mov_b32_e32 v4, s18
	s_mov_b32 s4, exec_lo
	s_clause 0x3
	buffer_load_dword v1, v4, s[0:3], 0 offen
	buffer_load_dword v2, v4, s[0:3], 0 offen offset:4
	buffer_load_dword v3, v4, s[0:3], 0 offen offset:8
	;; [unrolled: 1-line block ×3, first 2 shown]
	s_waitcnt vmcnt(0)
	ds_write_b128 v6, v[1:4]
	s_waitcnt lgkmcnt(0)
	s_waitcnt_vscnt null, 0x0
	s_barrier
	buffer_gl0_inv
	v_cmpx_gt_u32_e32 33, v0
	s_cbranch_execz .LBB43_607
; %bb.600:
	ds_read_b128 v[1:4], v6
	v_cmp_ne_u32_e32 vcc_lo, 1, v7
	s_cbranch_vccnz .LBB43_602
; %bb.601:
	s_clause 0x3
	buffer_load_dword v97, v5, s[0:3], 0 offen offset:8
	buffer_load_dword v98, v5, s[0:3], 0 offen offset:12
	buffer_load_dword v99, v5, s[0:3], 0 offen
	buffer_load_dword v100, v5, s[0:3], 0 offen offset:4
	s_waitcnt vmcnt(2) lgkmcnt(0)
	v_mul_f64 v[101:102], v[3:4], v[97:98]
	v_mul_f64 v[97:98], v[1:2], v[97:98]
	s_waitcnt vmcnt(0)
	v_fma_f64 v[1:2], v[1:2], v[99:100], -v[101:102]
	v_fma_f64 v[3:4], v[3:4], v[99:100], v[97:98]
.LBB43_602:
	s_mov_b32 s6, exec_lo
	v_cmpx_ne_u32_e32 32, v0
	s_cbranch_execz .LBB43_606
; %bb.603:
	v_add_nc_u32_e32 v8, 0x2d0, v109
	v_add3_u32 v97, 0, v109, 16
	v_mov_b32_e32 v98, v0
	s_mov_b32 s8, 0
	.p2align	6
.LBB43_604:                             ; =>This Inner Loop Header: Depth=1
	s_clause 0x3
	buffer_load_dword v103, v97, s[0:3], 0 offen offset:8
	buffer_load_dword v104, v97, s[0:3], 0 offen offset:12
	buffer_load_dword v105, v97, s[0:3], 0 offen
	buffer_load_dword v106, v97, s[0:3], 0 offen offset:4
	ds_read_b128 v[99:102], v8
	v_add_nc_u32_e32 v98, 1, v98
	v_add_nc_u32_e32 v8, 16, v8
	;; [unrolled: 1-line block ×3, first 2 shown]
	v_cmp_lt_u32_e32 vcc_lo, 31, v98
	s_or_b32 s8, vcc_lo, s8
	s_waitcnt vmcnt(2) lgkmcnt(0)
	v_mul_f64 v[107:108], v[101:102], v[103:104]
	v_mul_f64 v[103:104], v[99:100], v[103:104]
	s_waitcnt vmcnt(0)
	v_fma_f64 v[99:100], v[99:100], v[105:106], -v[107:108]
	v_fma_f64 v[101:102], v[101:102], v[105:106], v[103:104]
	v_add_f64 v[1:2], v[1:2], v[99:100]
	v_add_f64 v[3:4], v[3:4], v[101:102]
	s_andn2_b32 exec_lo, exec_lo, s8
	s_cbranch_execnz .LBB43_604
; %bb.605:
	s_or_b32 exec_lo, exec_lo, s8
.LBB43_606:
	s_or_b32 exec_lo, exec_lo, s6
	v_mov_b32_e32 v8, 0
	ds_read_b128 v[97:100], v8 offset:528
	s_waitcnt lgkmcnt(0)
	v_mul_f64 v[101:102], v[3:4], v[99:100]
	v_mul_f64 v[99:100], v[1:2], v[99:100]
	v_fma_f64 v[1:2], v[1:2], v[97:98], -v[101:102]
	v_fma_f64 v[3:4], v[3:4], v[97:98], v[99:100]
	buffer_store_dword v2, off, s[0:3], 0 offset:532
	buffer_store_dword v1, off, s[0:3], 0 offset:528
	;; [unrolled: 1-line block ×4, first 2 shown]
.LBB43_607:
	s_or_b32 exec_lo, exec_lo, s4
	v_mov_b32_e32 v4, s17
	s_mov_b32 s4, exec_lo
	s_clause 0x3
	buffer_load_dword v1, v4, s[0:3], 0 offen
	buffer_load_dword v2, v4, s[0:3], 0 offen offset:4
	buffer_load_dword v3, v4, s[0:3], 0 offen offset:8
	;; [unrolled: 1-line block ×3, first 2 shown]
	s_waitcnt vmcnt(0)
	ds_write_b128 v6, v[1:4]
	s_waitcnt lgkmcnt(0)
	s_waitcnt_vscnt null, 0x0
	s_barrier
	buffer_gl0_inv
	v_cmpx_gt_u32_e32 34, v0
	s_cbranch_execz .LBB43_615
; %bb.608:
	ds_read_b128 v[1:4], v6
	v_cmp_ne_u32_e32 vcc_lo, 1, v7
	s_cbranch_vccnz .LBB43_610
; %bb.609:
	s_clause 0x3
	buffer_load_dword v97, v5, s[0:3], 0 offen offset:8
	buffer_load_dword v98, v5, s[0:3], 0 offen offset:12
	buffer_load_dword v99, v5, s[0:3], 0 offen
	buffer_load_dword v100, v5, s[0:3], 0 offen offset:4
	s_waitcnt vmcnt(2) lgkmcnt(0)
	v_mul_f64 v[101:102], v[3:4], v[97:98]
	v_mul_f64 v[97:98], v[1:2], v[97:98]
	s_waitcnt vmcnt(0)
	v_fma_f64 v[1:2], v[1:2], v[99:100], -v[101:102]
	v_fma_f64 v[3:4], v[3:4], v[99:100], v[97:98]
.LBB43_610:
	s_mov_b32 s6, exec_lo
	v_cmpx_ne_u32_e32 33, v0
	s_cbranch_execz .LBB43_614
; %bb.611:
	v_add_nc_u32_e32 v8, 0x2d0, v109
	v_add3_u32 v97, 0, v109, 16
	v_mov_b32_e32 v98, v0
	s_mov_b32 s8, 0
	.p2align	6
.LBB43_612:                             ; =>This Inner Loop Header: Depth=1
	s_clause 0x3
	buffer_load_dword v103, v97, s[0:3], 0 offen offset:8
	buffer_load_dword v104, v97, s[0:3], 0 offen offset:12
	buffer_load_dword v105, v97, s[0:3], 0 offen
	buffer_load_dword v106, v97, s[0:3], 0 offen offset:4
	ds_read_b128 v[99:102], v8
	v_add_nc_u32_e32 v98, 1, v98
	v_add_nc_u32_e32 v8, 16, v8
	;; [unrolled: 1-line block ×3, first 2 shown]
	v_cmp_lt_u32_e32 vcc_lo, 32, v98
	s_or_b32 s8, vcc_lo, s8
	s_waitcnt vmcnt(2) lgkmcnt(0)
	v_mul_f64 v[107:108], v[101:102], v[103:104]
	v_mul_f64 v[103:104], v[99:100], v[103:104]
	s_waitcnt vmcnt(0)
	v_fma_f64 v[99:100], v[99:100], v[105:106], -v[107:108]
	v_fma_f64 v[101:102], v[101:102], v[105:106], v[103:104]
	v_add_f64 v[1:2], v[1:2], v[99:100]
	v_add_f64 v[3:4], v[3:4], v[101:102]
	s_andn2_b32 exec_lo, exec_lo, s8
	s_cbranch_execnz .LBB43_612
; %bb.613:
	s_or_b32 exec_lo, exec_lo, s8
.LBB43_614:
	s_or_b32 exec_lo, exec_lo, s6
	v_mov_b32_e32 v8, 0
	ds_read_b128 v[97:100], v8 offset:544
	s_waitcnt lgkmcnt(0)
	v_mul_f64 v[101:102], v[3:4], v[99:100]
	v_mul_f64 v[99:100], v[1:2], v[99:100]
	v_fma_f64 v[1:2], v[1:2], v[97:98], -v[101:102]
	v_fma_f64 v[3:4], v[3:4], v[97:98], v[99:100]
	buffer_store_dword v2, off, s[0:3], 0 offset:548
	buffer_store_dword v1, off, s[0:3], 0 offset:544
	;; [unrolled: 1-line block ×4, first 2 shown]
.LBB43_615:
	s_or_b32 exec_lo, exec_lo, s4
	v_mov_b32_e32 v4, s16
	s_mov_b32 s4, exec_lo
	s_clause 0x3
	buffer_load_dword v1, v4, s[0:3], 0 offen
	buffer_load_dword v2, v4, s[0:3], 0 offen offset:4
	buffer_load_dword v3, v4, s[0:3], 0 offen offset:8
	;; [unrolled: 1-line block ×3, first 2 shown]
	s_waitcnt vmcnt(0)
	ds_write_b128 v6, v[1:4]
	s_waitcnt lgkmcnt(0)
	s_waitcnt_vscnt null, 0x0
	s_barrier
	buffer_gl0_inv
	v_cmpx_gt_u32_e32 35, v0
	s_cbranch_execz .LBB43_623
; %bb.616:
	ds_read_b128 v[1:4], v6
	v_cmp_ne_u32_e32 vcc_lo, 1, v7
	s_cbranch_vccnz .LBB43_618
; %bb.617:
	s_clause 0x3
	buffer_load_dword v97, v5, s[0:3], 0 offen offset:8
	buffer_load_dword v98, v5, s[0:3], 0 offen offset:12
	buffer_load_dword v99, v5, s[0:3], 0 offen
	buffer_load_dword v100, v5, s[0:3], 0 offen offset:4
	s_waitcnt vmcnt(2) lgkmcnt(0)
	v_mul_f64 v[101:102], v[3:4], v[97:98]
	v_mul_f64 v[97:98], v[1:2], v[97:98]
	s_waitcnt vmcnt(0)
	v_fma_f64 v[1:2], v[1:2], v[99:100], -v[101:102]
	v_fma_f64 v[3:4], v[3:4], v[99:100], v[97:98]
.LBB43_618:
	s_mov_b32 s6, exec_lo
	v_cmpx_ne_u32_e32 34, v0
	s_cbranch_execz .LBB43_622
; %bb.619:
	v_add_nc_u32_e32 v8, 0x2d0, v109
	v_add3_u32 v97, 0, v109, 16
	v_mov_b32_e32 v98, v0
	s_mov_b32 s8, 0
	.p2align	6
.LBB43_620:                             ; =>This Inner Loop Header: Depth=1
	s_clause 0x3
	buffer_load_dword v103, v97, s[0:3], 0 offen offset:8
	buffer_load_dword v104, v97, s[0:3], 0 offen offset:12
	buffer_load_dword v105, v97, s[0:3], 0 offen
	buffer_load_dword v106, v97, s[0:3], 0 offen offset:4
	ds_read_b128 v[99:102], v8
	v_add_nc_u32_e32 v98, 1, v98
	v_add_nc_u32_e32 v8, 16, v8
	;; [unrolled: 1-line block ×3, first 2 shown]
	v_cmp_lt_u32_e32 vcc_lo, 33, v98
	s_or_b32 s8, vcc_lo, s8
	s_waitcnt vmcnt(2) lgkmcnt(0)
	v_mul_f64 v[107:108], v[101:102], v[103:104]
	v_mul_f64 v[103:104], v[99:100], v[103:104]
	s_waitcnt vmcnt(0)
	v_fma_f64 v[99:100], v[99:100], v[105:106], -v[107:108]
	v_fma_f64 v[101:102], v[101:102], v[105:106], v[103:104]
	v_add_f64 v[1:2], v[1:2], v[99:100]
	v_add_f64 v[3:4], v[3:4], v[101:102]
	s_andn2_b32 exec_lo, exec_lo, s8
	s_cbranch_execnz .LBB43_620
; %bb.621:
	s_or_b32 exec_lo, exec_lo, s8
.LBB43_622:
	s_or_b32 exec_lo, exec_lo, s6
	v_mov_b32_e32 v8, 0
	ds_read_b128 v[97:100], v8 offset:560
	s_waitcnt lgkmcnt(0)
	v_mul_f64 v[101:102], v[3:4], v[99:100]
	v_mul_f64 v[99:100], v[1:2], v[99:100]
	v_fma_f64 v[1:2], v[1:2], v[97:98], -v[101:102]
	v_fma_f64 v[3:4], v[3:4], v[97:98], v[99:100]
	buffer_store_dword v2, off, s[0:3], 0 offset:564
	buffer_store_dword v1, off, s[0:3], 0 offset:560
	;; [unrolled: 1-line block ×4, first 2 shown]
.LBB43_623:
	s_or_b32 exec_lo, exec_lo, s4
	v_mov_b32_e32 v4, s15
	s_mov_b32 s4, exec_lo
	s_clause 0x3
	buffer_load_dword v1, v4, s[0:3], 0 offen
	buffer_load_dword v2, v4, s[0:3], 0 offen offset:4
	buffer_load_dword v3, v4, s[0:3], 0 offen offset:8
	;; [unrolled: 1-line block ×3, first 2 shown]
	s_waitcnt vmcnt(0)
	ds_write_b128 v6, v[1:4]
	s_waitcnt lgkmcnt(0)
	s_waitcnt_vscnt null, 0x0
	s_barrier
	buffer_gl0_inv
	v_cmpx_gt_u32_e32 36, v0
	s_cbranch_execz .LBB43_631
; %bb.624:
	ds_read_b128 v[1:4], v6
	v_cmp_ne_u32_e32 vcc_lo, 1, v7
	s_cbranch_vccnz .LBB43_626
; %bb.625:
	s_clause 0x3
	buffer_load_dword v97, v5, s[0:3], 0 offen offset:8
	buffer_load_dword v98, v5, s[0:3], 0 offen offset:12
	buffer_load_dword v99, v5, s[0:3], 0 offen
	buffer_load_dword v100, v5, s[0:3], 0 offen offset:4
	s_waitcnt vmcnt(2) lgkmcnt(0)
	v_mul_f64 v[101:102], v[3:4], v[97:98]
	v_mul_f64 v[97:98], v[1:2], v[97:98]
	s_waitcnt vmcnt(0)
	v_fma_f64 v[1:2], v[1:2], v[99:100], -v[101:102]
	v_fma_f64 v[3:4], v[3:4], v[99:100], v[97:98]
.LBB43_626:
	s_mov_b32 s6, exec_lo
	v_cmpx_ne_u32_e32 35, v0
	s_cbranch_execz .LBB43_630
; %bb.627:
	v_add_nc_u32_e32 v8, 0x2d0, v109
	v_add3_u32 v97, 0, v109, 16
	v_mov_b32_e32 v98, v0
	s_mov_b32 s8, 0
	.p2align	6
.LBB43_628:                             ; =>This Inner Loop Header: Depth=1
	s_clause 0x3
	buffer_load_dword v103, v97, s[0:3], 0 offen offset:8
	buffer_load_dword v104, v97, s[0:3], 0 offen offset:12
	buffer_load_dword v105, v97, s[0:3], 0 offen
	buffer_load_dword v106, v97, s[0:3], 0 offen offset:4
	ds_read_b128 v[99:102], v8
	v_add_nc_u32_e32 v98, 1, v98
	v_add_nc_u32_e32 v8, 16, v8
	;; [unrolled: 1-line block ×3, first 2 shown]
	v_cmp_lt_u32_e32 vcc_lo, 34, v98
	s_or_b32 s8, vcc_lo, s8
	s_waitcnt vmcnt(2) lgkmcnt(0)
	v_mul_f64 v[107:108], v[101:102], v[103:104]
	v_mul_f64 v[103:104], v[99:100], v[103:104]
	s_waitcnt vmcnt(0)
	v_fma_f64 v[99:100], v[99:100], v[105:106], -v[107:108]
	v_fma_f64 v[101:102], v[101:102], v[105:106], v[103:104]
	v_add_f64 v[1:2], v[1:2], v[99:100]
	v_add_f64 v[3:4], v[3:4], v[101:102]
	s_andn2_b32 exec_lo, exec_lo, s8
	s_cbranch_execnz .LBB43_628
; %bb.629:
	s_or_b32 exec_lo, exec_lo, s8
.LBB43_630:
	s_or_b32 exec_lo, exec_lo, s6
	v_mov_b32_e32 v8, 0
	ds_read_b128 v[97:100], v8 offset:576
	s_waitcnt lgkmcnt(0)
	v_mul_f64 v[101:102], v[3:4], v[99:100]
	v_mul_f64 v[99:100], v[1:2], v[99:100]
	v_fma_f64 v[1:2], v[1:2], v[97:98], -v[101:102]
	v_fma_f64 v[3:4], v[3:4], v[97:98], v[99:100]
	buffer_store_dword v2, off, s[0:3], 0 offset:580
	buffer_store_dword v1, off, s[0:3], 0 offset:576
	;; [unrolled: 1-line block ×4, first 2 shown]
.LBB43_631:
	s_or_b32 exec_lo, exec_lo, s4
	v_mov_b32_e32 v4, s14
	s_mov_b32 s4, exec_lo
	s_clause 0x3
	buffer_load_dword v1, v4, s[0:3], 0 offen
	buffer_load_dword v2, v4, s[0:3], 0 offen offset:4
	buffer_load_dword v3, v4, s[0:3], 0 offen offset:8
	;; [unrolled: 1-line block ×3, first 2 shown]
	s_waitcnt vmcnt(0)
	ds_write_b128 v6, v[1:4]
	s_waitcnt lgkmcnt(0)
	s_waitcnt_vscnt null, 0x0
	s_barrier
	buffer_gl0_inv
	v_cmpx_gt_u32_e32 37, v0
	s_cbranch_execz .LBB43_639
; %bb.632:
	ds_read_b128 v[1:4], v6
	v_cmp_ne_u32_e32 vcc_lo, 1, v7
	s_cbranch_vccnz .LBB43_634
; %bb.633:
	s_clause 0x3
	buffer_load_dword v97, v5, s[0:3], 0 offen offset:8
	buffer_load_dword v98, v5, s[0:3], 0 offen offset:12
	buffer_load_dword v99, v5, s[0:3], 0 offen
	buffer_load_dword v100, v5, s[0:3], 0 offen offset:4
	s_waitcnt vmcnt(2) lgkmcnt(0)
	v_mul_f64 v[101:102], v[3:4], v[97:98]
	v_mul_f64 v[97:98], v[1:2], v[97:98]
	s_waitcnt vmcnt(0)
	v_fma_f64 v[1:2], v[1:2], v[99:100], -v[101:102]
	v_fma_f64 v[3:4], v[3:4], v[99:100], v[97:98]
.LBB43_634:
	s_mov_b32 s6, exec_lo
	v_cmpx_ne_u32_e32 36, v0
	s_cbranch_execz .LBB43_638
; %bb.635:
	v_add_nc_u32_e32 v8, 0x2d0, v109
	v_add3_u32 v97, 0, v109, 16
	v_mov_b32_e32 v98, v0
	s_mov_b32 s8, 0
	.p2align	6
.LBB43_636:                             ; =>This Inner Loop Header: Depth=1
	s_clause 0x3
	buffer_load_dword v103, v97, s[0:3], 0 offen offset:8
	buffer_load_dword v104, v97, s[0:3], 0 offen offset:12
	buffer_load_dword v105, v97, s[0:3], 0 offen
	buffer_load_dword v106, v97, s[0:3], 0 offen offset:4
	ds_read_b128 v[99:102], v8
	v_add_nc_u32_e32 v98, 1, v98
	v_add_nc_u32_e32 v8, 16, v8
	;; [unrolled: 1-line block ×3, first 2 shown]
	v_cmp_lt_u32_e32 vcc_lo, 35, v98
	s_or_b32 s8, vcc_lo, s8
	s_waitcnt vmcnt(2) lgkmcnt(0)
	v_mul_f64 v[107:108], v[101:102], v[103:104]
	v_mul_f64 v[103:104], v[99:100], v[103:104]
	s_waitcnt vmcnt(0)
	v_fma_f64 v[99:100], v[99:100], v[105:106], -v[107:108]
	v_fma_f64 v[101:102], v[101:102], v[105:106], v[103:104]
	v_add_f64 v[1:2], v[1:2], v[99:100]
	v_add_f64 v[3:4], v[3:4], v[101:102]
	s_andn2_b32 exec_lo, exec_lo, s8
	s_cbranch_execnz .LBB43_636
; %bb.637:
	s_or_b32 exec_lo, exec_lo, s8
.LBB43_638:
	s_or_b32 exec_lo, exec_lo, s6
	v_mov_b32_e32 v8, 0
	ds_read_b128 v[97:100], v8 offset:592
	s_waitcnt lgkmcnt(0)
	v_mul_f64 v[101:102], v[3:4], v[99:100]
	v_mul_f64 v[99:100], v[1:2], v[99:100]
	v_fma_f64 v[1:2], v[1:2], v[97:98], -v[101:102]
	v_fma_f64 v[3:4], v[3:4], v[97:98], v[99:100]
	buffer_store_dword v2, off, s[0:3], 0 offset:596
	buffer_store_dword v1, off, s[0:3], 0 offset:592
	;; [unrolled: 1-line block ×4, first 2 shown]
.LBB43_639:
	s_or_b32 exec_lo, exec_lo, s4
	v_mov_b32_e32 v4, s13
	s_mov_b32 s4, exec_lo
	s_clause 0x3
	buffer_load_dword v1, v4, s[0:3], 0 offen
	buffer_load_dword v2, v4, s[0:3], 0 offen offset:4
	buffer_load_dword v3, v4, s[0:3], 0 offen offset:8
	buffer_load_dword v4, v4, s[0:3], 0 offen offset:12
	s_waitcnt vmcnt(0)
	ds_write_b128 v6, v[1:4]
	s_waitcnt lgkmcnt(0)
	s_waitcnt_vscnt null, 0x0
	s_barrier
	buffer_gl0_inv
	v_cmpx_gt_u32_e32 38, v0
	s_cbranch_execz .LBB43_647
; %bb.640:
	ds_read_b128 v[1:4], v6
	v_cmp_ne_u32_e32 vcc_lo, 1, v7
	s_cbranch_vccnz .LBB43_642
; %bb.641:
	s_clause 0x3
	buffer_load_dword v97, v5, s[0:3], 0 offen offset:8
	buffer_load_dword v98, v5, s[0:3], 0 offen offset:12
	buffer_load_dword v99, v5, s[0:3], 0 offen
	buffer_load_dword v100, v5, s[0:3], 0 offen offset:4
	s_waitcnt vmcnt(2) lgkmcnt(0)
	v_mul_f64 v[101:102], v[3:4], v[97:98]
	v_mul_f64 v[97:98], v[1:2], v[97:98]
	s_waitcnt vmcnt(0)
	v_fma_f64 v[1:2], v[1:2], v[99:100], -v[101:102]
	v_fma_f64 v[3:4], v[3:4], v[99:100], v[97:98]
.LBB43_642:
	s_mov_b32 s6, exec_lo
	v_cmpx_ne_u32_e32 37, v0
	s_cbranch_execz .LBB43_646
; %bb.643:
	v_add_nc_u32_e32 v8, 0x2d0, v109
	v_add3_u32 v97, 0, v109, 16
	v_mov_b32_e32 v98, v0
	s_mov_b32 s8, 0
	.p2align	6
.LBB43_644:                             ; =>This Inner Loop Header: Depth=1
	s_clause 0x3
	buffer_load_dword v103, v97, s[0:3], 0 offen offset:8
	buffer_load_dword v104, v97, s[0:3], 0 offen offset:12
	buffer_load_dword v105, v97, s[0:3], 0 offen
	buffer_load_dword v106, v97, s[0:3], 0 offen offset:4
	ds_read_b128 v[99:102], v8
	v_add_nc_u32_e32 v98, 1, v98
	v_add_nc_u32_e32 v8, 16, v8
	;; [unrolled: 1-line block ×3, first 2 shown]
	v_cmp_lt_u32_e32 vcc_lo, 36, v98
	s_or_b32 s8, vcc_lo, s8
	s_waitcnt vmcnt(2) lgkmcnt(0)
	v_mul_f64 v[107:108], v[101:102], v[103:104]
	v_mul_f64 v[103:104], v[99:100], v[103:104]
	s_waitcnt vmcnt(0)
	v_fma_f64 v[99:100], v[99:100], v[105:106], -v[107:108]
	v_fma_f64 v[101:102], v[101:102], v[105:106], v[103:104]
	v_add_f64 v[1:2], v[1:2], v[99:100]
	v_add_f64 v[3:4], v[3:4], v[101:102]
	s_andn2_b32 exec_lo, exec_lo, s8
	s_cbranch_execnz .LBB43_644
; %bb.645:
	s_or_b32 exec_lo, exec_lo, s8
.LBB43_646:
	s_or_b32 exec_lo, exec_lo, s6
	v_mov_b32_e32 v8, 0
	ds_read_b128 v[97:100], v8 offset:608
	s_waitcnt lgkmcnt(0)
	v_mul_f64 v[101:102], v[3:4], v[99:100]
	v_mul_f64 v[99:100], v[1:2], v[99:100]
	v_fma_f64 v[1:2], v[1:2], v[97:98], -v[101:102]
	v_fma_f64 v[3:4], v[3:4], v[97:98], v[99:100]
	buffer_store_dword v2, off, s[0:3], 0 offset:612
	buffer_store_dword v1, off, s[0:3], 0 offset:608
	;; [unrolled: 1-line block ×4, first 2 shown]
.LBB43_647:
	s_or_b32 exec_lo, exec_lo, s4
	v_mov_b32_e32 v4, s12
	s_mov_b32 s4, exec_lo
	s_clause 0x3
	buffer_load_dword v1, v4, s[0:3], 0 offen
	buffer_load_dword v2, v4, s[0:3], 0 offen offset:4
	buffer_load_dword v3, v4, s[0:3], 0 offen offset:8
	;; [unrolled: 1-line block ×3, first 2 shown]
	s_waitcnt vmcnt(0)
	ds_write_b128 v6, v[1:4]
	s_waitcnt lgkmcnt(0)
	s_waitcnt_vscnt null, 0x0
	s_barrier
	buffer_gl0_inv
	v_cmpx_gt_u32_e32 39, v0
	s_cbranch_execz .LBB43_655
; %bb.648:
	ds_read_b128 v[1:4], v6
	v_cmp_ne_u32_e32 vcc_lo, 1, v7
	s_cbranch_vccnz .LBB43_650
; %bb.649:
	s_clause 0x3
	buffer_load_dword v97, v5, s[0:3], 0 offen offset:8
	buffer_load_dword v98, v5, s[0:3], 0 offen offset:12
	buffer_load_dword v99, v5, s[0:3], 0 offen
	buffer_load_dword v100, v5, s[0:3], 0 offen offset:4
	s_waitcnt vmcnt(2) lgkmcnt(0)
	v_mul_f64 v[101:102], v[3:4], v[97:98]
	v_mul_f64 v[97:98], v[1:2], v[97:98]
	s_waitcnt vmcnt(0)
	v_fma_f64 v[1:2], v[1:2], v[99:100], -v[101:102]
	v_fma_f64 v[3:4], v[3:4], v[99:100], v[97:98]
.LBB43_650:
	s_mov_b32 s6, exec_lo
	v_cmpx_ne_u32_e32 38, v0
	s_cbranch_execz .LBB43_654
; %bb.651:
	v_add_nc_u32_e32 v8, 0x2d0, v109
	v_add3_u32 v97, 0, v109, 16
	v_mov_b32_e32 v98, v0
	s_mov_b32 s8, 0
	.p2align	6
.LBB43_652:                             ; =>This Inner Loop Header: Depth=1
	s_clause 0x3
	buffer_load_dword v103, v97, s[0:3], 0 offen offset:8
	buffer_load_dword v104, v97, s[0:3], 0 offen offset:12
	buffer_load_dword v105, v97, s[0:3], 0 offen
	buffer_load_dword v106, v97, s[0:3], 0 offen offset:4
	ds_read_b128 v[99:102], v8
	v_add_nc_u32_e32 v98, 1, v98
	v_add_nc_u32_e32 v8, 16, v8
	;; [unrolled: 1-line block ×3, first 2 shown]
	v_cmp_lt_u32_e32 vcc_lo, 37, v98
	s_or_b32 s8, vcc_lo, s8
	s_waitcnt vmcnt(2) lgkmcnt(0)
	v_mul_f64 v[107:108], v[101:102], v[103:104]
	v_mul_f64 v[103:104], v[99:100], v[103:104]
	s_waitcnt vmcnt(0)
	v_fma_f64 v[99:100], v[99:100], v[105:106], -v[107:108]
	v_fma_f64 v[101:102], v[101:102], v[105:106], v[103:104]
	v_add_f64 v[1:2], v[1:2], v[99:100]
	v_add_f64 v[3:4], v[3:4], v[101:102]
	s_andn2_b32 exec_lo, exec_lo, s8
	s_cbranch_execnz .LBB43_652
; %bb.653:
	s_or_b32 exec_lo, exec_lo, s8
.LBB43_654:
	s_or_b32 exec_lo, exec_lo, s6
	v_mov_b32_e32 v8, 0
	ds_read_b128 v[97:100], v8 offset:624
	s_waitcnt lgkmcnt(0)
	v_mul_f64 v[101:102], v[3:4], v[99:100]
	v_mul_f64 v[99:100], v[1:2], v[99:100]
	v_fma_f64 v[1:2], v[1:2], v[97:98], -v[101:102]
	v_fma_f64 v[3:4], v[3:4], v[97:98], v[99:100]
	buffer_store_dword v2, off, s[0:3], 0 offset:628
	buffer_store_dword v1, off, s[0:3], 0 offset:624
	;; [unrolled: 1-line block ×4, first 2 shown]
.LBB43_655:
	s_or_b32 exec_lo, exec_lo, s4
	v_mov_b32_e32 v4, s11
	s_mov_b32 s4, exec_lo
	s_clause 0x3
	buffer_load_dword v1, v4, s[0:3], 0 offen
	buffer_load_dword v2, v4, s[0:3], 0 offen offset:4
	buffer_load_dword v3, v4, s[0:3], 0 offen offset:8
	;; [unrolled: 1-line block ×3, first 2 shown]
	s_waitcnt vmcnt(0)
	ds_write_b128 v6, v[1:4]
	s_waitcnt lgkmcnt(0)
	s_waitcnt_vscnt null, 0x0
	s_barrier
	buffer_gl0_inv
	v_cmpx_gt_u32_e32 40, v0
	s_cbranch_execz .LBB43_663
; %bb.656:
	ds_read_b128 v[1:4], v6
	v_cmp_ne_u32_e32 vcc_lo, 1, v7
	s_cbranch_vccnz .LBB43_658
; %bb.657:
	s_clause 0x3
	buffer_load_dword v97, v5, s[0:3], 0 offen offset:8
	buffer_load_dword v98, v5, s[0:3], 0 offen offset:12
	buffer_load_dword v99, v5, s[0:3], 0 offen
	buffer_load_dword v100, v5, s[0:3], 0 offen offset:4
	s_waitcnt vmcnt(2) lgkmcnt(0)
	v_mul_f64 v[101:102], v[3:4], v[97:98]
	v_mul_f64 v[97:98], v[1:2], v[97:98]
	s_waitcnt vmcnt(0)
	v_fma_f64 v[1:2], v[1:2], v[99:100], -v[101:102]
	v_fma_f64 v[3:4], v[3:4], v[99:100], v[97:98]
.LBB43_658:
	s_mov_b32 s6, exec_lo
	v_cmpx_ne_u32_e32 39, v0
	s_cbranch_execz .LBB43_662
; %bb.659:
	v_add_nc_u32_e32 v8, 0x2d0, v109
	v_add3_u32 v97, 0, v109, 16
	v_mov_b32_e32 v98, v0
	s_mov_b32 s8, 0
	.p2align	6
.LBB43_660:                             ; =>This Inner Loop Header: Depth=1
	s_clause 0x3
	buffer_load_dword v103, v97, s[0:3], 0 offen offset:8
	buffer_load_dword v104, v97, s[0:3], 0 offen offset:12
	buffer_load_dword v105, v97, s[0:3], 0 offen
	buffer_load_dword v106, v97, s[0:3], 0 offen offset:4
	ds_read_b128 v[99:102], v8
	v_add_nc_u32_e32 v98, 1, v98
	v_add_nc_u32_e32 v8, 16, v8
	;; [unrolled: 1-line block ×3, first 2 shown]
	v_cmp_lt_u32_e32 vcc_lo, 38, v98
	s_or_b32 s8, vcc_lo, s8
	s_waitcnt vmcnt(2) lgkmcnt(0)
	v_mul_f64 v[107:108], v[101:102], v[103:104]
	v_mul_f64 v[103:104], v[99:100], v[103:104]
	s_waitcnt vmcnt(0)
	v_fma_f64 v[99:100], v[99:100], v[105:106], -v[107:108]
	v_fma_f64 v[101:102], v[101:102], v[105:106], v[103:104]
	v_add_f64 v[1:2], v[1:2], v[99:100]
	v_add_f64 v[3:4], v[3:4], v[101:102]
	s_andn2_b32 exec_lo, exec_lo, s8
	s_cbranch_execnz .LBB43_660
; %bb.661:
	s_or_b32 exec_lo, exec_lo, s8
.LBB43_662:
	s_or_b32 exec_lo, exec_lo, s6
	v_mov_b32_e32 v8, 0
	ds_read_b128 v[97:100], v8 offset:640
	s_waitcnt lgkmcnt(0)
	v_mul_f64 v[101:102], v[3:4], v[99:100]
	v_mul_f64 v[99:100], v[1:2], v[99:100]
	v_fma_f64 v[1:2], v[1:2], v[97:98], -v[101:102]
	v_fma_f64 v[3:4], v[3:4], v[97:98], v[99:100]
	buffer_store_dword v2, off, s[0:3], 0 offset:644
	buffer_store_dword v1, off, s[0:3], 0 offset:640
	buffer_store_dword v4, off, s[0:3], 0 offset:652
	buffer_store_dword v3, off, s[0:3], 0 offset:648
.LBB43_663:
	s_or_b32 exec_lo, exec_lo, s4
	v_mov_b32_e32 v4, s10
	s_mov_b32 s4, exec_lo
	s_clause 0x3
	buffer_load_dword v1, v4, s[0:3], 0 offen
	buffer_load_dword v2, v4, s[0:3], 0 offen offset:4
	buffer_load_dword v3, v4, s[0:3], 0 offen offset:8
	;; [unrolled: 1-line block ×3, first 2 shown]
	s_waitcnt vmcnt(0)
	ds_write_b128 v6, v[1:4]
	s_waitcnt lgkmcnt(0)
	s_waitcnt_vscnt null, 0x0
	s_barrier
	buffer_gl0_inv
	v_cmpx_gt_u32_e32 41, v0
	s_cbranch_execz .LBB43_671
; %bb.664:
	ds_read_b128 v[1:4], v6
	v_cmp_ne_u32_e32 vcc_lo, 1, v7
	s_cbranch_vccnz .LBB43_666
; %bb.665:
	s_clause 0x3
	buffer_load_dword v97, v5, s[0:3], 0 offen offset:8
	buffer_load_dword v98, v5, s[0:3], 0 offen offset:12
	buffer_load_dword v99, v5, s[0:3], 0 offen
	buffer_load_dword v100, v5, s[0:3], 0 offen offset:4
	s_waitcnt vmcnt(2) lgkmcnt(0)
	v_mul_f64 v[101:102], v[3:4], v[97:98]
	v_mul_f64 v[97:98], v[1:2], v[97:98]
	s_waitcnt vmcnt(0)
	v_fma_f64 v[1:2], v[1:2], v[99:100], -v[101:102]
	v_fma_f64 v[3:4], v[3:4], v[99:100], v[97:98]
.LBB43_666:
	s_mov_b32 s6, exec_lo
	v_cmpx_ne_u32_e32 40, v0
	s_cbranch_execz .LBB43_670
; %bb.667:
	v_add_nc_u32_e32 v8, 0x2d0, v109
	v_add3_u32 v97, 0, v109, 16
	v_mov_b32_e32 v98, v0
	s_mov_b32 s8, 0
	.p2align	6
.LBB43_668:                             ; =>This Inner Loop Header: Depth=1
	s_clause 0x3
	buffer_load_dword v103, v97, s[0:3], 0 offen offset:8
	buffer_load_dword v104, v97, s[0:3], 0 offen offset:12
	buffer_load_dword v105, v97, s[0:3], 0 offen
	buffer_load_dword v106, v97, s[0:3], 0 offen offset:4
	ds_read_b128 v[99:102], v8
	v_add_nc_u32_e32 v98, 1, v98
	v_add_nc_u32_e32 v8, 16, v8
	v_add_nc_u32_e32 v97, 16, v97
	v_cmp_lt_u32_e32 vcc_lo, 39, v98
	s_or_b32 s8, vcc_lo, s8
	s_waitcnt vmcnt(2) lgkmcnt(0)
	v_mul_f64 v[107:108], v[101:102], v[103:104]
	v_mul_f64 v[103:104], v[99:100], v[103:104]
	s_waitcnt vmcnt(0)
	v_fma_f64 v[99:100], v[99:100], v[105:106], -v[107:108]
	v_fma_f64 v[101:102], v[101:102], v[105:106], v[103:104]
	v_add_f64 v[1:2], v[1:2], v[99:100]
	v_add_f64 v[3:4], v[3:4], v[101:102]
	s_andn2_b32 exec_lo, exec_lo, s8
	s_cbranch_execnz .LBB43_668
; %bb.669:
	s_or_b32 exec_lo, exec_lo, s8
.LBB43_670:
	s_or_b32 exec_lo, exec_lo, s6
	v_mov_b32_e32 v8, 0
	ds_read_b128 v[97:100], v8 offset:656
	s_waitcnt lgkmcnt(0)
	v_mul_f64 v[101:102], v[3:4], v[99:100]
	v_mul_f64 v[99:100], v[1:2], v[99:100]
	v_fma_f64 v[1:2], v[1:2], v[97:98], -v[101:102]
	v_fma_f64 v[3:4], v[3:4], v[97:98], v[99:100]
	buffer_store_dword v2, off, s[0:3], 0 offset:660
	buffer_store_dword v1, off, s[0:3], 0 offset:656
	;; [unrolled: 1-line block ×4, first 2 shown]
.LBB43_671:
	s_or_b32 exec_lo, exec_lo, s4
	v_mov_b32_e32 v4, s9
	v_cmp_gt_u32_e64 s4, 42, v0
	s_clause 0x3
	buffer_load_dword v1, v4, s[0:3], 0 offen
	buffer_load_dword v2, v4, s[0:3], 0 offen offset:4
	buffer_load_dword v3, v4, s[0:3], 0 offen offset:8
	;; [unrolled: 1-line block ×3, first 2 shown]
	s_waitcnt vmcnt(0)
	ds_write_b128 v6, v[1:4]
	s_waitcnt lgkmcnt(0)
	s_waitcnt_vscnt null, 0x0
	s_barrier
	buffer_gl0_inv
	s_and_saveexec_b32 s6, s4
	s_cbranch_execz .LBB43_679
; %bb.672:
	ds_read_b128 v[1:4], v6
	v_cmp_ne_u32_e32 vcc_lo, 1, v7
	s_cbranch_vccnz .LBB43_674
; %bb.673:
	s_clause 0x3
	buffer_load_dword v97, v5, s[0:3], 0 offen offset:8
	buffer_load_dword v98, v5, s[0:3], 0 offen offset:12
	buffer_load_dword v99, v5, s[0:3], 0 offen
	buffer_load_dword v100, v5, s[0:3], 0 offen offset:4
	s_waitcnt vmcnt(2) lgkmcnt(0)
	v_mul_f64 v[101:102], v[3:4], v[97:98]
	v_mul_f64 v[97:98], v[1:2], v[97:98]
	s_waitcnt vmcnt(0)
	v_fma_f64 v[1:2], v[1:2], v[99:100], -v[101:102]
	v_fma_f64 v[3:4], v[3:4], v[99:100], v[97:98]
.LBB43_674:
	s_mov_b32 s8, exec_lo
	v_cmpx_ne_u32_e32 41, v0
	s_cbranch_execz .LBB43_678
; %bb.675:
	v_add_nc_u32_e32 v8, 0x2d0, v109
	v_add3_u32 v97, 0, v109, 16
	v_mov_b32_e32 v98, v0
	s_mov_b32 s52, 0
	.p2align	6
.LBB43_676:                             ; =>This Inner Loop Header: Depth=1
	s_clause 0x3
	buffer_load_dword v103, v97, s[0:3], 0 offen offset:8
	buffer_load_dword v104, v97, s[0:3], 0 offen offset:12
	buffer_load_dword v105, v97, s[0:3], 0 offen
	buffer_load_dword v106, v97, s[0:3], 0 offen offset:4
	ds_read_b128 v[99:102], v8
	v_add_nc_u32_e32 v98, 1, v98
	v_add_nc_u32_e32 v8, 16, v8
	;; [unrolled: 1-line block ×3, first 2 shown]
	v_cmp_lt_u32_e32 vcc_lo, 40, v98
	s_or_b32 s52, vcc_lo, s52
	s_waitcnt vmcnt(2) lgkmcnt(0)
	v_mul_f64 v[107:108], v[101:102], v[103:104]
	v_mul_f64 v[103:104], v[99:100], v[103:104]
	s_waitcnt vmcnt(0)
	v_fma_f64 v[99:100], v[99:100], v[105:106], -v[107:108]
	v_fma_f64 v[101:102], v[101:102], v[105:106], v[103:104]
	v_add_f64 v[1:2], v[1:2], v[99:100]
	v_add_f64 v[3:4], v[3:4], v[101:102]
	s_andn2_b32 exec_lo, exec_lo, s52
	s_cbranch_execnz .LBB43_676
; %bb.677:
	s_or_b32 exec_lo, exec_lo, s52
.LBB43_678:
	s_or_b32 exec_lo, exec_lo, s8
	v_mov_b32_e32 v8, 0
	ds_read_b128 v[97:100], v8 offset:672
	s_waitcnt lgkmcnt(0)
	v_mul_f64 v[101:102], v[3:4], v[99:100]
	v_mul_f64 v[99:100], v[1:2], v[99:100]
	v_fma_f64 v[1:2], v[1:2], v[97:98], -v[101:102]
	v_fma_f64 v[3:4], v[3:4], v[97:98], v[99:100]
	buffer_store_dword v2, off, s[0:3], 0 offset:676
	buffer_store_dword v1, off, s[0:3], 0 offset:672
	;; [unrolled: 1-line block ×4, first 2 shown]
.LBB43_679:
	s_or_b32 exec_lo, exec_lo, s6
	v_mov_b32_e32 v4, s7
	s_mov_b32 s6, exec_lo
                                        ; implicit-def: $sgpr53
	s_clause 0x3
	buffer_load_dword v1, v4, s[0:3], 0 offen
	buffer_load_dword v2, v4, s[0:3], 0 offen offset:4
	buffer_load_dword v3, v4, s[0:3], 0 offen offset:8
	;; [unrolled: 1-line block ×3, first 2 shown]
	s_waitcnt vmcnt(0)
	ds_write_b128 v6, v[1:4]
	s_waitcnt lgkmcnt(0)
	s_waitcnt_vscnt null, 0x0
	s_barrier
	buffer_gl0_inv
                                        ; implicit-def: $vgpr1_vgpr2
	v_cmpx_ne_u32_e32 43, v0
	s_cbranch_execz .LBB43_687
; %bb.680:
	ds_read_b128 v[1:4], v6
	v_cmp_ne_u32_e32 vcc_lo, 1, v7
	s_cbranch_vccnz .LBB43_682
; %bb.681:
	s_clause 0x3
	buffer_load_dword v6, v5, s[0:3], 0 offen offset:8
	buffer_load_dword v7, v5, s[0:3], 0 offen offset:12
	buffer_load_dword v97, v5, s[0:3], 0 offen
	buffer_load_dword v98, v5, s[0:3], 0 offen offset:4
	s_waitcnt vmcnt(2) lgkmcnt(0)
	v_mul_f64 v[99:100], v[3:4], v[6:7]
	v_mul_f64 v[5:6], v[1:2], v[6:7]
	s_waitcnt vmcnt(0)
	v_fma_f64 v[1:2], v[1:2], v[97:98], -v[99:100]
	v_fma_f64 v[3:4], v[3:4], v[97:98], v[5:6]
.LBB43_682:
	s_and_saveexec_b32 s8, s4
	s_cbranch_execz .LBB43_686
; %bb.683:
	v_add_nc_u32_e32 v5, 0x2d0, v109
	v_add3_u32 v6, 0, v109, 16
	s_mov_b32 s4, 0
	.p2align	6
.LBB43_684:                             ; =>This Inner Loop Header: Depth=1
	s_clause 0x3
	buffer_load_dword v7, v6, s[0:3], 0 offen offset:8
	buffer_load_dword v8, v6, s[0:3], 0 offen offset:12
	buffer_load_dword v101, v6, s[0:3], 0 offen
	buffer_load_dword v102, v6, s[0:3], 0 offen offset:4
	ds_read_b128 v[97:100], v5
	v_add_nc_u32_e32 v0, 1, v0
	v_add_nc_u32_e32 v5, 16, v5
	;; [unrolled: 1-line block ×3, first 2 shown]
	v_cmp_lt_u32_e32 vcc_lo, 41, v0
	s_or_b32 s4, vcc_lo, s4
	s_waitcnt vmcnt(2) lgkmcnt(0)
	v_mul_f64 v[103:104], v[99:100], v[7:8]
	v_mul_f64 v[7:8], v[97:98], v[7:8]
	s_waitcnt vmcnt(0)
	v_fma_f64 v[97:98], v[97:98], v[101:102], -v[103:104]
	v_fma_f64 v[7:8], v[99:100], v[101:102], v[7:8]
	v_add_f64 v[1:2], v[1:2], v[97:98]
	v_add_f64 v[3:4], v[3:4], v[7:8]
	s_andn2_b32 exec_lo, exec_lo, s4
	s_cbranch_execnz .LBB43_684
; %bb.685:
	s_or_b32 exec_lo, exec_lo, s4
.LBB43_686:
	s_or_b32 exec_lo, exec_lo, s8
	v_mov_b32_e32 v0, 0
	s_movk_i32 s53, 0x2b8
	s_or_b32 s5, s5, exec_lo
	ds_read_b128 v[5:8], v0 offset:688
	s_waitcnt lgkmcnt(0)
	v_mul_f64 v[97:98], v[3:4], v[7:8]
	v_mul_f64 v[7:8], v[1:2], v[7:8]
	v_fma_f64 v[97:98], v[1:2], v[5:6], -v[97:98]
	v_fma_f64 v[1:2], v[3:4], v[5:6], v[7:8]
	buffer_store_dword v98, off, s[0:3], 0 offset:692
	buffer_store_dword v97, off, s[0:3], 0 offset:688
.LBB43_687:
	s_or_b32 exec_lo, exec_lo, s6
.LBB43_688:
	s_and_saveexec_b32 s4, s5
	s_cbranch_execz .LBB43_690
; %bb.689:
	v_mov_b32_e32 v0, s53
	buffer_store_dword v2, v0, s[0:3], 0 offen offset:4
	buffer_store_dword v1, v0, s[0:3], 0 offen
.LBB43_690:
	s_or_b32 exec_lo, exec_lo, s4
	v_mov_b32_e32 v3, s51
	v_mov_b32_e32 v7, s49
	v_mov_b32_e32 v100, s48
	v_mov_b32_e32 v8, s50
	v_mov_b32_e32 v113, s29
	s_clause 0x13
	buffer_load_dword v0, v3, s[0:3], 0 offen
	buffer_load_dword v1, v3, s[0:3], 0 offen offset:4
	buffer_load_dword v2, v3, s[0:3], 0 offen offset:8
	buffer_load_dword v3, v3, s[0:3], 0 offen offset:12
	buffer_load_dword v4, v7, s[0:3], 0 offen
	buffer_load_dword v5, v7, s[0:3], 0 offen offset:4
	buffer_load_dword v6, v7, s[0:3], 0 offen offset:8
	buffer_load_dword v7, v7, s[0:3], 0 offen offset:12
	;; [unrolled: 4-line block ×4, first 2 shown]
	buffer_load_dword v105, off, s[0:3], 0
	buffer_load_dword v106, off, s[0:3], 0 offset:4
	buffer_load_dword v107, off, s[0:3], 0 offset:8
	;; [unrolled: 1-line block ×3, first 2 shown]
	v_mov_b32_e32 v8, s47
	v_mov_b32_e32 v114, s15
	;; [unrolled: 1-line block ×6, first 2 shown]
	s_waitcnt vmcnt(0)
	global_store_dwordx4 v[93:94], v[105:108], off
	s_clause 0x3
	buffer_load_dword v105, v8, s[0:3], 0 offen
	buffer_load_dword v106, v8, s[0:3], 0 offen offset:4
	buffer_load_dword v107, v8, s[0:3], 0 offen offset:8
	;; [unrolled: 1-line block ×3, first 2 shown]
	v_mov_b32_e32 v8, s46
	global_store_dwordx4 v[95:96], v[101:104], off
	v_mov_b32_e32 v104, s44
	s_clause 0x3
	buffer_load_dword v93, v8, s[0:3], 0 offen
	buffer_load_dword v94, v8, s[0:3], 0 offen offset:4
	buffer_load_dword v95, v8, s[0:3], 0 offen offset:8
	;; [unrolled: 1-line block ×3, first 2 shown]
	v_mov_b32_e32 v8, s45
	global_store_dwordx4 v[87:88], v[0:3], off
	s_clause 0x7
	buffer_load_dword v0, v8, s[0:3], 0 offen
	buffer_load_dword v1, v8, s[0:3], 0 offen offset:4
	buffer_load_dword v2, v8, s[0:3], 0 offen offset:8
	;; [unrolled: 1-line block ×3, first 2 shown]
	buffer_load_dword v101, v104, s[0:3], 0 offen
	buffer_load_dword v102, v104, s[0:3], 0 offen offset:4
	buffer_load_dword v103, v104, s[0:3], 0 offen offset:8
	;; [unrolled: 1-line block ×3, first 2 shown]
	v_mov_b32_e32 v8, s43
	global_store_dwordx4 v[89:90], v[4:7], off
	s_clause 0x3
	buffer_load_dword v4, v8, s[0:3], 0 offen
	buffer_load_dword v5, v8, s[0:3], 0 offen offset:4
	buffer_load_dword v6, v8, s[0:3], 0 offen offset:8
	;; [unrolled: 1-line block ×3, first 2 shown]
	v_mov_b32_e32 v8, s42
	s_clause 0x3
	buffer_load_dword v87, v8, s[0:3], 0 offen
	buffer_load_dword v88, v8, s[0:3], 0 offen offset:4
	buffer_load_dword v89, v8, s[0:3], 0 offen offset:8
	;; [unrolled: 1-line block ×3, first 2 shown]
	v_mov_b32_e32 v8, s41
	global_store_dwordx4 v[91:92], v[97:100], off
	s_clause 0x3
	buffer_load_dword v97, v8, s[0:3], 0 offen
	buffer_load_dword v98, v8, s[0:3], 0 offen offset:4
	buffer_load_dword v99, v8, s[0:3], 0 offen offset:8
	buffer_load_dword v100, v8, s[0:3], 0 offen offset:12
	v_mov_b32_e32 v8, s40
	v_mov_b32_e32 v91, s37
	s_waitcnt vmcnt(24)
	global_store_dwordx4 v[85:86], v[105:108], off
	s_clause 0x3
	buffer_load_dword v105, v8, s[0:3], 0 offen
	buffer_load_dword v106, v8, s[0:3], 0 offen offset:4
	buffer_load_dword v107, v8, s[0:3], 0 offen offset:8
	;; [unrolled: 1-line block ×3, first 2 shown]
	v_mov_b32_e32 v8, s39
	s_clause 0x3
	buffer_load_dword v109, v8, s[0:3], 0 offen
	buffer_load_dword v110, v8, s[0:3], 0 offen offset:4
	buffer_load_dword v111, v8, s[0:3], 0 offen offset:8
	;; [unrolled: 1-line block ×3, first 2 shown]
	v_mov_b32_e32 v8, s38
	s_waitcnt vmcnt(28)
	global_store_dwordx4 v[83:84], v[93:96], off
	v_mov_b32_e32 v94, s35
	s_clause 0x3
	buffer_load_dword v83, v8, s[0:3], 0 offen
	buffer_load_dword v84, v8, s[0:3], 0 offen offset:4
	buffer_load_dword v85, v8, s[0:3], 0 offen offset:8
	;; [unrolled: 1-line block ×3, first 2 shown]
	v_mov_b32_e32 v8, s36
	s_waitcnt vmcnt(28)
	global_store_dwordx4 v[81:82], v[0:3], off
	s_clause 0x3
	buffer_load_dword v0, v91, s[0:3], 0 offen
	buffer_load_dword v1, v91, s[0:3], 0 offen offset:4
	buffer_load_dword v2, v91, s[0:3], 0 offen offset:8
	;; [unrolled: 1-line block ×3, first 2 shown]
	s_waitcnt vmcnt(28)
	global_store_dwordx4 v[79:80], v[101:104], off
	s_clause 0x7
	buffer_load_dword v79, v8, s[0:3], 0 offen
	buffer_load_dword v80, v8, s[0:3], 0 offen offset:4
	buffer_load_dword v81, v8, s[0:3], 0 offen offset:8
	;; [unrolled: 1-line block ×3, first 2 shown]
	buffer_load_dword v91, v94, s[0:3], 0 offen
	buffer_load_dword v92, v94, s[0:3], 0 offen offset:4
	buffer_load_dword v93, v94, s[0:3], 0 offen offset:8
	;; [unrolled: 1-line block ×3, first 2 shown]
	v_mov_b32_e32 v8, s34
	v_mov_b32_e32 v95, s33
	s_waitcnt vmcnt(32)
	global_store_dwordx4 v[75:76], v[4:7], off
	s_clause 0x7
	buffer_load_dword v4, v8, s[0:3], 0 offen
	buffer_load_dword v5, v8, s[0:3], 0 offen offset:4
	buffer_load_dword v6, v8, s[0:3], 0 offen offset:8
	buffer_load_dword v7, v8, s[0:3], 0 offen offset:12
	buffer_load_dword v101, v95, s[0:3], 0 offen
	buffer_load_dword v102, v95, s[0:3], 0 offen offset:4
	buffer_load_dword v103, v95, s[0:3], 0 offen offset:8
	;; [unrolled: 1-line block ×3, first 2 shown]
	v_mov_b32_e32 v8, s31
	s_waitcnt vmcnt(36)
	global_store_dwordx4 v[77:78], v[87:90], off
	s_clause 0x3
	buffer_load_dword v75, v8, s[0:3], 0 offen
	buffer_load_dword v76, v8, s[0:3], 0 offen offset:4
	buffer_load_dword v77, v8, s[0:3], 0 offen offset:8
	;; [unrolled: 1-line block ×3, first 2 shown]
	v_mov_b32_e32 v8, s30
	s_waitcnt vmcnt(36)
	global_store_dwordx4 v[73:74], v[97:100], off
	s_clause 0x7
	buffer_load_dword v87, v8, s[0:3], 0 offen
	buffer_load_dword v88, v8, s[0:3], 0 offen offset:4
	buffer_load_dword v89, v8, s[0:3], 0 offen offset:8
	;; [unrolled: 1-line block ×3, first 2 shown]
	buffer_load_dword v95, v113, s[0:3], 0 offen
	buffer_load_dword v96, v113, s[0:3], 0 offen offset:4
	buffer_load_dword v97, v113, s[0:3], 0 offen offset:8
	;; [unrolled: 1-line block ×3, first 2 shown]
	v_mov_b32_e32 v8, s28
	v_mov_b32_e32 v100, s17
	;; [unrolled: 1-line block ×4, first 2 shown]
	s_waitcnt vmcnt(40)
	global_store_dwordx4 v[71:72], v[105:108], off
	s_clause 0x3
	buffer_load_dword v71, v8, s[0:3], 0 offen
	buffer_load_dword v72, v8, s[0:3], 0 offen offset:4
	buffer_load_dword v73, v8, s[0:3], 0 offen offset:8
	;; [unrolled: 1-line block ×3, first 2 shown]
	v_mov_b32_e32 v8, s27
	s_waitcnt vmcnt(40)
	global_store_dwordx4 v[69:70], v[109:112], off
	s_clause 0x3
	buffer_load_dword v105, v8, s[0:3], 0 offen
	buffer_load_dword v106, v8, s[0:3], 0 offen offset:4
	buffer_load_dword v107, v8, s[0:3], 0 offen offset:8
	;; [unrolled: 1-line block ×3, first 2 shown]
	v_mov_b32_e32 v8, s26
	v_mov_b32_e32 v70, s24
	s_clause 0x3
	buffer_load_dword v109, v8, s[0:3], 0 offen
	buffer_load_dword v110, v8, s[0:3], 0 offen offset:4
	buffer_load_dword v111, v8, s[0:3], 0 offen offset:8
	;; [unrolled: 1-line block ×3, first 2 shown]
	v_mov_b32_e32 v8, s25
	s_waitcnt vmcnt(44)
	global_store_dwordx4 v[67:68], v[83:86], off
	v_mov_b32_e32 v83, s23
	v_mov_b32_e32 v86, s21
	s_waitcnt vmcnt(40)
	global_store_dwordx4 v[57:58], v[0:3], off
	v_mov_b32_e32 v57, s19
	s_waitcnt vmcnt(36)
	global_store_dwordx4 v[43:44], v[79:82], off
	s_waitcnt vmcnt(32)
	global_store_dwordx4 v[23:24], v[91:94], off
	v_mov_b32_e32 v84, s22
	s_clause 0x7
	buffer_load_dword v0, v8, s[0:3], 0 offen
	buffer_load_dword v1, v8, s[0:3], 0 offen offset:4
	buffer_load_dword v2, v8, s[0:3], 0 offen offset:8
	buffer_load_dword v3, v8, s[0:3], 0 offen offset:12
	buffer_load_dword v67, v70, s[0:3], 0 offen
	buffer_load_dword v68, v70, s[0:3], 0 offen offset:4
	buffer_load_dword v69, v70, s[0:3], 0 offen offset:8
	buffer_load_dword v70, v70, s[0:3], 0 offen offset:12
	s_waitcnt vmcnt(36)
	global_store_dwordx4 v[17:18], v[4:7], off
	v_mov_b32_e32 v43, s13
	s_clause 0x7
	buffer_load_dword v4, v83, s[0:3], 0 offen
	buffer_load_dword v5, v83, s[0:3], 0 offen offset:4
	buffer_load_dword v6, v83, s[0:3], 0 offen offset:8
	buffer_load_dword v7, v83, s[0:3], 0 offen offset:12
	buffer_load_dword v79, v84, s[0:3], 0 offen
	buffer_load_dword v80, v84, s[0:3], 0 offen offset:4
	buffer_load_dword v81, v84, s[0:3], 0 offen offset:8
	buffer_load_dword v82, v84, s[0:3], 0 offen offset:12
	;; [unrolled: 12-line block ×3, first 2 shown]
	s_waitcnt vmcnt(44)
	global_store_dwordx4 v[25:26], v[75:78], off
	s_clause 0x7
	buffer_load_dword v23, v57, s[0:3], 0 offen
	buffer_load_dword v24, v57, s[0:3], 0 offen offset:4
	buffer_load_dword v25, v57, s[0:3], 0 offen offset:8
	;; [unrolled: 1-line block ×3, first 2 shown]
	buffer_load_dword v75, v58, s[0:3], 0 offen
	buffer_load_dword v76, v58, s[0:3], 0 offen offset:4
	buffer_load_dword v77, v58, s[0:3], 0 offen offset:8
	;; [unrolled: 1-line block ×3, first 2 shown]
	s_waitcnt vmcnt(48)
	global_store_dwordx4 v[19:20], v[87:90], off
	s_clause 0x7
	buffer_load_dword v17, v100, s[0:3], 0 offen
	buffer_load_dword v18, v100, s[0:3], 0 offen offset:4
	buffer_load_dword v19, v100, s[0:3], 0 offen offset:8
	;; [unrolled: 1-line block ×3, first 2 shown]
	buffer_load_dword v87, v113, s[0:3], 0 offen
	buffer_load_dword v88, v113, s[0:3], 0 offen offset:4
	buffer_load_dword v89, v113, s[0:3], 0 offen offset:8
	;; [unrolled: 1-line block ×3, first 2 shown]
	v_mov_b32_e32 v44, s12
	v_mov_b32_e32 v8, s7
	s_waitcnt vmcnt(52)
	global_store_dwordx4 v[31:32], v[95:98], off
	s_clause 0x7
	buffer_load_dword v29, v114, s[0:3], 0 offen
	buffer_load_dword v30, v114, s[0:3], 0 offen offset:4
	buffer_load_dword v31, v114, s[0:3], 0 offen offset:8
	buffer_load_dword v32, v114, s[0:3], 0 offen offset:12
	buffer_load_dword v95, v115, s[0:3], 0 offen
	buffer_load_dword v96, v115, s[0:3], 0 offen offset:4
	buffer_load_dword v97, v115, s[0:3], 0 offen offset:8
	buffer_load_dword v98, v115, s[0:3], 0 offen offset:12
	s_waitcnt vmcnt(56)
	global_store_dwordx4 v[27:28], v[71:74], off
	s_clause 0x7
	buffer_load_dword v71, v43, s[0:3], 0 offen
	buffer_load_dword v72, v43, s[0:3], 0 offen offset:4
	buffer_load_dword v73, v43, s[0:3], 0 offen offset:8
	buffer_load_dword v74, v43, s[0:3], 0 offen offset:12
	buffer_load_dword v99, v44, s[0:3], 0 offen
	buffer_load_dword v100, v44, s[0:3], 0 offen offset:4
	buffer_load_dword v101, v44, s[0:3], 0 offen offset:8
	buffer_load_dword v102, v44, s[0:3], 0 offen offset:12
	;; [unrolled: 11-line block ×4, first 2 shown]
	s_waitcnt vmcnt(62)
	global_store_dwordx4 v[11:12], v[0:3], off
	global_store_dwordx4 v[15:16], v[67:70], off
	s_waitcnt vmcnt(60)
	global_store_dwordx4 v[33:34], v[4:7], off
	s_waitcnt vmcnt(56)
	;; [unrolled: 2-line block ×16, first 2 shown]
	global_store_dwordx4 v[9:10], v[117:120], off
.LBB43_691:
	s_endpgm
	.section	.rodata,"a",@progbits
	.p2align	6, 0x0
	.amdhsa_kernel _ZN9rocsolver6v33100L18trti2_kernel_smallILi44E19rocblas_complex_numIdEPS3_EEv13rocblas_fill_17rocblas_diagonal_T1_iil
		.amdhsa_group_segment_fixed_size 1408
		.amdhsa_private_segment_fixed_size 720
		.amdhsa_kernarg_size 32
		.amdhsa_user_sgpr_count 6
		.amdhsa_user_sgpr_private_segment_buffer 1
		.amdhsa_user_sgpr_dispatch_ptr 0
		.amdhsa_user_sgpr_queue_ptr 0
		.amdhsa_user_sgpr_kernarg_segment_ptr 1
		.amdhsa_user_sgpr_dispatch_id 0
		.amdhsa_user_sgpr_flat_scratch_init 0
		.amdhsa_user_sgpr_private_segment_size 0
		.amdhsa_wavefront_size32 1
		.amdhsa_uses_dynamic_stack 0
		.amdhsa_system_sgpr_private_segment_wavefront_offset 1
		.amdhsa_system_sgpr_workgroup_id_x 1
		.amdhsa_system_sgpr_workgroup_id_y 0
		.amdhsa_system_sgpr_workgroup_id_z 0
		.amdhsa_system_sgpr_workgroup_info 0
		.amdhsa_system_vgpr_workitem_id 0
		.amdhsa_next_free_vgpr 124
		.amdhsa_next_free_sgpr 71
		.amdhsa_reserve_vcc 1
		.amdhsa_reserve_flat_scratch 0
		.amdhsa_float_round_mode_32 0
		.amdhsa_float_round_mode_16_64 0
		.amdhsa_float_denorm_mode_32 3
		.amdhsa_float_denorm_mode_16_64 3
		.amdhsa_dx10_clamp 1
		.amdhsa_ieee_mode 1
		.amdhsa_fp16_overflow 0
		.amdhsa_workgroup_processor_mode 1
		.amdhsa_memory_ordered 1
		.amdhsa_forward_progress 1
		.amdhsa_shared_vgpr_count 0
		.amdhsa_exception_fp_ieee_invalid_op 0
		.amdhsa_exception_fp_denorm_src 0
		.amdhsa_exception_fp_ieee_div_zero 0
		.amdhsa_exception_fp_ieee_overflow 0
		.amdhsa_exception_fp_ieee_underflow 0
		.amdhsa_exception_fp_ieee_inexact 0
		.amdhsa_exception_int_div_zero 0
	.end_amdhsa_kernel
	.section	.text._ZN9rocsolver6v33100L18trti2_kernel_smallILi44E19rocblas_complex_numIdEPS3_EEv13rocblas_fill_17rocblas_diagonal_T1_iil,"axG",@progbits,_ZN9rocsolver6v33100L18trti2_kernel_smallILi44E19rocblas_complex_numIdEPS3_EEv13rocblas_fill_17rocblas_diagonal_T1_iil,comdat
.Lfunc_end43:
	.size	_ZN9rocsolver6v33100L18trti2_kernel_smallILi44E19rocblas_complex_numIdEPS3_EEv13rocblas_fill_17rocblas_diagonal_T1_iil, .Lfunc_end43-_ZN9rocsolver6v33100L18trti2_kernel_smallILi44E19rocblas_complex_numIdEPS3_EEv13rocblas_fill_17rocblas_diagonal_T1_iil
                                        ; -- End function
	.set _ZN9rocsolver6v33100L18trti2_kernel_smallILi44E19rocblas_complex_numIdEPS3_EEv13rocblas_fill_17rocblas_diagonal_T1_iil.num_vgpr, 124
	.set _ZN9rocsolver6v33100L18trti2_kernel_smallILi44E19rocblas_complex_numIdEPS3_EEv13rocblas_fill_17rocblas_diagonal_T1_iil.num_agpr, 0
	.set _ZN9rocsolver6v33100L18trti2_kernel_smallILi44E19rocblas_complex_numIdEPS3_EEv13rocblas_fill_17rocblas_diagonal_T1_iil.numbered_sgpr, 71
	.set _ZN9rocsolver6v33100L18trti2_kernel_smallILi44E19rocblas_complex_numIdEPS3_EEv13rocblas_fill_17rocblas_diagonal_T1_iil.num_named_barrier, 0
	.set _ZN9rocsolver6v33100L18trti2_kernel_smallILi44E19rocblas_complex_numIdEPS3_EEv13rocblas_fill_17rocblas_diagonal_T1_iil.private_seg_size, 720
	.set _ZN9rocsolver6v33100L18trti2_kernel_smallILi44E19rocblas_complex_numIdEPS3_EEv13rocblas_fill_17rocblas_diagonal_T1_iil.uses_vcc, 1
	.set _ZN9rocsolver6v33100L18trti2_kernel_smallILi44E19rocblas_complex_numIdEPS3_EEv13rocblas_fill_17rocblas_diagonal_T1_iil.uses_flat_scratch, 0
	.set _ZN9rocsolver6v33100L18trti2_kernel_smallILi44E19rocblas_complex_numIdEPS3_EEv13rocblas_fill_17rocblas_diagonal_T1_iil.has_dyn_sized_stack, 0
	.set _ZN9rocsolver6v33100L18trti2_kernel_smallILi44E19rocblas_complex_numIdEPS3_EEv13rocblas_fill_17rocblas_diagonal_T1_iil.has_recursion, 0
	.set _ZN9rocsolver6v33100L18trti2_kernel_smallILi44E19rocblas_complex_numIdEPS3_EEv13rocblas_fill_17rocblas_diagonal_T1_iil.has_indirect_call, 0
	.section	.AMDGPU.csdata,"",@progbits
; Kernel info:
; codeLenInByte = 44620
; TotalNumSgprs: 73
; NumVgprs: 124
; ScratchSize: 720
; MemoryBound: 0
; FloatMode: 240
; IeeeMode: 1
; LDSByteSize: 1408 bytes/workgroup (compile time only)
; SGPRBlocks: 0
; VGPRBlocks: 15
; NumSGPRsForWavesPerEU: 73
; NumVGPRsForWavesPerEU: 124
; Occupancy: 8
; WaveLimiterHint : 0
; COMPUTE_PGM_RSRC2:SCRATCH_EN: 1
; COMPUTE_PGM_RSRC2:USER_SGPR: 6
; COMPUTE_PGM_RSRC2:TRAP_HANDLER: 0
; COMPUTE_PGM_RSRC2:TGID_X_EN: 1
; COMPUTE_PGM_RSRC2:TGID_Y_EN: 0
; COMPUTE_PGM_RSRC2:TGID_Z_EN: 0
; COMPUTE_PGM_RSRC2:TIDIG_COMP_CNT: 0
	.section	.text._ZN9rocsolver6v33100L18trti2_kernel_smallILi45E19rocblas_complex_numIdEPS3_EEv13rocblas_fill_17rocblas_diagonal_T1_iil,"axG",@progbits,_ZN9rocsolver6v33100L18trti2_kernel_smallILi45E19rocblas_complex_numIdEPS3_EEv13rocblas_fill_17rocblas_diagonal_T1_iil,comdat
	.globl	_ZN9rocsolver6v33100L18trti2_kernel_smallILi45E19rocblas_complex_numIdEPS3_EEv13rocblas_fill_17rocblas_diagonal_T1_iil ; -- Begin function _ZN9rocsolver6v33100L18trti2_kernel_smallILi45E19rocblas_complex_numIdEPS3_EEv13rocblas_fill_17rocblas_diagonal_T1_iil
	.p2align	8
	.type	_ZN9rocsolver6v33100L18trti2_kernel_smallILi45E19rocblas_complex_numIdEPS3_EEv13rocblas_fill_17rocblas_diagonal_T1_iil,@function
_ZN9rocsolver6v33100L18trti2_kernel_smallILi45E19rocblas_complex_numIdEPS3_EEv13rocblas_fill_17rocblas_diagonal_T1_iil: ; @_ZN9rocsolver6v33100L18trti2_kernel_smallILi45E19rocblas_complex_numIdEPS3_EEv13rocblas_fill_17rocblas_diagonal_T1_iil
; %bb.0:
	s_add_u32 s0, s0, s7
	s_addc_u32 s1, s1, 0
	s_mov_b32 s7, exec_lo
	v_cmpx_gt_u32_e32 45, v0
	s_cbranch_execz .LBB44_707
; %bb.1:
	s_load_dwordx8 s[8:15], s[4:5], 0x0
	s_ashr_i32 s7, s6, 31
	v_lshlrev_b32_e32 v119, 4, v0
	s_movk_i32 s16, 0xf0
	s_movk_i32 s17, 0x100
	s_movk_i32 s18, 0x110
	s_movk_i32 s19, 0x120
	s_movk_i32 s20, 0x130
	s_movk_i32 s21, 0x140
	s_movk_i32 s22, 0x150
	s_movk_i32 s23, 0x160
	s_movk_i32 s24, 0x170
	s_movk_i32 s25, 0x180
	s_movk_i32 s26, 0x190
	s_movk_i32 s53, 0x1a0
	s_movk_i32 s54, 0x1b0
	s_movk_i32 s55, 0x1c0
	s_movk_i32 s56, 0x1d0
	s_movk_i32 s57, 0x1e0
	s_movk_i32 s58, 0x1f0
	s_waitcnt lgkmcnt(0)
	s_ashr_i32 s5, s12, 31
	s_mov_b32 s4, s12
	s_mul_hi_u32 s12, s14, s6
	s_mul_i32 s7, s14, s7
	s_mul_i32 s15, s15, s6
	v_add3_u32 v1, s13, s13, v0
	s_add_i32 s7, s12, s7
	s_mul_i32 s6, s14, s6
	s_add_i32 s7, s7, s15
	s_mov_b32 s14, s13
	s_lshl_b64 s[6:7], s[6:7], 4
	v_add_nc_u32_e32 v5, s13, v1
	s_add_u32 s6, s10, s6
	v_ashrrev_i32_e32 v2, 31, v1
	s_addc_u32 s7, s11, s7
	s_lshl_b64 s[4:5], s[4:5], 4
	v_add_nc_u32_e32 v21, s13, v5
	s_add_u32 s4, s6, s4
	s_addc_u32 s5, s7, s5
	v_add_co_u32 v37, s6, s4, v119
	v_lshlrev_b64 v[7:8], 4, v[1:2]
	s_ashr_i32 s15, s13, 31
	v_ashrrev_i32_e32 v6, 31, v5
	v_add_co_ci_u32_e64 v38, null, s5, 0, s6
	s_lshl_b64 s[6:7], s[14:15], 4
	v_ashrrev_i32_e32 v22, 31, v21
	v_add_co_u32 v35, vcc_lo, v37, s6
	v_lshlrev_b64 v[5:6], 4, v[5:6]
	v_add_co_ci_u32_e64 v36, null, s7, v38, vcc_lo
	v_add_co_u32 v33, vcc_lo, s4, v7
	v_add_co_ci_u32_e64 v34, null, s5, v8, vcc_lo
	v_lshlrev_b64 v[7:8], 4, v[21:22]
	v_add_co_u32 v31, vcc_lo, s4, v5
	v_add_co_ci_u32_e64 v32, null, s5, v6, vcc_lo
	s_clause 0x1
	global_load_dwordx4 v[1:4], v119, s[4:5]
	global_load_dwordx4 v[13:16], v[33:34], off
	v_add_co_u32 v29, vcc_lo, s4, v7
	v_add_co_ci_u32_e64 v30, null, s5, v8, vcc_lo
	s_clause 0x2
	global_load_dwordx4 v[17:20], v[35:36], off
	global_load_dwordx4 v[9:12], v[31:32], off
	;; [unrolled: 1-line block ×3, first 2 shown]
	v_add_nc_u32_e32 v21, s13, v21
	s_cmpk_lg_i32 s9, 0x84
	s_movk_i32 s6, 0x70
	s_movk_i32 s7, 0x80
	s_movk_i32 s10, 0x90
	v_add_nc_u32_e32 v23, s13, v21
	v_ashrrev_i32_e32 v22, 31, v21
	s_movk_i32 s11, 0xa0
	s_movk_i32 s12, 0xb0
	;; [unrolled: 1-line block ×3, first 2 shown]
	v_add_nc_u32_e32 v25, s13, v23
	v_ashrrev_i32_e32 v24, 31, v23
	v_lshlrev_b64 v[21:22], 4, v[21:22]
	s_movk_i32 s15, 0xe0
	s_movk_i32 s59, 0x200
	v_add_nc_u32_e32 v27, s13, v25
	v_ashrrev_i32_e32 v26, 31, v25
	v_lshlrev_b64 v[23:24], 4, v[23:24]
	v_add_co_u32 v43, vcc_lo, s4, v21
	v_add_nc_u32_e32 v41, s13, v27
	v_lshlrev_b64 v[39:40], 4, v[25:26]
	v_ashrrev_i32_e32 v28, 31, v27
	v_add_co_ci_u32_e64 v44, null, s5, v22, vcc_lo
	v_ashrrev_i32_e32 v42, 31, v41
	v_add_nc_u32_e32 v49, s13, v41
	v_add_co_u32 v45, vcc_lo, s4, v23
	v_lshlrev_b64 v[47:48], 4, v[27:28]
	v_add_co_ci_u32_e64 v46, null, s5, v24, vcc_lo
	v_add_co_u32 v51, vcc_lo, s4, v39
	v_add_co_ci_u32_e64 v52, null, s5, v40, vcc_lo
	v_lshlrev_b64 v[39:40], 4, v[41:42]
	v_ashrrev_i32_e32 v50, 31, v49
	v_add_nc_u32_e32 v41, s13, v49
	v_add_co_u32 v53, vcc_lo, s4, v47
	v_add_co_ci_u32_e64 v54, null, s5, v48, vcc_lo
	v_lshlrev_b64 v[47:48], 4, v[49:50]
	v_ashrrev_i32_e32 v42, 31, v41
	v_add_nc_u32_e32 v49, s13, v41
	;; [unrolled: 5-line block ×4, first 2 shown]
	v_add_co_u32 v65, vcc_lo, s4, v39
	v_add_co_ci_u32_e64 v66, null, s5, v40, vcc_lo
	v_lshlrev_b64 v[39:40], 4, v[41:42]
	v_add_nc_u32_e32 v41, s13, v49
	v_ashrrev_i32_e32 v50, 31, v49
	v_add_co_u32 v59, vcc_lo, s4, v47
	v_add_co_ci_u32_e64 v60, null, s5, v48, vcc_lo
	v_add_nc_u32_e32 v55, s13, v41
	v_lshlrev_b64 v[47:48], 4, v[49:50]
	v_add_co_u32 v49, vcc_lo, s4, v39
	v_add_co_ci_u32_e64 v50, null, s5, v40, vcc_lo
	v_ashrrev_i32_e32 v56, 31, v55
	v_add_nc_u32_e32 v61, s13, v55
	v_add_co_u32 v39, vcc_lo, s4, v47
	v_add_co_ci_u32_e64 v40, null, s5, v48, vcc_lo
	v_lshlrev_b64 v[47:48], 4, v[55:56]
	v_add_nc_u32_e32 v55, s13, v61
	v_ashrrev_i32_e32 v42, 31, v41
	v_ashrrev_i32_e32 v62, 31, v61
	s_clause 0x1
	global_load_dwordx4 v[25:28], v[43:44], off
	global_load_dwordx4 v[21:24], v[45:46], off
	s_movk_i32 s60, 0x210
	v_add_nc_u32_e32 v67, s13, v55
	v_lshlrev_b64 v[41:42], 4, v[41:42]
	v_ashrrev_i32_e32 v56, 31, v55
	v_lshlrev_b64 v[61:62], 4, v[61:62]
	s_movk_i32 s61, 0x220
	v_add_nc_u32_e32 v71, s13, v67
	v_ashrrev_i32_e32 v68, 31, v67
	v_add_co_u32 v41, vcc_lo, s4, v41
	v_lshlrev_b64 v[69:70], 4, v[55:56]
	v_add_co_ci_u32_e64 v42, null, s5, v42, vcc_lo
	v_add_co_u32 v47, vcc_lo, s4, v47
	v_ashrrev_i32_e32 v72, 31, v71
	v_add_nc_u32_e32 v73, s13, v71
	v_add_co_ci_u32_e64 v48, null, s5, v48, vcc_lo
	v_add_co_u32 v55, vcc_lo, s4, v61
	v_add_co_ci_u32_e64 v56, null, s5, v62, vcc_lo
	v_add_co_u32 v61, vcc_lo, s4, v69
	v_add_co_ci_u32_e64 v62, null, s5, v70, vcc_lo
	v_lshlrev_b64 v[69:70], 4, v[71:72]
	v_add_nc_u32_e32 v71, s13, v73
	v_ashrrev_i32_e32 v74, 31, v73
	v_lshlrev_b64 v[67:68], 4, v[67:68]
	s_movk_i32 s62, 0x230
	s_movk_i32 s63, 0x240
	v_add_nc_u32_e32 v75, s13, v71
	v_ashrrev_i32_e32 v72, 31, v71
	v_lshlrev_b64 v[73:74], 4, v[73:74]
	v_add_co_u32 v67, vcc_lo, s4, v67
	v_add_nc_u32_e32 v79, s13, v75
	v_lshlrev_b64 v[77:78], 4, v[71:72]
	v_add_co_ci_u32_e64 v68, null, s5, v68, vcc_lo
	v_add_co_u32 v69, vcc_lo, s4, v69
	v_ashrrev_i32_e32 v80, 31, v79
	v_add_nc_u32_e32 v81, s13, v79
	v_add_co_ci_u32_e64 v70, null, s5, v70, vcc_lo
	v_add_co_u32 v71, vcc_lo, s4, v73
	v_add_co_ci_u32_e64 v72, null, s5, v74, vcc_lo
	v_add_co_u32 v73, vcc_lo, s4, v77
	v_add_co_ci_u32_e64 v74, null, s5, v78, vcc_lo
	v_lshlrev_b64 v[77:78], 4, v[79:80]
	v_add_nc_u32_e32 v79, s13, v81
	v_ashrrev_i32_e32 v76, 31, v75
	v_ashrrev_i32_e32 v82, 31, v81
	s_movk_i32 s64, 0x250
	s_movk_i32 s65, 0x260
	v_add_nc_u32_e32 v83, s13, v79
	v_lshlrev_b64 v[75:76], 4, v[75:76]
	v_ashrrev_i32_e32 v80, 31, v79
	v_lshlrev_b64 v[81:82], 4, v[81:82]
	s_movk_i32 s66, 0x270
	v_add_nc_u32_e32 v87, s13, v83
	v_ashrrev_i32_e32 v84, 31, v83
	v_add_co_u32 v75, vcc_lo, s4, v75
	v_lshlrev_b64 v[85:86], 4, v[79:80]
	v_add_co_ci_u32_e64 v76, null, s5, v76, vcc_lo
	v_add_co_u32 v77, vcc_lo, s4, v77
	v_ashrrev_i32_e32 v88, 31, v87
	v_add_nc_u32_e32 v89, s13, v87
	v_add_co_ci_u32_e64 v78, null, s5, v78, vcc_lo
	v_add_co_u32 v79, vcc_lo, s4, v81
	v_add_co_ci_u32_e64 v80, null, s5, v82, vcc_lo
	v_add_co_u32 v81, vcc_lo, s4, v85
	v_add_co_ci_u32_e64 v82, null, s5, v86, vcc_lo
	v_lshlrev_b64 v[85:86], 4, v[87:88]
	v_add_nc_u32_e32 v87, s13, v89
	v_ashrrev_i32_e32 v90, 31, v89
	v_lshlrev_b64 v[83:84], 4, v[83:84]
	s_movk_i32 s67, 0x280
	s_movk_i32 s68, 0x290
	v_add_nc_u32_e32 v91, s13, v87
	v_ashrrev_i32_e32 v88, 31, v87
	v_lshlrev_b64 v[89:90], 4, v[89:90]
	v_add_co_u32 v83, vcc_lo, s4, v83
	v_add_nc_u32_e32 v95, s13, v91
	v_lshlrev_b64 v[93:94], 4, v[87:88]
	v_add_co_ci_u32_e64 v84, null, s5, v84, vcc_lo
	v_add_co_u32 v85, vcc_lo, s4, v85
	v_ashrrev_i32_e32 v96, 31, v95
	v_add_nc_u32_e32 v97, s13, v95
	v_add_co_ci_u32_e64 v86, null, s5, v86, vcc_lo
	v_add_co_u32 v87, vcc_lo, s4, v89
	v_add_co_ci_u32_e64 v88, null, s5, v90, vcc_lo
	v_add_co_u32 v89, vcc_lo, s4, v93
	v_add_co_ci_u32_e64 v90, null, s5, v94, vcc_lo
	v_lshlrev_b64 v[93:94], 4, v[95:96]
	v_add_nc_u32_e32 v95, s13, v97
	v_ashrrev_i32_e32 v92, 31, v91
	v_ashrrev_i32_e32 v98, 31, v97
	s_movk_i32 s69, 0x2a0
	s_movk_i32 s70, 0x2b0
	v_add_nc_u32_e32 v99, s13, v95
	v_lshlrev_b64 v[91:92], 4, v[91:92]
	v_ashrrev_i32_e32 v96, 31, v95
	v_lshlrev_b64 v[97:98], 4, v[97:98]
	s_movk_i32 s71, 0x2c0
	v_add_nc_u32_e32 v103, s13, v99
	v_ashrrev_i32_e32 v100, 31, v99
	v_add_co_u32 v91, vcc_lo, s4, v91
	v_lshlrev_b64 v[101:102], 4, v[95:96]
	v_add_co_ci_u32_e64 v92, null, s5, v92, vcc_lo
	v_add_co_u32 v93, vcc_lo, s4, v93
	v_ashrrev_i32_e32 v104, 31, v103
	v_add_nc_u32_e32 v105, s13, v103
	v_add_co_ci_u32_e64 v94, null, s5, v94, vcc_lo
	v_add_co_u32 v95, vcc_lo, s4, v97
	v_add_co_ci_u32_e64 v96, null, s5, v98, vcc_lo
	v_add_co_u32 v97, vcc_lo, s4, v101
	v_add_co_ci_u32_e64 v98, null, s5, v102, vcc_lo
	v_lshlrev_b64 v[101:102], 4, v[103:104]
	v_add_nc_u32_e32 v103, s13, v105
	v_ashrrev_i32_e32 v106, 31, v105
	v_lshlrev_b64 v[99:100], 4, v[99:100]
	s_cselect_b32 s52, -1, 0
	s_cmpk_eq_i32 s9, 0x84
	v_add_nc_u32_e32 v107, s13, v103
	v_ashrrev_i32_e32 v104, 31, v103
	v_lshlrev_b64 v[105:106], 4, v[105:106]
	v_add_co_u32 v99, vcc_lo, s4, v99
	v_add_nc_u32_e32 v111, s13, v107
	v_lshlrev_b64 v[109:110], 4, v[103:104]
	v_add_co_ci_u32_e64 v100, null, s5, v100, vcc_lo
	v_add_co_u32 v101, vcc_lo, s4, v101
	v_ashrrev_i32_e32 v112, 31, v111
	v_add_nc_u32_e32 v113, s13, v111
	v_add_co_ci_u32_e64 v102, null, s5, v102, vcc_lo
	v_add_co_u32 v103, vcc_lo, s4, v105
	v_add_co_ci_u32_e64 v104, null, s5, v106, vcc_lo
	v_add_co_u32 v105, vcc_lo, s4, v109
	v_add_co_ci_u32_e64 v106, null, s5, v110, vcc_lo
	v_lshlrev_b64 v[109:110], 4, v[111:112]
	v_add_nc_u32_e32 v111, s13, v113
	v_ashrrev_i32_e32 v108, 31, v107
	v_ashrrev_i32_e32 v114, 31, v113
	v_add_nc_u32_e32 v115, s13, v111
	v_lshlrev_b64 v[107:108], 4, v[107:108]
	v_ashrrev_i32_e32 v112, 31, v111
	v_lshlrev_b64 v[113:114], 4, v[113:114]
	v_add_nc_u32_e32 v120, s13, v115
	v_ashrrev_i32_e32 v116, 31, v115
	v_add_co_u32 v107, vcc_lo, s4, v107
	v_lshlrev_b64 v[117:118], 4, v[111:112]
	v_ashrrev_i32_e32 v121, 31, v120
	v_add_co_ci_u32_e64 v108, null, s5, v108, vcc_lo
	v_add_co_u32 v109, vcc_lo, s4, v109
	v_lshlrev_b64 v[115:116], 4, v[115:116]
	v_add_co_ci_u32_e64 v110, null, s5, v110, vcc_lo
	v_add_co_u32 v111, vcc_lo, s4, v113
	v_lshlrev_b64 v[120:121], 4, v[120:121]
	v_add_co_ci_u32_e64 v112, null, s5, v114, vcc_lo
	v_add_co_u32 v113, vcc_lo, s4, v117
	v_add_co_ci_u32_e64 v114, null, s5, v118, vcc_lo
	v_add_co_u32 v117, vcc_lo, s4, v115
	;; [unrolled: 2-line block ×3, first 2 shown]
	v_add_co_ci_u32_e64 v116, null, s5, v121, vcc_lo
	global_load_dwordx4 v[120:123], v[51:52], off
	s_waitcnt vmcnt(7)
	buffer_store_dword v4, off, s[0:3], 0 offset:12
	buffer_store_dword v3, off, s[0:3], 0 offset:8
	buffer_store_dword v2, off, s[0:3], 0 offset:4
	buffer_store_dword v1, off, s[0:3], 0
	global_load_dwordx4 v[1:4], v[53:54], off
	s_waitcnt vmcnt(6)
	buffer_store_dword v20, off, s[0:3], 0 offset:28
	buffer_store_dword v19, off, s[0:3], 0 offset:24
	;; [unrolled: 1-line block ×4, first 2 shown]
	global_load_dwordx4 v[17:20], v[57:58], off
	buffer_store_dword v16, off, s[0:3], 0 offset:44
	buffer_store_dword v15, off, s[0:3], 0 offset:40
	buffer_store_dword v14, off, s[0:3], 0 offset:36
	buffer_store_dword v13, off, s[0:3], 0 offset:32
	global_load_dwordx4 v[13:16], v[63:64], off
	s_waitcnt vmcnt(7)
	buffer_store_dword v12, off, s[0:3], 0 offset:60
	buffer_store_dword v11, off, s[0:3], 0 offset:56
	buffer_store_dword v10, off, s[0:3], 0 offset:52
	buffer_store_dword v9, off, s[0:3], 0 offset:48
	global_load_dwordx4 v[9:12], v[65:66], off
	s_waitcnt vmcnt(7)
	;; [unrolled: 6-line block ×4, first 2 shown]
	buffer_store_dword v24, off, s[0:3], 0 offset:108
	buffer_store_dword v23, off, s[0:3], 0 offset:104
	;; [unrolled: 1-line block ×4, first 2 shown]
	global_load_dwordx4 v[21:24], v[39:40], off
	s_movk_i32 s4, 0x50
	s_movk_i32 s5, 0x60
	;; [unrolled: 1-line block ×3, first 2 shown]
	s_waitcnt vmcnt(7)
	buffer_store_dword v123, off, s[0:3], 0 offset:124
	buffer_store_dword v122, off, s[0:3], 0 offset:120
	buffer_store_dword v121, off, s[0:3], 0 offset:116
	buffer_store_dword v120, off, s[0:3], 0 offset:112
	global_load_dwordx4 v[120:123], v[41:42], off
	s_waitcnt vmcnt(7)
	buffer_store_dword v4, off, s[0:3], 0 offset:140
	buffer_store_dword v3, off, s[0:3], 0 offset:136
	buffer_store_dword v2, off, s[0:3], 0 offset:132
	buffer_store_dword v1, off, s[0:3], 0 offset:128
	global_load_dwordx4 v[1:4], v[47:48], off
	;; [unrolled: 6-line block ×30, first 2 shown]
	s_waitcnt vmcnt(7)
	buffer_store_dword v28, off, s[0:3], 0 offset:604
	buffer_store_dword v27, off, s[0:3], 0 offset:600
	buffer_store_dword v26, off, s[0:3], 0 offset:596
	buffer_store_dword v25, off, s[0:3], 0 offset:592
	s_waitcnt vmcnt(6)
	buffer_store_dword v24, off, s[0:3], 0 offset:620
	buffer_store_dword v23, off, s[0:3], 0 offset:616
	buffer_store_dword v22, off, s[0:3], 0 offset:612
	buffer_store_dword v21, off, s[0:3], 0 offset:608
	;; [unrolled: 5-line block ×8, first 2 shown]
	s_cbranch_scc1 .LBB44_7
; %bb.2:
	v_lshl_add_u32 v11, v0, 4, 0
                                        ; implicit-def: $vgpr7_vgpr8
                                        ; implicit-def: $vgpr3_vgpr4
	s_clause 0x3
	buffer_load_dword v5, v11, s[0:3], 0 offen
	buffer_load_dword v6, v11, s[0:3], 0 offen offset:4
	buffer_load_dword v9, v11, s[0:3], 0 offen offset:8
	;; [unrolled: 1-line block ×3, first 2 shown]
	s_waitcnt vmcnt(0)
	v_cmp_ngt_f64_e64 s9, |v[5:6]|, |v[9:10]|
	s_and_saveexec_b32 s27, s9
	s_xor_b32 s9, exec_lo, s27
	s_cbranch_execz .LBB44_4
; %bb.3:
	v_div_scale_f64 v[1:2], null, v[9:10], v[9:10], v[5:6]
	v_div_scale_f64 v[12:13], vcc_lo, v[5:6], v[9:10], v[5:6]
	v_rcp_f64_e32 v[3:4], v[1:2]
	v_fma_f64 v[7:8], -v[1:2], v[3:4], 1.0
	v_fma_f64 v[3:4], v[3:4], v[7:8], v[3:4]
	v_fma_f64 v[7:8], -v[1:2], v[3:4], 1.0
	v_fma_f64 v[3:4], v[3:4], v[7:8], v[3:4]
	v_mul_f64 v[7:8], v[12:13], v[3:4]
	v_fma_f64 v[1:2], -v[1:2], v[7:8], v[12:13]
	v_div_fmas_f64 v[1:2], v[1:2], v[3:4], v[7:8]
	v_div_fixup_f64 v[1:2], v[1:2], v[9:10], v[5:6]
	v_fma_f64 v[3:4], v[5:6], v[1:2], v[9:10]
	v_div_scale_f64 v[5:6], null, v[3:4], v[3:4], 1.0
	v_div_scale_f64 v[12:13], vcc_lo, 1.0, v[3:4], 1.0
	v_rcp_f64_e32 v[7:8], v[5:6]
	v_fma_f64 v[9:10], -v[5:6], v[7:8], 1.0
	v_fma_f64 v[7:8], v[7:8], v[9:10], v[7:8]
	v_fma_f64 v[9:10], -v[5:6], v[7:8], 1.0
	v_fma_f64 v[7:8], v[7:8], v[9:10], v[7:8]
	v_mul_f64 v[9:10], v[12:13], v[7:8]
	v_fma_f64 v[5:6], -v[5:6], v[9:10], v[12:13]
	v_div_fmas_f64 v[5:6], v[5:6], v[7:8], v[9:10]
                                        ; implicit-def: $vgpr9_vgpr10
	v_div_fixup_f64 v[3:4], v[5:6], v[3:4], 1.0
                                        ; implicit-def: $vgpr5_vgpr6
	v_mul_f64 v[7:8], v[1:2], v[3:4]
	v_xor_b32_e32 v4, 0x80000000, v4
	v_xor_b32_e32 v2, 0x80000000, v8
	v_mov_b32_e32 v1, v7
.LBB44_4:
	s_andn2_saveexec_b32 s9, s9
	s_cbranch_execz .LBB44_6
; %bb.5:
	v_div_scale_f64 v[1:2], null, v[5:6], v[5:6], v[9:10]
	v_div_scale_f64 v[12:13], vcc_lo, v[9:10], v[5:6], v[9:10]
	v_rcp_f64_e32 v[3:4], v[1:2]
	v_fma_f64 v[7:8], -v[1:2], v[3:4], 1.0
	v_fma_f64 v[3:4], v[3:4], v[7:8], v[3:4]
	v_fma_f64 v[7:8], -v[1:2], v[3:4], 1.0
	v_fma_f64 v[3:4], v[3:4], v[7:8], v[3:4]
	v_mul_f64 v[7:8], v[12:13], v[3:4]
	v_fma_f64 v[1:2], -v[1:2], v[7:8], v[12:13]
	v_div_fmas_f64 v[1:2], v[1:2], v[3:4], v[7:8]
	v_div_fixup_f64 v[1:2], v[1:2], v[5:6], v[9:10]
	v_fma_f64 v[3:4], v[9:10], v[1:2], v[5:6]
	v_div_scale_f64 v[5:6], null, v[3:4], v[3:4], 1.0
	v_rcp_f64_e32 v[7:8], v[5:6]
	v_fma_f64 v[9:10], -v[5:6], v[7:8], 1.0
	v_fma_f64 v[7:8], v[7:8], v[9:10], v[7:8]
	v_fma_f64 v[9:10], -v[5:6], v[7:8], 1.0
	v_fma_f64 v[7:8], v[7:8], v[9:10], v[7:8]
	v_div_scale_f64 v[9:10], vcc_lo, 1.0, v[3:4], 1.0
	v_mul_f64 v[12:13], v[9:10], v[7:8]
	v_fma_f64 v[5:6], -v[5:6], v[12:13], v[9:10]
	v_div_fmas_f64 v[5:6], v[5:6], v[7:8], v[12:13]
	v_div_fixup_f64 v[7:8], v[5:6], v[3:4], 1.0
	v_mul_f64 v[3:4], v[1:2], -v[7:8]
	v_xor_b32_e32 v2, 0x80000000, v8
	v_mov_b32_e32 v1, v7
.LBB44_6:
	s_or_b32 exec_lo, exec_lo, s9
	buffer_store_dword v4, v11, s[0:3], 0 offen offset:12
	v_xor_b32_e32 v4, 0x80000000, v4
	buffer_store_dword v8, v11, s[0:3], 0 offen offset:4
	buffer_store_dword v7, v11, s[0:3], 0 offen
	buffer_store_dword v3, v11, s[0:3], 0 offen offset:8
	s_branch .LBB44_8
.LBB44_7:
	v_mov_b32_e32 v1, 0
	v_mov_b32_e32 v3, 0
	;; [unrolled: 1-line block ×4, first 2 shown]
.LBB44_8:
	v_add_nc_u32_e32 v6, 0x2d0, v119
	v_mov_b32_e32 v5, v119
	s_mov_b32 s51, 16
	s_mov_b32 s50, 32
	;; [unrolled: 1-line block ×43, first 2 shown]
	s_cmpk_eq_i32 s8, 0x79
	ds_write_b128 v119, v[1:4]
	s_cbranch_scc1 .LBB44_356
; %bb.9:
	v_mov_b32_e32 v4, s7
	v_cmp_eq_u32_e64 s4, 44, v0
	s_clause 0x3
	buffer_load_dword v1, v4, s[0:3], 0 offen
	buffer_load_dword v2, v4, s[0:3], 0 offen offset:4
	buffer_load_dword v3, v4, s[0:3], 0 offen offset:8
	;; [unrolled: 1-line block ×3, first 2 shown]
	s_waitcnt vmcnt(0)
	ds_write_b128 v6, v[1:4]
	s_waitcnt lgkmcnt(0)
	s_waitcnt_vscnt null, 0x0
	s_barrier
	buffer_gl0_inv
	s_and_saveexec_b32 s5, s4
	s_cbranch_execz .LBB44_13
; %bb.10:
	ds_read_b128 v[1:4], v6
	s_andn2_b32 vcc_lo, exec_lo, s52
	s_cbranch_vccnz .LBB44_12
; %bb.11:
	s_clause 0x3
	buffer_load_dword v7, v5, s[0:3], 0 offen offset:8
	buffer_load_dword v8, v5, s[0:3], 0 offen offset:12
	buffer_load_dword v9, v5, s[0:3], 0 offen
	buffer_load_dword v10, v5, s[0:3], 0 offen offset:4
	s_waitcnt vmcnt(2) lgkmcnt(0)
	v_mul_f64 v[11:12], v[3:4], v[7:8]
	v_mul_f64 v[7:8], v[1:2], v[7:8]
	s_waitcnt vmcnt(0)
	v_fma_f64 v[1:2], v[1:2], v[9:10], -v[11:12]
	v_fma_f64 v[3:4], v[3:4], v[9:10], v[7:8]
.LBB44_12:
	v_mov_b32_e32 v7, 0
	ds_read_b128 v[7:10], v7 offset:688
	s_waitcnt lgkmcnt(0)
	v_mul_f64 v[11:12], v[3:4], v[9:10]
	v_mul_f64 v[9:10], v[1:2], v[9:10]
	v_fma_f64 v[1:2], v[1:2], v[7:8], -v[11:12]
	v_fma_f64 v[3:4], v[3:4], v[7:8], v[9:10]
	buffer_store_dword v2, off, s[0:3], 0 offset:692
	buffer_store_dword v1, off, s[0:3], 0 offset:688
	;; [unrolled: 1-line block ×4, first 2 shown]
.LBB44_13:
	s_or_b32 exec_lo, exec_lo, s5
	v_mov_b32_e32 v4, s9
	v_cmp_lt_u32_e64 s5, 42, v0
	s_clause 0x3
	buffer_load_dword v1, v4, s[0:3], 0 offen
	buffer_load_dword v2, v4, s[0:3], 0 offen offset:4
	buffer_load_dword v3, v4, s[0:3], 0 offen offset:8
	;; [unrolled: 1-line block ×3, first 2 shown]
	s_waitcnt vmcnt(0)
	ds_write_b128 v6, v[1:4]
	s_waitcnt lgkmcnt(0)
	s_waitcnt_vscnt null, 0x0
	s_barrier
	buffer_gl0_inv
	s_and_saveexec_b32 s8, s5
	s_cbranch_execz .LBB44_19
; %bb.14:
	ds_read_b128 v[1:4], v6
	s_andn2_b32 vcc_lo, exec_lo, s52
	s_cbranch_vccnz .LBB44_16
; %bb.15:
	s_clause 0x3
	buffer_load_dword v7, v5, s[0:3], 0 offen offset:8
	buffer_load_dword v8, v5, s[0:3], 0 offen offset:12
	buffer_load_dword v9, v5, s[0:3], 0 offen
	buffer_load_dword v10, v5, s[0:3], 0 offen offset:4
	s_waitcnt vmcnt(2) lgkmcnt(0)
	v_mul_f64 v[11:12], v[3:4], v[7:8]
	v_mul_f64 v[7:8], v[1:2], v[7:8]
	s_waitcnt vmcnt(0)
	v_fma_f64 v[1:2], v[1:2], v[9:10], -v[11:12]
	v_fma_f64 v[3:4], v[3:4], v[9:10], v[7:8]
.LBB44_16:
	s_and_saveexec_b32 s53, s4
	s_cbranch_execz .LBB44_18
; %bb.17:
	s_clause 0x3
	buffer_load_dword v11, off, s[0:3], 0 offset:696
	buffer_load_dword v12, off, s[0:3], 0 offset:700
	;; [unrolled: 1-line block ×4, first 2 shown]
	v_mov_b32_e32 v7, 0
	ds_read_b128 v[7:10], v7 offset:1408
	s_waitcnt vmcnt(2) lgkmcnt(0)
	v_mul_f64 v[15:16], v[7:8], v[11:12]
	v_mul_f64 v[11:12], v[9:10], v[11:12]
	s_waitcnt vmcnt(0)
	v_fma_f64 v[9:10], v[9:10], v[13:14], v[15:16]
	v_fma_f64 v[7:8], v[7:8], v[13:14], -v[11:12]
	v_add_f64 v[3:4], v[3:4], v[9:10]
	v_add_f64 v[1:2], v[1:2], v[7:8]
.LBB44_18:
	s_or_b32 exec_lo, exec_lo, s53
	v_mov_b32_e32 v7, 0
	ds_read_b128 v[7:10], v7 offset:672
	s_waitcnt lgkmcnt(0)
	v_mul_f64 v[11:12], v[3:4], v[9:10]
	v_mul_f64 v[9:10], v[1:2], v[9:10]
	v_fma_f64 v[1:2], v[1:2], v[7:8], -v[11:12]
	v_fma_f64 v[3:4], v[3:4], v[7:8], v[9:10]
	buffer_store_dword v2, off, s[0:3], 0 offset:676
	buffer_store_dword v1, off, s[0:3], 0 offset:672
	;; [unrolled: 1-line block ×4, first 2 shown]
.LBB44_19:
	s_or_b32 exec_lo, exec_lo, s8
	v_mov_b32_e32 v4, s10
	v_cmp_lt_u32_e64 s4, 41, v0
	s_clause 0x3
	buffer_load_dword v1, v4, s[0:3], 0 offen
	buffer_load_dword v2, v4, s[0:3], 0 offen offset:4
	buffer_load_dword v3, v4, s[0:3], 0 offen offset:8
	;; [unrolled: 1-line block ×3, first 2 shown]
	s_waitcnt vmcnt(0)
	ds_write_b128 v6, v[1:4]
	s_waitcnt lgkmcnt(0)
	s_waitcnt_vscnt null, 0x0
	s_barrier
	buffer_gl0_inv
	s_and_saveexec_b32 s8, s4
	s_cbranch_execz .LBB44_27
; %bb.20:
	ds_read_b128 v[1:4], v6
	s_andn2_b32 vcc_lo, exec_lo, s52
	s_cbranch_vccnz .LBB44_22
; %bb.21:
	s_clause 0x3
	buffer_load_dword v7, v5, s[0:3], 0 offen offset:8
	buffer_load_dword v8, v5, s[0:3], 0 offen offset:12
	buffer_load_dword v9, v5, s[0:3], 0 offen
	buffer_load_dword v10, v5, s[0:3], 0 offen offset:4
	s_waitcnt vmcnt(2) lgkmcnt(0)
	v_mul_f64 v[11:12], v[3:4], v[7:8]
	v_mul_f64 v[7:8], v[1:2], v[7:8]
	s_waitcnt vmcnt(0)
	v_fma_f64 v[1:2], v[1:2], v[9:10], -v[11:12]
	v_fma_f64 v[3:4], v[3:4], v[9:10], v[7:8]
.LBB44_22:
	s_and_saveexec_b32 s53, s5
	s_cbranch_execz .LBB44_26
; %bb.23:
	v_subrev_nc_u32_e32 v7, 42, v0
	s_movk_i32 s54, 0x570
	s_mov_b32 s5, 0
	s_mov_b32 s55, s9
	.p2align	6
.LBB44_24:                              ; =>This Inner Loop Header: Depth=1
	v_mov_b32_e32 v8, s55
	v_add_nc_u32_e32 v7, -1, v7
	s_add_i32 s55, s55, 16
	s_clause 0x3
	buffer_load_dword v12, v8, s[0:3], 0 offen offset:8
	buffer_load_dword v13, v8, s[0:3], 0 offen offset:12
	buffer_load_dword v14, v8, s[0:3], 0 offen
	buffer_load_dword v15, v8, s[0:3], 0 offen offset:4
	v_mov_b32_e32 v8, s54
	v_cmp_eq_u32_e32 vcc_lo, 0, v7
	s_add_i32 s54, s54, 16
	ds_read_b128 v[8:11], v8
	s_or_b32 s5, vcc_lo, s5
	s_waitcnt vmcnt(2) lgkmcnt(0)
	v_mul_f64 v[16:17], v[10:11], v[12:13]
	v_mul_f64 v[12:13], v[8:9], v[12:13]
	s_waitcnt vmcnt(0)
	v_fma_f64 v[8:9], v[8:9], v[14:15], -v[16:17]
	v_fma_f64 v[10:11], v[10:11], v[14:15], v[12:13]
	v_add_f64 v[1:2], v[1:2], v[8:9]
	v_add_f64 v[3:4], v[3:4], v[10:11]
	s_andn2_b32 exec_lo, exec_lo, s5
	s_cbranch_execnz .LBB44_24
; %bb.25:
	s_or_b32 exec_lo, exec_lo, s5
.LBB44_26:
	s_or_b32 exec_lo, exec_lo, s53
	v_mov_b32_e32 v7, 0
	ds_read_b128 v[7:10], v7 offset:656
	s_waitcnt lgkmcnt(0)
	v_mul_f64 v[11:12], v[3:4], v[9:10]
	v_mul_f64 v[9:10], v[1:2], v[9:10]
	v_fma_f64 v[1:2], v[1:2], v[7:8], -v[11:12]
	v_fma_f64 v[3:4], v[3:4], v[7:8], v[9:10]
	buffer_store_dword v2, off, s[0:3], 0 offset:660
	buffer_store_dword v1, off, s[0:3], 0 offset:656
	;; [unrolled: 1-line block ×4, first 2 shown]
.LBB44_27:
	s_or_b32 exec_lo, exec_lo, s8
	v_mov_b32_e32 v4, s11
	v_cmp_lt_u32_e64 s5, 40, v0
	s_clause 0x3
	buffer_load_dword v1, v4, s[0:3], 0 offen
	buffer_load_dword v2, v4, s[0:3], 0 offen offset:4
	buffer_load_dword v3, v4, s[0:3], 0 offen offset:8
	;; [unrolled: 1-line block ×3, first 2 shown]
	s_waitcnt vmcnt(0)
	ds_write_b128 v6, v[1:4]
	s_waitcnt lgkmcnt(0)
	s_waitcnt_vscnt null, 0x0
	s_barrier
	buffer_gl0_inv
	s_and_saveexec_b32 s8, s5
	s_cbranch_execz .LBB44_35
; %bb.28:
	ds_read_b128 v[1:4], v6
	s_andn2_b32 vcc_lo, exec_lo, s52
	s_cbranch_vccnz .LBB44_30
; %bb.29:
	s_clause 0x3
	buffer_load_dword v7, v5, s[0:3], 0 offen offset:8
	buffer_load_dword v8, v5, s[0:3], 0 offen offset:12
	buffer_load_dword v9, v5, s[0:3], 0 offen
	buffer_load_dword v10, v5, s[0:3], 0 offen offset:4
	s_waitcnt vmcnt(2) lgkmcnt(0)
	v_mul_f64 v[11:12], v[3:4], v[7:8]
	v_mul_f64 v[7:8], v[1:2], v[7:8]
	s_waitcnt vmcnt(0)
	v_fma_f64 v[1:2], v[1:2], v[9:10], -v[11:12]
	v_fma_f64 v[3:4], v[3:4], v[9:10], v[7:8]
.LBB44_30:
	s_and_saveexec_b32 s53, s4
	s_cbranch_execz .LBB44_34
; %bb.31:
	v_subrev_nc_u32_e32 v7, 41, v0
	s_movk_i32 s54, 0x560
	s_mov_b32 s4, 0
	s_mov_b32 s55, s10
	.p2align	6
.LBB44_32:                              ; =>This Inner Loop Header: Depth=1
	v_mov_b32_e32 v8, s55
	v_add_nc_u32_e32 v7, -1, v7
	s_add_i32 s55, s55, 16
	s_clause 0x3
	buffer_load_dword v12, v8, s[0:3], 0 offen offset:8
	buffer_load_dword v13, v8, s[0:3], 0 offen offset:12
	buffer_load_dword v14, v8, s[0:3], 0 offen
	buffer_load_dword v15, v8, s[0:3], 0 offen offset:4
	v_mov_b32_e32 v8, s54
	v_cmp_eq_u32_e32 vcc_lo, 0, v7
	s_add_i32 s54, s54, 16
	ds_read_b128 v[8:11], v8
	s_or_b32 s4, vcc_lo, s4
	s_waitcnt vmcnt(2) lgkmcnt(0)
	v_mul_f64 v[16:17], v[10:11], v[12:13]
	v_mul_f64 v[12:13], v[8:9], v[12:13]
	s_waitcnt vmcnt(0)
	v_fma_f64 v[8:9], v[8:9], v[14:15], -v[16:17]
	v_fma_f64 v[10:11], v[10:11], v[14:15], v[12:13]
	v_add_f64 v[1:2], v[1:2], v[8:9]
	v_add_f64 v[3:4], v[3:4], v[10:11]
	s_andn2_b32 exec_lo, exec_lo, s4
	s_cbranch_execnz .LBB44_32
; %bb.33:
	s_or_b32 exec_lo, exec_lo, s4
.LBB44_34:
	s_or_b32 exec_lo, exec_lo, s53
	v_mov_b32_e32 v7, 0
	ds_read_b128 v[7:10], v7 offset:640
	s_waitcnt lgkmcnt(0)
	v_mul_f64 v[11:12], v[3:4], v[9:10]
	v_mul_f64 v[9:10], v[1:2], v[9:10]
	v_fma_f64 v[1:2], v[1:2], v[7:8], -v[11:12]
	v_fma_f64 v[3:4], v[3:4], v[7:8], v[9:10]
	buffer_store_dword v2, off, s[0:3], 0 offset:644
	buffer_store_dword v1, off, s[0:3], 0 offset:640
	;; [unrolled: 1-line block ×4, first 2 shown]
.LBB44_35:
	s_or_b32 exec_lo, exec_lo, s8
	v_mov_b32_e32 v4, s12
	v_cmp_lt_u32_e64 s4, 39, v0
	s_clause 0x3
	buffer_load_dword v1, v4, s[0:3], 0 offen
	buffer_load_dword v2, v4, s[0:3], 0 offen offset:4
	buffer_load_dword v3, v4, s[0:3], 0 offen offset:8
	;; [unrolled: 1-line block ×3, first 2 shown]
	s_waitcnt vmcnt(0)
	ds_write_b128 v6, v[1:4]
	s_waitcnt lgkmcnt(0)
	s_waitcnt_vscnt null, 0x0
	s_barrier
	buffer_gl0_inv
	s_and_saveexec_b32 s8, s4
	s_cbranch_execz .LBB44_43
; %bb.36:
	ds_read_b128 v[1:4], v6
	s_andn2_b32 vcc_lo, exec_lo, s52
	s_cbranch_vccnz .LBB44_38
; %bb.37:
	s_clause 0x3
	buffer_load_dword v7, v5, s[0:3], 0 offen offset:8
	buffer_load_dword v8, v5, s[0:3], 0 offen offset:12
	buffer_load_dword v9, v5, s[0:3], 0 offen
	buffer_load_dword v10, v5, s[0:3], 0 offen offset:4
	s_waitcnt vmcnt(2) lgkmcnt(0)
	v_mul_f64 v[11:12], v[3:4], v[7:8]
	v_mul_f64 v[7:8], v[1:2], v[7:8]
	s_waitcnt vmcnt(0)
	v_fma_f64 v[1:2], v[1:2], v[9:10], -v[11:12]
	v_fma_f64 v[3:4], v[3:4], v[9:10], v[7:8]
.LBB44_38:
	s_and_saveexec_b32 s53, s5
	s_cbranch_execz .LBB44_42
; %bb.39:
	v_subrev_nc_u32_e32 v7, 40, v0
	s_movk_i32 s54, 0x550
	s_mov_b32 s5, 0
	s_mov_b32 s55, s11
	.p2align	6
.LBB44_40:                              ; =>This Inner Loop Header: Depth=1
	v_mov_b32_e32 v8, s55
	v_add_nc_u32_e32 v7, -1, v7
	s_add_i32 s55, s55, 16
	s_clause 0x3
	buffer_load_dword v12, v8, s[0:3], 0 offen offset:8
	buffer_load_dword v13, v8, s[0:3], 0 offen offset:12
	buffer_load_dword v14, v8, s[0:3], 0 offen
	buffer_load_dword v15, v8, s[0:3], 0 offen offset:4
	v_mov_b32_e32 v8, s54
	v_cmp_eq_u32_e32 vcc_lo, 0, v7
	s_add_i32 s54, s54, 16
	ds_read_b128 v[8:11], v8
	s_or_b32 s5, vcc_lo, s5
	s_waitcnt vmcnt(2) lgkmcnt(0)
	v_mul_f64 v[16:17], v[10:11], v[12:13]
	v_mul_f64 v[12:13], v[8:9], v[12:13]
	s_waitcnt vmcnt(0)
	v_fma_f64 v[8:9], v[8:9], v[14:15], -v[16:17]
	v_fma_f64 v[10:11], v[10:11], v[14:15], v[12:13]
	v_add_f64 v[1:2], v[1:2], v[8:9]
	v_add_f64 v[3:4], v[3:4], v[10:11]
	s_andn2_b32 exec_lo, exec_lo, s5
	s_cbranch_execnz .LBB44_40
; %bb.41:
	s_or_b32 exec_lo, exec_lo, s5
.LBB44_42:
	s_or_b32 exec_lo, exec_lo, s53
	v_mov_b32_e32 v7, 0
	ds_read_b128 v[7:10], v7 offset:624
	s_waitcnt lgkmcnt(0)
	v_mul_f64 v[11:12], v[3:4], v[9:10]
	v_mul_f64 v[9:10], v[1:2], v[9:10]
	v_fma_f64 v[1:2], v[1:2], v[7:8], -v[11:12]
	v_fma_f64 v[3:4], v[3:4], v[7:8], v[9:10]
	buffer_store_dword v2, off, s[0:3], 0 offset:628
	buffer_store_dword v1, off, s[0:3], 0 offset:624
	;; [unrolled: 1-line block ×4, first 2 shown]
.LBB44_43:
	s_or_b32 exec_lo, exec_lo, s8
	v_mov_b32_e32 v4, s13
	v_cmp_lt_u32_e64 s5, 38, v0
	s_clause 0x3
	buffer_load_dword v1, v4, s[0:3], 0 offen
	buffer_load_dword v2, v4, s[0:3], 0 offen offset:4
	buffer_load_dword v3, v4, s[0:3], 0 offen offset:8
	;; [unrolled: 1-line block ×3, first 2 shown]
	s_waitcnt vmcnt(0)
	ds_write_b128 v6, v[1:4]
	s_waitcnt lgkmcnt(0)
	s_waitcnt_vscnt null, 0x0
	s_barrier
	buffer_gl0_inv
	s_and_saveexec_b32 s8, s5
	s_cbranch_execz .LBB44_51
; %bb.44:
	ds_read_b128 v[1:4], v6
	s_andn2_b32 vcc_lo, exec_lo, s52
	s_cbranch_vccnz .LBB44_46
; %bb.45:
	s_clause 0x3
	buffer_load_dword v7, v5, s[0:3], 0 offen offset:8
	buffer_load_dword v8, v5, s[0:3], 0 offen offset:12
	buffer_load_dword v9, v5, s[0:3], 0 offen
	buffer_load_dword v10, v5, s[0:3], 0 offen offset:4
	s_waitcnt vmcnt(2) lgkmcnt(0)
	v_mul_f64 v[11:12], v[3:4], v[7:8]
	v_mul_f64 v[7:8], v[1:2], v[7:8]
	s_waitcnt vmcnt(0)
	v_fma_f64 v[1:2], v[1:2], v[9:10], -v[11:12]
	v_fma_f64 v[3:4], v[3:4], v[9:10], v[7:8]
.LBB44_46:
	s_and_saveexec_b32 s53, s4
	s_cbranch_execz .LBB44_50
; %bb.47:
	v_subrev_nc_u32_e32 v7, 39, v0
	s_movk_i32 s54, 0x540
	s_mov_b32 s4, 0
	s_mov_b32 s55, s12
	.p2align	6
.LBB44_48:                              ; =>This Inner Loop Header: Depth=1
	v_mov_b32_e32 v8, s55
	v_add_nc_u32_e32 v7, -1, v7
	s_add_i32 s55, s55, 16
	s_clause 0x3
	buffer_load_dword v12, v8, s[0:3], 0 offen offset:8
	buffer_load_dword v13, v8, s[0:3], 0 offen offset:12
	buffer_load_dword v14, v8, s[0:3], 0 offen
	buffer_load_dword v15, v8, s[0:3], 0 offen offset:4
	v_mov_b32_e32 v8, s54
	v_cmp_eq_u32_e32 vcc_lo, 0, v7
	s_add_i32 s54, s54, 16
	ds_read_b128 v[8:11], v8
	s_or_b32 s4, vcc_lo, s4
	s_waitcnt vmcnt(2) lgkmcnt(0)
	v_mul_f64 v[16:17], v[10:11], v[12:13]
	v_mul_f64 v[12:13], v[8:9], v[12:13]
	s_waitcnt vmcnt(0)
	v_fma_f64 v[8:9], v[8:9], v[14:15], -v[16:17]
	v_fma_f64 v[10:11], v[10:11], v[14:15], v[12:13]
	v_add_f64 v[1:2], v[1:2], v[8:9]
	v_add_f64 v[3:4], v[3:4], v[10:11]
	s_andn2_b32 exec_lo, exec_lo, s4
	s_cbranch_execnz .LBB44_48
; %bb.49:
	s_or_b32 exec_lo, exec_lo, s4
.LBB44_50:
	s_or_b32 exec_lo, exec_lo, s53
	v_mov_b32_e32 v7, 0
	ds_read_b128 v[7:10], v7 offset:608
	s_waitcnt lgkmcnt(0)
	v_mul_f64 v[11:12], v[3:4], v[9:10]
	v_mul_f64 v[9:10], v[1:2], v[9:10]
	v_fma_f64 v[1:2], v[1:2], v[7:8], -v[11:12]
	v_fma_f64 v[3:4], v[3:4], v[7:8], v[9:10]
	buffer_store_dword v2, off, s[0:3], 0 offset:612
	buffer_store_dword v1, off, s[0:3], 0 offset:608
	;; [unrolled: 1-line block ×4, first 2 shown]
.LBB44_51:
	s_or_b32 exec_lo, exec_lo, s8
	v_mov_b32_e32 v4, s14
	v_cmp_lt_u32_e64 s4, 37, v0
	s_clause 0x3
	buffer_load_dword v1, v4, s[0:3], 0 offen
	buffer_load_dword v2, v4, s[0:3], 0 offen offset:4
	buffer_load_dword v3, v4, s[0:3], 0 offen offset:8
	buffer_load_dword v4, v4, s[0:3], 0 offen offset:12
	s_waitcnt vmcnt(0)
	ds_write_b128 v6, v[1:4]
	s_waitcnt lgkmcnt(0)
	s_waitcnt_vscnt null, 0x0
	s_barrier
	buffer_gl0_inv
	s_and_saveexec_b32 s8, s4
	s_cbranch_execz .LBB44_59
; %bb.52:
	ds_read_b128 v[1:4], v6
	s_andn2_b32 vcc_lo, exec_lo, s52
	s_cbranch_vccnz .LBB44_54
; %bb.53:
	s_clause 0x3
	buffer_load_dword v7, v5, s[0:3], 0 offen offset:8
	buffer_load_dword v8, v5, s[0:3], 0 offen offset:12
	buffer_load_dword v9, v5, s[0:3], 0 offen
	buffer_load_dword v10, v5, s[0:3], 0 offen offset:4
	s_waitcnt vmcnt(2) lgkmcnt(0)
	v_mul_f64 v[11:12], v[3:4], v[7:8]
	v_mul_f64 v[7:8], v[1:2], v[7:8]
	s_waitcnt vmcnt(0)
	v_fma_f64 v[1:2], v[1:2], v[9:10], -v[11:12]
	v_fma_f64 v[3:4], v[3:4], v[9:10], v[7:8]
.LBB44_54:
	s_and_saveexec_b32 s53, s5
	s_cbranch_execz .LBB44_58
; %bb.55:
	v_subrev_nc_u32_e32 v7, 38, v0
	s_movk_i32 s54, 0x530
	s_mov_b32 s5, 0
	s_mov_b32 s55, s13
	.p2align	6
.LBB44_56:                              ; =>This Inner Loop Header: Depth=1
	v_mov_b32_e32 v8, s55
	v_add_nc_u32_e32 v7, -1, v7
	s_add_i32 s55, s55, 16
	s_clause 0x3
	buffer_load_dword v12, v8, s[0:3], 0 offen offset:8
	buffer_load_dword v13, v8, s[0:3], 0 offen offset:12
	buffer_load_dword v14, v8, s[0:3], 0 offen
	buffer_load_dword v15, v8, s[0:3], 0 offen offset:4
	v_mov_b32_e32 v8, s54
	v_cmp_eq_u32_e32 vcc_lo, 0, v7
	s_add_i32 s54, s54, 16
	ds_read_b128 v[8:11], v8
	s_or_b32 s5, vcc_lo, s5
	s_waitcnt vmcnt(2) lgkmcnt(0)
	v_mul_f64 v[16:17], v[10:11], v[12:13]
	v_mul_f64 v[12:13], v[8:9], v[12:13]
	s_waitcnt vmcnt(0)
	v_fma_f64 v[8:9], v[8:9], v[14:15], -v[16:17]
	v_fma_f64 v[10:11], v[10:11], v[14:15], v[12:13]
	v_add_f64 v[1:2], v[1:2], v[8:9]
	v_add_f64 v[3:4], v[3:4], v[10:11]
	s_andn2_b32 exec_lo, exec_lo, s5
	s_cbranch_execnz .LBB44_56
; %bb.57:
	s_or_b32 exec_lo, exec_lo, s5
.LBB44_58:
	s_or_b32 exec_lo, exec_lo, s53
	v_mov_b32_e32 v7, 0
	ds_read_b128 v[7:10], v7 offset:592
	s_waitcnt lgkmcnt(0)
	v_mul_f64 v[11:12], v[3:4], v[9:10]
	v_mul_f64 v[9:10], v[1:2], v[9:10]
	v_fma_f64 v[1:2], v[1:2], v[7:8], -v[11:12]
	v_fma_f64 v[3:4], v[3:4], v[7:8], v[9:10]
	buffer_store_dword v2, off, s[0:3], 0 offset:596
	buffer_store_dword v1, off, s[0:3], 0 offset:592
	;; [unrolled: 1-line block ×4, first 2 shown]
.LBB44_59:
	s_or_b32 exec_lo, exec_lo, s8
	v_mov_b32_e32 v4, s15
	v_cmp_lt_u32_e64 s5, 36, v0
	s_clause 0x3
	buffer_load_dword v1, v4, s[0:3], 0 offen
	buffer_load_dword v2, v4, s[0:3], 0 offen offset:4
	buffer_load_dword v3, v4, s[0:3], 0 offen offset:8
	;; [unrolled: 1-line block ×3, first 2 shown]
	s_waitcnt vmcnt(0)
	ds_write_b128 v6, v[1:4]
	s_waitcnt lgkmcnt(0)
	s_waitcnt_vscnt null, 0x0
	s_barrier
	buffer_gl0_inv
	s_and_saveexec_b32 s8, s5
	s_cbranch_execz .LBB44_67
; %bb.60:
	ds_read_b128 v[1:4], v6
	s_andn2_b32 vcc_lo, exec_lo, s52
	s_cbranch_vccnz .LBB44_62
; %bb.61:
	s_clause 0x3
	buffer_load_dword v7, v5, s[0:3], 0 offen offset:8
	buffer_load_dword v8, v5, s[0:3], 0 offen offset:12
	buffer_load_dword v9, v5, s[0:3], 0 offen
	buffer_load_dword v10, v5, s[0:3], 0 offen offset:4
	s_waitcnt vmcnt(2) lgkmcnt(0)
	v_mul_f64 v[11:12], v[3:4], v[7:8]
	v_mul_f64 v[7:8], v[1:2], v[7:8]
	s_waitcnt vmcnt(0)
	v_fma_f64 v[1:2], v[1:2], v[9:10], -v[11:12]
	v_fma_f64 v[3:4], v[3:4], v[9:10], v[7:8]
.LBB44_62:
	s_and_saveexec_b32 s53, s4
	s_cbranch_execz .LBB44_66
; %bb.63:
	v_subrev_nc_u32_e32 v7, 37, v0
	s_movk_i32 s54, 0x520
	s_mov_b32 s4, 0
	s_mov_b32 s55, s14
	.p2align	6
.LBB44_64:                              ; =>This Inner Loop Header: Depth=1
	v_mov_b32_e32 v8, s55
	v_add_nc_u32_e32 v7, -1, v7
	s_add_i32 s55, s55, 16
	s_clause 0x3
	buffer_load_dword v12, v8, s[0:3], 0 offen offset:8
	buffer_load_dword v13, v8, s[0:3], 0 offen offset:12
	buffer_load_dword v14, v8, s[0:3], 0 offen
	buffer_load_dword v15, v8, s[0:3], 0 offen offset:4
	v_mov_b32_e32 v8, s54
	v_cmp_eq_u32_e32 vcc_lo, 0, v7
	s_add_i32 s54, s54, 16
	ds_read_b128 v[8:11], v8
	s_or_b32 s4, vcc_lo, s4
	s_waitcnt vmcnt(2) lgkmcnt(0)
	v_mul_f64 v[16:17], v[10:11], v[12:13]
	v_mul_f64 v[12:13], v[8:9], v[12:13]
	s_waitcnt vmcnt(0)
	v_fma_f64 v[8:9], v[8:9], v[14:15], -v[16:17]
	v_fma_f64 v[10:11], v[10:11], v[14:15], v[12:13]
	v_add_f64 v[1:2], v[1:2], v[8:9]
	v_add_f64 v[3:4], v[3:4], v[10:11]
	s_andn2_b32 exec_lo, exec_lo, s4
	s_cbranch_execnz .LBB44_64
; %bb.65:
	s_or_b32 exec_lo, exec_lo, s4
.LBB44_66:
	s_or_b32 exec_lo, exec_lo, s53
	v_mov_b32_e32 v7, 0
	ds_read_b128 v[7:10], v7 offset:576
	s_waitcnt lgkmcnt(0)
	v_mul_f64 v[11:12], v[3:4], v[9:10]
	v_mul_f64 v[9:10], v[1:2], v[9:10]
	v_fma_f64 v[1:2], v[1:2], v[7:8], -v[11:12]
	v_fma_f64 v[3:4], v[3:4], v[7:8], v[9:10]
	buffer_store_dword v2, off, s[0:3], 0 offset:580
	buffer_store_dword v1, off, s[0:3], 0 offset:576
	;; [unrolled: 1-line block ×4, first 2 shown]
.LBB44_67:
	s_or_b32 exec_lo, exec_lo, s8
	v_mov_b32_e32 v4, s16
	v_cmp_lt_u32_e64 s4, 35, v0
	s_clause 0x3
	buffer_load_dword v1, v4, s[0:3], 0 offen
	buffer_load_dword v2, v4, s[0:3], 0 offen offset:4
	buffer_load_dword v3, v4, s[0:3], 0 offen offset:8
	;; [unrolled: 1-line block ×3, first 2 shown]
	s_waitcnt vmcnt(0)
	ds_write_b128 v6, v[1:4]
	s_waitcnt lgkmcnt(0)
	s_waitcnt_vscnt null, 0x0
	s_barrier
	buffer_gl0_inv
	s_and_saveexec_b32 s8, s4
	s_cbranch_execz .LBB44_75
; %bb.68:
	ds_read_b128 v[1:4], v6
	s_andn2_b32 vcc_lo, exec_lo, s52
	s_cbranch_vccnz .LBB44_70
; %bb.69:
	s_clause 0x3
	buffer_load_dword v7, v5, s[0:3], 0 offen offset:8
	buffer_load_dword v8, v5, s[0:3], 0 offen offset:12
	buffer_load_dword v9, v5, s[0:3], 0 offen
	buffer_load_dword v10, v5, s[0:3], 0 offen offset:4
	s_waitcnt vmcnt(2) lgkmcnt(0)
	v_mul_f64 v[11:12], v[3:4], v[7:8]
	v_mul_f64 v[7:8], v[1:2], v[7:8]
	s_waitcnt vmcnt(0)
	v_fma_f64 v[1:2], v[1:2], v[9:10], -v[11:12]
	v_fma_f64 v[3:4], v[3:4], v[9:10], v[7:8]
.LBB44_70:
	s_and_saveexec_b32 s53, s5
	s_cbranch_execz .LBB44_74
; %bb.71:
	v_subrev_nc_u32_e32 v7, 36, v0
	s_movk_i32 s54, 0x510
	s_mov_b32 s5, 0
	s_mov_b32 s55, s15
	.p2align	6
.LBB44_72:                              ; =>This Inner Loop Header: Depth=1
	v_mov_b32_e32 v8, s55
	v_add_nc_u32_e32 v7, -1, v7
	s_add_i32 s55, s55, 16
	s_clause 0x3
	buffer_load_dword v12, v8, s[0:3], 0 offen offset:8
	buffer_load_dword v13, v8, s[0:3], 0 offen offset:12
	buffer_load_dword v14, v8, s[0:3], 0 offen
	buffer_load_dword v15, v8, s[0:3], 0 offen offset:4
	v_mov_b32_e32 v8, s54
	v_cmp_eq_u32_e32 vcc_lo, 0, v7
	s_add_i32 s54, s54, 16
	ds_read_b128 v[8:11], v8
	s_or_b32 s5, vcc_lo, s5
	s_waitcnt vmcnt(2) lgkmcnt(0)
	v_mul_f64 v[16:17], v[10:11], v[12:13]
	v_mul_f64 v[12:13], v[8:9], v[12:13]
	s_waitcnt vmcnt(0)
	v_fma_f64 v[8:9], v[8:9], v[14:15], -v[16:17]
	v_fma_f64 v[10:11], v[10:11], v[14:15], v[12:13]
	v_add_f64 v[1:2], v[1:2], v[8:9]
	v_add_f64 v[3:4], v[3:4], v[10:11]
	s_andn2_b32 exec_lo, exec_lo, s5
	s_cbranch_execnz .LBB44_72
; %bb.73:
	s_or_b32 exec_lo, exec_lo, s5
.LBB44_74:
	s_or_b32 exec_lo, exec_lo, s53
	v_mov_b32_e32 v7, 0
	ds_read_b128 v[7:10], v7 offset:560
	s_waitcnt lgkmcnt(0)
	v_mul_f64 v[11:12], v[3:4], v[9:10]
	v_mul_f64 v[9:10], v[1:2], v[9:10]
	v_fma_f64 v[1:2], v[1:2], v[7:8], -v[11:12]
	v_fma_f64 v[3:4], v[3:4], v[7:8], v[9:10]
	buffer_store_dword v2, off, s[0:3], 0 offset:564
	buffer_store_dword v1, off, s[0:3], 0 offset:560
	;; [unrolled: 1-line block ×4, first 2 shown]
.LBB44_75:
	s_or_b32 exec_lo, exec_lo, s8
	v_mov_b32_e32 v4, s17
	v_cmp_lt_u32_e64 s5, 34, v0
	s_clause 0x3
	buffer_load_dword v1, v4, s[0:3], 0 offen
	buffer_load_dword v2, v4, s[0:3], 0 offen offset:4
	buffer_load_dword v3, v4, s[0:3], 0 offen offset:8
	;; [unrolled: 1-line block ×3, first 2 shown]
	s_waitcnt vmcnt(0)
	ds_write_b128 v6, v[1:4]
	s_waitcnt lgkmcnt(0)
	s_waitcnt_vscnt null, 0x0
	s_barrier
	buffer_gl0_inv
	s_and_saveexec_b32 s8, s5
	s_cbranch_execz .LBB44_83
; %bb.76:
	ds_read_b128 v[1:4], v6
	s_andn2_b32 vcc_lo, exec_lo, s52
	s_cbranch_vccnz .LBB44_78
; %bb.77:
	s_clause 0x3
	buffer_load_dword v7, v5, s[0:3], 0 offen offset:8
	buffer_load_dword v8, v5, s[0:3], 0 offen offset:12
	buffer_load_dword v9, v5, s[0:3], 0 offen
	buffer_load_dword v10, v5, s[0:3], 0 offen offset:4
	s_waitcnt vmcnt(2) lgkmcnt(0)
	v_mul_f64 v[11:12], v[3:4], v[7:8]
	v_mul_f64 v[7:8], v[1:2], v[7:8]
	s_waitcnt vmcnt(0)
	v_fma_f64 v[1:2], v[1:2], v[9:10], -v[11:12]
	v_fma_f64 v[3:4], v[3:4], v[9:10], v[7:8]
.LBB44_78:
	s_and_saveexec_b32 s53, s4
	s_cbranch_execz .LBB44_82
; %bb.79:
	v_subrev_nc_u32_e32 v7, 35, v0
	s_movk_i32 s54, 0x500
	s_mov_b32 s4, 0
	s_mov_b32 s55, s16
	.p2align	6
.LBB44_80:                              ; =>This Inner Loop Header: Depth=1
	v_mov_b32_e32 v8, s55
	v_add_nc_u32_e32 v7, -1, v7
	s_add_i32 s55, s55, 16
	s_clause 0x3
	buffer_load_dword v12, v8, s[0:3], 0 offen offset:8
	buffer_load_dword v13, v8, s[0:3], 0 offen offset:12
	buffer_load_dword v14, v8, s[0:3], 0 offen
	buffer_load_dword v15, v8, s[0:3], 0 offen offset:4
	v_mov_b32_e32 v8, s54
	v_cmp_eq_u32_e32 vcc_lo, 0, v7
	s_add_i32 s54, s54, 16
	ds_read_b128 v[8:11], v8
	s_or_b32 s4, vcc_lo, s4
	s_waitcnt vmcnt(2) lgkmcnt(0)
	v_mul_f64 v[16:17], v[10:11], v[12:13]
	v_mul_f64 v[12:13], v[8:9], v[12:13]
	s_waitcnt vmcnt(0)
	v_fma_f64 v[8:9], v[8:9], v[14:15], -v[16:17]
	v_fma_f64 v[10:11], v[10:11], v[14:15], v[12:13]
	v_add_f64 v[1:2], v[1:2], v[8:9]
	v_add_f64 v[3:4], v[3:4], v[10:11]
	s_andn2_b32 exec_lo, exec_lo, s4
	s_cbranch_execnz .LBB44_80
; %bb.81:
	s_or_b32 exec_lo, exec_lo, s4
.LBB44_82:
	s_or_b32 exec_lo, exec_lo, s53
	v_mov_b32_e32 v7, 0
	ds_read_b128 v[7:10], v7 offset:544
	s_waitcnt lgkmcnt(0)
	v_mul_f64 v[11:12], v[3:4], v[9:10]
	v_mul_f64 v[9:10], v[1:2], v[9:10]
	v_fma_f64 v[1:2], v[1:2], v[7:8], -v[11:12]
	v_fma_f64 v[3:4], v[3:4], v[7:8], v[9:10]
	buffer_store_dword v2, off, s[0:3], 0 offset:548
	buffer_store_dword v1, off, s[0:3], 0 offset:544
	buffer_store_dword v4, off, s[0:3], 0 offset:556
	buffer_store_dword v3, off, s[0:3], 0 offset:552
.LBB44_83:
	s_or_b32 exec_lo, exec_lo, s8
	v_mov_b32_e32 v4, s18
	v_cmp_lt_u32_e64 s4, 33, v0
	s_clause 0x3
	buffer_load_dword v1, v4, s[0:3], 0 offen
	buffer_load_dword v2, v4, s[0:3], 0 offen offset:4
	buffer_load_dword v3, v4, s[0:3], 0 offen offset:8
	buffer_load_dword v4, v4, s[0:3], 0 offen offset:12
	s_waitcnt vmcnt(0)
	ds_write_b128 v6, v[1:4]
	s_waitcnt lgkmcnt(0)
	s_waitcnt_vscnt null, 0x0
	s_barrier
	buffer_gl0_inv
	s_and_saveexec_b32 s8, s4
	s_cbranch_execz .LBB44_91
; %bb.84:
	ds_read_b128 v[1:4], v6
	s_andn2_b32 vcc_lo, exec_lo, s52
	s_cbranch_vccnz .LBB44_86
; %bb.85:
	s_clause 0x3
	buffer_load_dword v7, v5, s[0:3], 0 offen offset:8
	buffer_load_dword v8, v5, s[0:3], 0 offen offset:12
	buffer_load_dword v9, v5, s[0:3], 0 offen
	buffer_load_dword v10, v5, s[0:3], 0 offen offset:4
	s_waitcnt vmcnt(2) lgkmcnt(0)
	v_mul_f64 v[11:12], v[3:4], v[7:8]
	v_mul_f64 v[7:8], v[1:2], v[7:8]
	s_waitcnt vmcnt(0)
	v_fma_f64 v[1:2], v[1:2], v[9:10], -v[11:12]
	v_fma_f64 v[3:4], v[3:4], v[9:10], v[7:8]
.LBB44_86:
	s_and_saveexec_b32 s53, s5
	s_cbranch_execz .LBB44_90
; %bb.87:
	v_subrev_nc_u32_e32 v7, 34, v0
	s_movk_i32 s54, 0x4f0
	s_mov_b32 s5, 0
	s_mov_b32 s55, s17
	.p2align	6
.LBB44_88:                              ; =>This Inner Loop Header: Depth=1
	v_mov_b32_e32 v8, s55
	v_add_nc_u32_e32 v7, -1, v7
	s_add_i32 s55, s55, 16
	s_clause 0x3
	buffer_load_dword v12, v8, s[0:3], 0 offen offset:8
	buffer_load_dword v13, v8, s[0:3], 0 offen offset:12
	buffer_load_dword v14, v8, s[0:3], 0 offen
	buffer_load_dword v15, v8, s[0:3], 0 offen offset:4
	v_mov_b32_e32 v8, s54
	v_cmp_eq_u32_e32 vcc_lo, 0, v7
	s_add_i32 s54, s54, 16
	ds_read_b128 v[8:11], v8
	s_or_b32 s5, vcc_lo, s5
	s_waitcnt vmcnt(2) lgkmcnt(0)
	v_mul_f64 v[16:17], v[10:11], v[12:13]
	v_mul_f64 v[12:13], v[8:9], v[12:13]
	s_waitcnt vmcnt(0)
	v_fma_f64 v[8:9], v[8:9], v[14:15], -v[16:17]
	v_fma_f64 v[10:11], v[10:11], v[14:15], v[12:13]
	v_add_f64 v[1:2], v[1:2], v[8:9]
	v_add_f64 v[3:4], v[3:4], v[10:11]
	s_andn2_b32 exec_lo, exec_lo, s5
	s_cbranch_execnz .LBB44_88
; %bb.89:
	s_or_b32 exec_lo, exec_lo, s5
.LBB44_90:
	s_or_b32 exec_lo, exec_lo, s53
	v_mov_b32_e32 v7, 0
	ds_read_b128 v[7:10], v7 offset:528
	s_waitcnt lgkmcnt(0)
	v_mul_f64 v[11:12], v[3:4], v[9:10]
	v_mul_f64 v[9:10], v[1:2], v[9:10]
	v_fma_f64 v[1:2], v[1:2], v[7:8], -v[11:12]
	v_fma_f64 v[3:4], v[3:4], v[7:8], v[9:10]
	buffer_store_dword v2, off, s[0:3], 0 offset:532
	buffer_store_dword v1, off, s[0:3], 0 offset:528
	;; [unrolled: 1-line block ×4, first 2 shown]
.LBB44_91:
	s_or_b32 exec_lo, exec_lo, s8
	v_mov_b32_e32 v4, s19
	v_cmp_lt_u32_e64 s5, 32, v0
	s_clause 0x3
	buffer_load_dword v1, v4, s[0:3], 0 offen
	buffer_load_dword v2, v4, s[0:3], 0 offen offset:4
	buffer_load_dword v3, v4, s[0:3], 0 offen offset:8
	;; [unrolled: 1-line block ×3, first 2 shown]
	s_waitcnt vmcnt(0)
	ds_write_b128 v6, v[1:4]
	s_waitcnt lgkmcnt(0)
	s_waitcnt_vscnt null, 0x0
	s_barrier
	buffer_gl0_inv
	s_and_saveexec_b32 s8, s5
	s_cbranch_execz .LBB44_99
; %bb.92:
	ds_read_b128 v[1:4], v6
	s_andn2_b32 vcc_lo, exec_lo, s52
	s_cbranch_vccnz .LBB44_94
; %bb.93:
	s_clause 0x3
	buffer_load_dword v7, v5, s[0:3], 0 offen offset:8
	buffer_load_dword v8, v5, s[0:3], 0 offen offset:12
	buffer_load_dword v9, v5, s[0:3], 0 offen
	buffer_load_dword v10, v5, s[0:3], 0 offen offset:4
	s_waitcnt vmcnt(2) lgkmcnt(0)
	v_mul_f64 v[11:12], v[3:4], v[7:8]
	v_mul_f64 v[7:8], v[1:2], v[7:8]
	s_waitcnt vmcnt(0)
	v_fma_f64 v[1:2], v[1:2], v[9:10], -v[11:12]
	v_fma_f64 v[3:4], v[3:4], v[9:10], v[7:8]
.LBB44_94:
	s_and_saveexec_b32 s53, s4
	s_cbranch_execz .LBB44_98
; %bb.95:
	v_subrev_nc_u32_e32 v7, 33, v0
	s_movk_i32 s54, 0x4e0
	s_mov_b32 s4, 0
	s_mov_b32 s55, s18
	.p2align	6
.LBB44_96:                              ; =>This Inner Loop Header: Depth=1
	v_mov_b32_e32 v8, s55
	v_add_nc_u32_e32 v7, -1, v7
	s_add_i32 s55, s55, 16
	s_clause 0x3
	buffer_load_dword v12, v8, s[0:3], 0 offen offset:8
	buffer_load_dword v13, v8, s[0:3], 0 offen offset:12
	buffer_load_dword v14, v8, s[0:3], 0 offen
	buffer_load_dword v15, v8, s[0:3], 0 offen offset:4
	v_mov_b32_e32 v8, s54
	v_cmp_eq_u32_e32 vcc_lo, 0, v7
	s_add_i32 s54, s54, 16
	ds_read_b128 v[8:11], v8
	s_or_b32 s4, vcc_lo, s4
	s_waitcnt vmcnt(2) lgkmcnt(0)
	v_mul_f64 v[16:17], v[10:11], v[12:13]
	v_mul_f64 v[12:13], v[8:9], v[12:13]
	s_waitcnt vmcnt(0)
	v_fma_f64 v[8:9], v[8:9], v[14:15], -v[16:17]
	v_fma_f64 v[10:11], v[10:11], v[14:15], v[12:13]
	v_add_f64 v[1:2], v[1:2], v[8:9]
	v_add_f64 v[3:4], v[3:4], v[10:11]
	s_andn2_b32 exec_lo, exec_lo, s4
	s_cbranch_execnz .LBB44_96
; %bb.97:
	s_or_b32 exec_lo, exec_lo, s4
.LBB44_98:
	s_or_b32 exec_lo, exec_lo, s53
	v_mov_b32_e32 v7, 0
	ds_read_b128 v[7:10], v7 offset:512
	s_waitcnt lgkmcnt(0)
	v_mul_f64 v[11:12], v[3:4], v[9:10]
	v_mul_f64 v[9:10], v[1:2], v[9:10]
	v_fma_f64 v[1:2], v[1:2], v[7:8], -v[11:12]
	v_fma_f64 v[3:4], v[3:4], v[7:8], v[9:10]
	buffer_store_dword v2, off, s[0:3], 0 offset:516
	buffer_store_dword v1, off, s[0:3], 0 offset:512
	;; [unrolled: 1-line block ×4, first 2 shown]
.LBB44_99:
	s_or_b32 exec_lo, exec_lo, s8
	v_mov_b32_e32 v4, s20
	v_cmp_lt_u32_e64 s4, 31, v0
	s_clause 0x3
	buffer_load_dword v1, v4, s[0:3], 0 offen
	buffer_load_dword v2, v4, s[0:3], 0 offen offset:4
	buffer_load_dword v3, v4, s[0:3], 0 offen offset:8
	;; [unrolled: 1-line block ×3, first 2 shown]
	s_waitcnt vmcnt(0)
	ds_write_b128 v6, v[1:4]
	s_waitcnt lgkmcnt(0)
	s_waitcnt_vscnt null, 0x0
	s_barrier
	buffer_gl0_inv
	s_and_saveexec_b32 s8, s4
	s_cbranch_execz .LBB44_107
; %bb.100:
	ds_read_b128 v[1:4], v6
	s_andn2_b32 vcc_lo, exec_lo, s52
	s_cbranch_vccnz .LBB44_102
; %bb.101:
	s_clause 0x3
	buffer_load_dword v7, v5, s[0:3], 0 offen offset:8
	buffer_load_dword v8, v5, s[0:3], 0 offen offset:12
	buffer_load_dword v9, v5, s[0:3], 0 offen
	buffer_load_dword v10, v5, s[0:3], 0 offen offset:4
	s_waitcnt vmcnt(2) lgkmcnt(0)
	v_mul_f64 v[11:12], v[3:4], v[7:8]
	v_mul_f64 v[7:8], v[1:2], v[7:8]
	s_waitcnt vmcnt(0)
	v_fma_f64 v[1:2], v[1:2], v[9:10], -v[11:12]
	v_fma_f64 v[3:4], v[3:4], v[9:10], v[7:8]
.LBB44_102:
	s_and_saveexec_b32 s53, s5
	s_cbranch_execz .LBB44_106
; %bb.103:
	v_subrev_nc_u32_e32 v7, 32, v0
	s_movk_i32 s54, 0x4d0
	s_mov_b32 s5, 0
	s_mov_b32 s55, s19
	.p2align	6
.LBB44_104:                             ; =>This Inner Loop Header: Depth=1
	v_mov_b32_e32 v8, s55
	v_add_nc_u32_e32 v7, -1, v7
	s_add_i32 s55, s55, 16
	s_clause 0x3
	buffer_load_dword v12, v8, s[0:3], 0 offen offset:8
	buffer_load_dword v13, v8, s[0:3], 0 offen offset:12
	buffer_load_dword v14, v8, s[0:3], 0 offen
	buffer_load_dword v15, v8, s[0:3], 0 offen offset:4
	v_mov_b32_e32 v8, s54
	v_cmp_eq_u32_e32 vcc_lo, 0, v7
	s_add_i32 s54, s54, 16
	ds_read_b128 v[8:11], v8
	s_or_b32 s5, vcc_lo, s5
	s_waitcnt vmcnt(2) lgkmcnt(0)
	v_mul_f64 v[16:17], v[10:11], v[12:13]
	v_mul_f64 v[12:13], v[8:9], v[12:13]
	s_waitcnt vmcnt(0)
	v_fma_f64 v[8:9], v[8:9], v[14:15], -v[16:17]
	v_fma_f64 v[10:11], v[10:11], v[14:15], v[12:13]
	v_add_f64 v[1:2], v[1:2], v[8:9]
	v_add_f64 v[3:4], v[3:4], v[10:11]
	s_andn2_b32 exec_lo, exec_lo, s5
	s_cbranch_execnz .LBB44_104
; %bb.105:
	s_or_b32 exec_lo, exec_lo, s5
.LBB44_106:
	s_or_b32 exec_lo, exec_lo, s53
	v_mov_b32_e32 v7, 0
	ds_read_b128 v[7:10], v7 offset:496
	s_waitcnt lgkmcnt(0)
	v_mul_f64 v[11:12], v[3:4], v[9:10]
	v_mul_f64 v[9:10], v[1:2], v[9:10]
	v_fma_f64 v[1:2], v[1:2], v[7:8], -v[11:12]
	v_fma_f64 v[3:4], v[3:4], v[7:8], v[9:10]
	buffer_store_dword v2, off, s[0:3], 0 offset:500
	buffer_store_dword v1, off, s[0:3], 0 offset:496
	;; [unrolled: 1-line block ×4, first 2 shown]
.LBB44_107:
	s_or_b32 exec_lo, exec_lo, s8
	v_mov_b32_e32 v4, s21
	v_cmp_lt_u32_e64 s5, 30, v0
	s_clause 0x3
	buffer_load_dword v1, v4, s[0:3], 0 offen
	buffer_load_dword v2, v4, s[0:3], 0 offen offset:4
	buffer_load_dword v3, v4, s[0:3], 0 offen offset:8
	;; [unrolled: 1-line block ×3, first 2 shown]
	s_waitcnt vmcnt(0)
	ds_write_b128 v6, v[1:4]
	s_waitcnt lgkmcnt(0)
	s_waitcnt_vscnt null, 0x0
	s_barrier
	buffer_gl0_inv
	s_and_saveexec_b32 s8, s5
	s_cbranch_execz .LBB44_115
; %bb.108:
	ds_read_b128 v[1:4], v6
	s_andn2_b32 vcc_lo, exec_lo, s52
	s_cbranch_vccnz .LBB44_110
; %bb.109:
	s_clause 0x3
	buffer_load_dword v7, v5, s[0:3], 0 offen offset:8
	buffer_load_dword v8, v5, s[0:3], 0 offen offset:12
	buffer_load_dword v9, v5, s[0:3], 0 offen
	buffer_load_dword v10, v5, s[0:3], 0 offen offset:4
	s_waitcnt vmcnt(2) lgkmcnt(0)
	v_mul_f64 v[11:12], v[3:4], v[7:8]
	v_mul_f64 v[7:8], v[1:2], v[7:8]
	s_waitcnt vmcnt(0)
	v_fma_f64 v[1:2], v[1:2], v[9:10], -v[11:12]
	v_fma_f64 v[3:4], v[3:4], v[9:10], v[7:8]
.LBB44_110:
	s_and_saveexec_b32 s53, s4
	s_cbranch_execz .LBB44_114
; %bb.111:
	v_subrev_nc_u32_e32 v7, 31, v0
	s_movk_i32 s54, 0x4c0
	s_mov_b32 s4, 0
	s_mov_b32 s55, s20
	.p2align	6
.LBB44_112:                             ; =>This Inner Loop Header: Depth=1
	v_mov_b32_e32 v8, s55
	v_add_nc_u32_e32 v7, -1, v7
	s_add_i32 s55, s55, 16
	s_clause 0x3
	buffer_load_dword v12, v8, s[0:3], 0 offen offset:8
	buffer_load_dword v13, v8, s[0:3], 0 offen offset:12
	buffer_load_dword v14, v8, s[0:3], 0 offen
	buffer_load_dword v15, v8, s[0:3], 0 offen offset:4
	v_mov_b32_e32 v8, s54
	v_cmp_eq_u32_e32 vcc_lo, 0, v7
	s_add_i32 s54, s54, 16
	ds_read_b128 v[8:11], v8
	s_or_b32 s4, vcc_lo, s4
	s_waitcnt vmcnt(2) lgkmcnt(0)
	v_mul_f64 v[16:17], v[10:11], v[12:13]
	v_mul_f64 v[12:13], v[8:9], v[12:13]
	s_waitcnt vmcnt(0)
	v_fma_f64 v[8:9], v[8:9], v[14:15], -v[16:17]
	v_fma_f64 v[10:11], v[10:11], v[14:15], v[12:13]
	v_add_f64 v[1:2], v[1:2], v[8:9]
	v_add_f64 v[3:4], v[3:4], v[10:11]
	s_andn2_b32 exec_lo, exec_lo, s4
	s_cbranch_execnz .LBB44_112
; %bb.113:
	s_or_b32 exec_lo, exec_lo, s4
.LBB44_114:
	s_or_b32 exec_lo, exec_lo, s53
	v_mov_b32_e32 v7, 0
	ds_read_b128 v[7:10], v7 offset:480
	s_waitcnt lgkmcnt(0)
	v_mul_f64 v[11:12], v[3:4], v[9:10]
	v_mul_f64 v[9:10], v[1:2], v[9:10]
	v_fma_f64 v[1:2], v[1:2], v[7:8], -v[11:12]
	v_fma_f64 v[3:4], v[3:4], v[7:8], v[9:10]
	buffer_store_dword v2, off, s[0:3], 0 offset:484
	buffer_store_dword v1, off, s[0:3], 0 offset:480
	;; [unrolled: 1-line block ×4, first 2 shown]
.LBB44_115:
	s_or_b32 exec_lo, exec_lo, s8
	v_mov_b32_e32 v4, s22
	v_cmp_lt_u32_e64 s4, 29, v0
	s_clause 0x3
	buffer_load_dword v1, v4, s[0:3], 0 offen
	buffer_load_dword v2, v4, s[0:3], 0 offen offset:4
	buffer_load_dword v3, v4, s[0:3], 0 offen offset:8
	;; [unrolled: 1-line block ×3, first 2 shown]
	s_waitcnt vmcnt(0)
	ds_write_b128 v6, v[1:4]
	s_waitcnt lgkmcnt(0)
	s_waitcnt_vscnt null, 0x0
	s_barrier
	buffer_gl0_inv
	s_and_saveexec_b32 s8, s4
	s_cbranch_execz .LBB44_123
; %bb.116:
	ds_read_b128 v[1:4], v6
	s_andn2_b32 vcc_lo, exec_lo, s52
	s_cbranch_vccnz .LBB44_118
; %bb.117:
	s_clause 0x3
	buffer_load_dword v7, v5, s[0:3], 0 offen offset:8
	buffer_load_dword v8, v5, s[0:3], 0 offen offset:12
	buffer_load_dword v9, v5, s[0:3], 0 offen
	buffer_load_dword v10, v5, s[0:3], 0 offen offset:4
	s_waitcnt vmcnt(2) lgkmcnt(0)
	v_mul_f64 v[11:12], v[3:4], v[7:8]
	v_mul_f64 v[7:8], v[1:2], v[7:8]
	s_waitcnt vmcnt(0)
	v_fma_f64 v[1:2], v[1:2], v[9:10], -v[11:12]
	v_fma_f64 v[3:4], v[3:4], v[9:10], v[7:8]
.LBB44_118:
	s_and_saveexec_b32 s53, s5
	s_cbranch_execz .LBB44_122
; %bb.119:
	v_subrev_nc_u32_e32 v7, 30, v0
	s_movk_i32 s54, 0x4b0
	s_mov_b32 s5, 0
	s_mov_b32 s55, s21
	.p2align	6
.LBB44_120:                             ; =>This Inner Loop Header: Depth=1
	v_mov_b32_e32 v8, s55
	v_add_nc_u32_e32 v7, -1, v7
	s_add_i32 s55, s55, 16
	s_clause 0x3
	buffer_load_dword v12, v8, s[0:3], 0 offen offset:8
	buffer_load_dword v13, v8, s[0:3], 0 offen offset:12
	buffer_load_dword v14, v8, s[0:3], 0 offen
	buffer_load_dword v15, v8, s[0:3], 0 offen offset:4
	v_mov_b32_e32 v8, s54
	v_cmp_eq_u32_e32 vcc_lo, 0, v7
	s_add_i32 s54, s54, 16
	ds_read_b128 v[8:11], v8
	s_or_b32 s5, vcc_lo, s5
	s_waitcnt vmcnt(2) lgkmcnt(0)
	v_mul_f64 v[16:17], v[10:11], v[12:13]
	v_mul_f64 v[12:13], v[8:9], v[12:13]
	s_waitcnt vmcnt(0)
	v_fma_f64 v[8:9], v[8:9], v[14:15], -v[16:17]
	v_fma_f64 v[10:11], v[10:11], v[14:15], v[12:13]
	v_add_f64 v[1:2], v[1:2], v[8:9]
	v_add_f64 v[3:4], v[3:4], v[10:11]
	s_andn2_b32 exec_lo, exec_lo, s5
	s_cbranch_execnz .LBB44_120
; %bb.121:
	s_or_b32 exec_lo, exec_lo, s5
.LBB44_122:
	s_or_b32 exec_lo, exec_lo, s53
	v_mov_b32_e32 v7, 0
	ds_read_b128 v[7:10], v7 offset:464
	s_waitcnt lgkmcnt(0)
	v_mul_f64 v[11:12], v[3:4], v[9:10]
	v_mul_f64 v[9:10], v[1:2], v[9:10]
	v_fma_f64 v[1:2], v[1:2], v[7:8], -v[11:12]
	v_fma_f64 v[3:4], v[3:4], v[7:8], v[9:10]
	buffer_store_dword v2, off, s[0:3], 0 offset:468
	buffer_store_dword v1, off, s[0:3], 0 offset:464
	;; [unrolled: 1-line block ×4, first 2 shown]
.LBB44_123:
	s_or_b32 exec_lo, exec_lo, s8
	v_mov_b32_e32 v4, s23
	v_cmp_lt_u32_e64 s5, 28, v0
	s_clause 0x3
	buffer_load_dword v1, v4, s[0:3], 0 offen
	buffer_load_dword v2, v4, s[0:3], 0 offen offset:4
	buffer_load_dword v3, v4, s[0:3], 0 offen offset:8
	;; [unrolled: 1-line block ×3, first 2 shown]
	s_waitcnt vmcnt(0)
	ds_write_b128 v6, v[1:4]
	s_waitcnt lgkmcnt(0)
	s_waitcnt_vscnt null, 0x0
	s_barrier
	buffer_gl0_inv
	s_and_saveexec_b32 s8, s5
	s_cbranch_execz .LBB44_131
; %bb.124:
	ds_read_b128 v[1:4], v6
	s_andn2_b32 vcc_lo, exec_lo, s52
	s_cbranch_vccnz .LBB44_126
; %bb.125:
	s_clause 0x3
	buffer_load_dword v7, v5, s[0:3], 0 offen offset:8
	buffer_load_dword v8, v5, s[0:3], 0 offen offset:12
	buffer_load_dword v9, v5, s[0:3], 0 offen
	buffer_load_dword v10, v5, s[0:3], 0 offen offset:4
	s_waitcnt vmcnt(2) lgkmcnt(0)
	v_mul_f64 v[11:12], v[3:4], v[7:8]
	v_mul_f64 v[7:8], v[1:2], v[7:8]
	s_waitcnt vmcnt(0)
	v_fma_f64 v[1:2], v[1:2], v[9:10], -v[11:12]
	v_fma_f64 v[3:4], v[3:4], v[9:10], v[7:8]
.LBB44_126:
	s_and_saveexec_b32 s53, s4
	s_cbranch_execz .LBB44_130
; %bb.127:
	v_subrev_nc_u32_e32 v7, 29, v0
	s_movk_i32 s54, 0x4a0
	s_mov_b32 s4, 0
	s_mov_b32 s55, s22
	.p2align	6
.LBB44_128:                             ; =>This Inner Loop Header: Depth=1
	v_mov_b32_e32 v8, s55
	v_add_nc_u32_e32 v7, -1, v7
	s_add_i32 s55, s55, 16
	s_clause 0x3
	buffer_load_dword v12, v8, s[0:3], 0 offen offset:8
	buffer_load_dword v13, v8, s[0:3], 0 offen offset:12
	buffer_load_dword v14, v8, s[0:3], 0 offen
	buffer_load_dword v15, v8, s[0:3], 0 offen offset:4
	v_mov_b32_e32 v8, s54
	v_cmp_eq_u32_e32 vcc_lo, 0, v7
	s_add_i32 s54, s54, 16
	ds_read_b128 v[8:11], v8
	s_or_b32 s4, vcc_lo, s4
	s_waitcnt vmcnt(2) lgkmcnt(0)
	v_mul_f64 v[16:17], v[10:11], v[12:13]
	v_mul_f64 v[12:13], v[8:9], v[12:13]
	s_waitcnt vmcnt(0)
	v_fma_f64 v[8:9], v[8:9], v[14:15], -v[16:17]
	v_fma_f64 v[10:11], v[10:11], v[14:15], v[12:13]
	v_add_f64 v[1:2], v[1:2], v[8:9]
	v_add_f64 v[3:4], v[3:4], v[10:11]
	s_andn2_b32 exec_lo, exec_lo, s4
	s_cbranch_execnz .LBB44_128
; %bb.129:
	s_or_b32 exec_lo, exec_lo, s4
.LBB44_130:
	s_or_b32 exec_lo, exec_lo, s53
	v_mov_b32_e32 v7, 0
	ds_read_b128 v[7:10], v7 offset:448
	s_waitcnt lgkmcnt(0)
	v_mul_f64 v[11:12], v[3:4], v[9:10]
	v_mul_f64 v[9:10], v[1:2], v[9:10]
	v_fma_f64 v[1:2], v[1:2], v[7:8], -v[11:12]
	v_fma_f64 v[3:4], v[3:4], v[7:8], v[9:10]
	buffer_store_dword v2, off, s[0:3], 0 offset:452
	buffer_store_dword v1, off, s[0:3], 0 offset:448
	;; [unrolled: 1-line block ×4, first 2 shown]
.LBB44_131:
	s_or_b32 exec_lo, exec_lo, s8
	v_mov_b32_e32 v4, s24
	v_cmp_lt_u32_e64 s4, 27, v0
	s_clause 0x3
	buffer_load_dword v1, v4, s[0:3], 0 offen
	buffer_load_dword v2, v4, s[0:3], 0 offen offset:4
	buffer_load_dword v3, v4, s[0:3], 0 offen offset:8
	;; [unrolled: 1-line block ×3, first 2 shown]
	s_waitcnt vmcnt(0)
	ds_write_b128 v6, v[1:4]
	s_waitcnt lgkmcnt(0)
	s_waitcnt_vscnt null, 0x0
	s_barrier
	buffer_gl0_inv
	s_and_saveexec_b32 s8, s4
	s_cbranch_execz .LBB44_139
; %bb.132:
	ds_read_b128 v[1:4], v6
	s_andn2_b32 vcc_lo, exec_lo, s52
	s_cbranch_vccnz .LBB44_134
; %bb.133:
	s_clause 0x3
	buffer_load_dword v7, v5, s[0:3], 0 offen offset:8
	buffer_load_dword v8, v5, s[0:3], 0 offen offset:12
	buffer_load_dword v9, v5, s[0:3], 0 offen
	buffer_load_dword v10, v5, s[0:3], 0 offen offset:4
	s_waitcnt vmcnt(2) lgkmcnt(0)
	v_mul_f64 v[11:12], v[3:4], v[7:8]
	v_mul_f64 v[7:8], v[1:2], v[7:8]
	s_waitcnt vmcnt(0)
	v_fma_f64 v[1:2], v[1:2], v[9:10], -v[11:12]
	v_fma_f64 v[3:4], v[3:4], v[9:10], v[7:8]
.LBB44_134:
	s_and_saveexec_b32 s53, s5
	s_cbranch_execz .LBB44_138
; %bb.135:
	v_subrev_nc_u32_e32 v7, 28, v0
	s_movk_i32 s54, 0x490
	s_mov_b32 s5, 0
	s_mov_b32 s55, s23
	.p2align	6
.LBB44_136:                             ; =>This Inner Loop Header: Depth=1
	v_mov_b32_e32 v8, s55
	v_add_nc_u32_e32 v7, -1, v7
	s_add_i32 s55, s55, 16
	s_clause 0x3
	buffer_load_dword v12, v8, s[0:3], 0 offen offset:8
	buffer_load_dword v13, v8, s[0:3], 0 offen offset:12
	buffer_load_dword v14, v8, s[0:3], 0 offen
	buffer_load_dword v15, v8, s[0:3], 0 offen offset:4
	v_mov_b32_e32 v8, s54
	v_cmp_eq_u32_e32 vcc_lo, 0, v7
	s_add_i32 s54, s54, 16
	ds_read_b128 v[8:11], v8
	s_or_b32 s5, vcc_lo, s5
	s_waitcnt vmcnt(2) lgkmcnt(0)
	v_mul_f64 v[16:17], v[10:11], v[12:13]
	v_mul_f64 v[12:13], v[8:9], v[12:13]
	s_waitcnt vmcnt(0)
	v_fma_f64 v[8:9], v[8:9], v[14:15], -v[16:17]
	v_fma_f64 v[10:11], v[10:11], v[14:15], v[12:13]
	v_add_f64 v[1:2], v[1:2], v[8:9]
	v_add_f64 v[3:4], v[3:4], v[10:11]
	s_andn2_b32 exec_lo, exec_lo, s5
	s_cbranch_execnz .LBB44_136
; %bb.137:
	s_or_b32 exec_lo, exec_lo, s5
.LBB44_138:
	s_or_b32 exec_lo, exec_lo, s53
	v_mov_b32_e32 v7, 0
	ds_read_b128 v[7:10], v7 offset:432
	s_waitcnt lgkmcnt(0)
	v_mul_f64 v[11:12], v[3:4], v[9:10]
	v_mul_f64 v[9:10], v[1:2], v[9:10]
	v_fma_f64 v[1:2], v[1:2], v[7:8], -v[11:12]
	v_fma_f64 v[3:4], v[3:4], v[7:8], v[9:10]
	buffer_store_dword v2, off, s[0:3], 0 offset:436
	buffer_store_dword v1, off, s[0:3], 0 offset:432
	buffer_store_dword v4, off, s[0:3], 0 offset:444
	buffer_store_dword v3, off, s[0:3], 0 offset:440
.LBB44_139:
	s_or_b32 exec_lo, exec_lo, s8
	v_mov_b32_e32 v4, s25
	v_cmp_lt_u32_e64 s5, 26, v0
	s_clause 0x3
	buffer_load_dword v1, v4, s[0:3], 0 offen
	buffer_load_dword v2, v4, s[0:3], 0 offen offset:4
	buffer_load_dword v3, v4, s[0:3], 0 offen offset:8
	buffer_load_dword v4, v4, s[0:3], 0 offen offset:12
	s_waitcnt vmcnt(0)
	ds_write_b128 v6, v[1:4]
	s_waitcnt lgkmcnt(0)
	s_waitcnt_vscnt null, 0x0
	s_barrier
	buffer_gl0_inv
	s_and_saveexec_b32 s8, s5
	s_cbranch_execz .LBB44_147
; %bb.140:
	ds_read_b128 v[1:4], v6
	s_andn2_b32 vcc_lo, exec_lo, s52
	s_cbranch_vccnz .LBB44_142
; %bb.141:
	s_clause 0x3
	buffer_load_dword v7, v5, s[0:3], 0 offen offset:8
	buffer_load_dword v8, v5, s[0:3], 0 offen offset:12
	buffer_load_dword v9, v5, s[0:3], 0 offen
	buffer_load_dword v10, v5, s[0:3], 0 offen offset:4
	s_waitcnt vmcnt(2) lgkmcnt(0)
	v_mul_f64 v[11:12], v[3:4], v[7:8]
	v_mul_f64 v[7:8], v[1:2], v[7:8]
	s_waitcnt vmcnt(0)
	v_fma_f64 v[1:2], v[1:2], v[9:10], -v[11:12]
	v_fma_f64 v[3:4], v[3:4], v[9:10], v[7:8]
.LBB44_142:
	s_and_saveexec_b32 s53, s4
	s_cbranch_execz .LBB44_146
; %bb.143:
	v_subrev_nc_u32_e32 v7, 27, v0
	s_movk_i32 s54, 0x480
	s_mov_b32 s4, 0
	s_mov_b32 s55, s24
	.p2align	6
.LBB44_144:                             ; =>This Inner Loop Header: Depth=1
	v_mov_b32_e32 v8, s55
	v_add_nc_u32_e32 v7, -1, v7
	s_add_i32 s55, s55, 16
	s_clause 0x3
	buffer_load_dword v12, v8, s[0:3], 0 offen offset:8
	buffer_load_dword v13, v8, s[0:3], 0 offen offset:12
	buffer_load_dword v14, v8, s[0:3], 0 offen
	buffer_load_dword v15, v8, s[0:3], 0 offen offset:4
	v_mov_b32_e32 v8, s54
	v_cmp_eq_u32_e32 vcc_lo, 0, v7
	s_add_i32 s54, s54, 16
	ds_read_b128 v[8:11], v8
	s_or_b32 s4, vcc_lo, s4
	s_waitcnt vmcnt(2) lgkmcnt(0)
	v_mul_f64 v[16:17], v[10:11], v[12:13]
	v_mul_f64 v[12:13], v[8:9], v[12:13]
	s_waitcnt vmcnt(0)
	v_fma_f64 v[8:9], v[8:9], v[14:15], -v[16:17]
	v_fma_f64 v[10:11], v[10:11], v[14:15], v[12:13]
	v_add_f64 v[1:2], v[1:2], v[8:9]
	v_add_f64 v[3:4], v[3:4], v[10:11]
	s_andn2_b32 exec_lo, exec_lo, s4
	s_cbranch_execnz .LBB44_144
; %bb.145:
	s_or_b32 exec_lo, exec_lo, s4
.LBB44_146:
	s_or_b32 exec_lo, exec_lo, s53
	v_mov_b32_e32 v7, 0
	ds_read_b128 v[7:10], v7 offset:416
	s_waitcnt lgkmcnt(0)
	v_mul_f64 v[11:12], v[3:4], v[9:10]
	v_mul_f64 v[9:10], v[1:2], v[9:10]
	v_fma_f64 v[1:2], v[1:2], v[7:8], -v[11:12]
	v_fma_f64 v[3:4], v[3:4], v[7:8], v[9:10]
	buffer_store_dword v2, off, s[0:3], 0 offset:420
	buffer_store_dword v1, off, s[0:3], 0 offset:416
	;; [unrolled: 1-line block ×4, first 2 shown]
.LBB44_147:
	s_or_b32 exec_lo, exec_lo, s8
	v_mov_b32_e32 v4, s26
	v_cmp_lt_u32_e64 s4, 25, v0
	s_clause 0x3
	buffer_load_dword v1, v4, s[0:3], 0 offen
	buffer_load_dword v2, v4, s[0:3], 0 offen offset:4
	buffer_load_dword v3, v4, s[0:3], 0 offen offset:8
	;; [unrolled: 1-line block ×3, first 2 shown]
	s_waitcnt vmcnt(0)
	ds_write_b128 v6, v[1:4]
	s_waitcnt lgkmcnt(0)
	s_waitcnt_vscnt null, 0x0
	s_barrier
	buffer_gl0_inv
	s_and_saveexec_b32 s8, s4
	s_cbranch_execz .LBB44_155
; %bb.148:
	ds_read_b128 v[1:4], v6
	s_andn2_b32 vcc_lo, exec_lo, s52
	s_cbranch_vccnz .LBB44_150
; %bb.149:
	s_clause 0x3
	buffer_load_dword v7, v5, s[0:3], 0 offen offset:8
	buffer_load_dword v8, v5, s[0:3], 0 offen offset:12
	buffer_load_dword v9, v5, s[0:3], 0 offen
	buffer_load_dword v10, v5, s[0:3], 0 offen offset:4
	s_waitcnt vmcnt(2) lgkmcnt(0)
	v_mul_f64 v[11:12], v[3:4], v[7:8]
	v_mul_f64 v[7:8], v[1:2], v[7:8]
	s_waitcnt vmcnt(0)
	v_fma_f64 v[1:2], v[1:2], v[9:10], -v[11:12]
	v_fma_f64 v[3:4], v[3:4], v[9:10], v[7:8]
.LBB44_150:
	s_and_saveexec_b32 s53, s5
	s_cbranch_execz .LBB44_154
; %bb.151:
	v_subrev_nc_u32_e32 v7, 26, v0
	s_movk_i32 s54, 0x470
	s_mov_b32 s5, 0
	s_mov_b32 s55, s25
	.p2align	6
.LBB44_152:                             ; =>This Inner Loop Header: Depth=1
	v_mov_b32_e32 v8, s55
	v_add_nc_u32_e32 v7, -1, v7
	s_add_i32 s55, s55, 16
	s_clause 0x3
	buffer_load_dword v12, v8, s[0:3], 0 offen offset:8
	buffer_load_dword v13, v8, s[0:3], 0 offen offset:12
	buffer_load_dword v14, v8, s[0:3], 0 offen
	buffer_load_dword v15, v8, s[0:3], 0 offen offset:4
	v_mov_b32_e32 v8, s54
	v_cmp_eq_u32_e32 vcc_lo, 0, v7
	s_add_i32 s54, s54, 16
	ds_read_b128 v[8:11], v8
	s_or_b32 s5, vcc_lo, s5
	s_waitcnt vmcnt(2) lgkmcnt(0)
	v_mul_f64 v[16:17], v[10:11], v[12:13]
	v_mul_f64 v[12:13], v[8:9], v[12:13]
	s_waitcnt vmcnt(0)
	v_fma_f64 v[8:9], v[8:9], v[14:15], -v[16:17]
	v_fma_f64 v[10:11], v[10:11], v[14:15], v[12:13]
	v_add_f64 v[1:2], v[1:2], v[8:9]
	v_add_f64 v[3:4], v[3:4], v[10:11]
	s_andn2_b32 exec_lo, exec_lo, s5
	s_cbranch_execnz .LBB44_152
; %bb.153:
	s_or_b32 exec_lo, exec_lo, s5
.LBB44_154:
	s_or_b32 exec_lo, exec_lo, s53
	v_mov_b32_e32 v7, 0
	ds_read_b128 v[7:10], v7 offset:400
	s_waitcnt lgkmcnt(0)
	v_mul_f64 v[11:12], v[3:4], v[9:10]
	v_mul_f64 v[9:10], v[1:2], v[9:10]
	v_fma_f64 v[1:2], v[1:2], v[7:8], -v[11:12]
	v_fma_f64 v[3:4], v[3:4], v[7:8], v[9:10]
	buffer_store_dword v2, off, s[0:3], 0 offset:404
	buffer_store_dword v1, off, s[0:3], 0 offset:400
	;; [unrolled: 1-line block ×4, first 2 shown]
.LBB44_155:
	s_or_b32 exec_lo, exec_lo, s8
	v_mov_b32_e32 v4, s27
	v_cmp_lt_u32_e64 s5, 24, v0
	s_clause 0x3
	buffer_load_dword v1, v4, s[0:3], 0 offen
	buffer_load_dword v2, v4, s[0:3], 0 offen offset:4
	buffer_load_dword v3, v4, s[0:3], 0 offen offset:8
	;; [unrolled: 1-line block ×3, first 2 shown]
	s_waitcnt vmcnt(0)
	ds_write_b128 v6, v[1:4]
	s_waitcnt lgkmcnt(0)
	s_waitcnt_vscnt null, 0x0
	s_barrier
	buffer_gl0_inv
	s_and_saveexec_b32 s8, s5
	s_cbranch_execz .LBB44_163
; %bb.156:
	ds_read_b128 v[1:4], v6
	s_andn2_b32 vcc_lo, exec_lo, s52
	s_cbranch_vccnz .LBB44_158
; %bb.157:
	s_clause 0x3
	buffer_load_dword v7, v5, s[0:3], 0 offen offset:8
	buffer_load_dword v8, v5, s[0:3], 0 offen offset:12
	buffer_load_dword v9, v5, s[0:3], 0 offen
	buffer_load_dword v10, v5, s[0:3], 0 offen offset:4
	s_waitcnt vmcnt(2) lgkmcnt(0)
	v_mul_f64 v[11:12], v[3:4], v[7:8]
	v_mul_f64 v[7:8], v[1:2], v[7:8]
	s_waitcnt vmcnt(0)
	v_fma_f64 v[1:2], v[1:2], v[9:10], -v[11:12]
	v_fma_f64 v[3:4], v[3:4], v[9:10], v[7:8]
.LBB44_158:
	s_and_saveexec_b32 s53, s4
	s_cbranch_execz .LBB44_162
; %bb.159:
	v_subrev_nc_u32_e32 v7, 25, v0
	s_movk_i32 s54, 0x460
	s_mov_b32 s4, 0
	s_mov_b32 s55, s26
	.p2align	6
.LBB44_160:                             ; =>This Inner Loop Header: Depth=1
	v_mov_b32_e32 v8, s55
	v_add_nc_u32_e32 v7, -1, v7
	s_add_i32 s55, s55, 16
	s_clause 0x3
	buffer_load_dword v12, v8, s[0:3], 0 offen offset:8
	buffer_load_dword v13, v8, s[0:3], 0 offen offset:12
	buffer_load_dword v14, v8, s[0:3], 0 offen
	buffer_load_dword v15, v8, s[0:3], 0 offen offset:4
	v_mov_b32_e32 v8, s54
	v_cmp_eq_u32_e32 vcc_lo, 0, v7
	s_add_i32 s54, s54, 16
	ds_read_b128 v[8:11], v8
	s_or_b32 s4, vcc_lo, s4
	s_waitcnt vmcnt(2) lgkmcnt(0)
	v_mul_f64 v[16:17], v[10:11], v[12:13]
	v_mul_f64 v[12:13], v[8:9], v[12:13]
	s_waitcnt vmcnt(0)
	v_fma_f64 v[8:9], v[8:9], v[14:15], -v[16:17]
	v_fma_f64 v[10:11], v[10:11], v[14:15], v[12:13]
	v_add_f64 v[1:2], v[1:2], v[8:9]
	v_add_f64 v[3:4], v[3:4], v[10:11]
	s_andn2_b32 exec_lo, exec_lo, s4
	s_cbranch_execnz .LBB44_160
; %bb.161:
	s_or_b32 exec_lo, exec_lo, s4
.LBB44_162:
	s_or_b32 exec_lo, exec_lo, s53
	v_mov_b32_e32 v7, 0
	ds_read_b128 v[7:10], v7 offset:384
	s_waitcnt lgkmcnt(0)
	v_mul_f64 v[11:12], v[3:4], v[9:10]
	v_mul_f64 v[9:10], v[1:2], v[9:10]
	v_fma_f64 v[1:2], v[1:2], v[7:8], -v[11:12]
	v_fma_f64 v[3:4], v[3:4], v[7:8], v[9:10]
	buffer_store_dword v2, off, s[0:3], 0 offset:388
	buffer_store_dword v1, off, s[0:3], 0 offset:384
	;; [unrolled: 1-line block ×4, first 2 shown]
.LBB44_163:
	s_or_b32 exec_lo, exec_lo, s8
	v_mov_b32_e32 v4, s28
	v_cmp_lt_u32_e64 s4, 23, v0
	s_clause 0x3
	buffer_load_dword v1, v4, s[0:3], 0 offen
	buffer_load_dword v2, v4, s[0:3], 0 offen offset:4
	buffer_load_dword v3, v4, s[0:3], 0 offen offset:8
	;; [unrolled: 1-line block ×3, first 2 shown]
	s_waitcnt vmcnt(0)
	ds_write_b128 v6, v[1:4]
	s_waitcnt lgkmcnt(0)
	s_waitcnt_vscnt null, 0x0
	s_barrier
	buffer_gl0_inv
	s_and_saveexec_b32 s8, s4
	s_cbranch_execz .LBB44_171
; %bb.164:
	ds_read_b128 v[1:4], v6
	s_andn2_b32 vcc_lo, exec_lo, s52
	s_cbranch_vccnz .LBB44_166
; %bb.165:
	s_clause 0x3
	buffer_load_dword v7, v5, s[0:3], 0 offen offset:8
	buffer_load_dword v8, v5, s[0:3], 0 offen offset:12
	buffer_load_dword v9, v5, s[0:3], 0 offen
	buffer_load_dword v10, v5, s[0:3], 0 offen offset:4
	s_waitcnt vmcnt(2) lgkmcnt(0)
	v_mul_f64 v[11:12], v[3:4], v[7:8]
	v_mul_f64 v[7:8], v[1:2], v[7:8]
	s_waitcnt vmcnt(0)
	v_fma_f64 v[1:2], v[1:2], v[9:10], -v[11:12]
	v_fma_f64 v[3:4], v[3:4], v[9:10], v[7:8]
.LBB44_166:
	s_and_saveexec_b32 s53, s5
	s_cbranch_execz .LBB44_170
; %bb.167:
	v_subrev_nc_u32_e32 v7, 24, v0
	s_movk_i32 s54, 0x450
	s_mov_b32 s5, 0
	s_mov_b32 s55, s27
	.p2align	6
.LBB44_168:                             ; =>This Inner Loop Header: Depth=1
	v_mov_b32_e32 v8, s55
	v_add_nc_u32_e32 v7, -1, v7
	s_add_i32 s55, s55, 16
	s_clause 0x3
	buffer_load_dword v12, v8, s[0:3], 0 offen offset:8
	buffer_load_dword v13, v8, s[0:3], 0 offen offset:12
	buffer_load_dword v14, v8, s[0:3], 0 offen
	buffer_load_dword v15, v8, s[0:3], 0 offen offset:4
	v_mov_b32_e32 v8, s54
	v_cmp_eq_u32_e32 vcc_lo, 0, v7
	s_add_i32 s54, s54, 16
	ds_read_b128 v[8:11], v8
	s_or_b32 s5, vcc_lo, s5
	s_waitcnt vmcnt(2) lgkmcnt(0)
	v_mul_f64 v[16:17], v[10:11], v[12:13]
	v_mul_f64 v[12:13], v[8:9], v[12:13]
	s_waitcnt vmcnt(0)
	v_fma_f64 v[8:9], v[8:9], v[14:15], -v[16:17]
	v_fma_f64 v[10:11], v[10:11], v[14:15], v[12:13]
	v_add_f64 v[1:2], v[1:2], v[8:9]
	v_add_f64 v[3:4], v[3:4], v[10:11]
	s_andn2_b32 exec_lo, exec_lo, s5
	s_cbranch_execnz .LBB44_168
; %bb.169:
	s_or_b32 exec_lo, exec_lo, s5
.LBB44_170:
	s_or_b32 exec_lo, exec_lo, s53
	v_mov_b32_e32 v7, 0
	ds_read_b128 v[7:10], v7 offset:368
	s_waitcnt lgkmcnt(0)
	v_mul_f64 v[11:12], v[3:4], v[9:10]
	v_mul_f64 v[9:10], v[1:2], v[9:10]
	v_fma_f64 v[1:2], v[1:2], v[7:8], -v[11:12]
	v_fma_f64 v[3:4], v[3:4], v[7:8], v[9:10]
	buffer_store_dword v2, off, s[0:3], 0 offset:372
	buffer_store_dword v1, off, s[0:3], 0 offset:368
	buffer_store_dword v4, off, s[0:3], 0 offset:380
	buffer_store_dword v3, off, s[0:3], 0 offset:376
.LBB44_171:
	s_or_b32 exec_lo, exec_lo, s8
	v_mov_b32_e32 v4, s29
	v_cmp_lt_u32_e64 s5, 22, v0
	s_clause 0x3
	buffer_load_dword v1, v4, s[0:3], 0 offen
	buffer_load_dword v2, v4, s[0:3], 0 offen offset:4
	buffer_load_dword v3, v4, s[0:3], 0 offen offset:8
	;; [unrolled: 1-line block ×3, first 2 shown]
	s_waitcnt vmcnt(0)
	ds_write_b128 v6, v[1:4]
	s_waitcnt lgkmcnt(0)
	s_waitcnt_vscnt null, 0x0
	s_barrier
	buffer_gl0_inv
	s_and_saveexec_b32 s8, s5
	s_cbranch_execz .LBB44_179
; %bb.172:
	ds_read_b128 v[1:4], v6
	s_andn2_b32 vcc_lo, exec_lo, s52
	s_cbranch_vccnz .LBB44_174
; %bb.173:
	s_clause 0x3
	buffer_load_dword v7, v5, s[0:3], 0 offen offset:8
	buffer_load_dword v8, v5, s[0:3], 0 offen offset:12
	buffer_load_dword v9, v5, s[0:3], 0 offen
	buffer_load_dword v10, v5, s[0:3], 0 offen offset:4
	s_waitcnt vmcnt(2) lgkmcnt(0)
	v_mul_f64 v[11:12], v[3:4], v[7:8]
	v_mul_f64 v[7:8], v[1:2], v[7:8]
	s_waitcnt vmcnt(0)
	v_fma_f64 v[1:2], v[1:2], v[9:10], -v[11:12]
	v_fma_f64 v[3:4], v[3:4], v[9:10], v[7:8]
.LBB44_174:
	s_and_saveexec_b32 s53, s4
	s_cbranch_execz .LBB44_178
; %bb.175:
	v_subrev_nc_u32_e32 v7, 23, v0
	s_movk_i32 s54, 0x440
	s_mov_b32 s4, 0
	s_mov_b32 s55, s28
	.p2align	6
.LBB44_176:                             ; =>This Inner Loop Header: Depth=1
	v_mov_b32_e32 v8, s55
	v_add_nc_u32_e32 v7, -1, v7
	s_add_i32 s55, s55, 16
	s_clause 0x3
	buffer_load_dword v12, v8, s[0:3], 0 offen offset:8
	buffer_load_dword v13, v8, s[0:3], 0 offen offset:12
	buffer_load_dword v14, v8, s[0:3], 0 offen
	buffer_load_dword v15, v8, s[0:3], 0 offen offset:4
	v_mov_b32_e32 v8, s54
	v_cmp_eq_u32_e32 vcc_lo, 0, v7
	s_add_i32 s54, s54, 16
	ds_read_b128 v[8:11], v8
	s_or_b32 s4, vcc_lo, s4
	s_waitcnt vmcnt(2) lgkmcnt(0)
	v_mul_f64 v[16:17], v[10:11], v[12:13]
	v_mul_f64 v[12:13], v[8:9], v[12:13]
	s_waitcnt vmcnt(0)
	v_fma_f64 v[8:9], v[8:9], v[14:15], -v[16:17]
	v_fma_f64 v[10:11], v[10:11], v[14:15], v[12:13]
	v_add_f64 v[1:2], v[1:2], v[8:9]
	v_add_f64 v[3:4], v[3:4], v[10:11]
	s_andn2_b32 exec_lo, exec_lo, s4
	s_cbranch_execnz .LBB44_176
; %bb.177:
	s_or_b32 exec_lo, exec_lo, s4
.LBB44_178:
	s_or_b32 exec_lo, exec_lo, s53
	v_mov_b32_e32 v7, 0
	ds_read_b128 v[7:10], v7 offset:352
	s_waitcnt lgkmcnt(0)
	v_mul_f64 v[11:12], v[3:4], v[9:10]
	v_mul_f64 v[9:10], v[1:2], v[9:10]
	v_fma_f64 v[1:2], v[1:2], v[7:8], -v[11:12]
	v_fma_f64 v[3:4], v[3:4], v[7:8], v[9:10]
	buffer_store_dword v2, off, s[0:3], 0 offset:356
	buffer_store_dword v1, off, s[0:3], 0 offset:352
	;; [unrolled: 1-line block ×4, first 2 shown]
.LBB44_179:
	s_or_b32 exec_lo, exec_lo, s8
	v_mov_b32_e32 v4, s30
	v_cmp_lt_u32_e64 s4, 21, v0
	s_clause 0x3
	buffer_load_dword v1, v4, s[0:3], 0 offen
	buffer_load_dword v2, v4, s[0:3], 0 offen offset:4
	buffer_load_dword v3, v4, s[0:3], 0 offen offset:8
	;; [unrolled: 1-line block ×3, first 2 shown]
	s_waitcnt vmcnt(0)
	ds_write_b128 v6, v[1:4]
	s_waitcnt lgkmcnt(0)
	s_waitcnt_vscnt null, 0x0
	s_barrier
	buffer_gl0_inv
	s_and_saveexec_b32 s8, s4
	s_cbranch_execz .LBB44_187
; %bb.180:
	ds_read_b128 v[1:4], v6
	s_andn2_b32 vcc_lo, exec_lo, s52
	s_cbranch_vccnz .LBB44_182
; %bb.181:
	s_clause 0x3
	buffer_load_dword v7, v5, s[0:3], 0 offen offset:8
	buffer_load_dword v8, v5, s[0:3], 0 offen offset:12
	buffer_load_dword v9, v5, s[0:3], 0 offen
	buffer_load_dword v10, v5, s[0:3], 0 offen offset:4
	s_waitcnt vmcnt(2) lgkmcnt(0)
	v_mul_f64 v[11:12], v[3:4], v[7:8]
	v_mul_f64 v[7:8], v[1:2], v[7:8]
	s_waitcnt vmcnt(0)
	v_fma_f64 v[1:2], v[1:2], v[9:10], -v[11:12]
	v_fma_f64 v[3:4], v[3:4], v[9:10], v[7:8]
.LBB44_182:
	s_and_saveexec_b32 s53, s5
	s_cbranch_execz .LBB44_186
; %bb.183:
	v_subrev_nc_u32_e32 v7, 22, v0
	s_movk_i32 s54, 0x430
	s_mov_b32 s5, 0
	s_mov_b32 s55, s29
	.p2align	6
.LBB44_184:                             ; =>This Inner Loop Header: Depth=1
	v_mov_b32_e32 v8, s55
	v_add_nc_u32_e32 v7, -1, v7
	s_add_i32 s55, s55, 16
	s_clause 0x3
	buffer_load_dword v12, v8, s[0:3], 0 offen offset:8
	buffer_load_dword v13, v8, s[0:3], 0 offen offset:12
	buffer_load_dword v14, v8, s[0:3], 0 offen
	buffer_load_dword v15, v8, s[0:3], 0 offen offset:4
	v_mov_b32_e32 v8, s54
	v_cmp_eq_u32_e32 vcc_lo, 0, v7
	s_add_i32 s54, s54, 16
	ds_read_b128 v[8:11], v8
	s_or_b32 s5, vcc_lo, s5
	s_waitcnt vmcnt(2) lgkmcnt(0)
	v_mul_f64 v[16:17], v[10:11], v[12:13]
	v_mul_f64 v[12:13], v[8:9], v[12:13]
	s_waitcnt vmcnt(0)
	v_fma_f64 v[8:9], v[8:9], v[14:15], -v[16:17]
	v_fma_f64 v[10:11], v[10:11], v[14:15], v[12:13]
	v_add_f64 v[1:2], v[1:2], v[8:9]
	v_add_f64 v[3:4], v[3:4], v[10:11]
	s_andn2_b32 exec_lo, exec_lo, s5
	s_cbranch_execnz .LBB44_184
; %bb.185:
	s_or_b32 exec_lo, exec_lo, s5
.LBB44_186:
	s_or_b32 exec_lo, exec_lo, s53
	v_mov_b32_e32 v7, 0
	ds_read_b128 v[7:10], v7 offset:336
	s_waitcnt lgkmcnt(0)
	v_mul_f64 v[11:12], v[3:4], v[9:10]
	v_mul_f64 v[9:10], v[1:2], v[9:10]
	v_fma_f64 v[1:2], v[1:2], v[7:8], -v[11:12]
	v_fma_f64 v[3:4], v[3:4], v[7:8], v[9:10]
	buffer_store_dword v2, off, s[0:3], 0 offset:340
	buffer_store_dword v1, off, s[0:3], 0 offset:336
	;; [unrolled: 1-line block ×4, first 2 shown]
.LBB44_187:
	s_or_b32 exec_lo, exec_lo, s8
	v_mov_b32_e32 v4, s31
	v_cmp_lt_u32_e64 s5, 20, v0
	s_clause 0x3
	buffer_load_dword v1, v4, s[0:3], 0 offen
	buffer_load_dword v2, v4, s[0:3], 0 offen offset:4
	buffer_load_dword v3, v4, s[0:3], 0 offen offset:8
	;; [unrolled: 1-line block ×3, first 2 shown]
	s_waitcnt vmcnt(0)
	ds_write_b128 v6, v[1:4]
	s_waitcnt lgkmcnt(0)
	s_waitcnt_vscnt null, 0x0
	s_barrier
	buffer_gl0_inv
	s_and_saveexec_b32 s8, s5
	s_cbranch_execz .LBB44_195
; %bb.188:
	ds_read_b128 v[1:4], v6
	s_andn2_b32 vcc_lo, exec_lo, s52
	s_cbranch_vccnz .LBB44_190
; %bb.189:
	s_clause 0x3
	buffer_load_dword v7, v5, s[0:3], 0 offen offset:8
	buffer_load_dword v8, v5, s[0:3], 0 offen offset:12
	buffer_load_dword v9, v5, s[0:3], 0 offen
	buffer_load_dword v10, v5, s[0:3], 0 offen offset:4
	s_waitcnt vmcnt(2) lgkmcnt(0)
	v_mul_f64 v[11:12], v[3:4], v[7:8]
	v_mul_f64 v[7:8], v[1:2], v[7:8]
	s_waitcnt vmcnt(0)
	v_fma_f64 v[1:2], v[1:2], v[9:10], -v[11:12]
	v_fma_f64 v[3:4], v[3:4], v[9:10], v[7:8]
.LBB44_190:
	s_and_saveexec_b32 s53, s4
	s_cbranch_execz .LBB44_194
; %bb.191:
	v_subrev_nc_u32_e32 v7, 21, v0
	s_movk_i32 s54, 0x420
	s_mov_b32 s4, 0
	s_mov_b32 s55, s30
	.p2align	6
.LBB44_192:                             ; =>This Inner Loop Header: Depth=1
	v_mov_b32_e32 v8, s55
	v_add_nc_u32_e32 v7, -1, v7
	s_add_i32 s55, s55, 16
	s_clause 0x3
	buffer_load_dword v12, v8, s[0:3], 0 offen offset:8
	buffer_load_dword v13, v8, s[0:3], 0 offen offset:12
	buffer_load_dword v14, v8, s[0:3], 0 offen
	buffer_load_dword v15, v8, s[0:3], 0 offen offset:4
	v_mov_b32_e32 v8, s54
	v_cmp_eq_u32_e32 vcc_lo, 0, v7
	s_add_i32 s54, s54, 16
	ds_read_b128 v[8:11], v8
	s_or_b32 s4, vcc_lo, s4
	s_waitcnt vmcnt(2) lgkmcnt(0)
	v_mul_f64 v[16:17], v[10:11], v[12:13]
	v_mul_f64 v[12:13], v[8:9], v[12:13]
	s_waitcnt vmcnt(0)
	v_fma_f64 v[8:9], v[8:9], v[14:15], -v[16:17]
	v_fma_f64 v[10:11], v[10:11], v[14:15], v[12:13]
	v_add_f64 v[1:2], v[1:2], v[8:9]
	v_add_f64 v[3:4], v[3:4], v[10:11]
	s_andn2_b32 exec_lo, exec_lo, s4
	s_cbranch_execnz .LBB44_192
; %bb.193:
	s_or_b32 exec_lo, exec_lo, s4
.LBB44_194:
	s_or_b32 exec_lo, exec_lo, s53
	v_mov_b32_e32 v7, 0
	ds_read_b128 v[7:10], v7 offset:320
	s_waitcnt lgkmcnt(0)
	v_mul_f64 v[11:12], v[3:4], v[9:10]
	v_mul_f64 v[9:10], v[1:2], v[9:10]
	v_fma_f64 v[1:2], v[1:2], v[7:8], -v[11:12]
	v_fma_f64 v[3:4], v[3:4], v[7:8], v[9:10]
	buffer_store_dword v2, off, s[0:3], 0 offset:324
	buffer_store_dword v1, off, s[0:3], 0 offset:320
	;; [unrolled: 1-line block ×4, first 2 shown]
.LBB44_195:
	s_or_b32 exec_lo, exec_lo, s8
	v_mov_b32_e32 v4, s33
	v_cmp_lt_u32_e64 s4, 19, v0
	s_clause 0x3
	buffer_load_dword v1, v4, s[0:3], 0 offen
	buffer_load_dword v2, v4, s[0:3], 0 offen offset:4
	buffer_load_dword v3, v4, s[0:3], 0 offen offset:8
	;; [unrolled: 1-line block ×3, first 2 shown]
	s_waitcnt vmcnt(0)
	ds_write_b128 v6, v[1:4]
	s_waitcnt lgkmcnt(0)
	s_waitcnt_vscnt null, 0x0
	s_barrier
	buffer_gl0_inv
	s_and_saveexec_b32 s8, s4
	s_cbranch_execz .LBB44_203
; %bb.196:
	ds_read_b128 v[1:4], v6
	s_andn2_b32 vcc_lo, exec_lo, s52
	s_cbranch_vccnz .LBB44_198
; %bb.197:
	s_clause 0x3
	buffer_load_dword v7, v5, s[0:3], 0 offen offset:8
	buffer_load_dword v8, v5, s[0:3], 0 offen offset:12
	buffer_load_dword v9, v5, s[0:3], 0 offen
	buffer_load_dword v10, v5, s[0:3], 0 offen offset:4
	s_waitcnt vmcnt(2) lgkmcnt(0)
	v_mul_f64 v[11:12], v[3:4], v[7:8]
	v_mul_f64 v[7:8], v[1:2], v[7:8]
	s_waitcnt vmcnt(0)
	v_fma_f64 v[1:2], v[1:2], v[9:10], -v[11:12]
	v_fma_f64 v[3:4], v[3:4], v[9:10], v[7:8]
.LBB44_198:
	s_and_saveexec_b32 s53, s5
	s_cbranch_execz .LBB44_202
; %bb.199:
	v_subrev_nc_u32_e32 v7, 20, v0
	s_movk_i32 s54, 0x410
	s_mov_b32 s5, 0
	s_mov_b32 s55, s31
	.p2align	6
.LBB44_200:                             ; =>This Inner Loop Header: Depth=1
	v_mov_b32_e32 v8, s55
	v_add_nc_u32_e32 v7, -1, v7
	s_add_i32 s55, s55, 16
	s_clause 0x3
	buffer_load_dword v12, v8, s[0:3], 0 offen offset:8
	buffer_load_dword v13, v8, s[0:3], 0 offen offset:12
	buffer_load_dword v14, v8, s[0:3], 0 offen
	buffer_load_dword v15, v8, s[0:3], 0 offen offset:4
	v_mov_b32_e32 v8, s54
	v_cmp_eq_u32_e32 vcc_lo, 0, v7
	s_add_i32 s54, s54, 16
	ds_read_b128 v[8:11], v8
	s_or_b32 s5, vcc_lo, s5
	s_waitcnt vmcnt(2) lgkmcnt(0)
	v_mul_f64 v[16:17], v[10:11], v[12:13]
	v_mul_f64 v[12:13], v[8:9], v[12:13]
	s_waitcnt vmcnt(0)
	v_fma_f64 v[8:9], v[8:9], v[14:15], -v[16:17]
	v_fma_f64 v[10:11], v[10:11], v[14:15], v[12:13]
	v_add_f64 v[1:2], v[1:2], v[8:9]
	v_add_f64 v[3:4], v[3:4], v[10:11]
	s_andn2_b32 exec_lo, exec_lo, s5
	s_cbranch_execnz .LBB44_200
; %bb.201:
	s_or_b32 exec_lo, exec_lo, s5
.LBB44_202:
	s_or_b32 exec_lo, exec_lo, s53
	v_mov_b32_e32 v7, 0
	ds_read_b128 v[7:10], v7 offset:304
	s_waitcnt lgkmcnt(0)
	v_mul_f64 v[11:12], v[3:4], v[9:10]
	v_mul_f64 v[9:10], v[1:2], v[9:10]
	v_fma_f64 v[1:2], v[1:2], v[7:8], -v[11:12]
	v_fma_f64 v[3:4], v[3:4], v[7:8], v[9:10]
	buffer_store_dword v2, off, s[0:3], 0 offset:308
	buffer_store_dword v1, off, s[0:3], 0 offset:304
	;; [unrolled: 1-line block ×4, first 2 shown]
.LBB44_203:
	s_or_b32 exec_lo, exec_lo, s8
	v_mov_b32_e32 v4, s34
	v_cmp_lt_u32_e64 s5, 18, v0
	s_clause 0x3
	buffer_load_dword v1, v4, s[0:3], 0 offen
	buffer_load_dword v2, v4, s[0:3], 0 offen offset:4
	buffer_load_dword v3, v4, s[0:3], 0 offen offset:8
	;; [unrolled: 1-line block ×3, first 2 shown]
	s_waitcnt vmcnt(0)
	ds_write_b128 v6, v[1:4]
	s_waitcnt lgkmcnt(0)
	s_waitcnt_vscnt null, 0x0
	s_barrier
	buffer_gl0_inv
	s_and_saveexec_b32 s8, s5
	s_cbranch_execz .LBB44_211
; %bb.204:
	ds_read_b128 v[1:4], v6
	s_andn2_b32 vcc_lo, exec_lo, s52
	s_cbranch_vccnz .LBB44_206
; %bb.205:
	s_clause 0x3
	buffer_load_dword v7, v5, s[0:3], 0 offen offset:8
	buffer_load_dword v8, v5, s[0:3], 0 offen offset:12
	buffer_load_dword v9, v5, s[0:3], 0 offen
	buffer_load_dword v10, v5, s[0:3], 0 offen offset:4
	s_waitcnt vmcnt(2) lgkmcnt(0)
	v_mul_f64 v[11:12], v[3:4], v[7:8]
	v_mul_f64 v[7:8], v[1:2], v[7:8]
	s_waitcnt vmcnt(0)
	v_fma_f64 v[1:2], v[1:2], v[9:10], -v[11:12]
	v_fma_f64 v[3:4], v[3:4], v[9:10], v[7:8]
.LBB44_206:
	s_and_saveexec_b32 s53, s4
	s_cbranch_execz .LBB44_210
; %bb.207:
	v_subrev_nc_u32_e32 v7, 19, v0
	s_movk_i32 s54, 0x400
	s_mov_b32 s4, 0
	s_mov_b32 s55, s33
	.p2align	6
.LBB44_208:                             ; =>This Inner Loop Header: Depth=1
	v_mov_b32_e32 v8, s55
	v_add_nc_u32_e32 v7, -1, v7
	s_add_i32 s55, s55, 16
	s_clause 0x3
	buffer_load_dword v12, v8, s[0:3], 0 offen offset:8
	buffer_load_dword v13, v8, s[0:3], 0 offen offset:12
	buffer_load_dword v14, v8, s[0:3], 0 offen
	buffer_load_dword v15, v8, s[0:3], 0 offen offset:4
	v_mov_b32_e32 v8, s54
	v_cmp_eq_u32_e32 vcc_lo, 0, v7
	s_add_i32 s54, s54, 16
	ds_read_b128 v[8:11], v8
	s_or_b32 s4, vcc_lo, s4
	s_waitcnt vmcnt(2) lgkmcnt(0)
	v_mul_f64 v[16:17], v[10:11], v[12:13]
	v_mul_f64 v[12:13], v[8:9], v[12:13]
	s_waitcnt vmcnt(0)
	v_fma_f64 v[8:9], v[8:9], v[14:15], -v[16:17]
	v_fma_f64 v[10:11], v[10:11], v[14:15], v[12:13]
	v_add_f64 v[1:2], v[1:2], v[8:9]
	v_add_f64 v[3:4], v[3:4], v[10:11]
	s_andn2_b32 exec_lo, exec_lo, s4
	s_cbranch_execnz .LBB44_208
; %bb.209:
	s_or_b32 exec_lo, exec_lo, s4
.LBB44_210:
	s_or_b32 exec_lo, exec_lo, s53
	v_mov_b32_e32 v7, 0
	ds_read_b128 v[7:10], v7 offset:288
	s_waitcnt lgkmcnt(0)
	v_mul_f64 v[11:12], v[3:4], v[9:10]
	v_mul_f64 v[9:10], v[1:2], v[9:10]
	v_fma_f64 v[1:2], v[1:2], v[7:8], -v[11:12]
	v_fma_f64 v[3:4], v[3:4], v[7:8], v[9:10]
	buffer_store_dword v2, off, s[0:3], 0 offset:292
	buffer_store_dword v1, off, s[0:3], 0 offset:288
	;; [unrolled: 1-line block ×4, first 2 shown]
.LBB44_211:
	s_or_b32 exec_lo, exec_lo, s8
	v_mov_b32_e32 v4, s35
	v_cmp_lt_u32_e64 s4, 17, v0
	s_clause 0x3
	buffer_load_dword v1, v4, s[0:3], 0 offen
	buffer_load_dword v2, v4, s[0:3], 0 offen offset:4
	buffer_load_dword v3, v4, s[0:3], 0 offen offset:8
	;; [unrolled: 1-line block ×3, first 2 shown]
	s_waitcnt vmcnt(0)
	ds_write_b128 v6, v[1:4]
	s_waitcnt lgkmcnt(0)
	s_waitcnt_vscnt null, 0x0
	s_barrier
	buffer_gl0_inv
	s_and_saveexec_b32 s8, s4
	s_cbranch_execz .LBB44_219
; %bb.212:
	ds_read_b128 v[1:4], v6
	s_andn2_b32 vcc_lo, exec_lo, s52
	s_cbranch_vccnz .LBB44_214
; %bb.213:
	s_clause 0x3
	buffer_load_dword v7, v5, s[0:3], 0 offen offset:8
	buffer_load_dword v8, v5, s[0:3], 0 offen offset:12
	buffer_load_dword v9, v5, s[0:3], 0 offen
	buffer_load_dword v10, v5, s[0:3], 0 offen offset:4
	s_waitcnt vmcnt(2) lgkmcnt(0)
	v_mul_f64 v[11:12], v[3:4], v[7:8]
	v_mul_f64 v[7:8], v[1:2], v[7:8]
	s_waitcnt vmcnt(0)
	v_fma_f64 v[1:2], v[1:2], v[9:10], -v[11:12]
	v_fma_f64 v[3:4], v[3:4], v[9:10], v[7:8]
.LBB44_214:
	s_and_saveexec_b32 s53, s5
	s_cbranch_execz .LBB44_218
; %bb.215:
	v_subrev_nc_u32_e32 v7, 18, v0
	s_movk_i32 s54, 0x3f0
	s_mov_b32 s5, 0
	s_mov_b32 s55, s34
	.p2align	6
.LBB44_216:                             ; =>This Inner Loop Header: Depth=1
	v_mov_b32_e32 v8, s55
	v_add_nc_u32_e32 v7, -1, v7
	s_add_i32 s55, s55, 16
	s_clause 0x3
	buffer_load_dword v12, v8, s[0:3], 0 offen offset:8
	buffer_load_dword v13, v8, s[0:3], 0 offen offset:12
	buffer_load_dword v14, v8, s[0:3], 0 offen
	buffer_load_dword v15, v8, s[0:3], 0 offen offset:4
	v_mov_b32_e32 v8, s54
	v_cmp_eq_u32_e32 vcc_lo, 0, v7
	s_add_i32 s54, s54, 16
	ds_read_b128 v[8:11], v8
	s_or_b32 s5, vcc_lo, s5
	s_waitcnt vmcnt(2) lgkmcnt(0)
	v_mul_f64 v[16:17], v[10:11], v[12:13]
	v_mul_f64 v[12:13], v[8:9], v[12:13]
	s_waitcnt vmcnt(0)
	v_fma_f64 v[8:9], v[8:9], v[14:15], -v[16:17]
	v_fma_f64 v[10:11], v[10:11], v[14:15], v[12:13]
	v_add_f64 v[1:2], v[1:2], v[8:9]
	v_add_f64 v[3:4], v[3:4], v[10:11]
	s_andn2_b32 exec_lo, exec_lo, s5
	s_cbranch_execnz .LBB44_216
; %bb.217:
	s_or_b32 exec_lo, exec_lo, s5
.LBB44_218:
	s_or_b32 exec_lo, exec_lo, s53
	v_mov_b32_e32 v7, 0
	ds_read_b128 v[7:10], v7 offset:272
	s_waitcnt lgkmcnt(0)
	v_mul_f64 v[11:12], v[3:4], v[9:10]
	v_mul_f64 v[9:10], v[1:2], v[9:10]
	v_fma_f64 v[1:2], v[1:2], v[7:8], -v[11:12]
	v_fma_f64 v[3:4], v[3:4], v[7:8], v[9:10]
	buffer_store_dword v2, off, s[0:3], 0 offset:276
	buffer_store_dword v1, off, s[0:3], 0 offset:272
	buffer_store_dword v4, off, s[0:3], 0 offset:284
	buffer_store_dword v3, off, s[0:3], 0 offset:280
.LBB44_219:
	s_or_b32 exec_lo, exec_lo, s8
	v_mov_b32_e32 v4, s36
	v_cmp_lt_u32_e64 s5, 16, v0
	s_clause 0x3
	buffer_load_dword v1, v4, s[0:3], 0 offen
	buffer_load_dword v2, v4, s[0:3], 0 offen offset:4
	buffer_load_dword v3, v4, s[0:3], 0 offen offset:8
	;; [unrolled: 1-line block ×3, first 2 shown]
	s_waitcnt vmcnt(0)
	ds_write_b128 v6, v[1:4]
	s_waitcnt lgkmcnt(0)
	s_waitcnt_vscnt null, 0x0
	s_barrier
	buffer_gl0_inv
	s_and_saveexec_b32 s8, s5
	s_cbranch_execz .LBB44_227
; %bb.220:
	ds_read_b128 v[1:4], v6
	s_andn2_b32 vcc_lo, exec_lo, s52
	s_cbranch_vccnz .LBB44_222
; %bb.221:
	s_clause 0x3
	buffer_load_dword v7, v5, s[0:3], 0 offen offset:8
	buffer_load_dword v8, v5, s[0:3], 0 offen offset:12
	buffer_load_dword v9, v5, s[0:3], 0 offen
	buffer_load_dword v10, v5, s[0:3], 0 offen offset:4
	s_waitcnt vmcnt(2) lgkmcnt(0)
	v_mul_f64 v[11:12], v[3:4], v[7:8]
	v_mul_f64 v[7:8], v[1:2], v[7:8]
	s_waitcnt vmcnt(0)
	v_fma_f64 v[1:2], v[1:2], v[9:10], -v[11:12]
	v_fma_f64 v[3:4], v[3:4], v[9:10], v[7:8]
.LBB44_222:
	s_and_saveexec_b32 s53, s4
	s_cbranch_execz .LBB44_226
; %bb.223:
	v_subrev_nc_u32_e32 v7, 17, v0
	s_movk_i32 s54, 0x3e0
	s_mov_b32 s4, 0
	s_mov_b32 s55, s35
	.p2align	6
.LBB44_224:                             ; =>This Inner Loop Header: Depth=1
	v_mov_b32_e32 v8, s55
	v_add_nc_u32_e32 v7, -1, v7
	s_add_i32 s55, s55, 16
	s_clause 0x3
	buffer_load_dword v12, v8, s[0:3], 0 offen offset:8
	buffer_load_dword v13, v8, s[0:3], 0 offen offset:12
	buffer_load_dword v14, v8, s[0:3], 0 offen
	buffer_load_dword v15, v8, s[0:3], 0 offen offset:4
	v_mov_b32_e32 v8, s54
	v_cmp_eq_u32_e32 vcc_lo, 0, v7
	s_add_i32 s54, s54, 16
	ds_read_b128 v[8:11], v8
	s_or_b32 s4, vcc_lo, s4
	s_waitcnt vmcnt(2) lgkmcnt(0)
	v_mul_f64 v[16:17], v[10:11], v[12:13]
	v_mul_f64 v[12:13], v[8:9], v[12:13]
	s_waitcnt vmcnt(0)
	v_fma_f64 v[8:9], v[8:9], v[14:15], -v[16:17]
	v_fma_f64 v[10:11], v[10:11], v[14:15], v[12:13]
	v_add_f64 v[1:2], v[1:2], v[8:9]
	v_add_f64 v[3:4], v[3:4], v[10:11]
	s_andn2_b32 exec_lo, exec_lo, s4
	s_cbranch_execnz .LBB44_224
; %bb.225:
	s_or_b32 exec_lo, exec_lo, s4
.LBB44_226:
	s_or_b32 exec_lo, exec_lo, s53
	v_mov_b32_e32 v7, 0
	ds_read_b128 v[7:10], v7 offset:256
	s_waitcnt lgkmcnt(0)
	v_mul_f64 v[11:12], v[3:4], v[9:10]
	v_mul_f64 v[9:10], v[1:2], v[9:10]
	v_fma_f64 v[1:2], v[1:2], v[7:8], -v[11:12]
	v_fma_f64 v[3:4], v[3:4], v[7:8], v[9:10]
	buffer_store_dword v2, off, s[0:3], 0 offset:260
	buffer_store_dword v1, off, s[0:3], 0 offset:256
	;; [unrolled: 1-line block ×4, first 2 shown]
.LBB44_227:
	s_or_b32 exec_lo, exec_lo, s8
	v_mov_b32_e32 v4, s37
	v_cmp_lt_u32_e64 s4, 15, v0
	s_clause 0x3
	buffer_load_dword v1, v4, s[0:3], 0 offen
	buffer_load_dword v2, v4, s[0:3], 0 offen offset:4
	buffer_load_dword v3, v4, s[0:3], 0 offen offset:8
	;; [unrolled: 1-line block ×3, first 2 shown]
	s_waitcnt vmcnt(0)
	ds_write_b128 v6, v[1:4]
	s_waitcnt lgkmcnt(0)
	s_waitcnt_vscnt null, 0x0
	s_barrier
	buffer_gl0_inv
	s_and_saveexec_b32 s8, s4
	s_cbranch_execz .LBB44_235
; %bb.228:
	ds_read_b128 v[1:4], v6
	s_andn2_b32 vcc_lo, exec_lo, s52
	s_cbranch_vccnz .LBB44_230
; %bb.229:
	s_clause 0x3
	buffer_load_dword v7, v5, s[0:3], 0 offen offset:8
	buffer_load_dword v8, v5, s[0:3], 0 offen offset:12
	buffer_load_dword v9, v5, s[0:3], 0 offen
	buffer_load_dword v10, v5, s[0:3], 0 offen offset:4
	s_waitcnt vmcnt(2) lgkmcnt(0)
	v_mul_f64 v[11:12], v[3:4], v[7:8]
	v_mul_f64 v[7:8], v[1:2], v[7:8]
	s_waitcnt vmcnt(0)
	v_fma_f64 v[1:2], v[1:2], v[9:10], -v[11:12]
	v_fma_f64 v[3:4], v[3:4], v[9:10], v[7:8]
.LBB44_230:
	s_and_saveexec_b32 s53, s5
	s_cbranch_execz .LBB44_234
; %bb.231:
	v_add_nc_u32_e32 v7, -16, v0
	s_movk_i32 s54, 0x3d0
	s_mov_b32 s5, 0
	s_mov_b32 s55, s36
	.p2align	6
.LBB44_232:                             ; =>This Inner Loop Header: Depth=1
	v_mov_b32_e32 v8, s55
	v_add_nc_u32_e32 v7, -1, v7
	s_add_i32 s55, s55, 16
	s_clause 0x3
	buffer_load_dword v12, v8, s[0:3], 0 offen offset:8
	buffer_load_dword v13, v8, s[0:3], 0 offen offset:12
	buffer_load_dword v14, v8, s[0:3], 0 offen
	buffer_load_dword v15, v8, s[0:3], 0 offen offset:4
	v_mov_b32_e32 v8, s54
	v_cmp_eq_u32_e32 vcc_lo, 0, v7
	s_add_i32 s54, s54, 16
	ds_read_b128 v[8:11], v8
	s_or_b32 s5, vcc_lo, s5
	s_waitcnt vmcnt(2) lgkmcnt(0)
	v_mul_f64 v[16:17], v[10:11], v[12:13]
	v_mul_f64 v[12:13], v[8:9], v[12:13]
	s_waitcnt vmcnt(0)
	v_fma_f64 v[8:9], v[8:9], v[14:15], -v[16:17]
	v_fma_f64 v[10:11], v[10:11], v[14:15], v[12:13]
	v_add_f64 v[1:2], v[1:2], v[8:9]
	v_add_f64 v[3:4], v[3:4], v[10:11]
	s_andn2_b32 exec_lo, exec_lo, s5
	s_cbranch_execnz .LBB44_232
; %bb.233:
	s_or_b32 exec_lo, exec_lo, s5
.LBB44_234:
	s_or_b32 exec_lo, exec_lo, s53
	v_mov_b32_e32 v7, 0
	ds_read_b128 v[7:10], v7 offset:240
	s_waitcnt lgkmcnt(0)
	v_mul_f64 v[11:12], v[3:4], v[9:10]
	v_mul_f64 v[9:10], v[1:2], v[9:10]
	v_fma_f64 v[1:2], v[1:2], v[7:8], -v[11:12]
	v_fma_f64 v[3:4], v[3:4], v[7:8], v[9:10]
	buffer_store_dword v2, off, s[0:3], 0 offset:244
	buffer_store_dword v1, off, s[0:3], 0 offset:240
	;; [unrolled: 1-line block ×4, first 2 shown]
.LBB44_235:
	s_or_b32 exec_lo, exec_lo, s8
	v_mov_b32_e32 v4, s38
	v_cmp_lt_u32_e64 s5, 14, v0
	s_clause 0x3
	buffer_load_dword v1, v4, s[0:3], 0 offen
	buffer_load_dword v2, v4, s[0:3], 0 offen offset:4
	buffer_load_dword v3, v4, s[0:3], 0 offen offset:8
	;; [unrolled: 1-line block ×3, first 2 shown]
	s_waitcnt vmcnt(0)
	ds_write_b128 v6, v[1:4]
	s_waitcnt lgkmcnt(0)
	s_waitcnt_vscnt null, 0x0
	s_barrier
	buffer_gl0_inv
	s_and_saveexec_b32 s8, s5
	s_cbranch_execz .LBB44_243
; %bb.236:
	ds_read_b128 v[1:4], v6
	s_andn2_b32 vcc_lo, exec_lo, s52
	s_cbranch_vccnz .LBB44_238
; %bb.237:
	s_clause 0x3
	buffer_load_dword v7, v5, s[0:3], 0 offen offset:8
	buffer_load_dword v8, v5, s[0:3], 0 offen offset:12
	buffer_load_dword v9, v5, s[0:3], 0 offen
	buffer_load_dword v10, v5, s[0:3], 0 offen offset:4
	s_waitcnt vmcnt(2) lgkmcnt(0)
	v_mul_f64 v[11:12], v[3:4], v[7:8]
	v_mul_f64 v[7:8], v[1:2], v[7:8]
	s_waitcnt vmcnt(0)
	v_fma_f64 v[1:2], v[1:2], v[9:10], -v[11:12]
	v_fma_f64 v[3:4], v[3:4], v[9:10], v[7:8]
.LBB44_238:
	s_and_saveexec_b32 s53, s4
	s_cbranch_execz .LBB44_242
; %bb.239:
	v_add_nc_u32_e32 v7, -15, v0
	s_movk_i32 s54, 0x3c0
	s_mov_b32 s4, 0
	s_mov_b32 s55, s37
	.p2align	6
.LBB44_240:                             ; =>This Inner Loop Header: Depth=1
	v_mov_b32_e32 v8, s55
	v_add_nc_u32_e32 v7, -1, v7
	s_add_i32 s55, s55, 16
	s_clause 0x3
	buffer_load_dword v12, v8, s[0:3], 0 offen offset:8
	buffer_load_dword v13, v8, s[0:3], 0 offen offset:12
	buffer_load_dword v14, v8, s[0:3], 0 offen
	buffer_load_dword v15, v8, s[0:3], 0 offen offset:4
	v_mov_b32_e32 v8, s54
	v_cmp_eq_u32_e32 vcc_lo, 0, v7
	s_add_i32 s54, s54, 16
	ds_read_b128 v[8:11], v8
	s_or_b32 s4, vcc_lo, s4
	s_waitcnt vmcnt(2) lgkmcnt(0)
	v_mul_f64 v[16:17], v[10:11], v[12:13]
	v_mul_f64 v[12:13], v[8:9], v[12:13]
	s_waitcnt vmcnt(0)
	v_fma_f64 v[8:9], v[8:9], v[14:15], -v[16:17]
	v_fma_f64 v[10:11], v[10:11], v[14:15], v[12:13]
	v_add_f64 v[1:2], v[1:2], v[8:9]
	v_add_f64 v[3:4], v[3:4], v[10:11]
	s_andn2_b32 exec_lo, exec_lo, s4
	s_cbranch_execnz .LBB44_240
; %bb.241:
	s_or_b32 exec_lo, exec_lo, s4
.LBB44_242:
	s_or_b32 exec_lo, exec_lo, s53
	v_mov_b32_e32 v7, 0
	ds_read_b128 v[7:10], v7 offset:224
	s_waitcnt lgkmcnt(0)
	v_mul_f64 v[11:12], v[3:4], v[9:10]
	v_mul_f64 v[9:10], v[1:2], v[9:10]
	v_fma_f64 v[1:2], v[1:2], v[7:8], -v[11:12]
	v_fma_f64 v[3:4], v[3:4], v[7:8], v[9:10]
	buffer_store_dword v2, off, s[0:3], 0 offset:228
	buffer_store_dword v1, off, s[0:3], 0 offset:224
	;; [unrolled: 1-line block ×4, first 2 shown]
.LBB44_243:
	s_or_b32 exec_lo, exec_lo, s8
	v_mov_b32_e32 v4, s39
	v_cmp_lt_u32_e64 s4, 13, v0
	s_clause 0x3
	buffer_load_dword v1, v4, s[0:3], 0 offen
	buffer_load_dword v2, v4, s[0:3], 0 offen offset:4
	buffer_load_dword v3, v4, s[0:3], 0 offen offset:8
	;; [unrolled: 1-line block ×3, first 2 shown]
	s_waitcnt vmcnt(0)
	ds_write_b128 v6, v[1:4]
	s_waitcnt lgkmcnt(0)
	s_waitcnt_vscnt null, 0x0
	s_barrier
	buffer_gl0_inv
	s_and_saveexec_b32 s8, s4
	s_cbranch_execz .LBB44_251
; %bb.244:
	ds_read_b128 v[1:4], v6
	s_andn2_b32 vcc_lo, exec_lo, s52
	s_cbranch_vccnz .LBB44_246
; %bb.245:
	s_clause 0x3
	buffer_load_dword v7, v5, s[0:3], 0 offen offset:8
	buffer_load_dword v8, v5, s[0:3], 0 offen offset:12
	buffer_load_dword v9, v5, s[0:3], 0 offen
	buffer_load_dword v10, v5, s[0:3], 0 offen offset:4
	s_waitcnt vmcnt(2) lgkmcnt(0)
	v_mul_f64 v[11:12], v[3:4], v[7:8]
	v_mul_f64 v[7:8], v[1:2], v[7:8]
	s_waitcnt vmcnt(0)
	v_fma_f64 v[1:2], v[1:2], v[9:10], -v[11:12]
	v_fma_f64 v[3:4], v[3:4], v[9:10], v[7:8]
.LBB44_246:
	s_and_saveexec_b32 s53, s5
	s_cbranch_execz .LBB44_250
; %bb.247:
	v_add_nc_u32_e32 v7, -14, v0
	s_movk_i32 s54, 0x3b0
	s_mov_b32 s5, 0
	s_mov_b32 s55, s38
	.p2align	6
.LBB44_248:                             ; =>This Inner Loop Header: Depth=1
	v_mov_b32_e32 v8, s55
	v_add_nc_u32_e32 v7, -1, v7
	s_add_i32 s55, s55, 16
	s_clause 0x3
	buffer_load_dword v12, v8, s[0:3], 0 offen offset:8
	buffer_load_dword v13, v8, s[0:3], 0 offen offset:12
	buffer_load_dword v14, v8, s[0:3], 0 offen
	buffer_load_dword v15, v8, s[0:3], 0 offen offset:4
	v_mov_b32_e32 v8, s54
	v_cmp_eq_u32_e32 vcc_lo, 0, v7
	s_add_i32 s54, s54, 16
	ds_read_b128 v[8:11], v8
	s_or_b32 s5, vcc_lo, s5
	s_waitcnt vmcnt(2) lgkmcnt(0)
	v_mul_f64 v[16:17], v[10:11], v[12:13]
	v_mul_f64 v[12:13], v[8:9], v[12:13]
	s_waitcnt vmcnt(0)
	v_fma_f64 v[8:9], v[8:9], v[14:15], -v[16:17]
	v_fma_f64 v[10:11], v[10:11], v[14:15], v[12:13]
	v_add_f64 v[1:2], v[1:2], v[8:9]
	v_add_f64 v[3:4], v[3:4], v[10:11]
	s_andn2_b32 exec_lo, exec_lo, s5
	s_cbranch_execnz .LBB44_248
; %bb.249:
	s_or_b32 exec_lo, exec_lo, s5
.LBB44_250:
	s_or_b32 exec_lo, exec_lo, s53
	v_mov_b32_e32 v7, 0
	ds_read_b128 v[7:10], v7 offset:208
	s_waitcnt lgkmcnt(0)
	v_mul_f64 v[11:12], v[3:4], v[9:10]
	v_mul_f64 v[9:10], v[1:2], v[9:10]
	v_fma_f64 v[1:2], v[1:2], v[7:8], -v[11:12]
	v_fma_f64 v[3:4], v[3:4], v[7:8], v[9:10]
	buffer_store_dword v2, off, s[0:3], 0 offset:212
	buffer_store_dword v1, off, s[0:3], 0 offset:208
	;; [unrolled: 1-line block ×4, first 2 shown]
.LBB44_251:
	s_or_b32 exec_lo, exec_lo, s8
	v_mov_b32_e32 v4, s40
	v_cmp_lt_u32_e64 s5, 12, v0
	s_clause 0x3
	buffer_load_dword v1, v4, s[0:3], 0 offen
	buffer_load_dword v2, v4, s[0:3], 0 offen offset:4
	buffer_load_dword v3, v4, s[0:3], 0 offen offset:8
	;; [unrolled: 1-line block ×3, first 2 shown]
	s_waitcnt vmcnt(0)
	ds_write_b128 v6, v[1:4]
	s_waitcnt lgkmcnt(0)
	s_waitcnt_vscnt null, 0x0
	s_barrier
	buffer_gl0_inv
	s_and_saveexec_b32 s8, s5
	s_cbranch_execz .LBB44_259
; %bb.252:
	ds_read_b128 v[1:4], v6
	s_andn2_b32 vcc_lo, exec_lo, s52
	s_cbranch_vccnz .LBB44_254
; %bb.253:
	s_clause 0x3
	buffer_load_dword v7, v5, s[0:3], 0 offen offset:8
	buffer_load_dword v8, v5, s[0:3], 0 offen offset:12
	buffer_load_dword v9, v5, s[0:3], 0 offen
	buffer_load_dword v10, v5, s[0:3], 0 offen offset:4
	s_waitcnt vmcnt(2) lgkmcnt(0)
	v_mul_f64 v[11:12], v[3:4], v[7:8]
	v_mul_f64 v[7:8], v[1:2], v[7:8]
	s_waitcnt vmcnt(0)
	v_fma_f64 v[1:2], v[1:2], v[9:10], -v[11:12]
	v_fma_f64 v[3:4], v[3:4], v[9:10], v[7:8]
.LBB44_254:
	s_and_saveexec_b32 s53, s4
	s_cbranch_execz .LBB44_258
; %bb.255:
	v_add_nc_u32_e32 v7, -13, v0
	s_movk_i32 s54, 0x3a0
	s_mov_b32 s4, 0
	s_mov_b32 s55, s39
	.p2align	6
.LBB44_256:                             ; =>This Inner Loop Header: Depth=1
	v_mov_b32_e32 v8, s55
	v_add_nc_u32_e32 v7, -1, v7
	s_add_i32 s55, s55, 16
	s_clause 0x3
	buffer_load_dword v12, v8, s[0:3], 0 offen offset:8
	buffer_load_dword v13, v8, s[0:3], 0 offen offset:12
	buffer_load_dword v14, v8, s[0:3], 0 offen
	buffer_load_dword v15, v8, s[0:3], 0 offen offset:4
	v_mov_b32_e32 v8, s54
	v_cmp_eq_u32_e32 vcc_lo, 0, v7
	s_add_i32 s54, s54, 16
	ds_read_b128 v[8:11], v8
	s_or_b32 s4, vcc_lo, s4
	s_waitcnt vmcnt(2) lgkmcnt(0)
	v_mul_f64 v[16:17], v[10:11], v[12:13]
	v_mul_f64 v[12:13], v[8:9], v[12:13]
	s_waitcnt vmcnt(0)
	v_fma_f64 v[8:9], v[8:9], v[14:15], -v[16:17]
	v_fma_f64 v[10:11], v[10:11], v[14:15], v[12:13]
	v_add_f64 v[1:2], v[1:2], v[8:9]
	v_add_f64 v[3:4], v[3:4], v[10:11]
	s_andn2_b32 exec_lo, exec_lo, s4
	s_cbranch_execnz .LBB44_256
; %bb.257:
	s_or_b32 exec_lo, exec_lo, s4
.LBB44_258:
	s_or_b32 exec_lo, exec_lo, s53
	v_mov_b32_e32 v7, 0
	ds_read_b128 v[7:10], v7 offset:192
	s_waitcnt lgkmcnt(0)
	v_mul_f64 v[11:12], v[3:4], v[9:10]
	v_mul_f64 v[9:10], v[1:2], v[9:10]
	v_fma_f64 v[1:2], v[1:2], v[7:8], -v[11:12]
	v_fma_f64 v[3:4], v[3:4], v[7:8], v[9:10]
	buffer_store_dword v2, off, s[0:3], 0 offset:196
	buffer_store_dword v1, off, s[0:3], 0 offset:192
	;; [unrolled: 1-line block ×4, first 2 shown]
.LBB44_259:
	s_or_b32 exec_lo, exec_lo, s8
	v_mov_b32_e32 v4, s41
	v_cmp_lt_u32_e64 s4, 11, v0
	s_clause 0x3
	buffer_load_dword v1, v4, s[0:3], 0 offen
	buffer_load_dword v2, v4, s[0:3], 0 offen offset:4
	buffer_load_dword v3, v4, s[0:3], 0 offen offset:8
	;; [unrolled: 1-line block ×3, first 2 shown]
	s_waitcnt vmcnt(0)
	ds_write_b128 v6, v[1:4]
	s_waitcnt lgkmcnt(0)
	s_waitcnt_vscnt null, 0x0
	s_barrier
	buffer_gl0_inv
	s_and_saveexec_b32 s8, s4
	s_cbranch_execz .LBB44_267
; %bb.260:
	ds_read_b128 v[1:4], v6
	s_andn2_b32 vcc_lo, exec_lo, s52
	s_cbranch_vccnz .LBB44_262
; %bb.261:
	s_clause 0x3
	buffer_load_dword v7, v5, s[0:3], 0 offen offset:8
	buffer_load_dword v8, v5, s[0:3], 0 offen offset:12
	buffer_load_dword v9, v5, s[0:3], 0 offen
	buffer_load_dword v10, v5, s[0:3], 0 offen offset:4
	s_waitcnt vmcnt(2) lgkmcnt(0)
	v_mul_f64 v[11:12], v[3:4], v[7:8]
	v_mul_f64 v[7:8], v[1:2], v[7:8]
	s_waitcnt vmcnt(0)
	v_fma_f64 v[1:2], v[1:2], v[9:10], -v[11:12]
	v_fma_f64 v[3:4], v[3:4], v[9:10], v[7:8]
.LBB44_262:
	s_and_saveexec_b32 s53, s5
	s_cbranch_execz .LBB44_266
; %bb.263:
	v_add_nc_u32_e32 v7, -12, v0
	s_movk_i32 s54, 0x390
	s_mov_b32 s5, 0
	s_mov_b32 s55, s40
	.p2align	6
.LBB44_264:                             ; =>This Inner Loop Header: Depth=1
	v_mov_b32_e32 v8, s55
	v_add_nc_u32_e32 v7, -1, v7
	s_add_i32 s55, s55, 16
	s_clause 0x3
	buffer_load_dword v12, v8, s[0:3], 0 offen offset:8
	buffer_load_dword v13, v8, s[0:3], 0 offen offset:12
	buffer_load_dword v14, v8, s[0:3], 0 offen
	buffer_load_dword v15, v8, s[0:3], 0 offen offset:4
	v_mov_b32_e32 v8, s54
	v_cmp_eq_u32_e32 vcc_lo, 0, v7
	s_add_i32 s54, s54, 16
	ds_read_b128 v[8:11], v8
	s_or_b32 s5, vcc_lo, s5
	s_waitcnt vmcnt(2) lgkmcnt(0)
	v_mul_f64 v[16:17], v[10:11], v[12:13]
	v_mul_f64 v[12:13], v[8:9], v[12:13]
	s_waitcnt vmcnt(0)
	v_fma_f64 v[8:9], v[8:9], v[14:15], -v[16:17]
	v_fma_f64 v[10:11], v[10:11], v[14:15], v[12:13]
	v_add_f64 v[1:2], v[1:2], v[8:9]
	v_add_f64 v[3:4], v[3:4], v[10:11]
	s_andn2_b32 exec_lo, exec_lo, s5
	s_cbranch_execnz .LBB44_264
; %bb.265:
	s_or_b32 exec_lo, exec_lo, s5
.LBB44_266:
	s_or_b32 exec_lo, exec_lo, s53
	v_mov_b32_e32 v7, 0
	ds_read_b128 v[7:10], v7 offset:176
	s_waitcnt lgkmcnt(0)
	v_mul_f64 v[11:12], v[3:4], v[9:10]
	v_mul_f64 v[9:10], v[1:2], v[9:10]
	v_fma_f64 v[1:2], v[1:2], v[7:8], -v[11:12]
	v_fma_f64 v[3:4], v[3:4], v[7:8], v[9:10]
	buffer_store_dword v2, off, s[0:3], 0 offset:180
	buffer_store_dword v1, off, s[0:3], 0 offset:176
	;; [unrolled: 1-line block ×4, first 2 shown]
.LBB44_267:
	s_or_b32 exec_lo, exec_lo, s8
	v_mov_b32_e32 v4, s42
	v_cmp_lt_u32_e64 s5, 10, v0
	s_clause 0x3
	buffer_load_dword v1, v4, s[0:3], 0 offen
	buffer_load_dword v2, v4, s[0:3], 0 offen offset:4
	buffer_load_dword v3, v4, s[0:3], 0 offen offset:8
	buffer_load_dword v4, v4, s[0:3], 0 offen offset:12
	s_waitcnt vmcnt(0)
	ds_write_b128 v6, v[1:4]
	s_waitcnt lgkmcnt(0)
	s_waitcnt_vscnt null, 0x0
	s_barrier
	buffer_gl0_inv
	s_and_saveexec_b32 s8, s5
	s_cbranch_execz .LBB44_275
; %bb.268:
	ds_read_b128 v[1:4], v6
	s_andn2_b32 vcc_lo, exec_lo, s52
	s_cbranch_vccnz .LBB44_270
; %bb.269:
	s_clause 0x3
	buffer_load_dword v7, v5, s[0:3], 0 offen offset:8
	buffer_load_dword v8, v5, s[0:3], 0 offen offset:12
	buffer_load_dword v9, v5, s[0:3], 0 offen
	buffer_load_dword v10, v5, s[0:3], 0 offen offset:4
	s_waitcnt vmcnt(2) lgkmcnt(0)
	v_mul_f64 v[11:12], v[3:4], v[7:8]
	v_mul_f64 v[7:8], v[1:2], v[7:8]
	s_waitcnt vmcnt(0)
	v_fma_f64 v[1:2], v[1:2], v[9:10], -v[11:12]
	v_fma_f64 v[3:4], v[3:4], v[9:10], v[7:8]
.LBB44_270:
	s_and_saveexec_b32 s53, s4
	s_cbranch_execz .LBB44_274
; %bb.271:
	v_add_nc_u32_e32 v7, -11, v0
	s_movk_i32 s54, 0x380
	s_mov_b32 s4, 0
	s_mov_b32 s55, s41
	.p2align	6
.LBB44_272:                             ; =>This Inner Loop Header: Depth=1
	v_mov_b32_e32 v8, s55
	v_add_nc_u32_e32 v7, -1, v7
	s_add_i32 s55, s55, 16
	s_clause 0x3
	buffer_load_dword v12, v8, s[0:3], 0 offen offset:8
	buffer_load_dword v13, v8, s[0:3], 0 offen offset:12
	buffer_load_dword v14, v8, s[0:3], 0 offen
	buffer_load_dword v15, v8, s[0:3], 0 offen offset:4
	v_mov_b32_e32 v8, s54
	v_cmp_eq_u32_e32 vcc_lo, 0, v7
	s_add_i32 s54, s54, 16
	ds_read_b128 v[8:11], v8
	s_or_b32 s4, vcc_lo, s4
	s_waitcnt vmcnt(2) lgkmcnt(0)
	v_mul_f64 v[16:17], v[10:11], v[12:13]
	v_mul_f64 v[12:13], v[8:9], v[12:13]
	s_waitcnt vmcnt(0)
	v_fma_f64 v[8:9], v[8:9], v[14:15], -v[16:17]
	v_fma_f64 v[10:11], v[10:11], v[14:15], v[12:13]
	v_add_f64 v[1:2], v[1:2], v[8:9]
	v_add_f64 v[3:4], v[3:4], v[10:11]
	s_andn2_b32 exec_lo, exec_lo, s4
	s_cbranch_execnz .LBB44_272
; %bb.273:
	s_or_b32 exec_lo, exec_lo, s4
.LBB44_274:
	s_or_b32 exec_lo, exec_lo, s53
	v_mov_b32_e32 v7, 0
	ds_read_b128 v[7:10], v7 offset:160
	s_waitcnt lgkmcnt(0)
	v_mul_f64 v[11:12], v[3:4], v[9:10]
	v_mul_f64 v[9:10], v[1:2], v[9:10]
	v_fma_f64 v[1:2], v[1:2], v[7:8], -v[11:12]
	v_fma_f64 v[3:4], v[3:4], v[7:8], v[9:10]
	buffer_store_dword v2, off, s[0:3], 0 offset:164
	buffer_store_dword v1, off, s[0:3], 0 offset:160
	;; [unrolled: 1-line block ×4, first 2 shown]
.LBB44_275:
	s_or_b32 exec_lo, exec_lo, s8
	v_mov_b32_e32 v4, s43
	v_cmp_lt_u32_e64 s4, 9, v0
	s_clause 0x3
	buffer_load_dword v1, v4, s[0:3], 0 offen
	buffer_load_dword v2, v4, s[0:3], 0 offen offset:4
	buffer_load_dword v3, v4, s[0:3], 0 offen offset:8
	buffer_load_dword v4, v4, s[0:3], 0 offen offset:12
	s_waitcnt vmcnt(0)
	ds_write_b128 v6, v[1:4]
	s_waitcnt lgkmcnt(0)
	s_waitcnt_vscnt null, 0x0
	s_barrier
	buffer_gl0_inv
	s_and_saveexec_b32 s8, s4
	s_cbranch_execz .LBB44_283
; %bb.276:
	ds_read_b128 v[1:4], v6
	s_andn2_b32 vcc_lo, exec_lo, s52
	s_cbranch_vccnz .LBB44_278
; %bb.277:
	s_clause 0x3
	buffer_load_dword v7, v5, s[0:3], 0 offen offset:8
	buffer_load_dword v8, v5, s[0:3], 0 offen offset:12
	buffer_load_dword v9, v5, s[0:3], 0 offen
	buffer_load_dword v10, v5, s[0:3], 0 offen offset:4
	s_waitcnt vmcnt(2) lgkmcnt(0)
	v_mul_f64 v[11:12], v[3:4], v[7:8]
	v_mul_f64 v[7:8], v[1:2], v[7:8]
	s_waitcnt vmcnt(0)
	v_fma_f64 v[1:2], v[1:2], v[9:10], -v[11:12]
	v_fma_f64 v[3:4], v[3:4], v[9:10], v[7:8]
.LBB44_278:
	s_and_saveexec_b32 s53, s5
	s_cbranch_execz .LBB44_282
; %bb.279:
	v_add_nc_u32_e32 v7, -10, v0
	s_movk_i32 s54, 0x370
	s_mov_b32 s5, 0
	s_mov_b32 s55, s42
	.p2align	6
.LBB44_280:                             ; =>This Inner Loop Header: Depth=1
	v_mov_b32_e32 v8, s55
	v_add_nc_u32_e32 v7, -1, v7
	s_add_i32 s55, s55, 16
	s_clause 0x3
	buffer_load_dword v12, v8, s[0:3], 0 offen offset:8
	buffer_load_dword v13, v8, s[0:3], 0 offen offset:12
	buffer_load_dword v14, v8, s[0:3], 0 offen
	buffer_load_dword v15, v8, s[0:3], 0 offen offset:4
	v_mov_b32_e32 v8, s54
	v_cmp_eq_u32_e32 vcc_lo, 0, v7
	s_add_i32 s54, s54, 16
	ds_read_b128 v[8:11], v8
	s_or_b32 s5, vcc_lo, s5
	s_waitcnt vmcnt(2) lgkmcnt(0)
	v_mul_f64 v[16:17], v[10:11], v[12:13]
	v_mul_f64 v[12:13], v[8:9], v[12:13]
	s_waitcnt vmcnt(0)
	v_fma_f64 v[8:9], v[8:9], v[14:15], -v[16:17]
	v_fma_f64 v[10:11], v[10:11], v[14:15], v[12:13]
	v_add_f64 v[1:2], v[1:2], v[8:9]
	v_add_f64 v[3:4], v[3:4], v[10:11]
	s_andn2_b32 exec_lo, exec_lo, s5
	s_cbranch_execnz .LBB44_280
; %bb.281:
	s_or_b32 exec_lo, exec_lo, s5
.LBB44_282:
	s_or_b32 exec_lo, exec_lo, s53
	v_mov_b32_e32 v7, 0
	ds_read_b128 v[7:10], v7 offset:144
	s_waitcnt lgkmcnt(0)
	v_mul_f64 v[11:12], v[3:4], v[9:10]
	v_mul_f64 v[9:10], v[1:2], v[9:10]
	v_fma_f64 v[1:2], v[1:2], v[7:8], -v[11:12]
	v_fma_f64 v[3:4], v[3:4], v[7:8], v[9:10]
	buffer_store_dword v2, off, s[0:3], 0 offset:148
	buffer_store_dword v1, off, s[0:3], 0 offset:144
	;; [unrolled: 1-line block ×4, first 2 shown]
.LBB44_283:
	s_or_b32 exec_lo, exec_lo, s8
	v_mov_b32_e32 v4, s44
	v_cmp_lt_u32_e64 s5, 8, v0
	s_clause 0x3
	buffer_load_dword v1, v4, s[0:3], 0 offen
	buffer_load_dword v2, v4, s[0:3], 0 offen offset:4
	buffer_load_dword v3, v4, s[0:3], 0 offen offset:8
	;; [unrolled: 1-line block ×3, first 2 shown]
	s_waitcnt vmcnt(0)
	ds_write_b128 v6, v[1:4]
	s_waitcnt lgkmcnt(0)
	s_waitcnt_vscnt null, 0x0
	s_barrier
	buffer_gl0_inv
	s_and_saveexec_b32 s8, s5
	s_cbranch_execz .LBB44_291
; %bb.284:
	ds_read_b128 v[1:4], v6
	s_andn2_b32 vcc_lo, exec_lo, s52
	s_cbranch_vccnz .LBB44_286
; %bb.285:
	s_clause 0x3
	buffer_load_dword v7, v5, s[0:3], 0 offen offset:8
	buffer_load_dword v8, v5, s[0:3], 0 offen offset:12
	buffer_load_dword v9, v5, s[0:3], 0 offen
	buffer_load_dword v10, v5, s[0:3], 0 offen offset:4
	s_waitcnt vmcnt(2) lgkmcnt(0)
	v_mul_f64 v[11:12], v[3:4], v[7:8]
	v_mul_f64 v[7:8], v[1:2], v[7:8]
	s_waitcnt vmcnt(0)
	v_fma_f64 v[1:2], v[1:2], v[9:10], -v[11:12]
	v_fma_f64 v[3:4], v[3:4], v[9:10], v[7:8]
.LBB44_286:
	s_and_saveexec_b32 s53, s4
	s_cbranch_execz .LBB44_290
; %bb.287:
	v_add_nc_u32_e32 v7, -9, v0
	s_movk_i32 s54, 0x360
	s_mov_b32 s4, 0
	s_mov_b32 s55, s43
	.p2align	6
.LBB44_288:                             ; =>This Inner Loop Header: Depth=1
	v_mov_b32_e32 v8, s55
	v_add_nc_u32_e32 v7, -1, v7
	s_add_i32 s55, s55, 16
	s_clause 0x3
	buffer_load_dword v12, v8, s[0:3], 0 offen offset:8
	buffer_load_dword v13, v8, s[0:3], 0 offen offset:12
	buffer_load_dword v14, v8, s[0:3], 0 offen
	buffer_load_dword v15, v8, s[0:3], 0 offen offset:4
	v_mov_b32_e32 v8, s54
	v_cmp_eq_u32_e32 vcc_lo, 0, v7
	s_add_i32 s54, s54, 16
	ds_read_b128 v[8:11], v8
	s_or_b32 s4, vcc_lo, s4
	s_waitcnt vmcnt(2) lgkmcnt(0)
	v_mul_f64 v[16:17], v[10:11], v[12:13]
	v_mul_f64 v[12:13], v[8:9], v[12:13]
	s_waitcnt vmcnt(0)
	v_fma_f64 v[8:9], v[8:9], v[14:15], -v[16:17]
	v_fma_f64 v[10:11], v[10:11], v[14:15], v[12:13]
	v_add_f64 v[1:2], v[1:2], v[8:9]
	v_add_f64 v[3:4], v[3:4], v[10:11]
	s_andn2_b32 exec_lo, exec_lo, s4
	s_cbranch_execnz .LBB44_288
; %bb.289:
	s_or_b32 exec_lo, exec_lo, s4
.LBB44_290:
	s_or_b32 exec_lo, exec_lo, s53
	v_mov_b32_e32 v7, 0
	ds_read_b128 v[7:10], v7 offset:128
	s_waitcnt lgkmcnt(0)
	v_mul_f64 v[11:12], v[3:4], v[9:10]
	v_mul_f64 v[9:10], v[1:2], v[9:10]
	v_fma_f64 v[1:2], v[1:2], v[7:8], -v[11:12]
	v_fma_f64 v[3:4], v[3:4], v[7:8], v[9:10]
	buffer_store_dword v2, off, s[0:3], 0 offset:132
	buffer_store_dword v1, off, s[0:3], 0 offset:128
	;; [unrolled: 1-line block ×4, first 2 shown]
.LBB44_291:
	s_or_b32 exec_lo, exec_lo, s8
	v_mov_b32_e32 v4, s45
	v_cmp_lt_u32_e64 s4, 7, v0
	s_clause 0x3
	buffer_load_dword v1, v4, s[0:3], 0 offen
	buffer_load_dword v2, v4, s[0:3], 0 offen offset:4
	buffer_load_dword v3, v4, s[0:3], 0 offen offset:8
	;; [unrolled: 1-line block ×3, first 2 shown]
	s_waitcnt vmcnt(0)
	ds_write_b128 v6, v[1:4]
	s_waitcnt lgkmcnt(0)
	s_waitcnt_vscnt null, 0x0
	s_barrier
	buffer_gl0_inv
	s_and_saveexec_b32 s8, s4
	s_cbranch_execz .LBB44_299
; %bb.292:
	ds_read_b128 v[1:4], v6
	s_andn2_b32 vcc_lo, exec_lo, s52
	s_cbranch_vccnz .LBB44_294
; %bb.293:
	s_clause 0x3
	buffer_load_dword v7, v5, s[0:3], 0 offen offset:8
	buffer_load_dword v8, v5, s[0:3], 0 offen offset:12
	buffer_load_dword v9, v5, s[0:3], 0 offen
	buffer_load_dword v10, v5, s[0:3], 0 offen offset:4
	s_waitcnt vmcnt(2) lgkmcnt(0)
	v_mul_f64 v[11:12], v[3:4], v[7:8]
	v_mul_f64 v[7:8], v[1:2], v[7:8]
	s_waitcnt vmcnt(0)
	v_fma_f64 v[1:2], v[1:2], v[9:10], -v[11:12]
	v_fma_f64 v[3:4], v[3:4], v[9:10], v[7:8]
.LBB44_294:
	s_and_saveexec_b32 s53, s5
	s_cbranch_execz .LBB44_298
; %bb.295:
	v_add_nc_u32_e32 v7, -8, v0
	s_movk_i32 s54, 0x350
	s_mov_b32 s5, 0
	s_mov_b32 s55, s44
	.p2align	6
.LBB44_296:                             ; =>This Inner Loop Header: Depth=1
	v_mov_b32_e32 v8, s55
	v_add_nc_u32_e32 v7, -1, v7
	s_add_i32 s55, s55, 16
	s_clause 0x3
	buffer_load_dword v12, v8, s[0:3], 0 offen offset:8
	buffer_load_dword v13, v8, s[0:3], 0 offen offset:12
	buffer_load_dword v14, v8, s[0:3], 0 offen
	buffer_load_dword v15, v8, s[0:3], 0 offen offset:4
	v_mov_b32_e32 v8, s54
	v_cmp_eq_u32_e32 vcc_lo, 0, v7
	s_add_i32 s54, s54, 16
	ds_read_b128 v[8:11], v8
	s_or_b32 s5, vcc_lo, s5
	s_waitcnt vmcnt(2) lgkmcnt(0)
	v_mul_f64 v[16:17], v[10:11], v[12:13]
	v_mul_f64 v[12:13], v[8:9], v[12:13]
	s_waitcnt vmcnt(0)
	v_fma_f64 v[8:9], v[8:9], v[14:15], -v[16:17]
	v_fma_f64 v[10:11], v[10:11], v[14:15], v[12:13]
	v_add_f64 v[1:2], v[1:2], v[8:9]
	v_add_f64 v[3:4], v[3:4], v[10:11]
	s_andn2_b32 exec_lo, exec_lo, s5
	s_cbranch_execnz .LBB44_296
; %bb.297:
	s_or_b32 exec_lo, exec_lo, s5
.LBB44_298:
	s_or_b32 exec_lo, exec_lo, s53
	v_mov_b32_e32 v7, 0
	ds_read_b128 v[7:10], v7 offset:112
	s_waitcnt lgkmcnt(0)
	v_mul_f64 v[11:12], v[3:4], v[9:10]
	v_mul_f64 v[9:10], v[1:2], v[9:10]
	v_fma_f64 v[1:2], v[1:2], v[7:8], -v[11:12]
	v_fma_f64 v[3:4], v[3:4], v[7:8], v[9:10]
	buffer_store_dword v2, off, s[0:3], 0 offset:116
	buffer_store_dword v1, off, s[0:3], 0 offset:112
	;; [unrolled: 1-line block ×4, first 2 shown]
.LBB44_299:
	s_or_b32 exec_lo, exec_lo, s8
	v_mov_b32_e32 v4, s46
	v_cmp_lt_u32_e64 s5, 6, v0
	s_clause 0x3
	buffer_load_dword v1, v4, s[0:3], 0 offen
	buffer_load_dword v2, v4, s[0:3], 0 offen offset:4
	buffer_load_dword v3, v4, s[0:3], 0 offen offset:8
	;; [unrolled: 1-line block ×3, first 2 shown]
	s_waitcnt vmcnt(0)
	ds_write_b128 v6, v[1:4]
	s_waitcnt lgkmcnt(0)
	s_waitcnt_vscnt null, 0x0
	s_barrier
	buffer_gl0_inv
	s_and_saveexec_b32 s8, s5
	s_cbranch_execz .LBB44_307
; %bb.300:
	ds_read_b128 v[1:4], v6
	s_andn2_b32 vcc_lo, exec_lo, s52
	s_cbranch_vccnz .LBB44_302
; %bb.301:
	s_clause 0x3
	buffer_load_dword v7, v5, s[0:3], 0 offen offset:8
	buffer_load_dword v8, v5, s[0:3], 0 offen offset:12
	buffer_load_dword v9, v5, s[0:3], 0 offen
	buffer_load_dword v10, v5, s[0:3], 0 offen offset:4
	s_waitcnt vmcnt(2) lgkmcnt(0)
	v_mul_f64 v[11:12], v[3:4], v[7:8]
	v_mul_f64 v[7:8], v[1:2], v[7:8]
	s_waitcnt vmcnt(0)
	v_fma_f64 v[1:2], v[1:2], v[9:10], -v[11:12]
	v_fma_f64 v[3:4], v[3:4], v[9:10], v[7:8]
.LBB44_302:
	s_and_saveexec_b32 s53, s4
	s_cbranch_execz .LBB44_306
; %bb.303:
	v_add_nc_u32_e32 v7, -7, v0
	s_movk_i32 s54, 0x340
	s_mov_b32 s4, 0
	s_mov_b32 s55, s45
	.p2align	6
.LBB44_304:                             ; =>This Inner Loop Header: Depth=1
	v_mov_b32_e32 v8, s55
	v_add_nc_u32_e32 v7, -1, v7
	s_add_i32 s55, s55, 16
	s_clause 0x3
	buffer_load_dword v12, v8, s[0:3], 0 offen offset:8
	buffer_load_dword v13, v8, s[0:3], 0 offen offset:12
	buffer_load_dword v14, v8, s[0:3], 0 offen
	buffer_load_dword v15, v8, s[0:3], 0 offen offset:4
	v_mov_b32_e32 v8, s54
	v_cmp_eq_u32_e32 vcc_lo, 0, v7
	s_add_i32 s54, s54, 16
	ds_read_b128 v[8:11], v8
	s_or_b32 s4, vcc_lo, s4
	s_waitcnt vmcnt(2) lgkmcnt(0)
	v_mul_f64 v[16:17], v[10:11], v[12:13]
	v_mul_f64 v[12:13], v[8:9], v[12:13]
	s_waitcnt vmcnt(0)
	v_fma_f64 v[8:9], v[8:9], v[14:15], -v[16:17]
	v_fma_f64 v[10:11], v[10:11], v[14:15], v[12:13]
	v_add_f64 v[1:2], v[1:2], v[8:9]
	v_add_f64 v[3:4], v[3:4], v[10:11]
	s_andn2_b32 exec_lo, exec_lo, s4
	s_cbranch_execnz .LBB44_304
; %bb.305:
	s_or_b32 exec_lo, exec_lo, s4
.LBB44_306:
	s_or_b32 exec_lo, exec_lo, s53
	v_mov_b32_e32 v7, 0
	ds_read_b128 v[7:10], v7 offset:96
	s_waitcnt lgkmcnt(0)
	v_mul_f64 v[11:12], v[3:4], v[9:10]
	v_mul_f64 v[9:10], v[1:2], v[9:10]
	v_fma_f64 v[1:2], v[1:2], v[7:8], -v[11:12]
	v_fma_f64 v[3:4], v[3:4], v[7:8], v[9:10]
	buffer_store_dword v2, off, s[0:3], 0 offset:100
	buffer_store_dword v1, off, s[0:3], 0 offset:96
	;; [unrolled: 1-line block ×4, first 2 shown]
.LBB44_307:
	s_or_b32 exec_lo, exec_lo, s8
	v_mov_b32_e32 v4, s47
	v_cmp_lt_u32_e64 s4, 5, v0
	s_clause 0x3
	buffer_load_dword v1, v4, s[0:3], 0 offen
	buffer_load_dword v2, v4, s[0:3], 0 offen offset:4
	buffer_load_dword v3, v4, s[0:3], 0 offen offset:8
	;; [unrolled: 1-line block ×3, first 2 shown]
	s_waitcnt vmcnt(0)
	ds_write_b128 v6, v[1:4]
	s_waitcnt lgkmcnt(0)
	s_waitcnt_vscnt null, 0x0
	s_barrier
	buffer_gl0_inv
	s_and_saveexec_b32 s8, s4
	s_cbranch_execz .LBB44_315
; %bb.308:
	ds_read_b128 v[1:4], v6
	s_andn2_b32 vcc_lo, exec_lo, s52
	s_cbranch_vccnz .LBB44_310
; %bb.309:
	s_clause 0x3
	buffer_load_dword v7, v5, s[0:3], 0 offen offset:8
	buffer_load_dword v8, v5, s[0:3], 0 offen offset:12
	buffer_load_dword v9, v5, s[0:3], 0 offen
	buffer_load_dword v10, v5, s[0:3], 0 offen offset:4
	s_waitcnt vmcnt(2) lgkmcnt(0)
	v_mul_f64 v[11:12], v[3:4], v[7:8]
	v_mul_f64 v[7:8], v[1:2], v[7:8]
	s_waitcnt vmcnt(0)
	v_fma_f64 v[1:2], v[1:2], v[9:10], -v[11:12]
	v_fma_f64 v[3:4], v[3:4], v[9:10], v[7:8]
.LBB44_310:
	s_and_saveexec_b32 s53, s5
	s_cbranch_execz .LBB44_314
; %bb.311:
	v_add_nc_u32_e32 v7, -6, v0
	s_movk_i32 s54, 0x330
	s_mov_b32 s5, 0
	s_mov_b32 s55, s46
	.p2align	6
.LBB44_312:                             ; =>This Inner Loop Header: Depth=1
	v_mov_b32_e32 v8, s55
	v_add_nc_u32_e32 v7, -1, v7
	s_add_i32 s55, s55, 16
	s_clause 0x3
	buffer_load_dword v12, v8, s[0:3], 0 offen offset:8
	buffer_load_dword v13, v8, s[0:3], 0 offen offset:12
	buffer_load_dword v14, v8, s[0:3], 0 offen
	buffer_load_dword v15, v8, s[0:3], 0 offen offset:4
	v_mov_b32_e32 v8, s54
	v_cmp_eq_u32_e32 vcc_lo, 0, v7
	s_add_i32 s54, s54, 16
	ds_read_b128 v[8:11], v8
	s_or_b32 s5, vcc_lo, s5
	s_waitcnt vmcnt(2) lgkmcnt(0)
	v_mul_f64 v[16:17], v[10:11], v[12:13]
	v_mul_f64 v[12:13], v[8:9], v[12:13]
	s_waitcnt vmcnt(0)
	v_fma_f64 v[8:9], v[8:9], v[14:15], -v[16:17]
	v_fma_f64 v[10:11], v[10:11], v[14:15], v[12:13]
	v_add_f64 v[1:2], v[1:2], v[8:9]
	v_add_f64 v[3:4], v[3:4], v[10:11]
	s_andn2_b32 exec_lo, exec_lo, s5
	s_cbranch_execnz .LBB44_312
; %bb.313:
	s_or_b32 exec_lo, exec_lo, s5
.LBB44_314:
	s_or_b32 exec_lo, exec_lo, s53
	v_mov_b32_e32 v7, 0
	ds_read_b128 v[7:10], v7 offset:80
	s_waitcnt lgkmcnt(0)
	v_mul_f64 v[11:12], v[3:4], v[9:10]
	v_mul_f64 v[9:10], v[1:2], v[9:10]
	v_fma_f64 v[1:2], v[1:2], v[7:8], -v[11:12]
	v_fma_f64 v[3:4], v[3:4], v[7:8], v[9:10]
	buffer_store_dword v2, off, s[0:3], 0 offset:84
	buffer_store_dword v1, off, s[0:3], 0 offset:80
	;; [unrolled: 1-line block ×4, first 2 shown]
.LBB44_315:
	s_or_b32 exec_lo, exec_lo, s8
	v_mov_b32_e32 v4, s48
	v_cmp_lt_u32_e64 s5, 4, v0
	s_clause 0x3
	buffer_load_dword v1, v4, s[0:3], 0 offen
	buffer_load_dword v2, v4, s[0:3], 0 offen offset:4
	buffer_load_dword v3, v4, s[0:3], 0 offen offset:8
	;; [unrolled: 1-line block ×3, first 2 shown]
	s_waitcnt vmcnt(0)
	ds_write_b128 v6, v[1:4]
	s_waitcnt lgkmcnt(0)
	s_waitcnt_vscnt null, 0x0
	s_barrier
	buffer_gl0_inv
	s_and_saveexec_b32 s8, s5
	s_cbranch_execz .LBB44_323
; %bb.316:
	ds_read_b128 v[1:4], v6
	s_andn2_b32 vcc_lo, exec_lo, s52
	s_cbranch_vccnz .LBB44_318
; %bb.317:
	s_clause 0x3
	buffer_load_dword v7, v5, s[0:3], 0 offen offset:8
	buffer_load_dword v8, v5, s[0:3], 0 offen offset:12
	buffer_load_dword v9, v5, s[0:3], 0 offen
	buffer_load_dword v10, v5, s[0:3], 0 offen offset:4
	s_waitcnt vmcnt(2) lgkmcnt(0)
	v_mul_f64 v[11:12], v[3:4], v[7:8]
	v_mul_f64 v[7:8], v[1:2], v[7:8]
	s_waitcnt vmcnt(0)
	v_fma_f64 v[1:2], v[1:2], v[9:10], -v[11:12]
	v_fma_f64 v[3:4], v[3:4], v[9:10], v[7:8]
.LBB44_318:
	s_and_saveexec_b32 s53, s4
	s_cbranch_execz .LBB44_322
; %bb.319:
	v_add_nc_u32_e32 v7, -5, v0
	s_movk_i32 s54, 0x320
	s_mov_b32 s4, 0
	s_mov_b32 s55, s47
	.p2align	6
.LBB44_320:                             ; =>This Inner Loop Header: Depth=1
	v_mov_b32_e32 v8, s55
	v_add_nc_u32_e32 v7, -1, v7
	s_add_i32 s55, s55, 16
	s_clause 0x3
	buffer_load_dword v12, v8, s[0:3], 0 offen offset:8
	buffer_load_dword v13, v8, s[0:3], 0 offen offset:12
	buffer_load_dword v14, v8, s[0:3], 0 offen
	buffer_load_dword v15, v8, s[0:3], 0 offen offset:4
	v_mov_b32_e32 v8, s54
	v_cmp_eq_u32_e32 vcc_lo, 0, v7
	s_add_i32 s54, s54, 16
	ds_read_b128 v[8:11], v8
	s_or_b32 s4, vcc_lo, s4
	s_waitcnt vmcnt(2) lgkmcnt(0)
	v_mul_f64 v[16:17], v[10:11], v[12:13]
	v_mul_f64 v[12:13], v[8:9], v[12:13]
	s_waitcnt vmcnt(0)
	v_fma_f64 v[8:9], v[8:9], v[14:15], -v[16:17]
	v_fma_f64 v[10:11], v[10:11], v[14:15], v[12:13]
	v_add_f64 v[1:2], v[1:2], v[8:9]
	v_add_f64 v[3:4], v[3:4], v[10:11]
	s_andn2_b32 exec_lo, exec_lo, s4
	s_cbranch_execnz .LBB44_320
; %bb.321:
	s_or_b32 exec_lo, exec_lo, s4
.LBB44_322:
	s_or_b32 exec_lo, exec_lo, s53
	v_mov_b32_e32 v7, 0
	ds_read_b128 v[7:10], v7 offset:64
	s_waitcnt lgkmcnt(0)
	v_mul_f64 v[11:12], v[3:4], v[9:10]
	v_mul_f64 v[9:10], v[1:2], v[9:10]
	v_fma_f64 v[1:2], v[1:2], v[7:8], -v[11:12]
	v_fma_f64 v[3:4], v[3:4], v[7:8], v[9:10]
	buffer_store_dword v2, off, s[0:3], 0 offset:68
	buffer_store_dword v1, off, s[0:3], 0 offset:64
	;; [unrolled: 1-line block ×4, first 2 shown]
.LBB44_323:
	s_or_b32 exec_lo, exec_lo, s8
	v_mov_b32_e32 v4, s49
	v_cmp_lt_u32_e64 s4, 3, v0
	s_clause 0x3
	buffer_load_dword v1, v4, s[0:3], 0 offen
	buffer_load_dword v2, v4, s[0:3], 0 offen offset:4
	buffer_load_dword v3, v4, s[0:3], 0 offen offset:8
	;; [unrolled: 1-line block ×3, first 2 shown]
	s_waitcnt vmcnt(0)
	ds_write_b128 v6, v[1:4]
	s_waitcnt lgkmcnt(0)
	s_waitcnt_vscnt null, 0x0
	s_barrier
	buffer_gl0_inv
	s_and_saveexec_b32 s8, s4
	s_cbranch_execz .LBB44_331
; %bb.324:
	ds_read_b128 v[1:4], v6
	s_andn2_b32 vcc_lo, exec_lo, s52
	s_cbranch_vccnz .LBB44_326
; %bb.325:
	s_clause 0x3
	buffer_load_dword v7, v5, s[0:3], 0 offen offset:8
	buffer_load_dword v8, v5, s[0:3], 0 offen offset:12
	buffer_load_dword v9, v5, s[0:3], 0 offen
	buffer_load_dword v10, v5, s[0:3], 0 offen offset:4
	s_waitcnt vmcnt(2) lgkmcnt(0)
	v_mul_f64 v[11:12], v[3:4], v[7:8]
	v_mul_f64 v[7:8], v[1:2], v[7:8]
	s_waitcnt vmcnt(0)
	v_fma_f64 v[1:2], v[1:2], v[9:10], -v[11:12]
	v_fma_f64 v[3:4], v[3:4], v[9:10], v[7:8]
.LBB44_326:
	s_and_saveexec_b32 s53, s5
	s_cbranch_execz .LBB44_330
; %bb.327:
	v_add_nc_u32_e32 v7, -4, v0
	s_movk_i32 s54, 0x310
	s_mov_b32 s5, 0
	s_mov_b32 s55, s48
	.p2align	6
.LBB44_328:                             ; =>This Inner Loop Header: Depth=1
	v_mov_b32_e32 v8, s55
	v_add_nc_u32_e32 v7, -1, v7
	s_add_i32 s55, s55, 16
	s_clause 0x3
	buffer_load_dword v12, v8, s[0:3], 0 offen offset:8
	buffer_load_dword v13, v8, s[0:3], 0 offen offset:12
	buffer_load_dword v14, v8, s[0:3], 0 offen
	buffer_load_dword v15, v8, s[0:3], 0 offen offset:4
	v_mov_b32_e32 v8, s54
	v_cmp_eq_u32_e32 vcc_lo, 0, v7
	s_add_i32 s54, s54, 16
	ds_read_b128 v[8:11], v8
	s_or_b32 s5, vcc_lo, s5
	s_waitcnt vmcnt(2) lgkmcnt(0)
	v_mul_f64 v[16:17], v[10:11], v[12:13]
	v_mul_f64 v[12:13], v[8:9], v[12:13]
	s_waitcnt vmcnt(0)
	v_fma_f64 v[8:9], v[8:9], v[14:15], -v[16:17]
	v_fma_f64 v[10:11], v[10:11], v[14:15], v[12:13]
	v_add_f64 v[1:2], v[1:2], v[8:9]
	v_add_f64 v[3:4], v[3:4], v[10:11]
	s_andn2_b32 exec_lo, exec_lo, s5
	s_cbranch_execnz .LBB44_328
; %bb.329:
	s_or_b32 exec_lo, exec_lo, s5
.LBB44_330:
	s_or_b32 exec_lo, exec_lo, s53
	v_mov_b32_e32 v7, 0
	ds_read_b128 v[7:10], v7 offset:48
	s_waitcnt lgkmcnt(0)
	v_mul_f64 v[11:12], v[3:4], v[9:10]
	v_mul_f64 v[9:10], v[1:2], v[9:10]
	v_fma_f64 v[1:2], v[1:2], v[7:8], -v[11:12]
	v_fma_f64 v[3:4], v[3:4], v[7:8], v[9:10]
	buffer_store_dword v2, off, s[0:3], 0 offset:52
	buffer_store_dword v1, off, s[0:3], 0 offset:48
	;; [unrolled: 1-line block ×4, first 2 shown]
.LBB44_331:
	s_or_b32 exec_lo, exec_lo, s8
	v_mov_b32_e32 v4, s50
	v_cmp_lt_u32_e64 s5, 2, v0
	s_clause 0x3
	buffer_load_dword v1, v4, s[0:3], 0 offen
	buffer_load_dword v2, v4, s[0:3], 0 offen offset:4
	buffer_load_dword v3, v4, s[0:3], 0 offen offset:8
	;; [unrolled: 1-line block ×3, first 2 shown]
	s_waitcnt vmcnt(0)
	ds_write_b128 v6, v[1:4]
	s_waitcnt lgkmcnt(0)
	s_waitcnt_vscnt null, 0x0
	s_barrier
	buffer_gl0_inv
	s_and_saveexec_b32 s8, s5
	s_cbranch_execz .LBB44_339
; %bb.332:
	ds_read_b128 v[1:4], v6
	s_andn2_b32 vcc_lo, exec_lo, s52
	s_cbranch_vccnz .LBB44_334
; %bb.333:
	s_clause 0x3
	buffer_load_dword v7, v5, s[0:3], 0 offen offset:8
	buffer_load_dword v8, v5, s[0:3], 0 offen offset:12
	buffer_load_dword v9, v5, s[0:3], 0 offen
	buffer_load_dword v10, v5, s[0:3], 0 offen offset:4
	s_waitcnt vmcnt(2) lgkmcnt(0)
	v_mul_f64 v[11:12], v[3:4], v[7:8]
	v_mul_f64 v[7:8], v[1:2], v[7:8]
	s_waitcnt vmcnt(0)
	v_fma_f64 v[1:2], v[1:2], v[9:10], -v[11:12]
	v_fma_f64 v[3:4], v[3:4], v[9:10], v[7:8]
.LBB44_334:
	s_and_saveexec_b32 s53, s4
	s_cbranch_execz .LBB44_338
; %bb.335:
	v_add_nc_u32_e32 v7, -3, v0
	s_movk_i32 s54, 0x300
	s_mov_b32 s4, 0
	s_mov_b32 s55, s49
	.p2align	6
.LBB44_336:                             ; =>This Inner Loop Header: Depth=1
	v_mov_b32_e32 v8, s55
	v_add_nc_u32_e32 v7, -1, v7
	s_add_i32 s55, s55, 16
	s_clause 0x3
	buffer_load_dword v12, v8, s[0:3], 0 offen offset:8
	buffer_load_dword v13, v8, s[0:3], 0 offen offset:12
	buffer_load_dword v14, v8, s[0:3], 0 offen
	buffer_load_dword v15, v8, s[0:3], 0 offen offset:4
	v_mov_b32_e32 v8, s54
	v_cmp_eq_u32_e32 vcc_lo, 0, v7
	s_add_i32 s54, s54, 16
	ds_read_b128 v[8:11], v8
	s_or_b32 s4, vcc_lo, s4
	s_waitcnt vmcnt(2) lgkmcnt(0)
	v_mul_f64 v[16:17], v[10:11], v[12:13]
	v_mul_f64 v[12:13], v[8:9], v[12:13]
	s_waitcnt vmcnt(0)
	v_fma_f64 v[8:9], v[8:9], v[14:15], -v[16:17]
	v_fma_f64 v[10:11], v[10:11], v[14:15], v[12:13]
	v_add_f64 v[1:2], v[1:2], v[8:9]
	v_add_f64 v[3:4], v[3:4], v[10:11]
	s_andn2_b32 exec_lo, exec_lo, s4
	s_cbranch_execnz .LBB44_336
; %bb.337:
	s_or_b32 exec_lo, exec_lo, s4
.LBB44_338:
	s_or_b32 exec_lo, exec_lo, s53
	v_mov_b32_e32 v7, 0
	ds_read_b128 v[7:10], v7 offset:32
	s_waitcnt lgkmcnt(0)
	v_mul_f64 v[11:12], v[3:4], v[9:10]
	v_mul_f64 v[9:10], v[1:2], v[9:10]
	v_fma_f64 v[1:2], v[1:2], v[7:8], -v[11:12]
	v_fma_f64 v[3:4], v[3:4], v[7:8], v[9:10]
	buffer_store_dword v2, off, s[0:3], 0 offset:36
	buffer_store_dword v1, off, s[0:3], 0 offset:32
	;; [unrolled: 1-line block ×4, first 2 shown]
.LBB44_339:
	s_or_b32 exec_lo, exec_lo, s8
	v_mov_b32_e32 v4, s51
	v_cmp_lt_u32_e64 s4, 1, v0
	s_clause 0x3
	buffer_load_dword v1, v4, s[0:3], 0 offen
	buffer_load_dword v2, v4, s[0:3], 0 offen offset:4
	buffer_load_dword v3, v4, s[0:3], 0 offen offset:8
	;; [unrolled: 1-line block ×3, first 2 shown]
	s_waitcnt vmcnt(0)
	ds_write_b128 v6, v[1:4]
	s_waitcnt lgkmcnt(0)
	s_waitcnt_vscnt null, 0x0
	s_barrier
	buffer_gl0_inv
	s_and_saveexec_b32 s8, s4
	s_cbranch_execz .LBB44_347
; %bb.340:
	ds_read_b128 v[1:4], v6
	s_andn2_b32 vcc_lo, exec_lo, s52
	s_cbranch_vccnz .LBB44_342
; %bb.341:
	s_clause 0x3
	buffer_load_dword v7, v5, s[0:3], 0 offen offset:8
	buffer_load_dword v8, v5, s[0:3], 0 offen offset:12
	buffer_load_dword v9, v5, s[0:3], 0 offen
	buffer_load_dword v10, v5, s[0:3], 0 offen offset:4
	s_waitcnt vmcnt(2) lgkmcnt(0)
	v_mul_f64 v[11:12], v[3:4], v[7:8]
	v_mul_f64 v[7:8], v[1:2], v[7:8]
	s_waitcnt vmcnt(0)
	v_fma_f64 v[1:2], v[1:2], v[9:10], -v[11:12]
	v_fma_f64 v[3:4], v[3:4], v[9:10], v[7:8]
.LBB44_342:
	s_and_saveexec_b32 s53, s5
	s_cbranch_execz .LBB44_346
; %bb.343:
	v_add_nc_u32_e32 v7, -2, v0
	s_movk_i32 s54, 0x2f0
	s_mov_b32 s5, 0
	s_mov_b32 s55, s50
	.p2align	6
.LBB44_344:                             ; =>This Inner Loop Header: Depth=1
	v_mov_b32_e32 v8, s55
	v_add_nc_u32_e32 v7, -1, v7
	s_add_i32 s55, s55, 16
	s_clause 0x3
	buffer_load_dword v12, v8, s[0:3], 0 offen offset:8
	buffer_load_dword v13, v8, s[0:3], 0 offen offset:12
	buffer_load_dword v14, v8, s[0:3], 0 offen
	buffer_load_dword v15, v8, s[0:3], 0 offen offset:4
	v_mov_b32_e32 v8, s54
	v_cmp_eq_u32_e32 vcc_lo, 0, v7
	s_add_i32 s54, s54, 16
	ds_read_b128 v[8:11], v8
	s_or_b32 s5, vcc_lo, s5
	s_waitcnt vmcnt(2) lgkmcnt(0)
	v_mul_f64 v[16:17], v[10:11], v[12:13]
	v_mul_f64 v[12:13], v[8:9], v[12:13]
	s_waitcnt vmcnt(0)
	v_fma_f64 v[8:9], v[8:9], v[14:15], -v[16:17]
	v_fma_f64 v[10:11], v[10:11], v[14:15], v[12:13]
	v_add_f64 v[1:2], v[1:2], v[8:9]
	v_add_f64 v[3:4], v[3:4], v[10:11]
	s_andn2_b32 exec_lo, exec_lo, s5
	s_cbranch_execnz .LBB44_344
; %bb.345:
	s_or_b32 exec_lo, exec_lo, s5
.LBB44_346:
	s_or_b32 exec_lo, exec_lo, s53
	v_mov_b32_e32 v7, 0
	ds_read_b128 v[7:10], v7 offset:16
	s_waitcnt lgkmcnt(0)
	v_mul_f64 v[11:12], v[3:4], v[9:10]
	v_mul_f64 v[9:10], v[1:2], v[9:10]
	v_fma_f64 v[1:2], v[1:2], v[7:8], -v[11:12]
	v_fma_f64 v[3:4], v[3:4], v[7:8], v[9:10]
	buffer_store_dword v2, off, s[0:3], 0 offset:20
	buffer_store_dword v1, off, s[0:3], 0 offset:16
	buffer_store_dword v4, off, s[0:3], 0 offset:28
	buffer_store_dword v3, off, s[0:3], 0 offset:24
.LBB44_347:
	s_or_b32 exec_lo, exec_lo, s8
	s_clause 0x3
	buffer_load_dword v1, off, s[0:3], 0
	buffer_load_dword v2, off, s[0:3], 0 offset:4
	buffer_load_dword v3, off, s[0:3], 0 offset:8
	;; [unrolled: 1-line block ×3, first 2 shown]
	s_mov_b32 s8, 0
	s_mov_b32 s5, 0
	s_mov_b32 s53, exec_lo
                                        ; implicit-def: $sgpr54
	s_waitcnt vmcnt(0)
	ds_write_b128 v6, v[1:4]
	s_waitcnt lgkmcnt(0)
	s_waitcnt_vscnt null, 0x0
	s_barrier
	buffer_gl0_inv
                                        ; implicit-def: $vgpr1_vgpr2
	v_cmpx_ne_u32_e32 0, v0
	s_cbranch_execz .LBB44_355
; %bb.348:
	ds_read_b128 v[1:4], v6
	s_andn2_b32 vcc_lo, exec_lo, s52
	s_cbranch_vccnz .LBB44_350
; %bb.349:
	s_clause 0x3
	buffer_load_dword v7, v5, s[0:3], 0 offen offset:8
	buffer_load_dword v8, v5, s[0:3], 0 offen offset:12
	buffer_load_dword v9, v5, s[0:3], 0 offen
	buffer_load_dword v10, v5, s[0:3], 0 offen offset:4
	s_waitcnt vmcnt(2) lgkmcnt(0)
	v_mul_f64 v[11:12], v[3:4], v[7:8]
	v_mul_f64 v[7:8], v[1:2], v[7:8]
	s_waitcnt vmcnt(0)
	v_fma_f64 v[1:2], v[1:2], v[9:10], -v[11:12]
	v_fma_f64 v[3:4], v[3:4], v[9:10], v[7:8]
.LBB44_350:
	s_and_saveexec_b32 s5, s4
	s_cbranch_execz .LBB44_354
; %bb.351:
	v_add_nc_u32_e32 v7, -1, v0
	s_movk_i32 s54, 0x2e0
	s_mov_b32 s4, 0
	s_mov_b32 s55, s51
	.p2align	6
.LBB44_352:                             ; =>This Inner Loop Header: Depth=1
	v_mov_b32_e32 v8, s55
	v_add_nc_u32_e32 v7, -1, v7
	s_add_i32 s55, s55, 16
	s_clause 0x3
	buffer_load_dword v12, v8, s[0:3], 0 offen offset:8
	buffer_load_dword v13, v8, s[0:3], 0 offen offset:12
	buffer_load_dword v14, v8, s[0:3], 0 offen
	buffer_load_dword v15, v8, s[0:3], 0 offen offset:4
	v_mov_b32_e32 v8, s54
	v_cmp_eq_u32_e32 vcc_lo, 0, v7
	s_add_i32 s54, s54, 16
	ds_read_b128 v[8:11], v8
	s_or_b32 s4, vcc_lo, s4
	s_waitcnt vmcnt(2) lgkmcnt(0)
	v_mul_f64 v[16:17], v[10:11], v[12:13]
	v_mul_f64 v[12:13], v[8:9], v[12:13]
	s_waitcnt vmcnt(0)
	v_fma_f64 v[8:9], v[8:9], v[14:15], -v[16:17]
	v_fma_f64 v[10:11], v[10:11], v[14:15], v[12:13]
	v_add_f64 v[1:2], v[1:2], v[8:9]
	v_add_f64 v[3:4], v[3:4], v[10:11]
	s_andn2_b32 exec_lo, exec_lo, s4
	s_cbranch_execnz .LBB44_352
; %bb.353:
	s_or_b32 exec_lo, exec_lo, s4
.LBB44_354:
	s_or_b32 exec_lo, exec_lo, s5
	v_mov_b32_e32 v7, 0
	s_mov_b32 s5, exec_lo
	s_or_b32 s54, 0, 8
	ds_read_b128 v[7:10], v7
	s_waitcnt lgkmcnt(0)
	v_mul_f64 v[11:12], v[3:4], v[9:10]
	v_mul_f64 v[9:10], v[1:2], v[9:10]
	v_fma_f64 v[11:12], v[1:2], v[7:8], -v[11:12]
	v_fma_f64 v[1:2], v[3:4], v[7:8], v[9:10]
	buffer_store_dword v12, off, s[0:3], 0 offset:4
	buffer_store_dword v11, off, s[0:3], 0
.LBB44_355:
	s_or_b32 exec_lo, exec_lo, s53
	s_and_b32 vcc_lo, exec_lo, s8
	s_cbranch_vccnz .LBB44_357
	s_branch .LBB44_704
.LBB44_356:
	s_mov_b32 s5, 0
                                        ; implicit-def: $vgpr1_vgpr2
                                        ; implicit-def: $sgpr54
	s_cbranch_execz .LBB44_704
.LBB44_357:
	v_mov_b32_e32 v4, s51
	v_cmp_eq_u32_e64 s4, 0, v0
	v_cndmask_b32_e64 v7, 0, 1, s52
	s_clause 0x3
	buffer_load_dword v1, v4, s[0:3], 0 offen
	buffer_load_dword v2, v4, s[0:3], 0 offen offset:4
	buffer_load_dword v3, v4, s[0:3], 0 offen offset:8
	;; [unrolled: 1-line block ×3, first 2 shown]
	s_waitcnt vmcnt(0)
	ds_write_b128 v6, v[1:4]
	s_waitcnt lgkmcnt(0)
	s_waitcnt_vscnt null, 0x0
	s_barrier
	buffer_gl0_inv
	s_and_saveexec_b32 s8, s4
	s_cbranch_execz .LBB44_361
; %bb.358:
	ds_read_b128 v[1:4], v6
	s_andn2_b32 vcc_lo, exec_lo, s52
	s_cbranch_vccnz .LBB44_360
; %bb.359:
	s_clause 0x3
	buffer_load_dword v8, v5, s[0:3], 0 offen offset:8
	buffer_load_dword v9, v5, s[0:3], 0 offen offset:12
	buffer_load_dword v10, v5, s[0:3], 0 offen
	buffer_load_dword v11, v5, s[0:3], 0 offen offset:4
	s_waitcnt vmcnt(2) lgkmcnt(0)
	v_mul_f64 v[12:13], v[3:4], v[8:9]
	v_mul_f64 v[8:9], v[1:2], v[8:9]
	s_waitcnt vmcnt(0)
	v_fma_f64 v[1:2], v[1:2], v[10:11], -v[12:13]
	v_fma_f64 v[3:4], v[3:4], v[10:11], v[8:9]
.LBB44_360:
	v_mov_b32_e32 v8, 0
	ds_read_b128 v[8:11], v8 offset:16
	s_waitcnt lgkmcnt(0)
	v_mul_f64 v[12:13], v[3:4], v[10:11]
	v_mul_f64 v[10:11], v[1:2], v[10:11]
	v_fma_f64 v[1:2], v[1:2], v[8:9], -v[12:13]
	v_fma_f64 v[3:4], v[3:4], v[8:9], v[10:11]
	buffer_store_dword v2, off, s[0:3], 0 offset:20
	buffer_store_dword v1, off, s[0:3], 0 offset:16
	;; [unrolled: 1-line block ×4, first 2 shown]
.LBB44_361:
	s_or_b32 exec_lo, exec_lo, s8
	v_mov_b32_e32 v4, s50
	s_mov_b32 s8, exec_lo
	s_clause 0x3
	buffer_load_dword v1, v4, s[0:3], 0 offen
	buffer_load_dword v2, v4, s[0:3], 0 offen offset:4
	buffer_load_dword v3, v4, s[0:3], 0 offen offset:8
	;; [unrolled: 1-line block ×3, first 2 shown]
	s_waitcnt vmcnt(0)
	ds_write_b128 v6, v[1:4]
	s_waitcnt lgkmcnt(0)
	s_waitcnt_vscnt null, 0x0
	s_barrier
	buffer_gl0_inv
	v_cmpx_gt_u32_e32 2, v0
	s_cbranch_execz .LBB44_367
; %bb.362:
	ds_read_b128 v[1:4], v6
	v_cmp_ne_u32_e32 vcc_lo, 1, v7
	s_cbranch_vccnz .LBB44_364
; %bb.363:
	s_clause 0x3
	buffer_load_dword v8, v5, s[0:3], 0 offen offset:8
	buffer_load_dword v9, v5, s[0:3], 0 offen offset:12
	buffer_load_dword v10, v5, s[0:3], 0 offen
	buffer_load_dword v11, v5, s[0:3], 0 offen offset:4
	s_waitcnt vmcnt(2) lgkmcnt(0)
	v_mul_f64 v[12:13], v[3:4], v[8:9]
	v_mul_f64 v[8:9], v[1:2], v[8:9]
	s_waitcnt vmcnt(0)
	v_fma_f64 v[1:2], v[1:2], v[10:11], -v[12:13]
	v_fma_f64 v[3:4], v[3:4], v[10:11], v[8:9]
.LBB44_364:
	s_and_saveexec_b32 s52, s4
	s_cbranch_execz .LBB44_366
; %bb.365:
	s_clause 0x3
	buffer_load_dword v12, off, s[0:3], 0 offset:24
	buffer_load_dword v13, off, s[0:3], 0 offset:28
	;; [unrolled: 1-line block ×4, first 2 shown]
	v_mov_b32_e32 v8, 0
	ds_read_b128 v[8:11], v8 offset:736
	s_waitcnt vmcnt(2) lgkmcnt(0)
	v_mul_f64 v[16:17], v[10:11], v[12:13]
	v_mul_f64 v[12:13], v[8:9], v[12:13]
	s_waitcnt vmcnt(0)
	v_fma_f64 v[8:9], v[8:9], v[14:15], -v[16:17]
	v_fma_f64 v[10:11], v[10:11], v[14:15], v[12:13]
	v_add_f64 v[1:2], v[1:2], v[8:9]
	v_add_f64 v[3:4], v[3:4], v[10:11]
.LBB44_366:
	s_or_b32 exec_lo, exec_lo, s52
	v_mov_b32_e32 v8, 0
	ds_read_b128 v[8:11], v8 offset:32
	s_waitcnt lgkmcnt(0)
	v_mul_f64 v[12:13], v[3:4], v[10:11]
	v_mul_f64 v[10:11], v[1:2], v[10:11]
	v_fma_f64 v[1:2], v[1:2], v[8:9], -v[12:13]
	v_fma_f64 v[3:4], v[3:4], v[8:9], v[10:11]
	buffer_store_dword v2, off, s[0:3], 0 offset:36
	buffer_store_dword v1, off, s[0:3], 0 offset:32
	;; [unrolled: 1-line block ×4, first 2 shown]
.LBB44_367:
	s_or_b32 exec_lo, exec_lo, s8
	v_mov_b32_e32 v4, s49
	s_mov_b32 s8, exec_lo
	s_clause 0x3
	buffer_load_dword v1, v4, s[0:3], 0 offen
	buffer_load_dword v2, v4, s[0:3], 0 offen offset:4
	buffer_load_dword v3, v4, s[0:3], 0 offen offset:8
	;; [unrolled: 1-line block ×3, first 2 shown]
	s_waitcnt vmcnt(0)
	ds_write_b128 v6, v[1:4]
	s_waitcnt lgkmcnt(0)
	s_waitcnt_vscnt null, 0x0
	s_barrier
	buffer_gl0_inv
	v_cmpx_gt_u32_e32 3, v0
	s_cbranch_execz .LBB44_375
; %bb.368:
	ds_read_b128 v[1:4], v6
	v_cmp_ne_u32_e32 vcc_lo, 1, v7
	s_cbranch_vccnz .LBB44_370
; %bb.369:
	s_clause 0x3
	buffer_load_dword v8, v5, s[0:3], 0 offen offset:8
	buffer_load_dword v9, v5, s[0:3], 0 offen offset:12
	buffer_load_dword v10, v5, s[0:3], 0 offen
	buffer_load_dword v11, v5, s[0:3], 0 offen offset:4
	s_waitcnt vmcnt(2) lgkmcnt(0)
	v_mul_f64 v[12:13], v[3:4], v[8:9]
	v_mul_f64 v[8:9], v[1:2], v[8:9]
	s_waitcnt vmcnt(0)
	v_fma_f64 v[1:2], v[1:2], v[10:11], -v[12:13]
	v_fma_f64 v[3:4], v[3:4], v[10:11], v[8:9]
.LBB44_370:
	s_mov_b32 s52, exec_lo
	v_cmpx_ne_u32_e32 2, v0
	s_cbranch_execz .LBB44_374
; %bb.371:
	s_clause 0x3
	buffer_load_dword v12, v5, s[0:3], 0 offen offset:24
	buffer_load_dword v13, v5, s[0:3], 0 offen offset:28
	;; [unrolled: 1-line block ×4, first 2 shown]
	ds_read_b128 v[8:11], v6 offset:16
	s_waitcnt vmcnt(2) lgkmcnt(0)
	v_mul_f64 v[16:17], v[10:11], v[12:13]
	v_mul_f64 v[12:13], v[8:9], v[12:13]
	s_waitcnt vmcnt(0)
	v_fma_f64 v[8:9], v[8:9], v[14:15], -v[16:17]
	v_fma_f64 v[10:11], v[10:11], v[14:15], v[12:13]
	v_add_f64 v[1:2], v[1:2], v[8:9]
	v_add_f64 v[3:4], v[3:4], v[10:11]
	s_and_saveexec_b32 s53, s4
	s_cbranch_execz .LBB44_373
; %bb.372:
	s_clause 0x3
	buffer_load_dword v12, off, s[0:3], 0 offset:40
	buffer_load_dword v13, off, s[0:3], 0 offset:44
	;; [unrolled: 1-line block ×4, first 2 shown]
	v_mov_b32_e32 v8, 0
	ds_read_b128 v[8:11], v8 offset:752
	s_waitcnt vmcnt(2) lgkmcnt(0)
	v_mul_f64 v[16:17], v[8:9], v[12:13]
	v_mul_f64 v[12:13], v[10:11], v[12:13]
	s_waitcnt vmcnt(0)
	v_fma_f64 v[10:11], v[10:11], v[14:15], v[16:17]
	v_fma_f64 v[8:9], v[8:9], v[14:15], -v[12:13]
	v_add_f64 v[3:4], v[3:4], v[10:11]
	v_add_f64 v[1:2], v[1:2], v[8:9]
.LBB44_373:
	s_or_b32 exec_lo, exec_lo, s53
.LBB44_374:
	s_or_b32 exec_lo, exec_lo, s52
	v_mov_b32_e32 v8, 0
	ds_read_b128 v[8:11], v8 offset:48
	s_waitcnt lgkmcnt(0)
	v_mul_f64 v[12:13], v[3:4], v[10:11]
	v_mul_f64 v[10:11], v[1:2], v[10:11]
	v_fma_f64 v[1:2], v[1:2], v[8:9], -v[12:13]
	v_fma_f64 v[3:4], v[3:4], v[8:9], v[10:11]
	buffer_store_dword v2, off, s[0:3], 0 offset:52
	buffer_store_dword v1, off, s[0:3], 0 offset:48
	;; [unrolled: 1-line block ×4, first 2 shown]
.LBB44_375:
	s_or_b32 exec_lo, exec_lo, s8
	v_mov_b32_e32 v4, s48
	s_mov_b32 s4, exec_lo
	s_clause 0x3
	buffer_load_dword v1, v4, s[0:3], 0 offen
	buffer_load_dword v2, v4, s[0:3], 0 offen offset:4
	buffer_load_dword v3, v4, s[0:3], 0 offen offset:8
	;; [unrolled: 1-line block ×3, first 2 shown]
	s_waitcnt vmcnt(0)
	ds_write_b128 v6, v[1:4]
	s_waitcnt lgkmcnt(0)
	s_waitcnt_vscnt null, 0x0
	s_barrier
	buffer_gl0_inv
	v_cmpx_gt_u32_e32 4, v0
	s_cbranch_execz .LBB44_383
; %bb.376:
	ds_read_b128 v[1:4], v6
	v_cmp_ne_u32_e32 vcc_lo, 1, v7
	s_cbranch_vccnz .LBB44_378
; %bb.377:
	s_clause 0x3
	buffer_load_dword v8, v5, s[0:3], 0 offen offset:8
	buffer_load_dword v9, v5, s[0:3], 0 offen offset:12
	buffer_load_dword v10, v5, s[0:3], 0 offen
	buffer_load_dword v11, v5, s[0:3], 0 offen offset:4
	s_waitcnt vmcnt(2) lgkmcnt(0)
	v_mul_f64 v[12:13], v[3:4], v[8:9]
	v_mul_f64 v[8:9], v[1:2], v[8:9]
	s_waitcnt vmcnt(0)
	v_fma_f64 v[1:2], v[1:2], v[10:11], -v[12:13]
	v_fma_f64 v[3:4], v[3:4], v[10:11], v[8:9]
.LBB44_378:
	s_mov_b32 s8, exec_lo
	v_cmpx_ne_u32_e32 3, v0
	s_cbranch_execz .LBB44_382
; %bb.379:
	v_add_nc_u32_e32 v8, 0x2e0, v119
	v_add3_u32 v9, 0, v119, 16
	v_mov_b32_e32 v10, v0
	s_mov_b32 s52, 0
	.p2align	6
.LBB44_380:                             ; =>This Inner Loop Header: Depth=1
	s_clause 0x3
	buffer_load_dword v15, v9, s[0:3], 0 offen offset:8
	buffer_load_dword v16, v9, s[0:3], 0 offen offset:12
	buffer_load_dword v17, v9, s[0:3], 0 offen
	buffer_load_dword v18, v9, s[0:3], 0 offen offset:4
	ds_read_b128 v[11:14], v8
	v_add_nc_u32_e32 v10, 1, v10
	v_add_nc_u32_e32 v8, 16, v8
	;; [unrolled: 1-line block ×3, first 2 shown]
	v_cmp_lt_u32_e32 vcc_lo, 2, v10
	s_or_b32 s52, vcc_lo, s52
	s_waitcnt vmcnt(2) lgkmcnt(0)
	v_mul_f64 v[19:20], v[13:14], v[15:16]
	v_mul_f64 v[15:16], v[11:12], v[15:16]
	s_waitcnt vmcnt(0)
	v_fma_f64 v[11:12], v[11:12], v[17:18], -v[19:20]
	v_fma_f64 v[13:14], v[13:14], v[17:18], v[15:16]
	v_add_f64 v[1:2], v[1:2], v[11:12]
	v_add_f64 v[3:4], v[3:4], v[13:14]
	s_andn2_b32 exec_lo, exec_lo, s52
	s_cbranch_execnz .LBB44_380
; %bb.381:
	s_or_b32 exec_lo, exec_lo, s52
.LBB44_382:
	s_or_b32 exec_lo, exec_lo, s8
	v_mov_b32_e32 v8, 0
	ds_read_b128 v[8:11], v8 offset:64
	s_waitcnt lgkmcnt(0)
	v_mul_f64 v[12:13], v[3:4], v[10:11]
	v_mul_f64 v[10:11], v[1:2], v[10:11]
	v_fma_f64 v[1:2], v[1:2], v[8:9], -v[12:13]
	v_fma_f64 v[3:4], v[3:4], v[8:9], v[10:11]
	buffer_store_dword v2, off, s[0:3], 0 offset:68
	buffer_store_dword v1, off, s[0:3], 0 offset:64
	;; [unrolled: 1-line block ×4, first 2 shown]
.LBB44_383:
	s_or_b32 exec_lo, exec_lo, s4
	v_mov_b32_e32 v4, s47
	s_mov_b32 s4, exec_lo
	s_clause 0x3
	buffer_load_dword v1, v4, s[0:3], 0 offen
	buffer_load_dword v2, v4, s[0:3], 0 offen offset:4
	buffer_load_dword v3, v4, s[0:3], 0 offen offset:8
	;; [unrolled: 1-line block ×3, first 2 shown]
	s_waitcnt vmcnt(0)
	ds_write_b128 v6, v[1:4]
	s_waitcnt lgkmcnt(0)
	s_waitcnt_vscnt null, 0x0
	s_barrier
	buffer_gl0_inv
	v_cmpx_gt_u32_e32 5, v0
	s_cbranch_execz .LBB44_391
; %bb.384:
	ds_read_b128 v[1:4], v6
	v_cmp_ne_u32_e32 vcc_lo, 1, v7
	s_cbranch_vccnz .LBB44_386
; %bb.385:
	s_clause 0x3
	buffer_load_dword v8, v5, s[0:3], 0 offen offset:8
	buffer_load_dword v9, v5, s[0:3], 0 offen offset:12
	buffer_load_dword v10, v5, s[0:3], 0 offen
	buffer_load_dword v11, v5, s[0:3], 0 offen offset:4
	s_waitcnt vmcnt(2) lgkmcnt(0)
	v_mul_f64 v[12:13], v[3:4], v[8:9]
	v_mul_f64 v[8:9], v[1:2], v[8:9]
	s_waitcnt vmcnt(0)
	v_fma_f64 v[1:2], v[1:2], v[10:11], -v[12:13]
	v_fma_f64 v[3:4], v[3:4], v[10:11], v[8:9]
.LBB44_386:
	s_mov_b32 s8, exec_lo
	v_cmpx_ne_u32_e32 4, v0
	s_cbranch_execz .LBB44_390
; %bb.387:
	v_add_nc_u32_e32 v8, 0x2e0, v119
	v_add3_u32 v9, 0, v119, 16
	v_mov_b32_e32 v10, v0
	s_mov_b32 s52, 0
	.p2align	6
.LBB44_388:                             ; =>This Inner Loop Header: Depth=1
	s_clause 0x3
	buffer_load_dword v15, v9, s[0:3], 0 offen offset:8
	buffer_load_dword v16, v9, s[0:3], 0 offen offset:12
	buffer_load_dword v17, v9, s[0:3], 0 offen
	buffer_load_dword v18, v9, s[0:3], 0 offen offset:4
	ds_read_b128 v[11:14], v8
	v_add_nc_u32_e32 v10, 1, v10
	v_add_nc_u32_e32 v8, 16, v8
	;; [unrolled: 1-line block ×3, first 2 shown]
	v_cmp_lt_u32_e32 vcc_lo, 3, v10
	s_or_b32 s52, vcc_lo, s52
	s_waitcnt vmcnt(2) lgkmcnt(0)
	v_mul_f64 v[19:20], v[13:14], v[15:16]
	v_mul_f64 v[15:16], v[11:12], v[15:16]
	s_waitcnt vmcnt(0)
	v_fma_f64 v[11:12], v[11:12], v[17:18], -v[19:20]
	v_fma_f64 v[13:14], v[13:14], v[17:18], v[15:16]
	v_add_f64 v[1:2], v[1:2], v[11:12]
	v_add_f64 v[3:4], v[3:4], v[13:14]
	s_andn2_b32 exec_lo, exec_lo, s52
	s_cbranch_execnz .LBB44_388
; %bb.389:
	s_or_b32 exec_lo, exec_lo, s52
.LBB44_390:
	s_or_b32 exec_lo, exec_lo, s8
	v_mov_b32_e32 v8, 0
	ds_read_b128 v[8:11], v8 offset:80
	s_waitcnt lgkmcnt(0)
	v_mul_f64 v[12:13], v[3:4], v[10:11]
	v_mul_f64 v[10:11], v[1:2], v[10:11]
	v_fma_f64 v[1:2], v[1:2], v[8:9], -v[12:13]
	v_fma_f64 v[3:4], v[3:4], v[8:9], v[10:11]
	buffer_store_dword v2, off, s[0:3], 0 offset:84
	buffer_store_dword v1, off, s[0:3], 0 offset:80
	;; [unrolled: 1-line block ×4, first 2 shown]
.LBB44_391:
	s_or_b32 exec_lo, exec_lo, s4
	v_mov_b32_e32 v4, s46
	s_mov_b32 s4, exec_lo
	s_clause 0x3
	buffer_load_dword v1, v4, s[0:3], 0 offen
	buffer_load_dword v2, v4, s[0:3], 0 offen offset:4
	buffer_load_dword v3, v4, s[0:3], 0 offen offset:8
	;; [unrolled: 1-line block ×3, first 2 shown]
	s_waitcnt vmcnt(0)
	ds_write_b128 v6, v[1:4]
	s_waitcnt lgkmcnt(0)
	s_waitcnt_vscnt null, 0x0
	s_barrier
	buffer_gl0_inv
	v_cmpx_gt_u32_e32 6, v0
	s_cbranch_execz .LBB44_399
; %bb.392:
	ds_read_b128 v[1:4], v6
	v_cmp_ne_u32_e32 vcc_lo, 1, v7
	s_cbranch_vccnz .LBB44_394
; %bb.393:
	s_clause 0x3
	buffer_load_dword v8, v5, s[0:3], 0 offen offset:8
	buffer_load_dword v9, v5, s[0:3], 0 offen offset:12
	buffer_load_dword v10, v5, s[0:3], 0 offen
	buffer_load_dword v11, v5, s[0:3], 0 offen offset:4
	s_waitcnt vmcnt(2) lgkmcnt(0)
	v_mul_f64 v[12:13], v[3:4], v[8:9]
	v_mul_f64 v[8:9], v[1:2], v[8:9]
	s_waitcnt vmcnt(0)
	v_fma_f64 v[1:2], v[1:2], v[10:11], -v[12:13]
	v_fma_f64 v[3:4], v[3:4], v[10:11], v[8:9]
.LBB44_394:
	s_mov_b32 s8, exec_lo
	v_cmpx_ne_u32_e32 5, v0
	s_cbranch_execz .LBB44_398
; %bb.395:
	v_add_nc_u32_e32 v8, 0x2e0, v119
	v_add3_u32 v9, 0, v119, 16
	v_mov_b32_e32 v10, v0
	s_mov_b32 s52, 0
	.p2align	6
.LBB44_396:                             ; =>This Inner Loop Header: Depth=1
	s_clause 0x3
	buffer_load_dword v15, v9, s[0:3], 0 offen offset:8
	buffer_load_dword v16, v9, s[0:3], 0 offen offset:12
	buffer_load_dword v17, v9, s[0:3], 0 offen
	buffer_load_dword v18, v9, s[0:3], 0 offen offset:4
	ds_read_b128 v[11:14], v8
	v_add_nc_u32_e32 v10, 1, v10
	v_add_nc_u32_e32 v8, 16, v8
	;; [unrolled: 1-line block ×3, first 2 shown]
	v_cmp_lt_u32_e32 vcc_lo, 4, v10
	s_or_b32 s52, vcc_lo, s52
	s_waitcnt vmcnt(2) lgkmcnt(0)
	v_mul_f64 v[19:20], v[13:14], v[15:16]
	v_mul_f64 v[15:16], v[11:12], v[15:16]
	s_waitcnt vmcnt(0)
	v_fma_f64 v[11:12], v[11:12], v[17:18], -v[19:20]
	v_fma_f64 v[13:14], v[13:14], v[17:18], v[15:16]
	v_add_f64 v[1:2], v[1:2], v[11:12]
	v_add_f64 v[3:4], v[3:4], v[13:14]
	s_andn2_b32 exec_lo, exec_lo, s52
	s_cbranch_execnz .LBB44_396
; %bb.397:
	s_or_b32 exec_lo, exec_lo, s52
.LBB44_398:
	s_or_b32 exec_lo, exec_lo, s8
	v_mov_b32_e32 v8, 0
	ds_read_b128 v[8:11], v8 offset:96
	s_waitcnt lgkmcnt(0)
	v_mul_f64 v[12:13], v[3:4], v[10:11]
	v_mul_f64 v[10:11], v[1:2], v[10:11]
	v_fma_f64 v[1:2], v[1:2], v[8:9], -v[12:13]
	v_fma_f64 v[3:4], v[3:4], v[8:9], v[10:11]
	buffer_store_dword v2, off, s[0:3], 0 offset:100
	buffer_store_dword v1, off, s[0:3], 0 offset:96
	;; [unrolled: 1-line block ×4, first 2 shown]
.LBB44_399:
	s_or_b32 exec_lo, exec_lo, s4
	v_mov_b32_e32 v4, s45
	s_mov_b32 s4, exec_lo
	s_clause 0x3
	buffer_load_dword v1, v4, s[0:3], 0 offen
	buffer_load_dword v2, v4, s[0:3], 0 offen offset:4
	buffer_load_dword v3, v4, s[0:3], 0 offen offset:8
	;; [unrolled: 1-line block ×3, first 2 shown]
	s_waitcnt vmcnt(0)
	ds_write_b128 v6, v[1:4]
	s_waitcnt lgkmcnt(0)
	s_waitcnt_vscnt null, 0x0
	s_barrier
	buffer_gl0_inv
	v_cmpx_gt_u32_e32 7, v0
	s_cbranch_execz .LBB44_407
; %bb.400:
	ds_read_b128 v[1:4], v6
	v_cmp_ne_u32_e32 vcc_lo, 1, v7
	s_cbranch_vccnz .LBB44_402
; %bb.401:
	s_clause 0x3
	buffer_load_dword v8, v5, s[0:3], 0 offen offset:8
	buffer_load_dword v9, v5, s[0:3], 0 offen offset:12
	buffer_load_dword v10, v5, s[0:3], 0 offen
	buffer_load_dword v11, v5, s[0:3], 0 offen offset:4
	s_waitcnt vmcnt(2) lgkmcnt(0)
	v_mul_f64 v[12:13], v[3:4], v[8:9]
	v_mul_f64 v[8:9], v[1:2], v[8:9]
	s_waitcnt vmcnt(0)
	v_fma_f64 v[1:2], v[1:2], v[10:11], -v[12:13]
	v_fma_f64 v[3:4], v[3:4], v[10:11], v[8:9]
.LBB44_402:
	s_mov_b32 s8, exec_lo
	v_cmpx_ne_u32_e32 6, v0
	s_cbranch_execz .LBB44_406
; %bb.403:
	v_add_nc_u32_e32 v8, 0x2e0, v119
	v_add3_u32 v9, 0, v119, 16
	v_mov_b32_e32 v10, v0
	s_mov_b32 s52, 0
	.p2align	6
.LBB44_404:                             ; =>This Inner Loop Header: Depth=1
	s_clause 0x3
	buffer_load_dword v15, v9, s[0:3], 0 offen offset:8
	buffer_load_dword v16, v9, s[0:3], 0 offen offset:12
	buffer_load_dword v17, v9, s[0:3], 0 offen
	buffer_load_dword v18, v9, s[0:3], 0 offen offset:4
	ds_read_b128 v[11:14], v8
	v_add_nc_u32_e32 v10, 1, v10
	v_add_nc_u32_e32 v8, 16, v8
	;; [unrolled: 1-line block ×3, first 2 shown]
	v_cmp_lt_u32_e32 vcc_lo, 5, v10
	s_or_b32 s52, vcc_lo, s52
	s_waitcnt vmcnt(2) lgkmcnt(0)
	v_mul_f64 v[19:20], v[13:14], v[15:16]
	v_mul_f64 v[15:16], v[11:12], v[15:16]
	s_waitcnt vmcnt(0)
	v_fma_f64 v[11:12], v[11:12], v[17:18], -v[19:20]
	v_fma_f64 v[13:14], v[13:14], v[17:18], v[15:16]
	v_add_f64 v[1:2], v[1:2], v[11:12]
	v_add_f64 v[3:4], v[3:4], v[13:14]
	s_andn2_b32 exec_lo, exec_lo, s52
	s_cbranch_execnz .LBB44_404
; %bb.405:
	s_or_b32 exec_lo, exec_lo, s52
.LBB44_406:
	s_or_b32 exec_lo, exec_lo, s8
	v_mov_b32_e32 v8, 0
	ds_read_b128 v[8:11], v8 offset:112
	s_waitcnt lgkmcnt(0)
	v_mul_f64 v[12:13], v[3:4], v[10:11]
	v_mul_f64 v[10:11], v[1:2], v[10:11]
	v_fma_f64 v[1:2], v[1:2], v[8:9], -v[12:13]
	v_fma_f64 v[3:4], v[3:4], v[8:9], v[10:11]
	buffer_store_dword v2, off, s[0:3], 0 offset:116
	buffer_store_dword v1, off, s[0:3], 0 offset:112
	;; [unrolled: 1-line block ×4, first 2 shown]
.LBB44_407:
	s_or_b32 exec_lo, exec_lo, s4
	v_mov_b32_e32 v4, s44
	s_mov_b32 s4, exec_lo
	s_clause 0x3
	buffer_load_dword v1, v4, s[0:3], 0 offen
	buffer_load_dword v2, v4, s[0:3], 0 offen offset:4
	buffer_load_dword v3, v4, s[0:3], 0 offen offset:8
	;; [unrolled: 1-line block ×3, first 2 shown]
	s_waitcnt vmcnt(0)
	ds_write_b128 v6, v[1:4]
	s_waitcnt lgkmcnt(0)
	s_waitcnt_vscnt null, 0x0
	s_barrier
	buffer_gl0_inv
	v_cmpx_gt_u32_e32 8, v0
	s_cbranch_execz .LBB44_415
; %bb.408:
	ds_read_b128 v[1:4], v6
	v_cmp_ne_u32_e32 vcc_lo, 1, v7
	s_cbranch_vccnz .LBB44_410
; %bb.409:
	s_clause 0x3
	buffer_load_dword v8, v5, s[0:3], 0 offen offset:8
	buffer_load_dword v9, v5, s[0:3], 0 offen offset:12
	buffer_load_dword v10, v5, s[0:3], 0 offen
	buffer_load_dword v11, v5, s[0:3], 0 offen offset:4
	s_waitcnt vmcnt(2) lgkmcnt(0)
	v_mul_f64 v[12:13], v[3:4], v[8:9]
	v_mul_f64 v[8:9], v[1:2], v[8:9]
	s_waitcnt vmcnt(0)
	v_fma_f64 v[1:2], v[1:2], v[10:11], -v[12:13]
	v_fma_f64 v[3:4], v[3:4], v[10:11], v[8:9]
.LBB44_410:
	s_mov_b32 s8, exec_lo
	v_cmpx_ne_u32_e32 7, v0
	s_cbranch_execz .LBB44_414
; %bb.411:
	v_add_nc_u32_e32 v8, 0x2e0, v119
	v_add3_u32 v9, 0, v119, 16
	v_mov_b32_e32 v10, v0
	s_mov_b32 s52, 0
	.p2align	6
.LBB44_412:                             ; =>This Inner Loop Header: Depth=1
	s_clause 0x3
	buffer_load_dword v15, v9, s[0:3], 0 offen offset:8
	buffer_load_dword v16, v9, s[0:3], 0 offen offset:12
	buffer_load_dword v17, v9, s[0:3], 0 offen
	buffer_load_dword v18, v9, s[0:3], 0 offen offset:4
	ds_read_b128 v[11:14], v8
	v_add_nc_u32_e32 v10, 1, v10
	v_add_nc_u32_e32 v8, 16, v8
	v_add_nc_u32_e32 v9, 16, v9
	v_cmp_lt_u32_e32 vcc_lo, 6, v10
	s_or_b32 s52, vcc_lo, s52
	s_waitcnt vmcnt(2) lgkmcnt(0)
	v_mul_f64 v[19:20], v[13:14], v[15:16]
	v_mul_f64 v[15:16], v[11:12], v[15:16]
	s_waitcnt vmcnt(0)
	v_fma_f64 v[11:12], v[11:12], v[17:18], -v[19:20]
	v_fma_f64 v[13:14], v[13:14], v[17:18], v[15:16]
	v_add_f64 v[1:2], v[1:2], v[11:12]
	v_add_f64 v[3:4], v[3:4], v[13:14]
	s_andn2_b32 exec_lo, exec_lo, s52
	s_cbranch_execnz .LBB44_412
; %bb.413:
	s_or_b32 exec_lo, exec_lo, s52
.LBB44_414:
	s_or_b32 exec_lo, exec_lo, s8
	v_mov_b32_e32 v8, 0
	ds_read_b128 v[8:11], v8 offset:128
	s_waitcnt lgkmcnt(0)
	v_mul_f64 v[12:13], v[3:4], v[10:11]
	v_mul_f64 v[10:11], v[1:2], v[10:11]
	v_fma_f64 v[1:2], v[1:2], v[8:9], -v[12:13]
	v_fma_f64 v[3:4], v[3:4], v[8:9], v[10:11]
	buffer_store_dword v2, off, s[0:3], 0 offset:132
	buffer_store_dword v1, off, s[0:3], 0 offset:128
	;; [unrolled: 1-line block ×4, first 2 shown]
.LBB44_415:
	s_or_b32 exec_lo, exec_lo, s4
	v_mov_b32_e32 v4, s43
	s_mov_b32 s4, exec_lo
	s_clause 0x3
	buffer_load_dword v1, v4, s[0:3], 0 offen
	buffer_load_dword v2, v4, s[0:3], 0 offen offset:4
	buffer_load_dword v3, v4, s[0:3], 0 offen offset:8
	;; [unrolled: 1-line block ×3, first 2 shown]
	s_waitcnt vmcnt(0)
	ds_write_b128 v6, v[1:4]
	s_waitcnt lgkmcnt(0)
	s_waitcnt_vscnt null, 0x0
	s_barrier
	buffer_gl0_inv
	v_cmpx_gt_u32_e32 9, v0
	s_cbranch_execz .LBB44_423
; %bb.416:
	ds_read_b128 v[1:4], v6
	v_cmp_ne_u32_e32 vcc_lo, 1, v7
	s_cbranch_vccnz .LBB44_418
; %bb.417:
	s_clause 0x3
	buffer_load_dword v8, v5, s[0:3], 0 offen offset:8
	buffer_load_dword v9, v5, s[0:3], 0 offen offset:12
	buffer_load_dword v10, v5, s[0:3], 0 offen
	buffer_load_dword v11, v5, s[0:3], 0 offen offset:4
	s_waitcnt vmcnt(2) lgkmcnt(0)
	v_mul_f64 v[12:13], v[3:4], v[8:9]
	v_mul_f64 v[8:9], v[1:2], v[8:9]
	s_waitcnt vmcnt(0)
	v_fma_f64 v[1:2], v[1:2], v[10:11], -v[12:13]
	v_fma_f64 v[3:4], v[3:4], v[10:11], v[8:9]
.LBB44_418:
	s_mov_b32 s8, exec_lo
	v_cmpx_ne_u32_e32 8, v0
	s_cbranch_execz .LBB44_422
; %bb.419:
	v_add_nc_u32_e32 v8, 0x2e0, v119
	v_add3_u32 v9, 0, v119, 16
	v_mov_b32_e32 v10, v0
	s_mov_b32 s52, 0
	.p2align	6
.LBB44_420:                             ; =>This Inner Loop Header: Depth=1
	s_clause 0x3
	buffer_load_dword v15, v9, s[0:3], 0 offen offset:8
	buffer_load_dword v16, v9, s[0:3], 0 offen offset:12
	buffer_load_dword v17, v9, s[0:3], 0 offen
	buffer_load_dword v18, v9, s[0:3], 0 offen offset:4
	ds_read_b128 v[11:14], v8
	v_add_nc_u32_e32 v10, 1, v10
	v_add_nc_u32_e32 v8, 16, v8
	;; [unrolled: 1-line block ×3, first 2 shown]
	v_cmp_lt_u32_e32 vcc_lo, 7, v10
	s_or_b32 s52, vcc_lo, s52
	s_waitcnt vmcnt(2) lgkmcnt(0)
	v_mul_f64 v[19:20], v[13:14], v[15:16]
	v_mul_f64 v[15:16], v[11:12], v[15:16]
	s_waitcnt vmcnt(0)
	v_fma_f64 v[11:12], v[11:12], v[17:18], -v[19:20]
	v_fma_f64 v[13:14], v[13:14], v[17:18], v[15:16]
	v_add_f64 v[1:2], v[1:2], v[11:12]
	v_add_f64 v[3:4], v[3:4], v[13:14]
	s_andn2_b32 exec_lo, exec_lo, s52
	s_cbranch_execnz .LBB44_420
; %bb.421:
	s_or_b32 exec_lo, exec_lo, s52
.LBB44_422:
	s_or_b32 exec_lo, exec_lo, s8
	v_mov_b32_e32 v8, 0
	ds_read_b128 v[8:11], v8 offset:144
	s_waitcnt lgkmcnt(0)
	v_mul_f64 v[12:13], v[3:4], v[10:11]
	v_mul_f64 v[10:11], v[1:2], v[10:11]
	v_fma_f64 v[1:2], v[1:2], v[8:9], -v[12:13]
	v_fma_f64 v[3:4], v[3:4], v[8:9], v[10:11]
	buffer_store_dword v2, off, s[0:3], 0 offset:148
	buffer_store_dword v1, off, s[0:3], 0 offset:144
	;; [unrolled: 1-line block ×4, first 2 shown]
.LBB44_423:
	s_or_b32 exec_lo, exec_lo, s4
	v_mov_b32_e32 v4, s42
	s_mov_b32 s4, exec_lo
	s_clause 0x3
	buffer_load_dword v1, v4, s[0:3], 0 offen
	buffer_load_dword v2, v4, s[0:3], 0 offen offset:4
	buffer_load_dword v3, v4, s[0:3], 0 offen offset:8
	;; [unrolled: 1-line block ×3, first 2 shown]
	s_waitcnt vmcnt(0)
	ds_write_b128 v6, v[1:4]
	s_waitcnt lgkmcnt(0)
	s_waitcnt_vscnt null, 0x0
	s_barrier
	buffer_gl0_inv
	v_cmpx_gt_u32_e32 10, v0
	s_cbranch_execz .LBB44_431
; %bb.424:
	ds_read_b128 v[1:4], v6
	v_cmp_ne_u32_e32 vcc_lo, 1, v7
	s_cbranch_vccnz .LBB44_426
; %bb.425:
	s_clause 0x3
	buffer_load_dword v8, v5, s[0:3], 0 offen offset:8
	buffer_load_dword v9, v5, s[0:3], 0 offen offset:12
	buffer_load_dword v10, v5, s[0:3], 0 offen
	buffer_load_dword v11, v5, s[0:3], 0 offen offset:4
	s_waitcnt vmcnt(2) lgkmcnt(0)
	v_mul_f64 v[12:13], v[3:4], v[8:9]
	v_mul_f64 v[8:9], v[1:2], v[8:9]
	s_waitcnt vmcnt(0)
	v_fma_f64 v[1:2], v[1:2], v[10:11], -v[12:13]
	v_fma_f64 v[3:4], v[3:4], v[10:11], v[8:9]
.LBB44_426:
	s_mov_b32 s8, exec_lo
	v_cmpx_ne_u32_e32 9, v0
	s_cbranch_execz .LBB44_430
; %bb.427:
	v_add_nc_u32_e32 v8, 0x2e0, v119
	v_add3_u32 v9, 0, v119, 16
	v_mov_b32_e32 v10, v0
	s_mov_b32 s52, 0
	.p2align	6
.LBB44_428:                             ; =>This Inner Loop Header: Depth=1
	s_clause 0x3
	buffer_load_dword v15, v9, s[0:3], 0 offen offset:8
	buffer_load_dword v16, v9, s[0:3], 0 offen offset:12
	buffer_load_dword v17, v9, s[0:3], 0 offen
	buffer_load_dword v18, v9, s[0:3], 0 offen offset:4
	ds_read_b128 v[11:14], v8
	v_add_nc_u32_e32 v10, 1, v10
	v_add_nc_u32_e32 v8, 16, v8
	;; [unrolled: 1-line block ×3, first 2 shown]
	v_cmp_lt_u32_e32 vcc_lo, 8, v10
	s_or_b32 s52, vcc_lo, s52
	s_waitcnt vmcnt(2) lgkmcnt(0)
	v_mul_f64 v[19:20], v[13:14], v[15:16]
	v_mul_f64 v[15:16], v[11:12], v[15:16]
	s_waitcnt vmcnt(0)
	v_fma_f64 v[11:12], v[11:12], v[17:18], -v[19:20]
	v_fma_f64 v[13:14], v[13:14], v[17:18], v[15:16]
	v_add_f64 v[1:2], v[1:2], v[11:12]
	v_add_f64 v[3:4], v[3:4], v[13:14]
	s_andn2_b32 exec_lo, exec_lo, s52
	s_cbranch_execnz .LBB44_428
; %bb.429:
	s_or_b32 exec_lo, exec_lo, s52
.LBB44_430:
	s_or_b32 exec_lo, exec_lo, s8
	v_mov_b32_e32 v8, 0
	ds_read_b128 v[8:11], v8 offset:160
	s_waitcnt lgkmcnt(0)
	v_mul_f64 v[12:13], v[3:4], v[10:11]
	v_mul_f64 v[10:11], v[1:2], v[10:11]
	v_fma_f64 v[1:2], v[1:2], v[8:9], -v[12:13]
	v_fma_f64 v[3:4], v[3:4], v[8:9], v[10:11]
	buffer_store_dword v2, off, s[0:3], 0 offset:164
	buffer_store_dword v1, off, s[0:3], 0 offset:160
	;; [unrolled: 1-line block ×4, first 2 shown]
.LBB44_431:
	s_or_b32 exec_lo, exec_lo, s4
	v_mov_b32_e32 v4, s41
	s_mov_b32 s4, exec_lo
	s_clause 0x3
	buffer_load_dword v1, v4, s[0:3], 0 offen
	buffer_load_dword v2, v4, s[0:3], 0 offen offset:4
	buffer_load_dword v3, v4, s[0:3], 0 offen offset:8
	;; [unrolled: 1-line block ×3, first 2 shown]
	s_waitcnt vmcnt(0)
	ds_write_b128 v6, v[1:4]
	s_waitcnt lgkmcnt(0)
	s_waitcnt_vscnt null, 0x0
	s_barrier
	buffer_gl0_inv
	v_cmpx_gt_u32_e32 11, v0
	s_cbranch_execz .LBB44_439
; %bb.432:
	ds_read_b128 v[1:4], v6
	v_cmp_ne_u32_e32 vcc_lo, 1, v7
	s_cbranch_vccnz .LBB44_434
; %bb.433:
	s_clause 0x3
	buffer_load_dword v8, v5, s[0:3], 0 offen offset:8
	buffer_load_dword v9, v5, s[0:3], 0 offen offset:12
	buffer_load_dword v10, v5, s[0:3], 0 offen
	buffer_load_dword v11, v5, s[0:3], 0 offen offset:4
	s_waitcnt vmcnt(2) lgkmcnt(0)
	v_mul_f64 v[12:13], v[3:4], v[8:9]
	v_mul_f64 v[8:9], v[1:2], v[8:9]
	s_waitcnt vmcnt(0)
	v_fma_f64 v[1:2], v[1:2], v[10:11], -v[12:13]
	v_fma_f64 v[3:4], v[3:4], v[10:11], v[8:9]
.LBB44_434:
	s_mov_b32 s8, exec_lo
	v_cmpx_ne_u32_e32 10, v0
	s_cbranch_execz .LBB44_438
; %bb.435:
	v_add_nc_u32_e32 v8, 0x2e0, v119
	v_add3_u32 v9, 0, v119, 16
	v_mov_b32_e32 v10, v0
	s_mov_b32 s52, 0
	.p2align	6
.LBB44_436:                             ; =>This Inner Loop Header: Depth=1
	s_clause 0x3
	buffer_load_dword v15, v9, s[0:3], 0 offen offset:8
	buffer_load_dword v16, v9, s[0:3], 0 offen offset:12
	buffer_load_dword v17, v9, s[0:3], 0 offen
	buffer_load_dword v18, v9, s[0:3], 0 offen offset:4
	ds_read_b128 v[11:14], v8
	v_add_nc_u32_e32 v10, 1, v10
	v_add_nc_u32_e32 v8, 16, v8
	v_add_nc_u32_e32 v9, 16, v9
	v_cmp_lt_u32_e32 vcc_lo, 9, v10
	s_or_b32 s52, vcc_lo, s52
	s_waitcnt vmcnt(2) lgkmcnt(0)
	v_mul_f64 v[19:20], v[13:14], v[15:16]
	v_mul_f64 v[15:16], v[11:12], v[15:16]
	s_waitcnt vmcnt(0)
	v_fma_f64 v[11:12], v[11:12], v[17:18], -v[19:20]
	v_fma_f64 v[13:14], v[13:14], v[17:18], v[15:16]
	v_add_f64 v[1:2], v[1:2], v[11:12]
	v_add_f64 v[3:4], v[3:4], v[13:14]
	s_andn2_b32 exec_lo, exec_lo, s52
	s_cbranch_execnz .LBB44_436
; %bb.437:
	s_or_b32 exec_lo, exec_lo, s52
.LBB44_438:
	s_or_b32 exec_lo, exec_lo, s8
	v_mov_b32_e32 v8, 0
	ds_read_b128 v[8:11], v8 offset:176
	s_waitcnt lgkmcnt(0)
	v_mul_f64 v[12:13], v[3:4], v[10:11]
	v_mul_f64 v[10:11], v[1:2], v[10:11]
	v_fma_f64 v[1:2], v[1:2], v[8:9], -v[12:13]
	v_fma_f64 v[3:4], v[3:4], v[8:9], v[10:11]
	buffer_store_dword v2, off, s[0:3], 0 offset:180
	buffer_store_dword v1, off, s[0:3], 0 offset:176
	buffer_store_dword v4, off, s[0:3], 0 offset:188
	buffer_store_dword v3, off, s[0:3], 0 offset:184
.LBB44_439:
	s_or_b32 exec_lo, exec_lo, s4
	v_mov_b32_e32 v4, s40
	s_mov_b32 s4, exec_lo
	s_clause 0x3
	buffer_load_dword v1, v4, s[0:3], 0 offen
	buffer_load_dword v2, v4, s[0:3], 0 offen offset:4
	buffer_load_dword v3, v4, s[0:3], 0 offen offset:8
	;; [unrolled: 1-line block ×3, first 2 shown]
	s_waitcnt vmcnt(0)
	ds_write_b128 v6, v[1:4]
	s_waitcnt lgkmcnt(0)
	s_waitcnt_vscnt null, 0x0
	s_barrier
	buffer_gl0_inv
	v_cmpx_gt_u32_e32 12, v0
	s_cbranch_execz .LBB44_447
; %bb.440:
	ds_read_b128 v[1:4], v6
	v_cmp_ne_u32_e32 vcc_lo, 1, v7
	s_cbranch_vccnz .LBB44_442
; %bb.441:
	s_clause 0x3
	buffer_load_dword v8, v5, s[0:3], 0 offen offset:8
	buffer_load_dword v9, v5, s[0:3], 0 offen offset:12
	buffer_load_dword v10, v5, s[0:3], 0 offen
	buffer_load_dword v11, v5, s[0:3], 0 offen offset:4
	s_waitcnt vmcnt(2) lgkmcnt(0)
	v_mul_f64 v[12:13], v[3:4], v[8:9]
	v_mul_f64 v[8:9], v[1:2], v[8:9]
	s_waitcnt vmcnt(0)
	v_fma_f64 v[1:2], v[1:2], v[10:11], -v[12:13]
	v_fma_f64 v[3:4], v[3:4], v[10:11], v[8:9]
.LBB44_442:
	s_mov_b32 s8, exec_lo
	v_cmpx_ne_u32_e32 11, v0
	s_cbranch_execz .LBB44_446
; %bb.443:
	v_add_nc_u32_e32 v8, 0x2e0, v119
	v_add3_u32 v9, 0, v119, 16
	v_mov_b32_e32 v10, v0
	s_mov_b32 s52, 0
	.p2align	6
.LBB44_444:                             ; =>This Inner Loop Header: Depth=1
	s_clause 0x3
	buffer_load_dword v15, v9, s[0:3], 0 offen offset:8
	buffer_load_dword v16, v9, s[0:3], 0 offen offset:12
	buffer_load_dword v17, v9, s[0:3], 0 offen
	buffer_load_dword v18, v9, s[0:3], 0 offen offset:4
	ds_read_b128 v[11:14], v8
	v_add_nc_u32_e32 v10, 1, v10
	v_add_nc_u32_e32 v8, 16, v8
	v_add_nc_u32_e32 v9, 16, v9
	v_cmp_lt_u32_e32 vcc_lo, 10, v10
	s_or_b32 s52, vcc_lo, s52
	s_waitcnt vmcnt(2) lgkmcnt(0)
	v_mul_f64 v[19:20], v[13:14], v[15:16]
	v_mul_f64 v[15:16], v[11:12], v[15:16]
	s_waitcnt vmcnt(0)
	v_fma_f64 v[11:12], v[11:12], v[17:18], -v[19:20]
	v_fma_f64 v[13:14], v[13:14], v[17:18], v[15:16]
	v_add_f64 v[1:2], v[1:2], v[11:12]
	v_add_f64 v[3:4], v[3:4], v[13:14]
	s_andn2_b32 exec_lo, exec_lo, s52
	s_cbranch_execnz .LBB44_444
; %bb.445:
	s_or_b32 exec_lo, exec_lo, s52
.LBB44_446:
	s_or_b32 exec_lo, exec_lo, s8
	v_mov_b32_e32 v8, 0
	ds_read_b128 v[8:11], v8 offset:192
	s_waitcnt lgkmcnt(0)
	v_mul_f64 v[12:13], v[3:4], v[10:11]
	v_mul_f64 v[10:11], v[1:2], v[10:11]
	v_fma_f64 v[1:2], v[1:2], v[8:9], -v[12:13]
	v_fma_f64 v[3:4], v[3:4], v[8:9], v[10:11]
	buffer_store_dword v2, off, s[0:3], 0 offset:196
	buffer_store_dword v1, off, s[0:3], 0 offset:192
	;; [unrolled: 1-line block ×4, first 2 shown]
.LBB44_447:
	s_or_b32 exec_lo, exec_lo, s4
	v_mov_b32_e32 v4, s39
	s_mov_b32 s4, exec_lo
	s_clause 0x3
	buffer_load_dword v1, v4, s[0:3], 0 offen
	buffer_load_dword v2, v4, s[0:3], 0 offen offset:4
	buffer_load_dword v3, v4, s[0:3], 0 offen offset:8
	;; [unrolled: 1-line block ×3, first 2 shown]
	s_waitcnt vmcnt(0)
	ds_write_b128 v6, v[1:4]
	s_waitcnt lgkmcnt(0)
	s_waitcnt_vscnt null, 0x0
	s_barrier
	buffer_gl0_inv
	v_cmpx_gt_u32_e32 13, v0
	s_cbranch_execz .LBB44_455
; %bb.448:
	ds_read_b128 v[1:4], v6
	v_cmp_ne_u32_e32 vcc_lo, 1, v7
	s_cbranch_vccnz .LBB44_450
; %bb.449:
	s_clause 0x3
	buffer_load_dword v8, v5, s[0:3], 0 offen offset:8
	buffer_load_dword v9, v5, s[0:3], 0 offen offset:12
	buffer_load_dword v10, v5, s[0:3], 0 offen
	buffer_load_dword v11, v5, s[0:3], 0 offen offset:4
	s_waitcnt vmcnt(2) lgkmcnt(0)
	v_mul_f64 v[12:13], v[3:4], v[8:9]
	v_mul_f64 v[8:9], v[1:2], v[8:9]
	s_waitcnt vmcnt(0)
	v_fma_f64 v[1:2], v[1:2], v[10:11], -v[12:13]
	v_fma_f64 v[3:4], v[3:4], v[10:11], v[8:9]
.LBB44_450:
	s_mov_b32 s8, exec_lo
	v_cmpx_ne_u32_e32 12, v0
	s_cbranch_execz .LBB44_454
; %bb.451:
	v_add_nc_u32_e32 v8, 0x2e0, v119
	v_add3_u32 v9, 0, v119, 16
	v_mov_b32_e32 v10, v0
	s_mov_b32 s52, 0
	.p2align	6
.LBB44_452:                             ; =>This Inner Loop Header: Depth=1
	s_clause 0x3
	buffer_load_dword v15, v9, s[0:3], 0 offen offset:8
	buffer_load_dword v16, v9, s[0:3], 0 offen offset:12
	buffer_load_dword v17, v9, s[0:3], 0 offen
	buffer_load_dword v18, v9, s[0:3], 0 offen offset:4
	ds_read_b128 v[11:14], v8
	v_add_nc_u32_e32 v10, 1, v10
	v_add_nc_u32_e32 v8, 16, v8
	;; [unrolled: 1-line block ×3, first 2 shown]
	v_cmp_lt_u32_e32 vcc_lo, 11, v10
	s_or_b32 s52, vcc_lo, s52
	s_waitcnt vmcnt(2) lgkmcnt(0)
	v_mul_f64 v[19:20], v[13:14], v[15:16]
	v_mul_f64 v[15:16], v[11:12], v[15:16]
	s_waitcnt vmcnt(0)
	v_fma_f64 v[11:12], v[11:12], v[17:18], -v[19:20]
	v_fma_f64 v[13:14], v[13:14], v[17:18], v[15:16]
	v_add_f64 v[1:2], v[1:2], v[11:12]
	v_add_f64 v[3:4], v[3:4], v[13:14]
	s_andn2_b32 exec_lo, exec_lo, s52
	s_cbranch_execnz .LBB44_452
; %bb.453:
	s_or_b32 exec_lo, exec_lo, s52
.LBB44_454:
	s_or_b32 exec_lo, exec_lo, s8
	v_mov_b32_e32 v8, 0
	ds_read_b128 v[8:11], v8 offset:208
	s_waitcnt lgkmcnt(0)
	v_mul_f64 v[12:13], v[3:4], v[10:11]
	v_mul_f64 v[10:11], v[1:2], v[10:11]
	v_fma_f64 v[1:2], v[1:2], v[8:9], -v[12:13]
	v_fma_f64 v[3:4], v[3:4], v[8:9], v[10:11]
	buffer_store_dword v2, off, s[0:3], 0 offset:212
	buffer_store_dword v1, off, s[0:3], 0 offset:208
	;; [unrolled: 1-line block ×4, first 2 shown]
.LBB44_455:
	s_or_b32 exec_lo, exec_lo, s4
	v_mov_b32_e32 v4, s38
	s_mov_b32 s4, exec_lo
	s_clause 0x3
	buffer_load_dword v1, v4, s[0:3], 0 offen
	buffer_load_dword v2, v4, s[0:3], 0 offen offset:4
	buffer_load_dword v3, v4, s[0:3], 0 offen offset:8
	;; [unrolled: 1-line block ×3, first 2 shown]
	s_waitcnt vmcnt(0)
	ds_write_b128 v6, v[1:4]
	s_waitcnt lgkmcnt(0)
	s_waitcnt_vscnt null, 0x0
	s_barrier
	buffer_gl0_inv
	v_cmpx_gt_u32_e32 14, v0
	s_cbranch_execz .LBB44_463
; %bb.456:
	ds_read_b128 v[1:4], v6
	v_cmp_ne_u32_e32 vcc_lo, 1, v7
	s_cbranch_vccnz .LBB44_458
; %bb.457:
	s_clause 0x3
	buffer_load_dword v8, v5, s[0:3], 0 offen offset:8
	buffer_load_dword v9, v5, s[0:3], 0 offen offset:12
	buffer_load_dword v10, v5, s[0:3], 0 offen
	buffer_load_dword v11, v5, s[0:3], 0 offen offset:4
	s_waitcnt vmcnt(2) lgkmcnt(0)
	v_mul_f64 v[12:13], v[3:4], v[8:9]
	v_mul_f64 v[8:9], v[1:2], v[8:9]
	s_waitcnt vmcnt(0)
	v_fma_f64 v[1:2], v[1:2], v[10:11], -v[12:13]
	v_fma_f64 v[3:4], v[3:4], v[10:11], v[8:9]
.LBB44_458:
	s_mov_b32 s8, exec_lo
	v_cmpx_ne_u32_e32 13, v0
	s_cbranch_execz .LBB44_462
; %bb.459:
	v_add_nc_u32_e32 v8, 0x2e0, v119
	v_add3_u32 v9, 0, v119, 16
	v_mov_b32_e32 v10, v0
	s_mov_b32 s52, 0
	.p2align	6
.LBB44_460:                             ; =>This Inner Loop Header: Depth=1
	s_clause 0x3
	buffer_load_dword v15, v9, s[0:3], 0 offen offset:8
	buffer_load_dword v16, v9, s[0:3], 0 offen offset:12
	buffer_load_dword v17, v9, s[0:3], 0 offen
	buffer_load_dword v18, v9, s[0:3], 0 offen offset:4
	ds_read_b128 v[11:14], v8
	v_add_nc_u32_e32 v10, 1, v10
	v_add_nc_u32_e32 v8, 16, v8
	;; [unrolled: 1-line block ×3, first 2 shown]
	v_cmp_lt_u32_e32 vcc_lo, 12, v10
	s_or_b32 s52, vcc_lo, s52
	s_waitcnt vmcnt(2) lgkmcnt(0)
	v_mul_f64 v[19:20], v[13:14], v[15:16]
	v_mul_f64 v[15:16], v[11:12], v[15:16]
	s_waitcnt vmcnt(0)
	v_fma_f64 v[11:12], v[11:12], v[17:18], -v[19:20]
	v_fma_f64 v[13:14], v[13:14], v[17:18], v[15:16]
	v_add_f64 v[1:2], v[1:2], v[11:12]
	v_add_f64 v[3:4], v[3:4], v[13:14]
	s_andn2_b32 exec_lo, exec_lo, s52
	s_cbranch_execnz .LBB44_460
; %bb.461:
	s_or_b32 exec_lo, exec_lo, s52
.LBB44_462:
	s_or_b32 exec_lo, exec_lo, s8
	v_mov_b32_e32 v8, 0
	ds_read_b128 v[8:11], v8 offset:224
	s_waitcnt lgkmcnt(0)
	v_mul_f64 v[12:13], v[3:4], v[10:11]
	v_mul_f64 v[10:11], v[1:2], v[10:11]
	v_fma_f64 v[1:2], v[1:2], v[8:9], -v[12:13]
	v_fma_f64 v[3:4], v[3:4], v[8:9], v[10:11]
	buffer_store_dword v2, off, s[0:3], 0 offset:228
	buffer_store_dword v1, off, s[0:3], 0 offset:224
	buffer_store_dword v4, off, s[0:3], 0 offset:236
	buffer_store_dword v3, off, s[0:3], 0 offset:232
.LBB44_463:
	s_or_b32 exec_lo, exec_lo, s4
	v_mov_b32_e32 v4, s37
	s_mov_b32 s4, exec_lo
	s_clause 0x3
	buffer_load_dword v1, v4, s[0:3], 0 offen
	buffer_load_dword v2, v4, s[0:3], 0 offen offset:4
	buffer_load_dword v3, v4, s[0:3], 0 offen offset:8
	;; [unrolled: 1-line block ×3, first 2 shown]
	s_waitcnt vmcnt(0)
	ds_write_b128 v6, v[1:4]
	s_waitcnt lgkmcnt(0)
	s_waitcnt_vscnt null, 0x0
	s_barrier
	buffer_gl0_inv
	v_cmpx_gt_u32_e32 15, v0
	s_cbranch_execz .LBB44_471
; %bb.464:
	ds_read_b128 v[1:4], v6
	v_cmp_ne_u32_e32 vcc_lo, 1, v7
	s_cbranch_vccnz .LBB44_466
; %bb.465:
	s_clause 0x3
	buffer_load_dword v8, v5, s[0:3], 0 offen offset:8
	buffer_load_dword v9, v5, s[0:3], 0 offen offset:12
	buffer_load_dword v10, v5, s[0:3], 0 offen
	buffer_load_dword v11, v5, s[0:3], 0 offen offset:4
	s_waitcnt vmcnt(2) lgkmcnt(0)
	v_mul_f64 v[12:13], v[3:4], v[8:9]
	v_mul_f64 v[8:9], v[1:2], v[8:9]
	s_waitcnt vmcnt(0)
	v_fma_f64 v[1:2], v[1:2], v[10:11], -v[12:13]
	v_fma_f64 v[3:4], v[3:4], v[10:11], v[8:9]
.LBB44_466:
	s_mov_b32 s8, exec_lo
	v_cmpx_ne_u32_e32 14, v0
	s_cbranch_execz .LBB44_470
; %bb.467:
	v_add_nc_u32_e32 v8, 0x2e0, v119
	v_add3_u32 v9, 0, v119, 16
	v_mov_b32_e32 v10, v0
	s_mov_b32 s52, 0
	.p2align	6
.LBB44_468:                             ; =>This Inner Loop Header: Depth=1
	s_clause 0x3
	buffer_load_dword v15, v9, s[0:3], 0 offen offset:8
	buffer_load_dword v16, v9, s[0:3], 0 offen offset:12
	buffer_load_dword v17, v9, s[0:3], 0 offen
	buffer_load_dword v18, v9, s[0:3], 0 offen offset:4
	ds_read_b128 v[11:14], v8
	v_add_nc_u32_e32 v10, 1, v10
	v_add_nc_u32_e32 v8, 16, v8
	;; [unrolled: 1-line block ×3, first 2 shown]
	v_cmp_lt_u32_e32 vcc_lo, 13, v10
	s_or_b32 s52, vcc_lo, s52
	s_waitcnt vmcnt(2) lgkmcnt(0)
	v_mul_f64 v[19:20], v[13:14], v[15:16]
	v_mul_f64 v[15:16], v[11:12], v[15:16]
	s_waitcnt vmcnt(0)
	v_fma_f64 v[11:12], v[11:12], v[17:18], -v[19:20]
	v_fma_f64 v[13:14], v[13:14], v[17:18], v[15:16]
	v_add_f64 v[1:2], v[1:2], v[11:12]
	v_add_f64 v[3:4], v[3:4], v[13:14]
	s_andn2_b32 exec_lo, exec_lo, s52
	s_cbranch_execnz .LBB44_468
; %bb.469:
	s_or_b32 exec_lo, exec_lo, s52
.LBB44_470:
	s_or_b32 exec_lo, exec_lo, s8
	v_mov_b32_e32 v8, 0
	ds_read_b128 v[8:11], v8 offset:240
	s_waitcnt lgkmcnt(0)
	v_mul_f64 v[12:13], v[3:4], v[10:11]
	v_mul_f64 v[10:11], v[1:2], v[10:11]
	v_fma_f64 v[1:2], v[1:2], v[8:9], -v[12:13]
	v_fma_f64 v[3:4], v[3:4], v[8:9], v[10:11]
	buffer_store_dword v2, off, s[0:3], 0 offset:244
	buffer_store_dword v1, off, s[0:3], 0 offset:240
	;; [unrolled: 1-line block ×4, first 2 shown]
.LBB44_471:
	s_or_b32 exec_lo, exec_lo, s4
	v_mov_b32_e32 v4, s36
	s_mov_b32 s4, exec_lo
	s_clause 0x3
	buffer_load_dword v1, v4, s[0:3], 0 offen
	buffer_load_dword v2, v4, s[0:3], 0 offen offset:4
	buffer_load_dword v3, v4, s[0:3], 0 offen offset:8
	;; [unrolled: 1-line block ×3, first 2 shown]
	s_waitcnt vmcnt(0)
	ds_write_b128 v6, v[1:4]
	s_waitcnt lgkmcnt(0)
	s_waitcnt_vscnt null, 0x0
	s_barrier
	buffer_gl0_inv
	v_cmpx_gt_u32_e32 16, v0
	s_cbranch_execz .LBB44_479
; %bb.472:
	ds_read_b128 v[1:4], v6
	v_cmp_ne_u32_e32 vcc_lo, 1, v7
	s_cbranch_vccnz .LBB44_474
; %bb.473:
	s_clause 0x3
	buffer_load_dword v8, v5, s[0:3], 0 offen offset:8
	buffer_load_dword v9, v5, s[0:3], 0 offen offset:12
	buffer_load_dword v10, v5, s[0:3], 0 offen
	buffer_load_dword v11, v5, s[0:3], 0 offen offset:4
	s_waitcnt vmcnt(2) lgkmcnt(0)
	v_mul_f64 v[12:13], v[3:4], v[8:9]
	v_mul_f64 v[8:9], v[1:2], v[8:9]
	s_waitcnt vmcnt(0)
	v_fma_f64 v[1:2], v[1:2], v[10:11], -v[12:13]
	v_fma_f64 v[3:4], v[3:4], v[10:11], v[8:9]
.LBB44_474:
	s_mov_b32 s8, exec_lo
	v_cmpx_ne_u32_e32 15, v0
	s_cbranch_execz .LBB44_478
; %bb.475:
	v_add_nc_u32_e32 v8, 0x2e0, v119
	v_add3_u32 v9, 0, v119, 16
	v_mov_b32_e32 v10, v0
	s_mov_b32 s52, 0
	.p2align	6
.LBB44_476:                             ; =>This Inner Loop Header: Depth=1
	s_clause 0x3
	buffer_load_dword v15, v9, s[0:3], 0 offen offset:8
	buffer_load_dword v16, v9, s[0:3], 0 offen offset:12
	buffer_load_dword v17, v9, s[0:3], 0 offen
	buffer_load_dword v18, v9, s[0:3], 0 offen offset:4
	ds_read_b128 v[11:14], v8
	v_add_nc_u32_e32 v10, 1, v10
	v_add_nc_u32_e32 v8, 16, v8
	;; [unrolled: 1-line block ×3, first 2 shown]
	v_cmp_lt_u32_e32 vcc_lo, 14, v10
	s_or_b32 s52, vcc_lo, s52
	s_waitcnt vmcnt(2) lgkmcnt(0)
	v_mul_f64 v[19:20], v[13:14], v[15:16]
	v_mul_f64 v[15:16], v[11:12], v[15:16]
	s_waitcnt vmcnt(0)
	v_fma_f64 v[11:12], v[11:12], v[17:18], -v[19:20]
	v_fma_f64 v[13:14], v[13:14], v[17:18], v[15:16]
	v_add_f64 v[1:2], v[1:2], v[11:12]
	v_add_f64 v[3:4], v[3:4], v[13:14]
	s_andn2_b32 exec_lo, exec_lo, s52
	s_cbranch_execnz .LBB44_476
; %bb.477:
	s_or_b32 exec_lo, exec_lo, s52
.LBB44_478:
	s_or_b32 exec_lo, exec_lo, s8
	v_mov_b32_e32 v8, 0
	ds_read_b128 v[8:11], v8 offset:256
	s_waitcnt lgkmcnt(0)
	v_mul_f64 v[12:13], v[3:4], v[10:11]
	v_mul_f64 v[10:11], v[1:2], v[10:11]
	v_fma_f64 v[1:2], v[1:2], v[8:9], -v[12:13]
	v_fma_f64 v[3:4], v[3:4], v[8:9], v[10:11]
	buffer_store_dword v2, off, s[0:3], 0 offset:260
	buffer_store_dword v1, off, s[0:3], 0 offset:256
	;; [unrolled: 1-line block ×4, first 2 shown]
.LBB44_479:
	s_or_b32 exec_lo, exec_lo, s4
	v_mov_b32_e32 v4, s35
	s_mov_b32 s4, exec_lo
	s_clause 0x3
	buffer_load_dword v1, v4, s[0:3], 0 offen
	buffer_load_dword v2, v4, s[0:3], 0 offen offset:4
	buffer_load_dword v3, v4, s[0:3], 0 offen offset:8
	buffer_load_dword v4, v4, s[0:3], 0 offen offset:12
	s_waitcnt vmcnt(0)
	ds_write_b128 v6, v[1:4]
	s_waitcnt lgkmcnt(0)
	s_waitcnt_vscnt null, 0x0
	s_barrier
	buffer_gl0_inv
	v_cmpx_gt_u32_e32 17, v0
	s_cbranch_execz .LBB44_487
; %bb.480:
	ds_read_b128 v[1:4], v6
	v_cmp_ne_u32_e32 vcc_lo, 1, v7
	s_cbranch_vccnz .LBB44_482
; %bb.481:
	s_clause 0x3
	buffer_load_dword v8, v5, s[0:3], 0 offen offset:8
	buffer_load_dword v9, v5, s[0:3], 0 offen offset:12
	buffer_load_dword v10, v5, s[0:3], 0 offen
	buffer_load_dword v11, v5, s[0:3], 0 offen offset:4
	s_waitcnt vmcnt(2) lgkmcnt(0)
	v_mul_f64 v[12:13], v[3:4], v[8:9]
	v_mul_f64 v[8:9], v[1:2], v[8:9]
	s_waitcnt vmcnt(0)
	v_fma_f64 v[1:2], v[1:2], v[10:11], -v[12:13]
	v_fma_f64 v[3:4], v[3:4], v[10:11], v[8:9]
.LBB44_482:
	s_mov_b32 s8, exec_lo
	v_cmpx_ne_u32_e32 16, v0
	s_cbranch_execz .LBB44_486
; %bb.483:
	v_add_nc_u32_e32 v8, 0x2e0, v119
	v_add3_u32 v9, 0, v119, 16
	v_mov_b32_e32 v10, v0
	s_mov_b32 s52, 0
	.p2align	6
.LBB44_484:                             ; =>This Inner Loop Header: Depth=1
	s_clause 0x3
	buffer_load_dword v15, v9, s[0:3], 0 offen offset:8
	buffer_load_dword v16, v9, s[0:3], 0 offen offset:12
	buffer_load_dword v17, v9, s[0:3], 0 offen
	buffer_load_dword v18, v9, s[0:3], 0 offen offset:4
	ds_read_b128 v[11:14], v8
	v_add_nc_u32_e32 v10, 1, v10
	v_add_nc_u32_e32 v8, 16, v8
	;; [unrolled: 1-line block ×3, first 2 shown]
	v_cmp_lt_u32_e32 vcc_lo, 15, v10
	s_or_b32 s52, vcc_lo, s52
	s_waitcnt vmcnt(2) lgkmcnt(0)
	v_mul_f64 v[19:20], v[13:14], v[15:16]
	v_mul_f64 v[15:16], v[11:12], v[15:16]
	s_waitcnt vmcnt(0)
	v_fma_f64 v[11:12], v[11:12], v[17:18], -v[19:20]
	v_fma_f64 v[13:14], v[13:14], v[17:18], v[15:16]
	v_add_f64 v[1:2], v[1:2], v[11:12]
	v_add_f64 v[3:4], v[3:4], v[13:14]
	s_andn2_b32 exec_lo, exec_lo, s52
	s_cbranch_execnz .LBB44_484
; %bb.485:
	s_or_b32 exec_lo, exec_lo, s52
.LBB44_486:
	s_or_b32 exec_lo, exec_lo, s8
	v_mov_b32_e32 v8, 0
	ds_read_b128 v[8:11], v8 offset:272
	s_waitcnt lgkmcnt(0)
	v_mul_f64 v[12:13], v[3:4], v[10:11]
	v_mul_f64 v[10:11], v[1:2], v[10:11]
	v_fma_f64 v[1:2], v[1:2], v[8:9], -v[12:13]
	v_fma_f64 v[3:4], v[3:4], v[8:9], v[10:11]
	buffer_store_dword v2, off, s[0:3], 0 offset:276
	buffer_store_dword v1, off, s[0:3], 0 offset:272
	;; [unrolled: 1-line block ×4, first 2 shown]
.LBB44_487:
	s_or_b32 exec_lo, exec_lo, s4
	v_mov_b32_e32 v4, s34
	s_mov_b32 s4, exec_lo
	s_clause 0x3
	buffer_load_dword v1, v4, s[0:3], 0 offen
	buffer_load_dword v2, v4, s[0:3], 0 offen offset:4
	buffer_load_dword v3, v4, s[0:3], 0 offen offset:8
	buffer_load_dword v4, v4, s[0:3], 0 offen offset:12
	s_waitcnt vmcnt(0)
	ds_write_b128 v6, v[1:4]
	s_waitcnt lgkmcnt(0)
	s_waitcnt_vscnt null, 0x0
	s_barrier
	buffer_gl0_inv
	v_cmpx_gt_u32_e32 18, v0
	s_cbranch_execz .LBB44_495
; %bb.488:
	ds_read_b128 v[1:4], v6
	v_cmp_ne_u32_e32 vcc_lo, 1, v7
	s_cbranch_vccnz .LBB44_490
; %bb.489:
	s_clause 0x3
	buffer_load_dword v8, v5, s[0:3], 0 offen offset:8
	buffer_load_dword v9, v5, s[0:3], 0 offen offset:12
	buffer_load_dword v10, v5, s[0:3], 0 offen
	buffer_load_dword v11, v5, s[0:3], 0 offen offset:4
	s_waitcnt vmcnt(2) lgkmcnt(0)
	v_mul_f64 v[12:13], v[3:4], v[8:9]
	v_mul_f64 v[8:9], v[1:2], v[8:9]
	s_waitcnt vmcnt(0)
	v_fma_f64 v[1:2], v[1:2], v[10:11], -v[12:13]
	v_fma_f64 v[3:4], v[3:4], v[10:11], v[8:9]
.LBB44_490:
	s_mov_b32 s8, exec_lo
	v_cmpx_ne_u32_e32 17, v0
	s_cbranch_execz .LBB44_494
; %bb.491:
	v_add_nc_u32_e32 v8, 0x2e0, v119
	v_add3_u32 v9, 0, v119, 16
	v_mov_b32_e32 v10, v0
	s_mov_b32 s52, 0
	.p2align	6
.LBB44_492:                             ; =>This Inner Loop Header: Depth=1
	s_clause 0x3
	buffer_load_dword v15, v9, s[0:3], 0 offen offset:8
	buffer_load_dword v16, v9, s[0:3], 0 offen offset:12
	buffer_load_dword v17, v9, s[0:3], 0 offen
	buffer_load_dword v18, v9, s[0:3], 0 offen offset:4
	ds_read_b128 v[11:14], v8
	v_add_nc_u32_e32 v10, 1, v10
	v_add_nc_u32_e32 v8, 16, v8
	;; [unrolled: 1-line block ×3, first 2 shown]
	v_cmp_lt_u32_e32 vcc_lo, 16, v10
	s_or_b32 s52, vcc_lo, s52
	s_waitcnt vmcnt(2) lgkmcnt(0)
	v_mul_f64 v[19:20], v[13:14], v[15:16]
	v_mul_f64 v[15:16], v[11:12], v[15:16]
	s_waitcnt vmcnt(0)
	v_fma_f64 v[11:12], v[11:12], v[17:18], -v[19:20]
	v_fma_f64 v[13:14], v[13:14], v[17:18], v[15:16]
	v_add_f64 v[1:2], v[1:2], v[11:12]
	v_add_f64 v[3:4], v[3:4], v[13:14]
	s_andn2_b32 exec_lo, exec_lo, s52
	s_cbranch_execnz .LBB44_492
; %bb.493:
	s_or_b32 exec_lo, exec_lo, s52
.LBB44_494:
	s_or_b32 exec_lo, exec_lo, s8
	v_mov_b32_e32 v8, 0
	ds_read_b128 v[8:11], v8 offset:288
	s_waitcnt lgkmcnt(0)
	v_mul_f64 v[12:13], v[3:4], v[10:11]
	v_mul_f64 v[10:11], v[1:2], v[10:11]
	v_fma_f64 v[1:2], v[1:2], v[8:9], -v[12:13]
	v_fma_f64 v[3:4], v[3:4], v[8:9], v[10:11]
	buffer_store_dword v2, off, s[0:3], 0 offset:292
	buffer_store_dword v1, off, s[0:3], 0 offset:288
	;; [unrolled: 1-line block ×4, first 2 shown]
.LBB44_495:
	s_or_b32 exec_lo, exec_lo, s4
	v_mov_b32_e32 v4, s33
	s_mov_b32 s4, exec_lo
	s_clause 0x3
	buffer_load_dword v1, v4, s[0:3], 0 offen
	buffer_load_dword v2, v4, s[0:3], 0 offen offset:4
	buffer_load_dword v3, v4, s[0:3], 0 offen offset:8
	;; [unrolled: 1-line block ×3, first 2 shown]
	s_waitcnt vmcnt(0)
	ds_write_b128 v6, v[1:4]
	s_waitcnt lgkmcnt(0)
	s_waitcnt_vscnt null, 0x0
	s_barrier
	buffer_gl0_inv
	v_cmpx_gt_u32_e32 19, v0
	s_cbranch_execz .LBB44_503
; %bb.496:
	ds_read_b128 v[1:4], v6
	v_cmp_ne_u32_e32 vcc_lo, 1, v7
	s_cbranch_vccnz .LBB44_498
; %bb.497:
	s_clause 0x3
	buffer_load_dword v8, v5, s[0:3], 0 offen offset:8
	buffer_load_dword v9, v5, s[0:3], 0 offen offset:12
	buffer_load_dword v10, v5, s[0:3], 0 offen
	buffer_load_dword v11, v5, s[0:3], 0 offen offset:4
	s_waitcnt vmcnt(2) lgkmcnt(0)
	v_mul_f64 v[12:13], v[3:4], v[8:9]
	v_mul_f64 v[8:9], v[1:2], v[8:9]
	s_waitcnt vmcnt(0)
	v_fma_f64 v[1:2], v[1:2], v[10:11], -v[12:13]
	v_fma_f64 v[3:4], v[3:4], v[10:11], v[8:9]
.LBB44_498:
	s_mov_b32 s8, exec_lo
	v_cmpx_ne_u32_e32 18, v0
	s_cbranch_execz .LBB44_502
; %bb.499:
	v_add_nc_u32_e32 v8, 0x2e0, v119
	v_add3_u32 v9, 0, v119, 16
	v_mov_b32_e32 v10, v0
	s_mov_b32 s52, 0
	.p2align	6
.LBB44_500:                             ; =>This Inner Loop Header: Depth=1
	s_clause 0x3
	buffer_load_dword v15, v9, s[0:3], 0 offen offset:8
	buffer_load_dword v16, v9, s[0:3], 0 offen offset:12
	buffer_load_dword v17, v9, s[0:3], 0 offen
	buffer_load_dword v18, v9, s[0:3], 0 offen offset:4
	ds_read_b128 v[11:14], v8
	v_add_nc_u32_e32 v10, 1, v10
	v_add_nc_u32_e32 v8, 16, v8
	;; [unrolled: 1-line block ×3, first 2 shown]
	v_cmp_lt_u32_e32 vcc_lo, 17, v10
	s_or_b32 s52, vcc_lo, s52
	s_waitcnt vmcnt(2) lgkmcnt(0)
	v_mul_f64 v[19:20], v[13:14], v[15:16]
	v_mul_f64 v[15:16], v[11:12], v[15:16]
	s_waitcnt vmcnt(0)
	v_fma_f64 v[11:12], v[11:12], v[17:18], -v[19:20]
	v_fma_f64 v[13:14], v[13:14], v[17:18], v[15:16]
	v_add_f64 v[1:2], v[1:2], v[11:12]
	v_add_f64 v[3:4], v[3:4], v[13:14]
	s_andn2_b32 exec_lo, exec_lo, s52
	s_cbranch_execnz .LBB44_500
; %bb.501:
	s_or_b32 exec_lo, exec_lo, s52
.LBB44_502:
	s_or_b32 exec_lo, exec_lo, s8
	v_mov_b32_e32 v8, 0
	ds_read_b128 v[8:11], v8 offset:304
	s_waitcnt lgkmcnt(0)
	v_mul_f64 v[12:13], v[3:4], v[10:11]
	v_mul_f64 v[10:11], v[1:2], v[10:11]
	v_fma_f64 v[1:2], v[1:2], v[8:9], -v[12:13]
	v_fma_f64 v[3:4], v[3:4], v[8:9], v[10:11]
	buffer_store_dword v2, off, s[0:3], 0 offset:308
	buffer_store_dword v1, off, s[0:3], 0 offset:304
	;; [unrolled: 1-line block ×4, first 2 shown]
.LBB44_503:
	s_or_b32 exec_lo, exec_lo, s4
	v_mov_b32_e32 v4, s31
	s_mov_b32 s4, exec_lo
	s_clause 0x3
	buffer_load_dword v1, v4, s[0:3], 0 offen
	buffer_load_dword v2, v4, s[0:3], 0 offen offset:4
	buffer_load_dword v3, v4, s[0:3], 0 offen offset:8
	;; [unrolled: 1-line block ×3, first 2 shown]
	s_waitcnt vmcnt(0)
	ds_write_b128 v6, v[1:4]
	s_waitcnt lgkmcnt(0)
	s_waitcnt_vscnt null, 0x0
	s_barrier
	buffer_gl0_inv
	v_cmpx_gt_u32_e32 20, v0
	s_cbranch_execz .LBB44_511
; %bb.504:
	ds_read_b128 v[1:4], v6
	v_cmp_ne_u32_e32 vcc_lo, 1, v7
	s_cbranch_vccnz .LBB44_506
; %bb.505:
	s_clause 0x3
	buffer_load_dword v8, v5, s[0:3], 0 offen offset:8
	buffer_load_dword v9, v5, s[0:3], 0 offen offset:12
	buffer_load_dword v10, v5, s[0:3], 0 offen
	buffer_load_dword v11, v5, s[0:3], 0 offen offset:4
	s_waitcnt vmcnt(2) lgkmcnt(0)
	v_mul_f64 v[12:13], v[3:4], v[8:9]
	v_mul_f64 v[8:9], v[1:2], v[8:9]
	s_waitcnt vmcnt(0)
	v_fma_f64 v[1:2], v[1:2], v[10:11], -v[12:13]
	v_fma_f64 v[3:4], v[3:4], v[10:11], v[8:9]
.LBB44_506:
	s_mov_b32 s8, exec_lo
	v_cmpx_ne_u32_e32 19, v0
	s_cbranch_execz .LBB44_510
; %bb.507:
	v_add_nc_u32_e32 v8, 0x2e0, v119
	v_add3_u32 v9, 0, v119, 16
	v_mov_b32_e32 v10, v0
	s_mov_b32 s52, 0
	.p2align	6
.LBB44_508:                             ; =>This Inner Loop Header: Depth=1
	s_clause 0x3
	buffer_load_dword v15, v9, s[0:3], 0 offen offset:8
	buffer_load_dword v16, v9, s[0:3], 0 offen offset:12
	buffer_load_dword v17, v9, s[0:3], 0 offen
	buffer_load_dword v18, v9, s[0:3], 0 offen offset:4
	ds_read_b128 v[11:14], v8
	v_add_nc_u32_e32 v10, 1, v10
	v_add_nc_u32_e32 v8, 16, v8
	;; [unrolled: 1-line block ×3, first 2 shown]
	v_cmp_lt_u32_e32 vcc_lo, 18, v10
	s_or_b32 s52, vcc_lo, s52
	s_waitcnt vmcnt(2) lgkmcnt(0)
	v_mul_f64 v[19:20], v[13:14], v[15:16]
	v_mul_f64 v[15:16], v[11:12], v[15:16]
	s_waitcnt vmcnt(0)
	v_fma_f64 v[11:12], v[11:12], v[17:18], -v[19:20]
	v_fma_f64 v[13:14], v[13:14], v[17:18], v[15:16]
	v_add_f64 v[1:2], v[1:2], v[11:12]
	v_add_f64 v[3:4], v[3:4], v[13:14]
	s_andn2_b32 exec_lo, exec_lo, s52
	s_cbranch_execnz .LBB44_508
; %bb.509:
	s_or_b32 exec_lo, exec_lo, s52
.LBB44_510:
	s_or_b32 exec_lo, exec_lo, s8
	v_mov_b32_e32 v8, 0
	ds_read_b128 v[8:11], v8 offset:320
	s_waitcnt lgkmcnt(0)
	v_mul_f64 v[12:13], v[3:4], v[10:11]
	v_mul_f64 v[10:11], v[1:2], v[10:11]
	v_fma_f64 v[1:2], v[1:2], v[8:9], -v[12:13]
	v_fma_f64 v[3:4], v[3:4], v[8:9], v[10:11]
	buffer_store_dword v2, off, s[0:3], 0 offset:324
	buffer_store_dword v1, off, s[0:3], 0 offset:320
	;; [unrolled: 1-line block ×4, first 2 shown]
.LBB44_511:
	s_or_b32 exec_lo, exec_lo, s4
	v_mov_b32_e32 v4, s30
	s_mov_b32 s4, exec_lo
	s_clause 0x3
	buffer_load_dword v1, v4, s[0:3], 0 offen
	buffer_load_dword v2, v4, s[0:3], 0 offen offset:4
	buffer_load_dword v3, v4, s[0:3], 0 offen offset:8
	;; [unrolled: 1-line block ×3, first 2 shown]
	s_waitcnt vmcnt(0)
	ds_write_b128 v6, v[1:4]
	s_waitcnt lgkmcnt(0)
	s_waitcnt_vscnt null, 0x0
	s_barrier
	buffer_gl0_inv
	v_cmpx_gt_u32_e32 21, v0
	s_cbranch_execz .LBB44_519
; %bb.512:
	ds_read_b128 v[1:4], v6
	v_cmp_ne_u32_e32 vcc_lo, 1, v7
	s_cbranch_vccnz .LBB44_514
; %bb.513:
	s_clause 0x3
	buffer_load_dword v8, v5, s[0:3], 0 offen offset:8
	buffer_load_dword v9, v5, s[0:3], 0 offen offset:12
	buffer_load_dword v10, v5, s[0:3], 0 offen
	buffer_load_dword v11, v5, s[0:3], 0 offen offset:4
	s_waitcnt vmcnt(2) lgkmcnt(0)
	v_mul_f64 v[12:13], v[3:4], v[8:9]
	v_mul_f64 v[8:9], v[1:2], v[8:9]
	s_waitcnt vmcnt(0)
	v_fma_f64 v[1:2], v[1:2], v[10:11], -v[12:13]
	v_fma_f64 v[3:4], v[3:4], v[10:11], v[8:9]
.LBB44_514:
	s_mov_b32 s8, exec_lo
	v_cmpx_ne_u32_e32 20, v0
	s_cbranch_execz .LBB44_518
; %bb.515:
	v_add_nc_u32_e32 v8, 0x2e0, v119
	v_add3_u32 v9, 0, v119, 16
	v_mov_b32_e32 v10, v0
	s_mov_b32 s52, 0
	.p2align	6
.LBB44_516:                             ; =>This Inner Loop Header: Depth=1
	s_clause 0x3
	buffer_load_dword v15, v9, s[0:3], 0 offen offset:8
	buffer_load_dword v16, v9, s[0:3], 0 offen offset:12
	buffer_load_dword v17, v9, s[0:3], 0 offen
	buffer_load_dword v18, v9, s[0:3], 0 offen offset:4
	ds_read_b128 v[11:14], v8
	v_add_nc_u32_e32 v10, 1, v10
	v_add_nc_u32_e32 v8, 16, v8
	;; [unrolled: 1-line block ×3, first 2 shown]
	v_cmp_lt_u32_e32 vcc_lo, 19, v10
	s_or_b32 s52, vcc_lo, s52
	s_waitcnt vmcnt(2) lgkmcnt(0)
	v_mul_f64 v[19:20], v[13:14], v[15:16]
	v_mul_f64 v[15:16], v[11:12], v[15:16]
	s_waitcnt vmcnt(0)
	v_fma_f64 v[11:12], v[11:12], v[17:18], -v[19:20]
	v_fma_f64 v[13:14], v[13:14], v[17:18], v[15:16]
	v_add_f64 v[1:2], v[1:2], v[11:12]
	v_add_f64 v[3:4], v[3:4], v[13:14]
	s_andn2_b32 exec_lo, exec_lo, s52
	s_cbranch_execnz .LBB44_516
; %bb.517:
	s_or_b32 exec_lo, exec_lo, s52
.LBB44_518:
	s_or_b32 exec_lo, exec_lo, s8
	v_mov_b32_e32 v8, 0
	ds_read_b128 v[8:11], v8 offset:336
	s_waitcnt lgkmcnt(0)
	v_mul_f64 v[12:13], v[3:4], v[10:11]
	v_mul_f64 v[10:11], v[1:2], v[10:11]
	v_fma_f64 v[1:2], v[1:2], v[8:9], -v[12:13]
	v_fma_f64 v[3:4], v[3:4], v[8:9], v[10:11]
	buffer_store_dword v2, off, s[0:3], 0 offset:340
	buffer_store_dword v1, off, s[0:3], 0 offset:336
	;; [unrolled: 1-line block ×4, first 2 shown]
.LBB44_519:
	s_or_b32 exec_lo, exec_lo, s4
	v_mov_b32_e32 v4, s29
	s_mov_b32 s4, exec_lo
	s_clause 0x3
	buffer_load_dword v1, v4, s[0:3], 0 offen
	buffer_load_dword v2, v4, s[0:3], 0 offen offset:4
	buffer_load_dword v3, v4, s[0:3], 0 offen offset:8
	;; [unrolled: 1-line block ×3, first 2 shown]
	s_waitcnt vmcnt(0)
	ds_write_b128 v6, v[1:4]
	s_waitcnt lgkmcnt(0)
	s_waitcnt_vscnt null, 0x0
	s_barrier
	buffer_gl0_inv
	v_cmpx_gt_u32_e32 22, v0
	s_cbranch_execz .LBB44_527
; %bb.520:
	ds_read_b128 v[1:4], v6
	v_cmp_ne_u32_e32 vcc_lo, 1, v7
	s_cbranch_vccnz .LBB44_522
; %bb.521:
	s_clause 0x3
	buffer_load_dword v8, v5, s[0:3], 0 offen offset:8
	buffer_load_dword v9, v5, s[0:3], 0 offen offset:12
	buffer_load_dword v10, v5, s[0:3], 0 offen
	buffer_load_dword v11, v5, s[0:3], 0 offen offset:4
	s_waitcnt vmcnt(2) lgkmcnt(0)
	v_mul_f64 v[12:13], v[3:4], v[8:9]
	v_mul_f64 v[8:9], v[1:2], v[8:9]
	s_waitcnt vmcnt(0)
	v_fma_f64 v[1:2], v[1:2], v[10:11], -v[12:13]
	v_fma_f64 v[3:4], v[3:4], v[10:11], v[8:9]
.LBB44_522:
	s_mov_b32 s8, exec_lo
	v_cmpx_ne_u32_e32 21, v0
	s_cbranch_execz .LBB44_526
; %bb.523:
	v_add_nc_u32_e32 v8, 0x2e0, v119
	v_add3_u32 v9, 0, v119, 16
	v_mov_b32_e32 v10, v0
	s_mov_b32 s52, 0
	.p2align	6
.LBB44_524:                             ; =>This Inner Loop Header: Depth=1
	s_clause 0x3
	buffer_load_dword v15, v9, s[0:3], 0 offen offset:8
	buffer_load_dword v16, v9, s[0:3], 0 offen offset:12
	buffer_load_dword v17, v9, s[0:3], 0 offen
	buffer_load_dword v18, v9, s[0:3], 0 offen offset:4
	ds_read_b128 v[11:14], v8
	v_add_nc_u32_e32 v10, 1, v10
	v_add_nc_u32_e32 v8, 16, v8
	;; [unrolled: 1-line block ×3, first 2 shown]
	v_cmp_lt_u32_e32 vcc_lo, 20, v10
	s_or_b32 s52, vcc_lo, s52
	s_waitcnt vmcnt(2) lgkmcnt(0)
	v_mul_f64 v[19:20], v[13:14], v[15:16]
	v_mul_f64 v[15:16], v[11:12], v[15:16]
	s_waitcnt vmcnt(0)
	v_fma_f64 v[11:12], v[11:12], v[17:18], -v[19:20]
	v_fma_f64 v[13:14], v[13:14], v[17:18], v[15:16]
	v_add_f64 v[1:2], v[1:2], v[11:12]
	v_add_f64 v[3:4], v[3:4], v[13:14]
	s_andn2_b32 exec_lo, exec_lo, s52
	s_cbranch_execnz .LBB44_524
; %bb.525:
	s_or_b32 exec_lo, exec_lo, s52
.LBB44_526:
	s_or_b32 exec_lo, exec_lo, s8
	v_mov_b32_e32 v8, 0
	ds_read_b128 v[8:11], v8 offset:352
	s_waitcnt lgkmcnt(0)
	v_mul_f64 v[12:13], v[3:4], v[10:11]
	v_mul_f64 v[10:11], v[1:2], v[10:11]
	v_fma_f64 v[1:2], v[1:2], v[8:9], -v[12:13]
	v_fma_f64 v[3:4], v[3:4], v[8:9], v[10:11]
	buffer_store_dword v2, off, s[0:3], 0 offset:356
	buffer_store_dword v1, off, s[0:3], 0 offset:352
	;; [unrolled: 1-line block ×4, first 2 shown]
.LBB44_527:
	s_or_b32 exec_lo, exec_lo, s4
	v_mov_b32_e32 v4, s28
	s_mov_b32 s4, exec_lo
	s_clause 0x3
	buffer_load_dword v1, v4, s[0:3], 0 offen
	buffer_load_dword v2, v4, s[0:3], 0 offen offset:4
	buffer_load_dword v3, v4, s[0:3], 0 offen offset:8
	;; [unrolled: 1-line block ×3, first 2 shown]
	s_waitcnt vmcnt(0)
	ds_write_b128 v6, v[1:4]
	s_waitcnt lgkmcnt(0)
	s_waitcnt_vscnt null, 0x0
	s_barrier
	buffer_gl0_inv
	v_cmpx_gt_u32_e32 23, v0
	s_cbranch_execz .LBB44_535
; %bb.528:
	ds_read_b128 v[1:4], v6
	v_cmp_ne_u32_e32 vcc_lo, 1, v7
	s_cbranch_vccnz .LBB44_530
; %bb.529:
	s_clause 0x3
	buffer_load_dword v8, v5, s[0:3], 0 offen offset:8
	buffer_load_dword v9, v5, s[0:3], 0 offen offset:12
	buffer_load_dword v10, v5, s[0:3], 0 offen
	buffer_load_dword v11, v5, s[0:3], 0 offen offset:4
	s_waitcnt vmcnt(2) lgkmcnt(0)
	v_mul_f64 v[12:13], v[3:4], v[8:9]
	v_mul_f64 v[8:9], v[1:2], v[8:9]
	s_waitcnt vmcnt(0)
	v_fma_f64 v[1:2], v[1:2], v[10:11], -v[12:13]
	v_fma_f64 v[3:4], v[3:4], v[10:11], v[8:9]
.LBB44_530:
	s_mov_b32 s8, exec_lo
	v_cmpx_ne_u32_e32 22, v0
	s_cbranch_execz .LBB44_534
; %bb.531:
	v_add_nc_u32_e32 v8, 0x2e0, v119
	v_add3_u32 v9, 0, v119, 16
	v_mov_b32_e32 v10, v0
	s_mov_b32 s52, 0
	.p2align	6
.LBB44_532:                             ; =>This Inner Loop Header: Depth=1
	s_clause 0x3
	buffer_load_dword v15, v9, s[0:3], 0 offen offset:8
	buffer_load_dword v16, v9, s[0:3], 0 offen offset:12
	buffer_load_dword v17, v9, s[0:3], 0 offen
	buffer_load_dword v18, v9, s[0:3], 0 offen offset:4
	ds_read_b128 v[11:14], v8
	v_add_nc_u32_e32 v10, 1, v10
	v_add_nc_u32_e32 v8, 16, v8
	;; [unrolled: 1-line block ×3, first 2 shown]
	v_cmp_lt_u32_e32 vcc_lo, 21, v10
	s_or_b32 s52, vcc_lo, s52
	s_waitcnt vmcnt(2) lgkmcnt(0)
	v_mul_f64 v[19:20], v[13:14], v[15:16]
	v_mul_f64 v[15:16], v[11:12], v[15:16]
	s_waitcnt vmcnt(0)
	v_fma_f64 v[11:12], v[11:12], v[17:18], -v[19:20]
	v_fma_f64 v[13:14], v[13:14], v[17:18], v[15:16]
	v_add_f64 v[1:2], v[1:2], v[11:12]
	v_add_f64 v[3:4], v[3:4], v[13:14]
	s_andn2_b32 exec_lo, exec_lo, s52
	s_cbranch_execnz .LBB44_532
; %bb.533:
	s_or_b32 exec_lo, exec_lo, s52
.LBB44_534:
	s_or_b32 exec_lo, exec_lo, s8
	v_mov_b32_e32 v8, 0
	ds_read_b128 v[8:11], v8 offset:368
	s_waitcnt lgkmcnt(0)
	v_mul_f64 v[12:13], v[3:4], v[10:11]
	v_mul_f64 v[10:11], v[1:2], v[10:11]
	v_fma_f64 v[1:2], v[1:2], v[8:9], -v[12:13]
	v_fma_f64 v[3:4], v[3:4], v[8:9], v[10:11]
	buffer_store_dword v2, off, s[0:3], 0 offset:372
	buffer_store_dword v1, off, s[0:3], 0 offset:368
	;; [unrolled: 1-line block ×4, first 2 shown]
.LBB44_535:
	s_or_b32 exec_lo, exec_lo, s4
	v_mov_b32_e32 v4, s27
	s_mov_b32 s4, exec_lo
	s_clause 0x3
	buffer_load_dword v1, v4, s[0:3], 0 offen
	buffer_load_dword v2, v4, s[0:3], 0 offen offset:4
	buffer_load_dword v3, v4, s[0:3], 0 offen offset:8
	;; [unrolled: 1-line block ×3, first 2 shown]
	s_waitcnt vmcnt(0)
	ds_write_b128 v6, v[1:4]
	s_waitcnt lgkmcnt(0)
	s_waitcnt_vscnt null, 0x0
	s_barrier
	buffer_gl0_inv
	v_cmpx_gt_u32_e32 24, v0
	s_cbranch_execz .LBB44_543
; %bb.536:
	ds_read_b128 v[1:4], v6
	v_cmp_ne_u32_e32 vcc_lo, 1, v7
	s_cbranch_vccnz .LBB44_538
; %bb.537:
	s_clause 0x3
	buffer_load_dword v8, v5, s[0:3], 0 offen offset:8
	buffer_load_dword v9, v5, s[0:3], 0 offen offset:12
	buffer_load_dword v10, v5, s[0:3], 0 offen
	buffer_load_dword v11, v5, s[0:3], 0 offen offset:4
	s_waitcnt vmcnt(2) lgkmcnt(0)
	v_mul_f64 v[12:13], v[3:4], v[8:9]
	v_mul_f64 v[8:9], v[1:2], v[8:9]
	s_waitcnt vmcnt(0)
	v_fma_f64 v[1:2], v[1:2], v[10:11], -v[12:13]
	v_fma_f64 v[3:4], v[3:4], v[10:11], v[8:9]
.LBB44_538:
	s_mov_b32 s8, exec_lo
	v_cmpx_ne_u32_e32 23, v0
	s_cbranch_execz .LBB44_542
; %bb.539:
	v_add_nc_u32_e32 v8, 0x2e0, v119
	v_add3_u32 v9, 0, v119, 16
	v_mov_b32_e32 v10, v0
	s_mov_b32 s52, 0
	.p2align	6
.LBB44_540:                             ; =>This Inner Loop Header: Depth=1
	s_clause 0x3
	buffer_load_dword v15, v9, s[0:3], 0 offen offset:8
	buffer_load_dword v16, v9, s[0:3], 0 offen offset:12
	buffer_load_dword v17, v9, s[0:3], 0 offen
	buffer_load_dword v18, v9, s[0:3], 0 offen offset:4
	ds_read_b128 v[11:14], v8
	v_add_nc_u32_e32 v10, 1, v10
	v_add_nc_u32_e32 v8, 16, v8
	;; [unrolled: 1-line block ×3, first 2 shown]
	v_cmp_lt_u32_e32 vcc_lo, 22, v10
	s_or_b32 s52, vcc_lo, s52
	s_waitcnt vmcnt(2) lgkmcnt(0)
	v_mul_f64 v[19:20], v[13:14], v[15:16]
	v_mul_f64 v[15:16], v[11:12], v[15:16]
	s_waitcnt vmcnt(0)
	v_fma_f64 v[11:12], v[11:12], v[17:18], -v[19:20]
	v_fma_f64 v[13:14], v[13:14], v[17:18], v[15:16]
	v_add_f64 v[1:2], v[1:2], v[11:12]
	v_add_f64 v[3:4], v[3:4], v[13:14]
	s_andn2_b32 exec_lo, exec_lo, s52
	s_cbranch_execnz .LBB44_540
; %bb.541:
	s_or_b32 exec_lo, exec_lo, s52
.LBB44_542:
	s_or_b32 exec_lo, exec_lo, s8
	v_mov_b32_e32 v8, 0
	ds_read_b128 v[8:11], v8 offset:384
	s_waitcnt lgkmcnt(0)
	v_mul_f64 v[12:13], v[3:4], v[10:11]
	v_mul_f64 v[10:11], v[1:2], v[10:11]
	v_fma_f64 v[1:2], v[1:2], v[8:9], -v[12:13]
	v_fma_f64 v[3:4], v[3:4], v[8:9], v[10:11]
	buffer_store_dword v2, off, s[0:3], 0 offset:388
	buffer_store_dword v1, off, s[0:3], 0 offset:384
	;; [unrolled: 1-line block ×4, first 2 shown]
.LBB44_543:
	s_or_b32 exec_lo, exec_lo, s4
	v_mov_b32_e32 v4, s26
	s_mov_b32 s4, exec_lo
	s_clause 0x3
	buffer_load_dword v1, v4, s[0:3], 0 offen
	buffer_load_dword v2, v4, s[0:3], 0 offen offset:4
	buffer_load_dword v3, v4, s[0:3], 0 offen offset:8
	;; [unrolled: 1-line block ×3, first 2 shown]
	s_waitcnt vmcnt(0)
	ds_write_b128 v6, v[1:4]
	s_waitcnt lgkmcnt(0)
	s_waitcnt_vscnt null, 0x0
	s_barrier
	buffer_gl0_inv
	v_cmpx_gt_u32_e32 25, v0
	s_cbranch_execz .LBB44_551
; %bb.544:
	ds_read_b128 v[1:4], v6
	v_cmp_ne_u32_e32 vcc_lo, 1, v7
	s_cbranch_vccnz .LBB44_546
; %bb.545:
	s_clause 0x3
	buffer_load_dword v8, v5, s[0:3], 0 offen offset:8
	buffer_load_dword v9, v5, s[0:3], 0 offen offset:12
	buffer_load_dword v10, v5, s[0:3], 0 offen
	buffer_load_dword v11, v5, s[0:3], 0 offen offset:4
	s_waitcnt vmcnt(2) lgkmcnt(0)
	v_mul_f64 v[12:13], v[3:4], v[8:9]
	v_mul_f64 v[8:9], v[1:2], v[8:9]
	s_waitcnt vmcnt(0)
	v_fma_f64 v[1:2], v[1:2], v[10:11], -v[12:13]
	v_fma_f64 v[3:4], v[3:4], v[10:11], v[8:9]
.LBB44_546:
	s_mov_b32 s8, exec_lo
	v_cmpx_ne_u32_e32 24, v0
	s_cbranch_execz .LBB44_550
; %bb.547:
	v_add_nc_u32_e32 v8, 0x2e0, v119
	v_add3_u32 v9, 0, v119, 16
	v_mov_b32_e32 v10, v0
	s_mov_b32 s52, 0
	.p2align	6
.LBB44_548:                             ; =>This Inner Loop Header: Depth=1
	s_clause 0x3
	buffer_load_dword v15, v9, s[0:3], 0 offen offset:8
	buffer_load_dword v16, v9, s[0:3], 0 offen offset:12
	buffer_load_dword v17, v9, s[0:3], 0 offen
	buffer_load_dword v18, v9, s[0:3], 0 offen offset:4
	ds_read_b128 v[11:14], v8
	v_add_nc_u32_e32 v10, 1, v10
	v_add_nc_u32_e32 v8, 16, v8
	v_add_nc_u32_e32 v9, 16, v9
	v_cmp_lt_u32_e32 vcc_lo, 23, v10
	s_or_b32 s52, vcc_lo, s52
	s_waitcnt vmcnt(2) lgkmcnt(0)
	v_mul_f64 v[19:20], v[13:14], v[15:16]
	v_mul_f64 v[15:16], v[11:12], v[15:16]
	s_waitcnt vmcnt(0)
	v_fma_f64 v[11:12], v[11:12], v[17:18], -v[19:20]
	v_fma_f64 v[13:14], v[13:14], v[17:18], v[15:16]
	v_add_f64 v[1:2], v[1:2], v[11:12]
	v_add_f64 v[3:4], v[3:4], v[13:14]
	s_andn2_b32 exec_lo, exec_lo, s52
	s_cbranch_execnz .LBB44_548
; %bb.549:
	s_or_b32 exec_lo, exec_lo, s52
.LBB44_550:
	s_or_b32 exec_lo, exec_lo, s8
	v_mov_b32_e32 v8, 0
	ds_read_b128 v[8:11], v8 offset:400
	s_waitcnt lgkmcnt(0)
	v_mul_f64 v[12:13], v[3:4], v[10:11]
	v_mul_f64 v[10:11], v[1:2], v[10:11]
	v_fma_f64 v[1:2], v[1:2], v[8:9], -v[12:13]
	v_fma_f64 v[3:4], v[3:4], v[8:9], v[10:11]
	buffer_store_dword v2, off, s[0:3], 0 offset:404
	buffer_store_dword v1, off, s[0:3], 0 offset:400
	buffer_store_dword v4, off, s[0:3], 0 offset:412
	buffer_store_dword v3, off, s[0:3], 0 offset:408
.LBB44_551:
	s_or_b32 exec_lo, exec_lo, s4
	v_mov_b32_e32 v4, s25
	s_mov_b32 s4, exec_lo
	s_clause 0x3
	buffer_load_dword v1, v4, s[0:3], 0 offen
	buffer_load_dword v2, v4, s[0:3], 0 offen offset:4
	buffer_load_dword v3, v4, s[0:3], 0 offen offset:8
	;; [unrolled: 1-line block ×3, first 2 shown]
	s_waitcnt vmcnt(0)
	ds_write_b128 v6, v[1:4]
	s_waitcnt lgkmcnt(0)
	s_waitcnt_vscnt null, 0x0
	s_barrier
	buffer_gl0_inv
	v_cmpx_gt_u32_e32 26, v0
	s_cbranch_execz .LBB44_559
; %bb.552:
	ds_read_b128 v[1:4], v6
	v_cmp_ne_u32_e32 vcc_lo, 1, v7
	s_cbranch_vccnz .LBB44_554
; %bb.553:
	s_clause 0x3
	buffer_load_dword v8, v5, s[0:3], 0 offen offset:8
	buffer_load_dword v9, v5, s[0:3], 0 offen offset:12
	buffer_load_dword v10, v5, s[0:3], 0 offen
	buffer_load_dword v11, v5, s[0:3], 0 offen offset:4
	s_waitcnt vmcnt(2) lgkmcnt(0)
	v_mul_f64 v[12:13], v[3:4], v[8:9]
	v_mul_f64 v[8:9], v[1:2], v[8:9]
	s_waitcnt vmcnt(0)
	v_fma_f64 v[1:2], v[1:2], v[10:11], -v[12:13]
	v_fma_f64 v[3:4], v[3:4], v[10:11], v[8:9]
.LBB44_554:
	s_mov_b32 s8, exec_lo
	v_cmpx_ne_u32_e32 25, v0
	s_cbranch_execz .LBB44_558
; %bb.555:
	v_add_nc_u32_e32 v8, 0x2e0, v119
	v_add3_u32 v9, 0, v119, 16
	v_mov_b32_e32 v10, v0
	s_mov_b32 s52, 0
	.p2align	6
.LBB44_556:                             ; =>This Inner Loop Header: Depth=1
	s_clause 0x3
	buffer_load_dword v15, v9, s[0:3], 0 offen offset:8
	buffer_load_dword v16, v9, s[0:3], 0 offen offset:12
	buffer_load_dword v17, v9, s[0:3], 0 offen
	buffer_load_dword v18, v9, s[0:3], 0 offen offset:4
	ds_read_b128 v[11:14], v8
	v_add_nc_u32_e32 v10, 1, v10
	v_add_nc_u32_e32 v8, 16, v8
	v_add_nc_u32_e32 v9, 16, v9
	v_cmp_lt_u32_e32 vcc_lo, 24, v10
	s_or_b32 s52, vcc_lo, s52
	s_waitcnt vmcnt(2) lgkmcnt(0)
	v_mul_f64 v[19:20], v[13:14], v[15:16]
	v_mul_f64 v[15:16], v[11:12], v[15:16]
	s_waitcnt vmcnt(0)
	v_fma_f64 v[11:12], v[11:12], v[17:18], -v[19:20]
	v_fma_f64 v[13:14], v[13:14], v[17:18], v[15:16]
	v_add_f64 v[1:2], v[1:2], v[11:12]
	v_add_f64 v[3:4], v[3:4], v[13:14]
	s_andn2_b32 exec_lo, exec_lo, s52
	s_cbranch_execnz .LBB44_556
; %bb.557:
	s_or_b32 exec_lo, exec_lo, s52
.LBB44_558:
	s_or_b32 exec_lo, exec_lo, s8
	v_mov_b32_e32 v8, 0
	ds_read_b128 v[8:11], v8 offset:416
	s_waitcnt lgkmcnt(0)
	v_mul_f64 v[12:13], v[3:4], v[10:11]
	v_mul_f64 v[10:11], v[1:2], v[10:11]
	v_fma_f64 v[1:2], v[1:2], v[8:9], -v[12:13]
	v_fma_f64 v[3:4], v[3:4], v[8:9], v[10:11]
	buffer_store_dword v2, off, s[0:3], 0 offset:420
	buffer_store_dword v1, off, s[0:3], 0 offset:416
	buffer_store_dword v4, off, s[0:3], 0 offset:428
	buffer_store_dword v3, off, s[0:3], 0 offset:424
.LBB44_559:
	s_or_b32 exec_lo, exec_lo, s4
	v_mov_b32_e32 v4, s24
	s_mov_b32 s4, exec_lo
	s_clause 0x3
	buffer_load_dword v1, v4, s[0:3], 0 offen
	buffer_load_dword v2, v4, s[0:3], 0 offen offset:4
	buffer_load_dword v3, v4, s[0:3], 0 offen offset:8
	;; [unrolled: 1-line block ×3, first 2 shown]
	s_waitcnt vmcnt(0)
	ds_write_b128 v6, v[1:4]
	s_waitcnt lgkmcnt(0)
	s_waitcnt_vscnt null, 0x0
	s_barrier
	buffer_gl0_inv
	v_cmpx_gt_u32_e32 27, v0
	s_cbranch_execz .LBB44_567
; %bb.560:
	ds_read_b128 v[1:4], v6
	v_cmp_ne_u32_e32 vcc_lo, 1, v7
	s_cbranch_vccnz .LBB44_562
; %bb.561:
	s_clause 0x3
	buffer_load_dword v8, v5, s[0:3], 0 offen offset:8
	buffer_load_dword v9, v5, s[0:3], 0 offen offset:12
	buffer_load_dword v10, v5, s[0:3], 0 offen
	buffer_load_dword v11, v5, s[0:3], 0 offen offset:4
	s_waitcnt vmcnt(2) lgkmcnt(0)
	v_mul_f64 v[12:13], v[3:4], v[8:9]
	v_mul_f64 v[8:9], v[1:2], v[8:9]
	s_waitcnt vmcnt(0)
	v_fma_f64 v[1:2], v[1:2], v[10:11], -v[12:13]
	v_fma_f64 v[3:4], v[3:4], v[10:11], v[8:9]
.LBB44_562:
	s_mov_b32 s8, exec_lo
	v_cmpx_ne_u32_e32 26, v0
	s_cbranch_execz .LBB44_566
; %bb.563:
	v_add_nc_u32_e32 v8, 0x2e0, v119
	v_add3_u32 v9, 0, v119, 16
	v_mov_b32_e32 v10, v0
	s_mov_b32 s52, 0
	.p2align	6
.LBB44_564:                             ; =>This Inner Loop Header: Depth=1
	s_clause 0x3
	buffer_load_dword v15, v9, s[0:3], 0 offen offset:8
	buffer_load_dword v16, v9, s[0:3], 0 offen offset:12
	buffer_load_dword v17, v9, s[0:3], 0 offen
	buffer_load_dword v18, v9, s[0:3], 0 offen offset:4
	ds_read_b128 v[11:14], v8
	v_add_nc_u32_e32 v10, 1, v10
	v_add_nc_u32_e32 v8, 16, v8
	v_add_nc_u32_e32 v9, 16, v9
	v_cmp_lt_u32_e32 vcc_lo, 25, v10
	s_or_b32 s52, vcc_lo, s52
	s_waitcnt vmcnt(2) lgkmcnt(0)
	v_mul_f64 v[19:20], v[13:14], v[15:16]
	v_mul_f64 v[15:16], v[11:12], v[15:16]
	s_waitcnt vmcnt(0)
	v_fma_f64 v[11:12], v[11:12], v[17:18], -v[19:20]
	v_fma_f64 v[13:14], v[13:14], v[17:18], v[15:16]
	v_add_f64 v[1:2], v[1:2], v[11:12]
	v_add_f64 v[3:4], v[3:4], v[13:14]
	s_andn2_b32 exec_lo, exec_lo, s52
	s_cbranch_execnz .LBB44_564
; %bb.565:
	s_or_b32 exec_lo, exec_lo, s52
.LBB44_566:
	s_or_b32 exec_lo, exec_lo, s8
	v_mov_b32_e32 v8, 0
	ds_read_b128 v[8:11], v8 offset:432
	s_waitcnt lgkmcnt(0)
	v_mul_f64 v[12:13], v[3:4], v[10:11]
	v_mul_f64 v[10:11], v[1:2], v[10:11]
	v_fma_f64 v[1:2], v[1:2], v[8:9], -v[12:13]
	v_fma_f64 v[3:4], v[3:4], v[8:9], v[10:11]
	buffer_store_dword v2, off, s[0:3], 0 offset:436
	buffer_store_dword v1, off, s[0:3], 0 offset:432
	buffer_store_dword v4, off, s[0:3], 0 offset:444
	buffer_store_dword v3, off, s[0:3], 0 offset:440
.LBB44_567:
	s_or_b32 exec_lo, exec_lo, s4
	v_mov_b32_e32 v4, s23
	s_mov_b32 s4, exec_lo
	s_clause 0x3
	buffer_load_dword v1, v4, s[0:3], 0 offen
	buffer_load_dword v2, v4, s[0:3], 0 offen offset:4
	buffer_load_dword v3, v4, s[0:3], 0 offen offset:8
	;; [unrolled: 1-line block ×3, first 2 shown]
	s_waitcnt vmcnt(0)
	ds_write_b128 v6, v[1:4]
	s_waitcnt lgkmcnt(0)
	s_waitcnt_vscnt null, 0x0
	s_barrier
	buffer_gl0_inv
	v_cmpx_gt_u32_e32 28, v0
	s_cbranch_execz .LBB44_575
; %bb.568:
	ds_read_b128 v[1:4], v6
	v_cmp_ne_u32_e32 vcc_lo, 1, v7
	s_cbranch_vccnz .LBB44_570
; %bb.569:
	s_clause 0x3
	buffer_load_dword v8, v5, s[0:3], 0 offen offset:8
	buffer_load_dword v9, v5, s[0:3], 0 offen offset:12
	buffer_load_dword v10, v5, s[0:3], 0 offen
	buffer_load_dword v11, v5, s[0:3], 0 offen offset:4
	s_waitcnt vmcnt(2) lgkmcnt(0)
	v_mul_f64 v[12:13], v[3:4], v[8:9]
	v_mul_f64 v[8:9], v[1:2], v[8:9]
	s_waitcnt vmcnt(0)
	v_fma_f64 v[1:2], v[1:2], v[10:11], -v[12:13]
	v_fma_f64 v[3:4], v[3:4], v[10:11], v[8:9]
.LBB44_570:
	s_mov_b32 s8, exec_lo
	v_cmpx_ne_u32_e32 27, v0
	s_cbranch_execz .LBB44_574
; %bb.571:
	v_add_nc_u32_e32 v8, 0x2e0, v119
	v_add3_u32 v9, 0, v119, 16
	v_mov_b32_e32 v10, v0
	s_mov_b32 s52, 0
	.p2align	6
.LBB44_572:                             ; =>This Inner Loop Header: Depth=1
	s_clause 0x3
	buffer_load_dword v15, v9, s[0:3], 0 offen offset:8
	buffer_load_dword v16, v9, s[0:3], 0 offen offset:12
	buffer_load_dword v17, v9, s[0:3], 0 offen
	buffer_load_dword v18, v9, s[0:3], 0 offen offset:4
	ds_read_b128 v[11:14], v8
	v_add_nc_u32_e32 v10, 1, v10
	v_add_nc_u32_e32 v8, 16, v8
	;; [unrolled: 1-line block ×3, first 2 shown]
	v_cmp_lt_u32_e32 vcc_lo, 26, v10
	s_or_b32 s52, vcc_lo, s52
	s_waitcnt vmcnt(2) lgkmcnt(0)
	v_mul_f64 v[19:20], v[13:14], v[15:16]
	v_mul_f64 v[15:16], v[11:12], v[15:16]
	s_waitcnt vmcnt(0)
	v_fma_f64 v[11:12], v[11:12], v[17:18], -v[19:20]
	v_fma_f64 v[13:14], v[13:14], v[17:18], v[15:16]
	v_add_f64 v[1:2], v[1:2], v[11:12]
	v_add_f64 v[3:4], v[3:4], v[13:14]
	s_andn2_b32 exec_lo, exec_lo, s52
	s_cbranch_execnz .LBB44_572
; %bb.573:
	s_or_b32 exec_lo, exec_lo, s52
.LBB44_574:
	s_or_b32 exec_lo, exec_lo, s8
	v_mov_b32_e32 v8, 0
	ds_read_b128 v[8:11], v8 offset:448
	s_waitcnt lgkmcnt(0)
	v_mul_f64 v[12:13], v[3:4], v[10:11]
	v_mul_f64 v[10:11], v[1:2], v[10:11]
	v_fma_f64 v[1:2], v[1:2], v[8:9], -v[12:13]
	v_fma_f64 v[3:4], v[3:4], v[8:9], v[10:11]
	buffer_store_dword v2, off, s[0:3], 0 offset:452
	buffer_store_dword v1, off, s[0:3], 0 offset:448
	;; [unrolled: 1-line block ×4, first 2 shown]
.LBB44_575:
	s_or_b32 exec_lo, exec_lo, s4
	v_mov_b32_e32 v4, s22
	s_mov_b32 s4, exec_lo
	s_clause 0x3
	buffer_load_dword v1, v4, s[0:3], 0 offen
	buffer_load_dword v2, v4, s[0:3], 0 offen offset:4
	buffer_load_dword v3, v4, s[0:3], 0 offen offset:8
	;; [unrolled: 1-line block ×3, first 2 shown]
	s_waitcnt vmcnt(0)
	ds_write_b128 v6, v[1:4]
	s_waitcnt lgkmcnt(0)
	s_waitcnt_vscnt null, 0x0
	s_barrier
	buffer_gl0_inv
	v_cmpx_gt_u32_e32 29, v0
	s_cbranch_execz .LBB44_583
; %bb.576:
	ds_read_b128 v[1:4], v6
	v_cmp_ne_u32_e32 vcc_lo, 1, v7
	s_cbranch_vccnz .LBB44_578
; %bb.577:
	s_clause 0x3
	buffer_load_dword v8, v5, s[0:3], 0 offen offset:8
	buffer_load_dword v9, v5, s[0:3], 0 offen offset:12
	buffer_load_dword v10, v5, s[0:3], 0 offen
	buffer_load_dword v11, v5, s[0:3], 0 offen offset:4
	s_waitcnt vmcnt(2) lgkmcnt(0)
	v_mul_f64 v[12:13], v[3:4], v[8:9]
	v_mul_f64 v[8:9], v[1:2], v[8:9]
	s_waitcnt vmcnt(0)
	v_fma_f64 v[1:2], v[1:2], v[10:11], -v[12:13]
	v_fma_f64 v[3:4], v[3:4], v[10:11], v[8:9]
.LBB44_578:
	s_mov_b32 s8, exec_lo
	v_cmpx_ne_u32_e32 28, v0
	s_cbranch_execz .LBB44_582
; %bb.579:
	v_add_nc_u32_e32 v8, 0x2e0, v119
	v_add3_u32 v9, 0, v119, 16
	v_mov_b32_e32 v10, v0
	s_mov_b32 s52, 0
	.p2align	6
.LBB44_580:                             ; =>This Inner Loop Header: Depth=1
	s_clause 0x3
	buffer_load_dword v15, v9, s[0:3], 0 offen offset:8
	buffer_load_dword v16, v9, s[0:3], 0 offen offset:12
	buffer_load_dword v17, v9, s[0:3], 0 offen
	buffer_load_dword v18, v9, s[0:3], 0 offen offset:4
	ds_read_b128 v[11:14], v8
	v_add_nc_u32_e32 v10, 1, v10
	v_add_nc_u32_e32 v8, 16, v8
	;; [unrolled: 1-line block ×3, first 2 shown]
	v_cmp_lt_u32_e32 vcc_lo, 27, v10
	s_or_b32 s52, vcc_lo, s52
	s_waitcnt vmcnt(2) lgkmcnt(0)
	v_mul_f64 v[19:20], v[13:14], v[15:16]
	v_mul_f64 v[15:16], v[11:12], v[15:16]
	s_waitcnt vmcnt(0)
	v_fma_f64 v[11:12], v[11:12], v[17:18], -v[19:20]
	v_fma_f64 v[13:14], v[13:14], v[17:18], v[15:16]
	v_add_f64 v[1:2], v[1:2], v[11:12]
	v_add_f64 v[3:4], v[3:4], v[13:14]
	s_andn2_b32 exec_lo, exec_lo, s52
	s_cbranch_execnz .LBB44_580
; %bb.581:
	s_or_b32 exec_lo, exec_lo, s52
.LBB44_582:
	s_or_b32 exec_lo, exec_lo, s8
	v_mov_b32_e32 v8, 0
	ds_read_b128 v[8:11], v8 offset:464
	s_waitcnt lgkmcnt(0)
	v_mul_f64 v[12:13], v[3:4], v[10:11]
	v_mul_f64 v[10:11], v[1:2], v[10:11]
	v_fma_f64 v[1:2], v[1:2], v[8:9], -v[12:13]
	v_fma_f64 v[3:4], v[3:4], v[8:9], v[10:11]
	buffer_store_dword v2, off, s[0:3], 0 offset:468
	buffer_store_dword v1, off, s[0:3], 0 offset:464
	;; [unrolled: 1-line block ×4, first 2 shown]
.LBB44_583:
	s_or_b32 exec_lo, exec_lo, s4
	v_mov_b32_e32 v4, s21
	s_mov_b32 s4, exec_lo
	s_clause 0x3
	buffer_load_dword v1, v4, s[0:3], 0 offen
	buffer_load_dword v2, v4, s[0:3], 0 offen offset:4
	buffer_load_dword v3, v4, s[0:3], 0 offen offset:8
	;; [unrolled: 1-line block ×3, first 2 shown]
	s_waitcnt vmcnt(0)
	ds_write_b128 v6, v[1:4]
	s_waitcnt lgkmcnt(0)
	s_waitcnt_vscnt null, 0x0
	s_barrier
	buffer_gl0_inv
	v_cmpx_gt_u32_e32 30, v0
	s_cbranch_execz .LBB44_591
; %bb.584:
	ds_read_b128 v[1:4], v6
	v_cmp_ne_u32_e32 vcc_lo, 1, v7
	s_cbranch_vccnz .LBB44_586
; %bb.585:
	s_clause 0x3
	buffer_load_dword v8, v5, s[0:3], 0 offen offset:8
	buffer_load_dword v9, v5, s[0:3], 0 offen offset:12
	buffer_load_dword v10, v5, s[0:3], 0 offen
	buffer_load_dword v11, v5, s[0:3], 0 offen offset:4
	s_waitcnt vmcnt(2) lgkmcnt(0)
	v_mul_f64 v[12:13], v[3:4], v[8:9]
	v_mul_f64 v[8:9], v[1:2], v[8:9]
	s_waitcnt vmcnt(0)
	v_fma_f64 v[1:2], v[1:2], v[10:11], -v[12:13]
	v_fma_f64 v[3:4], v[3:4], v[10:11], v[8:9]
.LBB44_586:
	s_mov_b32 s8, exec_lo
	v_cmpx_ne_u32_e32 29, v0
	s_cbranch_execz .LBB44_590
; %bb.587:
	v_add_nc_u32_e32 v8, 0x2e0, v119
	v_add3_u32 v9, 0, v119, 16
	v_mov_b32_e32 v10, v0
	s_mov_b32 s52, 0
	.p2align	6
.LBB44_588:                             ; =>This Inner Loop Header: Depth=1
	s_clause 0x3
	buffer_load_dword v15, v9, s[0:3], 0 offen offset:8
	buffer_load_dword v16, v9, s[0:3], 0 offen offset:12
	buffer_load_dword v17, v9, s[0:3], 0 offen
	buffer_load_dword v18, v9, s[0:3], 0 offen offset:4
	ds_read_b128 v[11:14], v8
	v_add_nc_u32_e32 v10, 1, v10
	v_add_nc_u32_e32 v8, 16, v8
	;; [unrolled: 1-line block ×3, first 2 shown]
	v_cmp_lt_u32_e32 vcc_lo, 28, v10
	s_or_b32 s52, vcc_lo, s52
	s_waitcnt vmcnt(2) lgkmcnt(0)
	v_mul_f64 v[19:20], v[13:14], v[15:16]
	v_mul_f64 v[15:16], v[11:12], v[15:16]
	s_waitcnt vmcnt(0)
	v_fma_f64 v[11:12], v[11:12], v[17:18], -v[19:20]
	v_fma_f64 v[13:14], v[13:14], v[17:18], v[15:16]
	v_add_f64 v[1:2], v[1:2], v[11:12]
	v_add_f64 v[3:4], v[3:4], v[13:14]
	s_andn2_b32 exec_lo, exec_lo, s52
	s_cbranch_execnz .LBB44_588
; %bb.589:
	s_or_b32 exec_lo, exec_lo, s52
.LBB44_590:
	s_or_b32 exec_lo, exec_lo, s8
	v_mov_b32_e32 v8, 0
	ds_read_b128 v[8:11], v8 offset:480
	s_waitcnt lgkmcnt(0)
	v_mul_f64 v[12:13], v[3:4], v[10:11]
	v_mul_f64 v[10:11], v[1:2], v[10:11]
	v_fma_f64 v[1:2], v[1:2], v[8:9], -v[12:13]
	v_fma_f64 v[3:4], v[3:4], v[8:9], v[10:11]
	buffer_store_dword v2, off, s[0:3], 0 offset:484
	buffer_store_dword v1, off, s[0:3], 0 offset:480
	;; [unrolled: 1-line block ×4, first 2 shown]
.LBB44_591:
	s_or_b32 exec_lo, exec_lo, s4
	v_mov_b32_e32 v4, s20
	s_mov_b32 s4, exec_lo
	s_clause 0x3
	buffer_load_dword v1, v4, s[0:3], 0 offen
	buffer_load_dword v2, v4, s[0:3], 0 offen offset:4
	buffer_load_dword v3, v4, s[0:3], 0 offen offset:8
	;; [unrolled: 1-line block ×3, first 2 shown]
	s_waitcnt vmcnt(0)
	ds_write_b128 v6, v[1:4]
	s_waitcnt lgkmcnt(0)
	s_waitcnt_vscnt null, 0x0
	s_barrier
	buffer_gl0_inv
	v_cmpx_gt_u32_e32 31, v0
	s_cbranch_execz .LBB44_599
; %bb.592:
	ds_read_b128 v[1:4], v6
	v_cmp_ne_u32_e32 vcc_lo, 1, v7
	s_cbranch_vccnz .LBB44_594
; %bb.593:
	s_clause 0x3
	buffer_load_dword v8, v5, s[0:3], 0 offen offset:8
	buffer_load_dword v9, v5, s[0:3], 0 offen offset:12
	buffer_load_dword v10, v5, s[0:3], 0 offen
	buffer_load_dword v11, v5, s[0:3], 0 offen offset:4
	s_waitcnt vmcnt(2) lgkmcnt(0)
	v_mul_f64 v[12:13], v[3:4], v[8:9]
	v_mul_f64 v[8:9], v[1:2], v[8:9]
	s_waitcnt vmcnt(0)
	v_fma_f64 v[1:2], v[1:2], v[10:11], -v[12:13]
	v_fma_f64 v[3:4], v[3:4], v[10:11], v[8:9]
.LBB44_594:
	s_mov_b32 s8, exec_lo
	v_cmpx_ne_u32_e32 30, v0
	s_cbranch_execz .LBB44_598
; %bb.595:
	v_add_nc_u32_e32 v8, 0x2e0, v119
	v_add3_u32 v9, 0, v119, 16
	v_mov_b32_e32 v10, v0
	s_mov_b32 s52, 0
	.p2align	6
.LBB44_596:                             ; =>This Inner Loop Header: Depth=1
	s_clause 0x3
	buffer_load_dword v15, v9, s[0:3], 0 offen offset:8
	buffer_load_dword v16, v9, s[0:3], 0 offen offset:12
	buffer_load_dword v17, v9, s[0:3], 0 offen
	buffer_load_dword v18, v9, s[0:3], 0 offen offset:4
	ds_read_b128 v[11:14], v8
	v_add_nc_u32_e32 v10, 1, v10
	v_add_nc_u32_e32 v8, 16, v8
	;; [unrolled: 1-line block ×3, first 2 shown]
	v_cmp_lt_u32_e32 vcc_lo, 29, v10
	s_or_b32 s52, vcc_lo, s52
	s_waitcnt vmcnt(2) lgkmcnt(0)
	v_mul_f64 v[19:20], v[13:14], v[15:16]
	v_mul_f64 v[15:16], v[11:12], v[15:16]
	s_waitcnt vmcnt(0)
	v_fma_f64 v[11:12], v[11:12], v[17:18], -v[19:20]
	v_fma_f64 v[13:14], v[13:14], v[17:18], v[15:16]
	v_add_f64 v[1:2], v[1:2], v[11:12]
	v_add_f64 v[3:4], v[3:4], v[13:14]
	s_andn2_b32 exec_lo, exec_lo, s52
	s_cbranch_execnz .LBB44_596
; %bb.597:
	s_or_b32 exec_lo, exec_lo, s52
.LBB44_598:
	s_or_b32 exec_lo, exec_lo, s8
	v_mov_b32_e32 v8, 0
	ds_read_b128 v[8:11], v8 offset:496
	s_waitcnt lgkmcnt(0)
	v_mul_f64 v[12:13], v[3:4], v[10:11]
	v_mul_f64 v[10:11], v[1:2], v[10:11]
	v_fma_f64 v[1:2], v[1:2], v[8:9], -v[12:13]
	v_fma_f64 v[3:4], v[3:4], v[8:9], v[10:11]
	buffer_store_dword v2, off, s[0:3], 0 offset:500
	buffer_store_dword v1, off, s[0:3], 0 offset:496
	;; [unrolled: 1-line block ×4, first 2 shown]
.LBB44_599:
	s_or_b32 exec_lo, exec_lo, s4
	v_mov_b32_e32 v4, s19
	s_mov_b32 s4, exec_lo
	s_clause 0x3
	buffer_load_dword v1, v4, s[0:3], 0 offen
	buffer_load_dword v2, v4, s[0:3], 0 offen offset:4
	buffer_load_dword v3, v4, s[0:3], 0 offen offset:8
	;; [unrolled: 1-line block ×3, first 2 shown]
	s_waitcnt vmcnt(0)
	ds_write_b128 v6, v[1:4]
	s_waitcnt lgkmcnt(0)
	s_waitcnt_vscnt null, 0x0
	s_barrier
	buffer_gl0_inv
	v_cmpx_gt_u32_e32 32, v0
	s_cbranch_execz .LBB44_607
; %bb.600:
	ds_read_b128 v[1:4], v6
	v_cmp_ne_u32_e32 vcc_lo, 1, v7
	s_cbranch_vccnz .LBB44_602
; %bb.601:
	s_clause 0x3
	buffer_load_dword v8, v5, s[0:3], 0 offen offset:8
	buffer_load_dword v9, v5, s[0:3], 0 offen offset:12
	buffer_load_dword v10, v5, s[0:3], 0 offen
	buffer_load_dword v11, v5, s[0:3], 0 offen offset:4
	s_waitcnt vmcnt(2) lgkmcnt(0)
	v_mul_f64 v[12:13], v[3:4], v[8:9]
	v_mul_f64 v[8:9], v[1:2], v[8:9]
	s_waitcnt vmcnt(0)
	v_fma_f64 v[1:2], v[1:2], v[10:11], -v[12:13]
	v_fma_f64 v[3:4], v[3:4], v[10:11], v[8:9]
.LBB44_602:
	s_mov_b32 s8, exec_lo
	v_cmpx_ne_u32_e32 31, v0
	s_cbranch_execz .LBB44_606
; %bb.603:
	v_add_nc_u32_e32 v8, 0x2e0, v119
	v_add3_u32 v9, 0, v119, 16
	v_mov_b32_e32 v10, v0
	s_mov_b32 s52, 0
	.p2align	6
.LBB44_604:                             ; =>This Inner Loop Header: Depth=1
	s_clause 0x3
	buffer_load_dword v15, v9, s[0:3], 0 offen offset:8
	buffer_load_dword v16, v9, s[0:3], 0 offen offset:12
	buffer_load_dword v17, v9, s[0:3], 0 offen
	buffer_load_dword v18, v9, s[0:3], 0 offen offset:4
	ds_read_b128 v[11:14], v8
	v_add_nc_u32_e32 v10, 1, v10
	v_add_nc_u32_e32 v8, 16, v8
	;; [unrolled: 1-line block ×3, first 2 shown]
	v_cmp_lt_u32_e32 vcc_lo, 30, v10
	s_or_b32 s52, vcc_lo, s52
	s_waitcnt vmcnt(2) lgkmcnt(0)
	v_mul_f64 v[19:20], v[13:14], v[15:16]
	v_mul_f64 v[15:16], v[11:12], v[15:16]
	s_waitcnt vmcnt(0)
	v_fma_f64 v[11:12], v[11:12], v[17:18], -v[19:20]
	v_fma_f64 v[13:14], v[13:14], v[17:18], v[15:16]
	v_add_f64 v[1:2], v[1:2], v[11:12]
	v_add_f64 v[3:4], v[3:4], v[13:14]
	s_andn2_b32 exec_lo, exec_lo, s52
	s_cbranch_execnz .LBB44_604
; %bb.605:
	s_or_b32 exec_lo, exec_lo, s52
.LBB44_606:
	s_or_b32 exec_lo, exec_lo, s8
	v_mov_b32_e32 v8, 0
	ds_read_b128 v[8:11], v8 offset:512
	s_waitcnt lgkmcnt(0)
	v_mul_f64 v[12:13], v[3:4], v[10:11]
	v_mul_f64 v[10:11], v[1:2], v[10:11]
	v_fma_f64 v[1:2], v[1:2], v[8:9], -v[12:13]
	v_fma_f64 v[3:4], v[3:4], v[8:9], v[10:11]
	buffer_store_dword v2, off, s[0:3], 0 offset:516
	buffer_store_dword v1, off, s[0:3], 0 offset:512
	;; [unrolled: 1-line block ×4, first 2 shown]
.LBB44_607:
	s_or_b32 exec_lo, exec_lo, s4
	v_mov_b32_e32 v4, s18
	s_mov_b32 s4, exec_lo
	s_clause 0x3
	buffer_load_dword v1, v4, s[0:3], 0 offen
	buffer_load_dword v2, v4, s[0:3], 0 offen offset:4
	buffer_load_dword v3, v4, s[0:3], 0 offen offset:8
	;; [unrolled: 1-line block ×3, first 2 shown]
	s_waitcnt vmcnt(0)
	ds_write_b128 v6, v[1:4]
	s_waitcnt lgkmcnt(0)
	s_waitcnt_vscnt null, 0x0
	s_barrier
	buffer_gl0_inv
	v_cmpx_gt_u32_e32 33, v0
	s_cbranch_execz .LBB44_615
; %bb.608:
	ds_read_b128 v[1:4], v6
	v_cmp_ne_u32_e32 vcc_lo, 1, v7
	s_cbranch_vccnz .LBB44_610
; %bb.609:
	s_clause 0x3
	buffer_load_dword v8, v5, s[0:3], 0 offen offset:8
	buffer_load_dword v9, v5, s[0:3], 0 offen offset:12
	buffer_load_dword v10, v5, s[0:3], 0 offen
	buffer_load_dword v11, v5, s[0:3], 0 offen offset:4
	s_waitcnt vmcnt(2) lgkmcnt(0)
	v_mul_f64 v[12:13], v[3:4], v[8:9]
	v_mul_f64 v[8:9], v[1:2], v[8:9]
	s_waitcnt vmcnt(0)
	v_fma_f64 v[1:2], v[1:2], v[10:11], -v[12:13]
	v_fma_f64 v[3:4], v[3:4], v[10:11], v[8:9]
.LBB44_610:
	s_mov_b32 s8, exec_lo
	v_cmpx_ne_u32_e32 32, v0
	s_cbranch_execz .LBB44_614
; %bb.611:
	v_add_nc_u32_e32 v8, 0x2e0, v119
	v_add3_u32 v9, 0, v119, 16
	v_mov_b32_e32 v10, v0
	s_mov_b32 s52, 0
	.p2align	6
.LBB44_612:                             ; =>This Inner Loop Header: Depth=1
	s_clause 0x3
	buffer_load_dword v15, v9, s[0:3], 0 offen offset:8
	buffer_load_dword v16, v9, s[0:3], 0 offen offset:12
	buffer_load_dword v17, v9, s[0:3], 0 offen
	buffer_load_dword v18, v9, s[0:3], 0 offen offset:4
	ds_read_b128 v[11:14], v8
	v_add_nc_u32_e32 v10, 1, v10
	v_add_nc_u32_e32 v8, 16, v8
	;; [unrolled: 1-line block ×3, first 2 shown]
	v_cmp_lt_u32_e32 vcc_lo, 31, v10
	s_or_b32 s52, vcc_lo, s52
	s_waitcnt vmcnt(2) lgkmcnt(0)
	v_mul_f64 v[19:20], v[13:14], v[15:16]
	v_mul_f64 v[15:16], v[11:12], v[15:16]
	s_waitcnt vmcnt(0)
	v_fma_f64 v[11:12], v[11:12], v[17:18], -v[19:20]
	v_fma_f64 v[13:14], v[13:14], v[17:18], v[15:16]
	v_add_f64 v[1:2], v[1:2], v[11:12]
	v_add_f64 v[3:4], v[3:4], v[13:14]
	s_andn2_b32 exec_lo, exec_lo, s52
	s_cbranch_execnz .LBB44_612
; %bb.613:
	s_or_b32 exec_lo, exec_lo, s52
.LBB44_614:
	s_or_b32 exec_lo, exec_lo, s8
	v_mov_b32_e32 v8, 0
	ds_read_b128 v[8:11], v8 offset:528
	s_waitcnt lgkmcnt(0)
	v_mul_f64 v[12:13], v[3:4], v[10:11]
	v_mul_f64 v[10:11], v[1:2], v[10:11]
	v_fma_f64 v[1:2], v[1:2], v[8:9], -v[12:13]
	v_fma_f64 v[3:4], v[3:4], v[8:9], v[10:11]
	buffer_store_dword v2, off, s[0:3], 0 offset:532
	buffer_store_dword v1, off, s[0:3], 0 offset:528
	;; [unrolled: 1-line block ×4, first 2 shown]
.LBB44_615:
	s_or_b32 exec_lo, exec_lo, s4
	v_mov_b32_e32 v4, s17
	s_mov_b32 s4, exec_lo
	s_clause 0x3
	buffer_load_dword v1, v4, s[0:3], 0 offen
	buffer_load_dword v2, v4, s[0:3], 0 offen offset:4
	buffer_load_dword v3, v4, s[0:3], 0 offen offset:8
	;; [unrolled: 1-line block ×3, first 2 shown]
	s_waitcnt vmcnt(0)
	ds_write_b128 v6, v[1:4]
	s_waitcnt lgkmcnt(0)
	s_waitcnt_vscnt null, 0x0
	s_barrier
	buffer_gl0_inv
	v_cmpx_gt_u32_e32 34, v0
	s_cbranch_execz .LBB44_623
; %bb.616:
	ds_read_b128 v[1:4], v6
	v_cmp_ne_u32_e32 vcc_lo, 1, v7
	s_cbranch_vccnz .LBB44_618
; %bb.617:
	s_clause 0x3
	buffer_load_dword v8, v5, s[0:3], 0 offen offset:8
	buffer_load_dword v9, v5, s[0:3], 0 offen offset:12
	buffer_load_dword v10, v5, s[0:3], 0 offen
	buffer_load_dword v11, v5, s[0:3], 0 offen offset:4
	s_waitcnt vmcnt(2) lgkmcnt(0)
	v_mul_f64 v[12:13], v[3:4], v[8:9]
	v_mul_f64 v[8:9], v[1:2], v[8:9]
	s_waitcnt vmcnt(0)
	v_fma_f64 v[1:2], v[1:2], v[10:11], -v[12:13]
	v_fma_f64 v[3:4], v[3:4], v[10:11], v[8:9]
.LBB44_618:
	s_mov_b32 s8, exec_lo
	v_cmpx_ne_u32_e32 33, v0
	s_cbranch_execz .LBB44_622
; %bb.619:
	v_add_nc_u32_e32 v8, 0x2e0, v119
	v_add3_u32 v9, 0, v119, 16
	v_mov_b32_e32 v10, v0
	s_mov_b32 s52, 0
	.p2align	6
.LBB44_620:                             ; =>This Inner Loop Header: Depth=1
	s_clause 0x3
	buffer_load_dword v15, v9, s[0:3], 0 offen offset:8
	buffer_load_dword v16, v9, s[0:3], 0 offen offset:12
	buffer_load_dword v17, v9, s[0:3], 0 offen
	buffer_load_dword v18, v9, s[0:3], 0 offen offset:4
	ds_read_b128 v[11:14], v8
	v_add_nc_u32_e32 v10, 1, v10
	v_add_nc_u32_e32 v8, 16, v8
	v_add_nc_u32_e32 v9, 16, v9
	v_cmp_lt_u32_e32 vcc_lo, 32, v10
	s_or_b32 s52, vcc_lo, s52
	s_waitcnt vmcnt(2) lgkmcnt(0)
	v_mul_f64 v[19:20], v[13:14], v[15:16]
	v_mul_f64 v[15:16], v[11:12], v[15:16]
	s_waitcnt vmcnt(0)
	v_fma_f64 v[11:12], v[11:12], v[17:18], -v[19:20]
	v_fma_f64 v[13:14], v[13:14], v[17:18], v[15:16]
	v_add_f64 v[1:2], v[1:2], v[11:12]
	v_add_f64 v[3:4], v[3:4], v[13:14]
	s_andn2_b32 exec_lo, exec_lo, s52
	s_cbranch_execnz .LBB44_620
; %bb.621:
	s_or_b32 exec_lo, exec_lo, s52
.LBB44_622:
	s_or_b32 exec_lo, exec_lo, s8
	v_mov_b32_e32 v8, 0
	ds_read_b128 v[8:11], v8 offset:544
	s_waitcnt lgkmcnt(0)
	v_mul_f64 v[12:13], v[3:4], v[10:11]
	v_mul_f64 v[10:11], v[1:2], v[10:11]
	v_fma_f64 v[1:2], v[1:2], v[8:9], -v[12:13]
	v_fma_f64 v[3:4], v[3:4], v[8:9], v[10:11]
	buffer_store_dword v2, off, s[0:3], 0 offset:548
	buffer_store_dword v1, off, s[0:3], 0 offset:544
	;; [unrolled: 1-line block ×4, first 2 shown]
.LBB44_623:
	s_or_b32 exec_lo, exec_lo, s4
	v_mov_b32_e32 v4, s16
	s_mov_b32 s4, exec_lo
	s_clause 0x3
	buffer_load_dword v1, v4, s[0:3], 0 offen
	buffer_load_dword v2, v4, s[0:3], 0 offen offset:4
	buffer_load_dword v3, v4, s[0:3], 0 offen offset:8
	buffer_load_dword v4, v4, s[0:3], 0 offen offset:12
	s_waitcnt vmcnt(0)
	ds_write_b128 v6, v[1:4]
	s_waitcnt lgkmcnt(0)
	s_waitcnt_vscnt null, 0x0
	s_barrier
	buffer_gl0_inv
	v_cmpx_gt_u32_e32 35, v0
	s_cbranch_execz .LBB44_631
; %bb.624:
	ds_read_b128 v[1:4], v6
	v_cmp_ne_u32_e32 vcc_lo, 1, v7
	s_cbranch_vccnz .LBB44_626
; %bb.625:
	s_clause 0x3
	buffer_load_dword v8, v5, s[0:3], 0 offen offset:8
	buffer_load_dword v9, v5, s[0:3], 0 offen offset:12
	buffer_load_dword v10, v5, s[0:3], 0 offen
	buffer_load_dword v11, v5, s[0:3], 0 offen offset:4
	s_waitcnt vmcnt(2) lgkmcnt(0)
	v_mul_f64 v[12:13], v[3:4], v[8:9]
	v_mul_f64 v[8:9], v[1:2], v[8:9]
	s_waitcnt vmcnt(0)
	v_fma_f64 v[1:2], v[1:2], v[10:11], -v[12:13]
	v_fma_f64 v[3:4], v[3:4], v[10:11], v[8:9]
.LBB44_626:
	s_mov_b32 s8, exec_lo
	v_cmpx_ne_u32_e32 34, v0
	s_cbranch_execz .LBB44_630
; %bb.627:
	v_add_nc_u32_e32 v8, 0x2e0, v119
	v_add3_u32 v9, 0, v119, 16
	v_mov_b32_e32 v10, v0
	s_mov_b32 s52, 0
	.p2align	6
.LBB44_628:                             ; =>This Inner Loop Header: Depth=1
	s_clause 0x3
	buffer_load_dword v15, v9, s[0:3], 0 offen offset:8
	buffer_load_dword v16, v9, s[0:3], 0 offen offset:12
	buffer_load_dword v17, v9, s[0:3], 0 offen
	buffer_load_dword v18, v9, s[0:3], 0 offen offset:4
	ds_read_b128 v[11:14], v8
	v_add_nc_u32_e32 v10, 1, v10
	v_add_nc_u32_e32 v8, 16, v8
	;; [unrolled: 1-line block ×3, first 2 shown]
	v_cmp_lt_u32_e32 vcc_lo, 33, v10
	s_or_b32 s52, vcc_lo, s52
	s_waitcnt vmcnt(2) lgkmcnt(0)
	v_mul_f64 v[19:20], v[13:14], v[15:16]
	v_mul_f64 v[15:16], v[11:12], v[15:16]
	s_waitcnt vmcnt(0)
	v_fma_f64 v[11:12], v[11:12], v[17:18], -v[19:20]
	v_fma_f64 v[13:14], v[13:14], v[17:18], v[15:16]
	v_add_f64 v[1:2], v[1:2], v[11:12]
	v_add_f64 v[3:4], v[3:4], v[13:14]
	s_andn2_b32 exec_lo, exec_lo, s52
	s_cbranch_execnz .LBB44_628
; %bb.629:
	s_or_b32 exec_lo, exec_lo, s52
.LBB44_630:
	s_or_b32 exec_lo, exec_lo, s8
	v_mov_b32_e32 v8, 0
	ds_read_b128 v[8:11], v8 offset:560
	s_waitcnt lgkmcnt(0)
	v_mul_f64 v[12:13], v[3:4], v[10:11]
	v_mul_f64 v[10:11], v[1:2], v[10:11]
	v_fma_f64 v[1:2], v[1:2], v[8:9], -v[12:13]
	v_fma_f64 v[3:4], v[3:4], v[8:9], v[10:11]
	buffer_store_dword v2, off, s[0:3], 0 offset:564
	buffer_store_dword v1, off, s[0:3], 0 offset:560
	;; [unrolled: 1-line block ×4, first 2 shown]
.LBB44_631:
	s_or_b32 exec_lo, exec_lo, s4
	v_mov_b32_e32 v4, s15
	s_mov_b32 s4, exec_lo
	s_clause 0x3
	buffer_load_dword v1, v4, s[0:3], 0 offen
	buffer_load_dword v2, v4, s[0:3], 0 offen offset:4
	buffer_load_dword v3, v4, s[0:3], 0 offen offset:8
	;; [unrolled: 1-line block ×3, first 2 shown]
	s_waitcnt vmcnt(0)
	ds_write_b128 v6, v[1:4]
	s_waitcnt lgkmcnt(0)
	s_waitcnt_vscnt null, 0x0
	s_barrier
	buffer_gl0_inv
	v_cmpx_gt_u32_e32 36, v0
	s_cbranch_execz .LBB44_639
; %bb.632:
	ds_read_b128 v[1:4], v6
	v_cmp_ne_u32_e32 vcc_lo, 1, v7
	s_cbranch_vccnz .LBB44_634
; %bb.633:
	s_clause 0x3
	buffer_load_dword v8, v5, s[0:3], 0 offen offset:8
	buffer_load_dword v9, v5, s[0:3], 0 offen offset:12
	buffer_load_dword v10, v5, s[0:3], 0 offen
	buffer_load_dword v11, v5, s[0:3], 0 offen offset:4
	s_waitcnt vmcnt(2) lgkmcnt(0)
	v_mul_f64 v[12:13], v[3:4], v[8:9]
	v_mul_f64 v[8:9], v[1:2], v[8:9]
	s_waitcnt vmcnt(0)
	v_fma_f64 v[1:2], v[1:2], v[10:11], -v[12:13]
	v_fma_f64 v[3:4], v[3:4], v[10:11], v[8:9]
.LBB44_634:
	s_mov_b32 s8, exec_lo
	v_cmpx_ne_u32_e32 35, v0
	s_cbranch_execz .LBB44_638
; %bb.635:
	v_add_nc_u32_e32 v8, 0x2e0, v119
	v_add3_u32 v9, 0, v119, 16
	v_mov_b32_e32 v10, v0
	s_mov_b32 s52, 0
	.p2align	6
.LBB44_636:                             ; =>This Inner Loop Header: Depth=1
	s_clause 0x3
	buffer_load_dword v15, v9, s[0:3], 0 offen offset:8
	buffer_load_dword v16, v9, s[0:3], 0 offen offset:12
	buffer_load_dword v17, v9, s[0:3], 0 offen
	buffer_load_dword v18, v9, s[0:3], 0 offen offset:4
	ds_read_b128 v[11:14], v8
	v_add_nc_u32_e32 v10, 1, v10
	v_add_nc_u32_e32 v8, 16, v8
	v_add_nc_u32_e32 v9, 16, v9
	v_cmp_lt_u32_e32 vcc_lo, 34, v10
	s_or_b32 s52, vcc_lo, s52
	s_waitcnt vmcnt(2) lgkmcnt(0)
	v_mul_f64 v[19:20], v[13:14], v[15:16]
	v_mul_f64 v[15:16], v[11:12], v[15:16]
	s_waitcnt vmcnt(0)
	v_fma_f64 v[11:12], v[11:12], v[17:18], -v[19:20]
	v_fma_f64 v[13:14], v[13:14], v[17:18], v[15:16]
	v_add_f64 v[1:2], v[1:2], v[11:12]
	v_add_f64 v[3:4], v[3:4], v[13:14]
	s_andn2_b32 exec_lo, exec_lo, s52
	s_cbranch_execnz .LBB44_636
; %bb.637:
	s_or_b32 exec_lo, exec_lo, s52
.LBB44_638:
	s_or_b32 exec_lo, exec_lo, s8
	v_mov_b32_e32 v8, 0
	ds_read_b128 v[8:11], v8 offset:576
	s_waitcnt lgkmcnt(0)
	v_mul_f64 v[12:13], v[3:4], v[10:11]
	v_mul_f64 v[10:11], v[1:2], v[10:11]
	v_fma_f64 v[1:2], v[1:2], v[8:9], -v[12:13]
	v_fma_f64 v[3:4], v[3:4], v[8:9], v[10:11]
	buffer_store_dword v2, off, s[0:3], 0 offset:580
	buffer_store_dword v1, off, s[0:3], 0 offset:576
	;; [unrolled: 1-line block ×4, first 2 shown]
.LBB44_639:
	s_or_b32 exec_lo, exec_lo, s4
	v_mov_b32_e32 v4, s14
	s_mov_b32 s4, exec_lo
	s_clause 0x3
	buffer_load_dword v1, v4, s[0:3], 0 offen
	buffer_load_dword v2, v4, s[0:3], 0 offen offset:4
	buffer_load_dword v3, v4, s[0:3], 0 offen offset:8
	;; [unrolled: 1-line block ×3, first 2 shown]
	s_waitcnt vmcnt(0)
	ds_write_b128 v6, v[1:4]
	s_waitcnt lgkmcnt(0)
	s_waitcnt_vscnt null, 0x0
	s_barrier
	buffer_gl0_inv
	v_cmpx_gt_u32_e32 37, v0
	s_cbranch_execz .LBB44_647
; %bb.640:
	ds_read_b128 v[1:4], v6
	v_cmp_ne_u32_e32 vcc_lo, 1, v7
	s_cbranch_vccnz .LBB44_642
; %bb.641:
	s_clause 0x3
	buffer_load_dword v8, v5, s[0:3], 0 offen offset:8
	buffer_load_dword v9, v5, s[0:3], 0 offen offset:12
	buffer_load_dword v10, v5, s[0:3], 0 offen
	buffer_load_dword v11, v5, s[0:3], 0 offen offset:4
	s_waitcnt vmcnt(2) lgkmcnt(0)
	v_mul_f64 v[12:13], v[3:4], v[8:9]
	v_mul_f64 v[8:9], v[1:2], v[8:9]
	s_waitcnt vmcnt(0)
	v_fma_f64 v[1:2], v[1:2], v[10:11], -v[12:13]
	v_fma_f64 v[3:4], v[3:4], v[10:11], v[8:9]
.LBB44_642:
	s_mov_b32 s8, exec_lo
	v_cmpx_ne_u32_e32 36, v0
	s_cbranch_execz .LBB44_646
; %bb.643:
	v_add_nc_u32_e32 v8, 0x2e0, v119
	v_add3_u32 v9, 0, v119, 16
	v_mov_b32_e32 v10, v0
	s_mov_b32 s52, 0
	.p2align	6
.LBB44_644:                             ; =>This Inner Loop Header: Depth=1
	s_clause 0x3
	buffer_load_dword v15, v9, s[0:3], 0 offen offset:8
	buffer_load_dword v16, v9, s[0:3], 0 offen offset:12
	buffer_load_dword v17, v9, s[0:3], 0 offen
	buffer_load_dword v18, v9, s[0:3], 0 offen offset:4
	ds_read_b128 v[11:14], v8
	v_add_nc_u32_e32 v10, 1, v10
	v_add_nc_u32_e32 v8, 16, v8
	;; [unrolled: 1-line block ×3, first 2 shown]
	v_cmp_lt_u32_e32 vcc_lo, 35, v10
	s_or_b32 s52, vcc_lo, s52
	s_waitcnt vmcnt(2) lgkmcnt(0)
	v_mul_f64 v[19:20], v[13:14], v[15:16]
	v_mul_f64 v[15:16], v[11:12], v[15:16]
	s_waitcnt vmcnt(0)
	v_fma_f64 v[11:12], v[11:12], v[17:18], -v[19:20]
	v_fma_f64 v[13:14], v[13:14], v[17:18], v[15:16]
	v_add_f64 v[1:2], v[1:2], v[11:12]
	v_add_f64 v[3:4], v[3:4], v[13:14]
	s_andn2_b32 exec_lo, exec_lo, s52
	s_cbranch_execnz .LBB44_644
; %bb.645:
	s_or_b32 exec_lo, exec_lo, s52
.LBB44_646:
	s_or_b32 exec_lo, exec_lo, s8
	v_mov_b32_e32 v8, 0
	ds_read_b128 v[8:11], v8 offset:592
	s_waitcnt lgkmcnt(0)
	v_mul_f64 v[12:13], v[3:4], v[10:11]
	v_mul_f64 v[10:11], v[1:2], v[10:11]
	v_fma_f64 v[1:2], v[1:2], v[8:9], -v[12:13]
	v_fma_f64 v[3:4], v[3:4], v[8:9], v[10:11]
	buffer_store_dword v2, off, s[0:3], 0 offset:596
	buffer_store_dword v1, off, s[0:3], 0 offset:592
	;; [unrolled: 1-line block ×4, first 2 shown]
.LBB44_647:
	s_or_b32 exec_lo, exec_lo, s4
	v_mov_b32_e32 v4, s13
	s_mov_b32 s4, exec_lo
	s_clause 0x3
	buffer_load_dword v1, v4, s[0:3], 0 offen
	buffer_load_dword v2, v4, s[0:3], 0 offen offset:4
	buffer_load_dword v3, v4, s[0:3], 0 offen offset:8
	;; [unrolled: 1-line block ×3, first 2 shown]
	s_waitcnt vmcnt(0)
	ds_write_b128 v6, v[1:4]
	s_waitcnt lgkmcnt(0)
	s_waitcnt_vscnt null, 0x0
	s_barrier
	buffer_gl0_inv
	v_cmpx_gt_u32_e32 38, v0
	s_cbranch_execz .LBB44_655
; %bb.648:
	ds_read_b128 v[1:4], v6
	v_cmp_ne_u32_e32 vcc_lo, 1, v7
	s_cbranch_vccnz .LBB44_650
; %bb.649:
	s_clause 0x3
	buffer_load_dword v8, v5, s[0:3], 0 offen offset:8
	buffer_load_dword v9, v5, s[0:3], 0 offen offset:12
	buffer_load_dword v10, v5, s[0:3], 0 offen
	buffer_load_dword v11, v5, s[0:3], 0 offen offset:4
	s_waitcnt vmcnt(2) lgkmcnt(0)
	v_mul_f64 v[12:13], v[3:4], v[8:9]
	v_mul_f64 v[8:9], v[1:2], v[8:9]
	s_waitcnt vmcnt(0)
	v_fma_f64 v[1:2], v[1:2], v[10:11], -v[12:13]
	v_fma_f64 v[3:4], v[3:4], v[10:11], v[8:9]
.LBB44_650:
	s_mov_b32 s8, exec_lo
	v_cmpx_ne_u32_e32 37, v0
	s_cbranch_execz .LBB44_654
; %bb.651:
	v_add_nc_u32_e32 v8, 0x2e0, v119
	v_add3_u32 v9, 0, v119, 16
	v_mov_b32_e32 v10, v0
	s_mov_b32 s52, 0
	.p2align	6
.LBB44_652:                             ; =>This Inner Loop Header: Depth=1
	s_clause 0x3
	buffer_load_dword v15, v9, s[0:3], 0 offen offset:8
	buffer_load_dword v16, v9, s[0:3], 0 offen offset:12
	buffer_load_dword v17, v9, s[0:3], 0 offen
	buffer_load_dword v18, v9, s[0:3], 0 offen offset:4
	ds_read_b128 v[11:14], v8
	v_add_nc_u32_e32 v10, 1, v10
	v_add_nc_u32_e32 v8, 16, v8
	;; [unrolled: 1-line block ×3, first 2 shown]
	v_cmp_lt_u32_e32 vcc_lo, 36, v10
	s_or_b32 s52, vcc_lo, s52
	s_waitcnt vmcnt(2) lgkmcnt(0)
	v_mul_f64 v[19:20], v[13:14], v[15:16]
	v_mul_f64 v[15:16], v[11:12], v[15:16]
	s_waitcnt vmcnt(0)
	v_fma_f64 v[11:12], v[11:12], v[17:18], -v[19:20]
	v_fma_f64 v[13:14], v[13:14], v[17:18], v[15:16]
	v_add_f64 v[1:2], v[1:2], v[11:12]
	v_add_f64 v[3:4], v[3:4], v[13:14]
	s_andn2_b32 exec_lo, exec_lo, s52
	s_cbranch_execnz .LBB44_652
; %bb.653:
	s_or_b32 exec_lo, exec_lo, s52
.LBB44_654:
	s_or_b32 exec_lo, exec_lo, s8
	v_mov_b32_e32 v8, 0
	ds_read_b128 v[8:11], v8 offset:608
	s_waitcnt lgkmcnt(0)
	v_mul_f64 v[12:13], v[3:4], v[10:11]
	v_mul_f64 v[10:11], v[1:2], v[10:11]
	v_fma_f64 v[1:2], v[1:2], v[8:9], -v[12:13]
	v_fma_f64 v[3:4], v[3:4], v[8:9], v[10:11]
	buffer_store_dword v2, off, s[0:3], 0 offset:612
	buffer_store_dword v1, off, s[0:3], 0 offset:608
	;; [unrolled: 1-line block ×4, first 2 shown]
.LBB44_655:
	s_or_b32 exec_lo, exec_lo, s4
	v_mov_b32_e32 v4, s12
	s_mov_b32 s4, exec_lo
	s_clause 0x3
	buffer_load_dword v1, v4, s[0:3], 0 offen
	buffer_load_dword v2, v4, s[0:3], 0 offen offset:4
	buffer_load_dword v3, v4, s[0:3], 0 offen offset:8
	;; [unrolled: 1-line block ×3, first 2 shown]
	s_waitcnt vmcnt(0)
	ds_write_b128 v6, v[1:4]
	s_waitcnt lgkmcnt(0)
	s_waitcnt_vscnt null, 0x0
	s_barrier
	buffer_gl0_inv
	v_cmpx_gt_u32_e32 39, v0
	s_cbranch_execz .LBB44_663
; %bb.656:
	ds_read_b128 v[1:4], v6
	v_cmp_ne_u32_e32 vcc_lo, 1, v7
	s_cbranch_vccnz .LBB44_658
; %bb.657:
	s_clause 0x3
	buffer_load_dword v8, v5, s[0:3], 0 offen offset:8
	buffer_load_dword v9, v5, s[0:3], 0 offen offset:12
	buffer_load_dword v10, v5, s[0:3], 0 offen
	buffer_load_dword v11, v5, s[0:3], 0 offen offset:4
	s_waitcnt vmcnt(2) lgkmcnt(0)
	v_mul_f64 v[12:13], v[3:4], v[8:9]
	v_mul_f64 v[8:9], v[1:2], v[8:9]
	s_waitcnt vmcnt(0)
	v_fma_f64 v[1:2], v[1:2], v[10:11], -v[12:13]
	v_fma_f64 v[3:4], v[3:4], v[10:11], v[8:9]
.LBB44_658:
	s_mov_b32 s8, exec_lo
	v_cmpx_ne_u32_e32 38, v0
	s_cbranch_execz .LBB44_662
; %bb.659:
	v_add_nc_u32_e32 v8, 0x2e0, v119
	v_add3_u32 v9, 0, v119, 16
	v_mov_b32_e32 v10, v0
	s_mov_b32 s52, 0
	.p2align	6
.LBB44_660:                             ; =>This Inner Loop Header: Depth=1
	s_clause 0x3
	buffer_load_dword v15, v9, s[0:3], 0 offen offset:8
	buffer_load_dword v16, v9, s[0:3], 0 offen offset:12
	buffer_load_dword v17, v9, s[0:3], 0 offen
	buffer_load_dword v18, v9, s[0:3], 0 offen offset:4
	ds_read_b128 v[11:14], v8
	v_add_nc_u32_e32 v10, 1, v10
	v_add_nc_u32_e32 v8, 16, v8
	;; [unrolled: 1-line block ×3, first 2 shown]
	v_cmp_lt_u32_e32 vcc_lo, 37, v10
	s_or_b32 s52, vcc_lo, s52
	s_waitcnt vmcnt(2) lgkmcnt(0)
	v_mul_f64 v[19:20], v[13:14], v[15:16]
	v_mul_f64 v[15:16], v[11:12], v[15:16]
	s_waitcnt vmcnt(0)
	v_fma_f64 v[11:12], v[11:12], v[17:18], -v[19:20]
	v_fma_f64 v[13:14], v[13:14], v[17:18], v[15:16]
	v_add_f64 v[1:2], v[1:2], v[11:12]
	v_add_f64 v[3:4], v[3:4], v[13:14]
	s_andn2_b32 exec_lo, exec_lo, s52
	s_cbranch_execnz .LBB44_660
; %bb.661:
	s_or_b32 exec_lo, exec_lo, s52
.LBB44_662:
	s_or_b32 exec_lo, exec_lo, s8
	v_mov_b32_e32 v8, 0
	ds_read_b128 v[8:11], v8 offset:624
	s_waitcnt lgkmcnt(0)
	v_mul_f64 v[12:13], v[3:4], v[10:11]
	v_mul_f64 v[10:11], v[1:2], v[10:11]
	v_fma_f64 v[1:2], v[1:2], v[8:9], -v[12:13]
	v_fma_f64 v[3:4], v[3:4], v[8:9], v[10:11]
	buffer_store_dword v2, off, s[0:3], 0 offset:628
	buffer_store_dword v1, off, s[0:3], 0 offset:624
	;; [unrolled: 1-line block ×4, first 2 shown]
.LBB44_663:
	s_or_b32 exec_lo, exec_lo, s4
	v_mov_b32_e32 v4, s11
	s_mov_b32 s4, exec_lo
	s_clause 0x3
	buffer_load_dword v1, v4, s[0:3], 0 offen
	buffer_load_dword v2, v4, s[0:3], 0 offen offset:4
	buffer_load_dword v3, v4, s[0:3], 0 offen offset:8
	;; [unrolled: 1-line block ×3, first 2 shown]
	s_waitcnt vmcnt(0)
	ds_write_b128 v6, v[1:4]
	s_waitcnt lgkmcnt(0)
	s_waitcnt_vscnt null, 0x0
	s_barrier
	buffer_gl0_inv
	v_cmpx_gt_u32_e32 40, v0
	s_cbranch_execz .LBB44_671
; %bb.664:
	ds_read_b128 v[1:4], v6
	v_cmp_ne_u32_e32 vcc_lo, 1, v7
	s_cbranch_vccnz .LBB44_666
; %bb.665:
	s_clause 0x3
	buffer_load_dword v8, v5, s[0:3], 0 offen offset:8
	buffer_load_dword v9, v5, s[0:3], 0 offen offset:12
	buffer_load_dword v10, v5, s[0:3], 0 offen
	buffer_load_dword v11, v5, s[0:3], 0 offen offset:4
	s_waitcnt vmcnt(2) lgkmcnt(0)
	v_mul_f64 v[12:13], v[3:4], v[8:9]
	v_mul_f64 v[8:9], v[1:2], v[8:9]
	s_waitcnt vmcnt(0)
	v_fma_f64 v[1:2], v[1:2], v[10:11], -v[12:13]
	v_fma_f64 v[3:4], v[3:4], v[10:11], v[8:9]
.LBB44_666:
	s_mov_b32 s8, exec_lo
	v_cmpx_ne_u32_e32 39, v0
	s_cbranch_execz .LBB44_670
; %bb.667:
	v_add_nc_u32_e32 v8, 0x2e0, v119
	v_add3_u32 v9, 0, v119, 16
	v_mov_b32_e32 v10, v0
	s_mov_b32 s52, 0
	.p2align	6
.LBB44_668:                             ; =>This Inner Loop Header: Depth=1
	s_clause 0x3
	buffer_load_dword v15, v9, s[0:3], 0 offen offset:8
	buffer_load_dword v16, v9, s[0:3], 0 offen offset:12
	buffer_load_dword v17, v9, s[0:3], 0 offen
	buffer_load_dword v18, v9, s[0:3], 0 offen offset:4
	ds_read_b128 v[11:14], v8
	v_add_nc_u32_e32 v10, 1, v10
	v_add_nc_u32_e32 v8, 16, v8
	;; [unrolled: 1-line block ×3, first 2 shown]
	v_cmp_lt_u32_e32 vcc_lo, 38, v10
	s_or_b32 s52, vcc_lo, s52
	s_waitcnt vmcnt(2) lgkmcnt(0)
	v_mul_f64 v[19:20], v[13:14], v[15:16]
	v_mul_f64 v[15:16], v[11:12], v[15:16]
	s_waitcnt vmcnt(0)
	v_fma_f64 v[11:12], v[11:12], v[17:18], -v[19:20]
	v_fma_f64 v[13:14], v[13:14], v[17:18], v[15:16]
	v_add_f64 v[1:2], v[1:2], v[11:12]
	v_add_f64 v[3:4], v[3:4], v[13:14]
	s_andn2_b32 exec_lo, exec_lo, s52
	s_cbranch_execnz .LBB44_668
; %bb.669:
	s_or_b32 exec_lo, exec_lo, s52
.LBB44_670:
	s_or_b32 exec_lo, exec_lo, s8
	v_mov_b32_e32 v8, 0
	ds_read_b128 v[8:11], v8 offset:640
	s_waitcnt lgkmcnt(0)
	v_mul_f64 v[12:13], v[3:4], v[10:11]
	v_mul_f64 v[10:11], v[1:2], v[10:11]
	v_fma_f64 v[1:2], v[1:2], v[8:9], -v[12:13]
	v_fma_f64 v[3:4], v[3:4], v[8:9], v[10:11]
	buffer_store_dword v2, off, s[0:3], 0 offset:644
	buffer_store_dword v1, off, s[0:3], 0 offset:640
	buffer_store_dword v4, off, s[0:3], 0 offset:652
	buffer_store_dword v3, off, s[0:3], 0 offset:648
.LBB44_671:
	s_or_b32 exec_lo, exec_lo, s4
	v_mov_b32_e32 v4, s10
	s_mov_b32 s4, exec_lo
	s_clause 0x3
	buffer_load_dword v1, v4, s[0:3], 0 offen
	buffer_load_dword v2, v4, s[0:3], 0 offen offset:4
	buffer_load_dword v3, v4, s[0:3], 0 offen offset:8
	;; [unrolled: 1-line block ×3, first 2 shown]
	s_waitcnt vmcnt(0)
	ds_write_b128 v6, v[1:4]
	s_waitcnt lgkmcnt(0)
	s_waitcnt_vscnt null, 0x0
	s_barrier
	buffer_gl0_inv
	v_cmpx_gt_u32_e32 41, v0
	s_cbranch_execz .LBB44_679
; %bb.672:
	ds_read_b128 v[1:4], v6
	v_cmp_ne_u32_e32 vcc_lo, 1, v7
	s_cbranch_vccnz .LBB44_674
; %bb.673:
	s_clause 0x3
	buffer_load_dword v8, v5, s[0:3], 0 offen offset:8
	buffer_load_dword v9, v5, s[0:3], 0 offen offset:12
	buffer_load_dword v10, v5, s[0:3], 0 offen
	buffer_load_dword v11, v5, s[0:3], 0 offen offset:4
	s_waitcnt vmcnt(2) lgkmcnt(0)
	v_mul_f64 v[12:13], v[3:4], v[8:9]
	v_mul_f64 v[8:9], v[1:2], v[8:9]
	s_waitcnt vmcnt(0)
	v_fma_f64 v[1:2], v[1:2], v[10:11], -v[12:13]
	v_fma_f64 v[3:4], v[3:4], v[10:11], v[8:9]
.LBB44_674:
	s_mov_b32 s8, exec_lo
	v_cmpx_ne_u32_e32 40, v0
	s_cbranch_execz .LBB44_678
; %bb.675:
	v_add_nc_u32_e32 v8, 0x2e0, v119
	v_add3_u32 v9, 0, v119, 16
	v_mov_b32_e32 v10, v0
	s_mov_b32 s52, 0
	.p2align	6
.LBB44_676:                             ; =>This Inner Loop Header: Depth=1
	s_clause 0x3
	buffer_load_dword v15, v9, s[0:3], 0 offen offset:8
	buffer_load_dword v16, v9, s[0:3], 0 offen offset:12
	buffer_load_dword v17, v9, s[0:3], 0 offen
	buffer_load_dword v18, v9, s[0:3], 0 offen offset:4
	ds_read_b128 v[11:14], v8
	v_add_nc_u32_e32 v10, 1, v10
	v_add_nc_u32_e32 v8, 16, v8
	;; [unrolled: 1-line block ×3, first 2 shown]
	v_cmp_lt_u32_e32 vcc_lo, 39, v10
	s_or_b32 s52, vcc_lo, s52
	s_waitcnt vmcnt(2) lgkmcnt(0)
	v_mul_f64 v[19:20], v[13:14], v[15:16]
	v_mul_f64 v[15:16], v[11:12], v[15:16]
	s_waitcnt vmcnt(0)
	v_fma_f64 v[11:12], v[11:12], v[17:18], -v[19:20]
	v_fma_f64 v[13:14], v[13:14], v[17:18], v[15:16]
	v_add_f64 v[1:2], v[1:2], v[11:12]
	v_add_f64 v[3:4], v[3:4], v[13:14]
	s_andn2_b32 exec_lo, exec_lo, s52
	s_cbranch_execnz .LBB44_676
; %bb.677:
	s_or_b32 exec_lo, exec_lo, s52
.LBB44_678:
	s_or_b32 exec_lo, exec_lo, s8
	v_mov_b32_e32 v8, 0
	ds_read_b128 v[8:11], v8 offset:656
	s_waitcnt lgkmcnt(0)
	v_mul_f64 v[12:13], v[3:4], v[10:11]
	v_mul_f64 v[10:11], v[1:2], v[10:11]
	v_fma_f64 v[1:2], v[1:2], v[8:9], -v[12:13]
	v_fma_f64 v[3:4], v[3:4], v[8:9], v[10:11]
	buffer_store_dword v2, off, s[0:3], 0 offset:660
	buffer_store_dword v1, off, s[0:3], 0 offset:656
	;; [unrolled: 1-line block ×4, first 2 shown]
.LBB44_679:
	s_or_b32 exec_lo, exec_lo, s4
	v_mov_b32_e32 v4, s9
	s_mov_b32 s4, exec_lo
	s_clause 0x3
	buffer_load_dword v1, v4, s[0:3], 0 offen
	buffer_load_dword v2, v4, s[0:3], 0 offen offset:4
	buffer_load_dword v3, v4, s[0:3], 0 offen offset:8
	;; [unrolled: 1-line block ×3, first 2 shown]
	s_waitcnt vmcnt(0)
	ds_write_b128 v6, v[1:4]
	s_waitcnt lgkmcnt(0)
	s_waitcnt_vscnt null, 0x0
	s_barrier
	buffer_gl0_inv
	v_cmpx_gt_u32_e32 42, v0
	s_cbranch_execz .LBB44_687
; %bb.680:
	ds_read_b128 v[1:4], v6
	v_cmp_ne_u32_e32 vcc_lo, 1, v7
	s_cbranch_vccnz .LBB44_682
; %bb.681:
	s_clause 0x3
	buffer_load_dword v8, v5, s[0:3], 0 offen offset:8
	buffer_load_dword v9, v5, s[0:3], 0 offen offset:12
	buffer_load_dword v10, v5, s[0:3], 0 offen
	buffer_load_dword v11, v5, s[0:3], 0 offen offset:4
	s_waitcnt vmcnt(2) lgkmcnt(0)
	v_mul_f64 v[12:13], v[3:4], v[8:9]
	v_mul_f64 v[8:9], v[1:2], v[8:9]
	s_waitcnt vmcnt(0)
	v_fma_f64 v[1:2], v[1:2], v[10:11], -v[12:13]
	v_fma_f64 v[3:4], v[3:4], v[10:11], v[8:9]
.LBB44_682:
	s_mov_b32 s8, exec_lo
	v_cmpx_ne_u32_e32 41, v0
	s_cbranch_execz .LBB44_686
; %bb.683:
	v_add_nc_u32_e32 v8, 0x2e0, v119
	v_add3_u32 v9, 0, v119, 16
	v_mov_b32_e32 v10, v0
	s_mov_b32 s52, 0
	.p2align	6
.LBB44_684:                             ; =>This Inner Loop Header: Depth=1
	s_clause 0x3
	buffer_load_dword v15, v9, s[0:3], 0 offen offset:8
	buffer_load_dword v16, v9, s[0:3], 0 offen offset:12
	buffer_load_dword v17, v9, s[0:3], 0 offen
	buffer_load_dword v18, v9, s[0:3], 0 offen offset:4
	ds_read_b128 v[11:14], v8
	v_add_nc_u32_e32 v10, 1, v10
	v_add_nc_u32_e32 v8, 16, v8
	;; [unrolled: 1-line block ×3, first 2 shown]
	v_cmp_lt_u32_e32 vcc_lo, 40, v10
	s_or_b32 s52, vcc_lo, s52
	s_waitcnt vmcnt(2) lgkmcnt(0)
	v_mul_f64 v[19:20], v[13:14], v[15:16]
	v_mul_f64 v[15:16], v[11:12], v[15:16]
	s_waitcnt vmcnt(0)
	v_fma_f64 v[11:12], v[11:12], v[17:18], -v[19:20]
	v_fma_f64 v[13:14], v[13:14], v[17:18], v[15:16]
	v_add_f64 v[1:2], v[1:2], v[11:12]
	v_add_f64 v[3:4], v[3:4], v[13:14]
	s_andn2_b32 exec_lo, exec_lo, s52
	s_cbranch_execnz .LBB44_684
; %bb.685:
	s_or_b32 exec_lo, exec_lo, s52
.LBB44_686:
	s_or_b32 exec_lo, exec_lo, s8
	v_mov_b32_e32 v8, 0
	ds_read_b128 v[8:11], v8 offset:672
	s_waitcnt lgkmcnt(0)
	v_mul_f64 v[12:13], v[3:4], v[10:11]
	v_mul_f64 v[10:11], v[1:2], v[10:11]
	v_fma_f64 v[1:2], v[1:2], v[8:9], -v[12:13]
	v_fma_f64 v[3:4], v[3:4], v[8:9], v[10:11]
	buffer_store_dword v2, off, s[0:3], 0 offset:676
	buffer_store_dword v1, off, s[0:3], 0 offset:672
	;; [unrolled: 1-line block ×4, first 2 shown]
.LBB44_687:
	s_or_b32 exec_lo, exec_lo, s4
	v_mov_b32_e32 v4, s7
	v_cmp_gt_u32_e64 s4, 43, v0
	s_clause 0x3
	buffer_load_dword v1, v4, s[0:3], 0 offen
	buffer_load_dword v2, v4, s[0:3], 0 offen offset:4
	buffer_load_dword v3, v4, s[0:3], 0 offen offset:8
	;; [unrolled: 1-line block ×3, first 2 shown]
	s_waitcnt vmcnt(0)
	ds_write_b128 v6, v[1:4]
	s_waitcnt lgkmcnt(0)
	s_waitcnt_vscnt null, 0x0
	s_barrier
	buffer_gl0_inv
	s_and_saveexec_b32 s8, s4
	s_cbranch_execz .LBB44_695
; %bb.688:
	ds_read_b128 v[1:4], v6
	v_cmp_ne_u32_e32 vcc_lo, 1, v7
	s_cbranch_vccnz .LBB44_690
; %bb.689:
	s_clause 0x3
	buffer_load_dword v8, v5, s[0:3], 0 offen offset:8
	buffer_load_dword v9, v5, s[0:3], 0 offen offset:12
	buffer_load_dword v10, v5, s[0:3], 0 offen
	buffer_load_dword v11, v5, s[0:3], 0 offen offset:4
	s_waitcnt vmcnt(2) lgkmcnt(0)
	v_mul_f64 v[12:13], v[3:4], v[8:9]
	v_mul_f64 v[8:9], v[1:2], v[8:9]
	s_waitcnt vmcnt(0)
	v_fma_f64 v[1:2], v[1:2], v[10:11], -v[12:13]
	v_fma_f64 v[3:4], v[3:4], v[10:11], v[8:9]
.LBB44_690:
	s_mov_b32 s52, exec_lo
	v_cmpx_ne_u32_e32 42, v0
	s_cbranch_execz .LBB44_694
; %bb.691:
	v_add_nc_u32_e32 v8, 0x2e0, v119
	v_add3_u32 v9, 0, v119, 16
	v_mov_b32_e32 v10, v0
	s_mov_b32 s53, 0
	.p2align	6
.LBB44_692:                             ; =>This Inner Loop Header: Depth=1
	s_clause 0x3
	buffer_load_dword v15, v9, s[0:3], 0 offen offset:8
	buffer_load_dword v16, v9, s[0:3], 0 offen offset:12
	buffer_load_dword v17, v9, s[0:3], 0 offen
	buffer_load_dword v18, v9, s[0:3], 0 offen offset:4
	ds_read_b128 v[11:14], v8
	v_add_nc_u32_e32 v10, 1, v10
	v_add_nc_u32_e32 v8, 16, v8
	;; [unrolled: 1-line block ×3, first 2 shown]
	v_cmp_lt_u32_e32 vcc_lo, 41, v10
	s_or_b32 s53, vcc_lo, s53
	s_waitcnt vmcnt(2) lgkmcnt(0)
	v_mul_f64 v[19:20], v[13:14], v[15:16]
	v_mul_f64 v[15:16], v[11:12], v[15:16]
	s_waitcnt vmcnt(0)
	v_fma_f64 v[11:12], v[11:12], v[17:18], -v[19:20]
	v_fma_f64 v[13:14], v[13:14], v[17:18], v[15:16]
	v_add_f64 v[1:2], v[1:2], v[11:12]
	v_add_f64 v[3:4], v[3:4], v[13:14]
	s_andn2_b32 exec_lo, exec_lo, s53
	s_cbranch_execnz .LBB44_692
; %bb.693:
	s_or_b32 exec_lo, exec_lo, s53
.LBB44_694:
	s_or_b32 exec_lo, exec_lo, s52
	v_mov_b32_e32 v8, 0
	ds_read_b128 v[8:11], v8 offset:688
	s_waitcnt lgkmcnt(0)
	v_mul_f64 v[12:13], v[3:4], v[10:11]
	v_mul_f64 v[10:11], v[1:2], v[10:11]
	v_fma_f64 v[1:2], v[1:2], v[8:9], -v[12:13]
	v_fma_f64 v[3:4], v[3:4], v[8:9], v[10:11]
	buffer_store_dword v2, off, s[0:3], 0 offset:692
	buffer_store_dword v1, off, s[0:3], 0 offset:688
	;; [unrolled: 1-line block ×4, first 2 shown]
.LBB44_695:
	s_or_b32 exec_lo, exec_lo, s8
	v_mov_b32_e32 v4, s6
	s_mov_b32 s8, exec_lo
                                        ; implicit-def: $sgpr54
	s_clause 0x3
	buffer_load_dword v1, v4, s[0:3], 0 offen
	buffer_load_dword v2, v4, s[0:3], 0 offen offset:4
	buffer_load_dword v3, v4, s[0:3], 0 offen offset:8
	buffer_load_dword v4, v4, s[0:3], 0 offen offset:12
	s_waitcnt vmcnt(0)
	ds_write_b128 v6, v[1:4]
	s_waitcnt lgkmcnt(0)
	s_waitcnt_vscnt null, 0x0
	s_barrier
	buffer_gl0_inv
                                        ; implicit-def: $vgpr1_vgpr2
	v_cmpx_ne_u32_e32 44, v0
	s_cbranch_execz .LBB44_703
; %bb.696:
	ds_read_b128 v[1:4], v6
	v_cmp_ne_u32_e32 vcc_lo, 1, v7
	s_cbranch_vccnz .LBB44_698
; %bb.697:
	s_clause 0x3
	buffer_load_dword v6, v5, s[0:3], 0 offen offset:8
	buffer_load_dword v7, v5, s[0:3], 0 offen offset:12
	buffer_load_dword v8, v5, s[0:3], 0 offen
	buffer_load_dword v9, v5, s[0:3], 0 offen offset:4
	s_waitcnt vmcnt(2) lgkmcnt(0)
	v_mul_f64 v[10:11], v[3:4], v[6:7]
	v_mul_f64 v[5:6], v[1:2], v[6:7]
	s_waitcnt vmcnt(0)
	v_fma_f64 v[1:2], v[1:2], v[8:9], -v[10:11]
	v_fma_f64 v[3:4], v[3:4], v[8:9], v[5:6]
.LBB44_698:
	s_and_saveexec_b32 s52, s4
	s_cbranch_execz .LBB44_702
; %bb.699:
	v_add_nc_u32_e32 v5, 0x2e0, v119
	v_add3_u32 v6, 0, v119, 16
	s_mov_b32 s4, 0
	.p2align	6
.LBB44_700:                             ; =>This Inner Loop Header: Depth=1
	s_clause 0x3
	buffer_load_dword v11, v6, s[0:3], 0 offen offset:8
	buffer_load_dword v12, v6, s[0:3], 0 offen offset:12
	buffer_load_dword v13, v6, s[0:3], 0 offen
	buffer_load_dword v14, v6, s[0:3], 0 offen offset:4
	ds_read_b128 v[7:10], v5
	v_add_nc_u32_e32 v0, 1, v0
	v_add_nc_u32_e32 v5, 16, v5
	;; [unrolled: 1-line block ×3, first 2 shown]
	v_cmp_lt_u32_e32 vcc_lo, 42, v0
	s_or_b32 s4, vcc_lo, s4
	s_waitcnt vmcnt(2) lgkmcnt(0)
	v_mul_f64 v[15:16], v[9:10], v[11:12]
	v_mul_f64 v[11:12], v[7:8], v[11:12]
	s_waitcnt vmcnt(0)
	v_fma_f64 v[7:8], v[7:8], v[13:14], -v[15:16]
	v_fma_f64 v[9:10], v[9:10], v[13:14], v[11:12]
	v_add_f64 v[1:2], v[1:2], v[7:8]
	v_add_f64 v[3:4], v[3:4], v[9:10]
	s_andn2_b32 exec_lo, exec_lo, s4
	s_cbranch_execnz .LBB44_700
; %bb.701:
	s_or_b32 exec_lo, exec_lo, s4
.LBB44_702:
	s_or_b32 exec_lo, exec_lo, s52
	v_mov_b32_e32 v0, 0
	s_movk_i32 s54, 0x2c8
	s_or_b32 s5, s5, exec_lo
	ds_read_b128 v[5:8], v0 offset:704
	s_waitcnt lgkmcnt(0)
	v_mul_f64 v[9:10], v[3:4], v[7:8]
	v_mul_f64 v[7:8], v[1:2], v[7:8]
	v_fma_f64 v[9:10], v[1:2], v[5:6], -v[9:10]
	v_fma_f64 v[1:2], v[3:4], v[5:6], v[7:8]
	buffer_store_dword v10, off, s[0:3], 0 offset:708
	buffer_store_dword v9, off, s[0:3], 0 offset:704
.LBB44_703:
	s_or_b32 exec_lo, exec_lo, s8
.LBB44_704:
	s_and_saveexec_b32 s4, s5
	s_cbranch_execz .LBB44_706
; %bb.705:
	v_mov_b32_e32 v0, s54
	buffer_store_dword v2, v0, s[0:3], 0 offen offset:4
	buffer_store_dword v1, v0, s[0:3], 0 offen
.LBB44_706:
	s_or_b32 exec_lo, exec_lo, s4
	s_clause 0x3
	buffer_load_dword v0, off, s[0:3], 0
	buffer_load_dword v1, off, s[0:3], 0 offset:4
	buffer_load_dword v2, off, s[0:3], 0 offset:8
	;; [unrolled: 1-line block ×3, first 2 shown]
	v_mov_b32_e32 v7, s51
	v_mov_b32_e32 v11, s50
	;; [unrolled: 1-line block ×4, first 2 shown]
	s_clause 0xb
	buffer_load_dword v4, v7, s[0:3], 0 offen
	buffer_load_dword v5, v7, s[0:3], 0 offen offset:4
	buffer_load_dword v6, v7, s[0:3], 0 offen offset:8
	buffer_load_dword v7, v7, s[0:3], 0 offen offset:12
	buffer_load_dword v8, v11, s[0:3], 0 offen
	buffer_load_dword v9, v11, s[0:3], 0 offen offset:4
	buffer_load_dword v10, v11, s[0:3], 0 offen offset:8
	buffer_load_dword v11, v11, s[0:3], 0 offen offset:12
	;; [unrolled: 4-line block ×3, first 2 shown]
	v_mov_b32_e32 v23, s47
	s_clause 0x7
	buffer_load_dword v16, v19, s[0:3], 0 offen
	buffer_load_dword v17, v19, s[0:3], 0 offen offset:4
	buffer_load_dword v18, v19, s[0:3], 0 offen offset:8
	buffer_load_dword v19, v19, s[0:3], 0 offen offset:12
	buffer_load_dword v20, v23, s[0:3], 0 offen
	buffer_load_dword v21, v23, s[0:3], 0 offen offset:4
	buffer_load_dword v22, v23, s[0:3], 0 offen offset:8
	buffer_load_dword v23, v23, s[0:3], 0 offen offset:12
	v_mov_b32_e32 v27, s46
	s_clause 0x3
	buffer_load_dword v24, v27, s[0:3], 0 offen
	buffer_load_dword v25, v27, s[0:3], 0 offen offset:4
	buffer_load_dword v26, v27, s[0:3], 0 offen offset:8
	;; [unrolled: 1-line block ×3, first 2 shown]
	v_mov_b32_e32 v28, s45
	s_clause 0x3
	buffer_load_dword v119, v28, s[0:3], 0 offen
	buffer_load_dword v120, v28, s[0:3], 0 offen offset:4
	buffer_load_dword v121, v28, s[0:3], 0 offen offset:8
	;; [unrolled: 1-line block ×3, first 2 shown]
	v_mov_b32_e32 v28, s44
	v_mov_b32_e32 v131, s13
	;; [unrolled: 1-line block ×8, first 2 shown]
	s_waitcnt vmcnt(28)
	global_store_dwordx4 v[37:38], v[0:3], off
	s_clause 0x3
	buffer_load_dword v0, v28, s[0:3], 0 offen
	buffer_load_dword v1, v28, s[0:3], 0 offen offset:4
	buffer_load_dword v2, v28, s[0:3], 0 offen offset:8
	;; [unrolled: 1-line block ×3, first 2 shown]
	v_mov_b32_e32 v28, s43
	s_clause 0x3
	buffer_load_dword v123, v28, s[0:3], 0 offen
	buffer_load_dword v124, v28, s[0:3], 0 offen offset:4
	buffer_load_dword v125, v28, s[0:3], 0 offen offset:8
	;; [unrolled: 1-line block ×3, first 2 shown]
	s_waitcnt vmcnt(32)
	global_store_dwordx4 v[35:36], v[4:7], off
	v_mov_b32_e32 v7, s42
	v_mov_b32_e32 v28, s41
	s_clause 0x3
	buffer_load_dword v4, v7, s[0:3], 0 offen
	buffer_load_dword v5, v7, s[0:3], 0 offen offset:4
	buffer_load_dword v6, v7, s[0:3], 0 offen offset:8
	;; [unrolled: 1-line block ×3, first 2 shown]
	v_mov_b32_e32 v35, s40
	s_waitcnt vmcnt(32)
	global_store_dwordx4 v[33:34], v[8:11], off
	s_clause 0x3
	buffer_load_dword v8, v28, s[0:3], 0 offen
	buffer_load_dword v9, v28, s[0:3], 0 offen offset:4
	buffer_load_dword v10, v28, s[0:3], 0 offen offset:8
	;; [unrolled: 1-line block ×3, first 2 shown]
	v_mov_b32_e32 v28, s39
	s_waitcnt vmcnt(32)
	global_store_dwordx4 v[31:32], v[12:15], off
	s_clause 0x3
	buffer_load_dword v12, v35, s[0:3], 0 offen
	buffer_load_dword v13, v35, s[0:3], 0 offen offset:4
	buffer_load_dword v14, v35, s[0:3], 0 offen offset:8
	;; [unrolled: 1-line block ×3, first 2 shown]
	v_mov_b32_e32 v35, s38
	s_clause 0x3
	buffer_load_dword v31, v28, s[0:3], 0 offen
	buffer_load_dword v32, v28, s[0:3], 0 offen offset:4
	buffer_load_dword v33, v28, s[0:3], 0 offen offset:8
	;; [unrolled: 1-line block ×3, first 2 shown]
	v_mov_b32_e32 v28, s37
	s_waitcnt vmcnt(36)
	global_store_dwordx4 v[29:30], v[16:19], off
	s_clause 0x7
	buffer_load_dword v16, v35, s[0:3], 0 offen
	buffer_load_dword v17, v35, s[0:3], 0 offen offset:4
	buffer_load_dword v18, v35, s[0:3], 0 offen offset:8
	;; [unrolled: 1-line block ×3, first 2 shown]
	buffer_load_dword v35, v28, s[0:3], 0 offen
	buffer_load_dword v36, v28, s[0:3], 0 offen offset:4
	buffer_load_dword v37, v28, s[0:3], 0 offen offset:8
	buffer_load_dword v38, v28, s[0:3], 0 offen offset:12
	s_waitcnt vmcnt(40)
	global_store_dwordx4 v[43:44], v[20:23], off
	v_mov_b32_e32 v23, s36
	v_mov_b32_e32 v28, s35
	s_clause 0x3
	buffer_load_dword v20, v23, s[0:3], 0 offen
	buffer_load_dword v21, v23, s[0:3], 0 offen offset:4
	buffer_load_dword v22, v23, s[0:3], 0 offen offset:8
	;; [unrolled: 1-line block ×3, first 2 shown]
	v_mov_b32_e32 v29, s34
	s_waitcnt vmcnt(40)
	global_store_dwordx4 v[45:46], v[24:27], off
	s_clause 0x7
	buffer_load_dword v24, v28, s[0:3], 0 offen
	buffer_load_dword v25, v28, s[0:3], 0 offen offset:4
	buffer_load_dword v26, v28, s[0:3], 0 offen offset:8
	;; [unrolled: 1-line block ×3, first 2 shown]
	buffer_load_dword v43, v29, s[0:3], 0 offen
	buffer_load_dword v44, v29, s[0:3], 0 offen offset:4
	buffer_load_dword v45, v29, s[0:3], 0 offen offset:8
	;; [unrolled: 1-line block ×3, first 2 shown]
	v_mov_b32_e32 v28, s33
	s_waitcnt vmcnt(44)
	global_store_dwordx4 v[51:52], v[119:122], off
	s_clause 0x3
	buffer_load_dword v119, v28, s[0:3], 0 offen
	buffer_load_dword v120, v28, s[0:3], 0 offen offset:4
	buffer_load_dword v121, v28, s[0:3], 0 offen offset:8
	;; [unrolled: 1-line block ×3, first 2 shown]
	v_mov_b32_e32 v28, s31
	v_mov_b32_e32 v29, s30
	;; [unrolled: 1-line block ×3, first 2 shown]
	s_waitcnt vmcnt(44)
	global_store_dwordx4 v[53:54], v[0:3], off
	s_clause 0x7
	buffer_load_dword v0, v28, s[0:3], 0 offen
	buffer_load_dword v1, v28, s[0:3], 0 offen offset:4
	buffer_load_dword v2, v28, s[0:3], 0 offen offset:8
	;; [unrolled: 1-line block ×3, first 2 shown]
	buffer_load_dword v51, v29, s[0:3], 0 offen
	buffer_load_dword v52, v29, s[0:3], 0 offen offset:4
	buffer_load_dword v53, v29, s[0:3], 0 offen offset:8
	;; [unrolled: 1-line block ×3, first 2 shown]
	v_mov_b32_e32 v28, s29
	v_mov_b32_e32 v29, s24
	s_waitcnt vmcnt(48)
	global_store_dwordx4 v[57:58], v[123:126], off
	s_clause 0x3
	buffer_load_dword v123, v28, s[0:3], 0 offen
	buffer_load_dword v124, v28, s[0:3], 0 offen offset:4
	buffer_load_dword v125, v28, s[0:3], 0 offen offset:8
	;; [unrolled: 1-line block ×3, first 2 shown]
	v_mov_b32_e32 v28, s28
	v_mov_b32_e32 v58, s21
	;; [unrolled: 1-line block ×3, first 2 shown]
	s_waitcnt vmcnt(48)
	global_store_dwordx4 v[63:64], v[4:7], off
	s_clause 0x3
	buffer_load_dword v4, v28, s[0:3], 0 offen
	buffer_load_dword v5, v28, s[0:3], 0 offen offset:4
	buffer_load_dword v6, v28, s[0:3], 0 offen offset:8
	;; [unrolled: 1-line block ×3, first 2 shown]
	v_mov_b32_e32 v28, s27
	s_clause 0x3
	buffer_load_dword v127, v28, s[0:3], 0 offen
	buffer_load_dword v128, v28, s[0:3], 0 offen offset:4
	buffer_load_dword v129, v28, s[0:3], 0 offen offset:8
	;; [unrolled: 1-line block ×3, first 2 shown]
	s_waitcnt vmcnt(52)
	global_store_dwordx4 v[65:66], v[8:11], off
	v_mov_b32_e32 v11, s26
	v_mov_b32_e32 v28, s25
	s_waitcnt vmcnt(48)
	global_store_dwordx4 v[59:60], v[12:15], off
	v_mov_b32_e32 v60, s19
	s_waitcnt vmcnt(44)
	global_store_dwordx4 v[49:50], v[31:34], off
	s_waitcnt vmcnt(40)
	global_store_dwordx4 v[39:40], v[16:19], off
	v_mov_b32_e32 v64, s17
	s_clause 0x3
	buffer_load_dword v8, v11, s[0:3], 0 offen
	buffer_load_dword v9, v11, s[0:3], 0 offen offset:4
	buffer_load_dword v10, v11, s[0:3], 0 offen offset:8
	buffer_load_dword v11, v11, s[0:3], 0 offen offset:12
	s_waitcnt vmcnt(40)
	global_store_dwordx4 v[41:42], v[35:38], off
	v_mov_b32_e32 v66, s15
	s_clause 0x7
	buffer_load_dword v12, v28, s[0:3], 0 offen
	buffer_load_dword v13, v28, s[0:3], 0 offen offset:4
	buffer_load_dword v14, v28, s[0:3], 0 offen offset:8
	buffer_load_dword v15, v28, s[0:3], 0 offen offset:12
	buffer_load_dword v16, v29, s[0:3], 0 offen
	buffer_load_dword v17, v29, s[0:3], 0 offen offset:4
	buffer_load_dword v18, v29, s[0:3], 0 offen offset:8
	buffer_load_dword v19, v29, s[0:3], 0 offen offset:12
	s_waitcnt vmcnt(44)
	global_store_dwordx4 v[47:48], v[20:23], off
	v_mov_b32_e32 v59, s20
	s_clause 0x7
	buffer_load_dword v20, v30, s[0:3], 0 offen
	buffer_load_dword v21, v30, s[0:3], 0 offen offset:4
	buffer_load_dword v22, v30, s[0:3], 0 offen offset:8
	buffer_load_dword v23, v30, s[0:3], 0 offen offset:12
	;; [unrolled: 12-line block ×5, first 2 shown]
	buffer_load_dword v55, v65, s[0:3], 0 offen
	buffer_load_dword v56, v65, s[0:3], 0 offen offset:4
	buffer_load_dword v57, v65, s[0:3], 0 offen offset:8
	buffer_load_dword v58, v65, s[0:3], 0 offen offset:12
	s_waitcnt vmcnt(60)
	global_store_dwordx4 v[69:70], v[0:3], off
	s_clause 0x7
	buffer_load_dword v0, v66, s[0:3], 0 offen
	buffer_load_dword v1, v66, s[0:3], 0 offen offset:4
	buffer_load_dword v2, v66, s[0:3], 0 offen offset:8
	buffer_load_dword v3, v66, s[0:3], 0 offen offset:12
	buffer_load_dword v59, v49, s[0:3], 0 offen
	buffer_load_dword v60, v49, s[0:3], 0 offen offset:4
	buffer_load_dword v61, v49, s[0:3], 0 offen offset:8
	buffer_load_dword v62, v49, s[0:3], 0 offen offset:12
	s_waitcnt vmcnt(62)
	global_store_dwordx4 v[71:72], v[51:54], off
	s_clause 0x7
	buffer_load_dword v48, v131, s[0:3], 0 offen
	buffer_load_dword v49, v131, s[0:3], 0 offen offset:4
	buffer_load_dword v50, v131, s[0:3], 0 offen offset:8
	buffer_load_dword v51, v131, s[0:3], 0 offen offset:12
	buffer_load_dword v63, v132, s[0:3], 0 offen
	buffer_load_dword v64, v132, s[0:3], 0 offen offset:4
	buffer_load_dword v65, v132, s[0:3], 0 offen offset:8
	buffer_load_dword v66, v132, s[0:3], 0 offen offset:12
	s_waitcnt vmcnt(62)
	global_store_dwordx4 v[73:74], v[123:126], off
	s_clause 0x7
	buffer_load_dword v67, v133, s[0:3], 0 offen
	buffer_load_dword v68, v133, s[0:3], 0 offen offset:4
	buffer_load_dword v69, v133, s[0:3], 0 offen offset:8
	buffer_load_dword v70, v133, s[0:3], 0 offen offset:12
	buffer_load_dword v71, v134, s[0:3], 0 offen
	buffer_load_dword v72, v134, s[0:3], 0 offen offset:4
	buffer_load_dword v73, v134, s[0:3], 0 offen offset:8
	;; [unrolled: 1-line block ×3, first 2 shown]
	global_store_dwordx4 v[75:76], v[4:7], off
	s_clause 0x7
	buffer_load_dword v4, v135, s[0:3], 0 offen
	buffer_load_dword v5, v135, s[0:3], 0 offen offset:4
	buffer_load_dword v6, v135, s[0:3], 0 offen offset:8
	buffer_load_dword v7, v135, s[0:3], 0 offen offset:12
	buffer_load_dword v119, v136, s[0:3], 0 offen
	buffer_load_dword v120, v136, s[0:3], 0 offen offset:4
	buffer_load_dword v121, v136, s[0:3], 0 offen offset:8
	;; [unrolled: 1-line block ×3, first 2 shown]
	s_waitcnt vmcnt(62)
	global_store_dwordx4 v[77:78], v[127:130], off
	s_clause 0x3
	buffer_load_dword v75, v137, s[0:3], 0 offen
	buffer_load_dword v76, v137, s[0:3], 0 offen offset:4
	buffer_load_dword v77, v137, s[0:3], 0 offen offset:8
	buffer_load_dword v78, v137, s[0:3], 0 offen offset:12
	global_store_dwordx4 v[79:80], v[8:11], off
	global_store_dwordx4 v[81:82], v[12:15], off
	;; [unrolled: 1-line block ×3, first 2 shown]
	s_waitcnt vmcnt(62)
	global_store_dwordx4 v[85:86], v[20:23], off
	s_waitcnt vmcnt(60)
	global_store_dwordx4 v[87:88], v[28:31], off
	;; [unrolled: 2-line block ×17, first 2 shown]
.LBB44_707:
	s_endpgm
	.section	.rodata,"a",@progbits
	.p2align	6, 0x0
	.amdhsa_kernel _ZN9rocsolver6v33100L18trti2_kernel_smallILi45E19rocblas_complex_numIdEPS3_EEv13rocblas_fill_17rocblas_diagonal_T1_iil
		.amdhsa_group_segment_fixed_size 1440
		.amdhsa_private_segment_fixed_size 736
		.amdhsa_kernarg_size 32
		.amdhsa_user_sgpr_count 6
		.amdhsa_user_sgpr_private_segment_buffer 1
		.amdhsa_user_sgpr_dispatch_ptr 0
		.amdhsa_user_sgpr_queue_ptr 0
		.amdhsa_user_sgpr_kernarg_segment_ptr 1
		.amdhsa_user_sgpr_dispatch_id 0
		.amdhsa_user_sgpr_flat_scratch_init 0
		.amdhsa_user_sgpr_private_segment_size 0
		.amdhsa_wavefront_size32 1
		.amdhsa_uses_dynamic_stack 0
		.amdhsa_system_sgpr_private_segment_wavefront_offset 1
		.amdhsa_system_sgpr_workgroup_id_x 1
		.amdhsa_system_sgpr_workgroup_id_y 0
		.amdhsa_system_sgpr_workgroup_id_z 0
		.amdhsa_system_sgpr_workgroup_info 0
		.amdhsa_system_vgpr_workitem_id 0
		.amdhsa_next_free_vgpr 138
		.amdhsa_next_free_sgpr 72
		.amdhsa_reserve_vcc 1
		.amdhsa_reserve_flat_scratch 0
		.amdhsa_float_round_mode_32 0
		.amdhsa_float_round_mode_16_64 0
		.amdhsa_float_denorm_mode_32 3
		.amdhsa_float_denorm_mode_16_64 3
		.amdhsa_dx10_clamp 1
		.amdhsa_ieee_mode 1
		.amdhsa_fp16_overflow 0
		.amdhsa_workgroup_processor_mode 1
		.amdhsa_memory_ordered 1
		.amdhsa_forward_progress 1
		.amdhsa_shared_vgpr_count 0
		.amdhsa_exception_fp_ieee_invalid_op 0
		.amdhsa_exception_fp_denorm_src 0
		.amdhsa_exception_fp_ieee_div_zero 0
		.amdhsa_exception_fp_ieee_overflow 0
		.amdhsa_exception_fp_ieee_underflow 0
		.amdhsa_exception_fp_ieee_inexact 0
		.amdhsa_exception_int_div_zero 0
	.end_amdhsa_kernel
	.section	.text._ZN9rocsolver6v33100L18trti2_kernel_smallILi45E19rocblas_complex_numIdEPS3_EEv13rocblas_fill_17rocblas_diagonal_T1_iil,"axG",@progbits,_ZN9rocsolver6v33100L18trti2_kernel_smallILi45E19rocblas_complex_numIdEPS3_EEv13rocblas_fill_17rocblas_diagonal_T1_iil,comdat
.Lfunc_end44:
	.size	_ZN9rocsolver6v33100L18trti2_kernel_smallILi45E19rocblas_complex_numIdEPS3_EEv13rocblas_fill_17rocblas_diagonal_T1_iil, .Lfunc_end44-_ZN9rocsolver6v33100L18trti2_kernel_smallILi45E19rocblas_complex_numIdEPS3_EEv13rocblas_fill_17rocblas_diagonal_T1_iil
                                        ; -- End function
	.set _ZN9rocsolver6v33100L18trti2_kernel_smallILi45E19rocblas_complex_numIdEPS3_EEv13rocblas_fill_17rocblas_diagonal_T1_iil.num_vgpr, 138
	.set _ZN9rocsolver6v33100L18trti2_kernel_smallILi45E19rocblas_complex_numIdEPS3_EEv13rocblas_fill_17rocblas_diagonal_T1_iil.num_agpr, 0
	.set _ZN9rocsolver6v33100L18trti2_kernel_smallILi45E19rocblas_complex_numIdEPS3_EEv13rocblas_fill_17rocblas_diagonal_T1_iil.numbered_sgpr, 72
	.set _ZN9rocsolver6v33100L18trti2_kernel_smallILi45E19rocblas_complex_numIdEPS3_EEv13rocblas_fill_17rocblas_diagonal_T1_iil.num_named_barrier, 0
	.set _ZN9rocsolver6v33100L18trti2_kernel_smallILi45E19rocblas_complex_numIdEPS3_EEv13rocblas_fill_17rocblas_diagonal_T1_iil.private_seg_size, 736
	.set _ZN9rocsolver6v33100L18trti2_kernel_smallILi45E19rocblas_complex_numIdEPS3_EEv13rocblas_fill_17rocblas_diagonal_T1_iil.uses_vcc, 1
	.set _ZN9rocsolver6v33100L18trti2_kernel_smallILi45E19rocblas_complex_numIdEPS3_EEv13rocblas_fill_17rocblas_diagonal_T1_iil.uses_flat_scratch, 0
	.set _ZN9rocsolver6v33100L18trti2_kernel_smallILi45E19rocblas_complex_numIdEPS3_EEv13rocblas_fill_17rocblas_diagonal_T1_iil.has_dyn_sized_stack, 0
	.set _ZN9rocsolver6v33100L18trti2_kernel_smallILi45E19rocblas_complex_numIdEPS3_EEv13rocblas_fill_17rocblas_diagonal_T1_iil.has_recursion, 0
	.set _ZN9rocsolver6v33100L18trti2_kernel_smallILi45E19rocblas_complex_numIdEPS3_EEv13rocblas_fill_17rocblas_diagonal_T1_iil.has_indirect_call, 0
	.section	.AMDGPU.csdata,"",@progbits
; Kernel info:
; codeLenInByte = 45708
; TotalNumSgprs: 74
; NumVgprs: 138
; ScratchSize: 736
; MemoryBound: 0
; FloatMode: 240
; IeeeMode: 1
; LDSByteSize: 1440 bytes/workgroup (compile time only)
; SGPRBlocks: 0
; VGPRBlocks: 17
; NumSGPRsForWavesPerEU: 74
; NumVGPRsForWavesPerEU: 138
; Occupancy: 7
; WaveLimiterHint : 0
; COMPUTE_PGM_RSRC2:SCRATCH_EN: 1
; COMPUTE_PGM_RSRC2:USER_SGPR: 6
; COMPUTE_PGM_RSRC2:TRAP_HANDLER: 0
; COMPUTE_PGM_RSRC2:TGID_X_EN: 1
; COMPUTE_PGM_RSRC2:TGID_Y_EN: 0
; COMPUTE_PGM_RSRC2:TGID_Z_EN: 0
; COMPUTE_PGM_RSRC2:TIDIG_COMP_CNT: 0
	.section	.text._ZN9rocsolver6v33100L18trti2_kernel_smallILi46E19rocblas_complex_numIdEPS3_EEv13rocblas_fill_17rocblas_diagonal_T1_iil,"axG",@progbits,_ZN9rocsolver6v33100L18trti2_kernel_smallILi46E19rocblas_complex_numIdEPS3_EEv13rocblas_fill_17rocblas_diagonal_T1_iil,comdat
	.globl	_ZN9rocsolver6v33100L18trti2_kernel_smallILi46E19rocblas_complex_numIdEPS3_EEv13rocblas_fill_17rocblas_diagonal_T1_iil ; -- Begin function _ZN9rocsolver6v33100L18trti2_kernel_smallILi46E19rocblas_complex_numIdEPS3_EEv13rocblas_fill_17rocblas_diagonal_T1_iil
	.p2align	8
	.type	_ZN9rocsolver6v33100L18trti2_kernel_smallILi46E19rocblas_complex_numIdEPS3_EEv13rocblas_fill_17rocblas_diagonal_T1_iil,@function
_ZN9rocsolver6v33100L18trti2_kernel_smallILi46E19rocblas_complex_numIdEPS3_EEv13rocblas_fill_17rocblas_diagonal_T1_iil: ; @_ZN9rocsolver6v33100L18trti2_kernel_smallILi46E19rocblas_complex_numIdEPS3_EEv13rocblas_fill_17rocblas_diagonal_T1_iil
; %bb.0:
	s_add_u32 s0, s0, s7
	s_addc_u32 s1, s1, 0
	s_mov_b32 s7, exec_lo
	v_cmpx_gt_u32_e32 46, v0
	s_cbranch_execz .LBB45_723
; %bb.1:
	s_load_dwordx8 s[8:15], s[4:5], 0x0
	s_ashr_i32 s4, s6, 31
	v_lshlrev_b32_e32 v103, 4, v0
	s_movk_i32 s16, 0xf0
	s_movk_i32 s17, 0x100
	;; [unrolled: 1-line block ×17, first 2 shown]
	s_waitcnt lgkmcnt(0)
	s_mul_hi_u32 s7, s14, s6
	s_mul_i32 s4, s14, s4
	s_mul_i32 s15, s15, s6
	s_add_i32 s7, s7, s4
	s_mul_i32 s6, s14, s6
	s_add_i32 s7, s7, s15
	v_add3_u32 v1, s13, s13, v0
	s_lshl_b64 s[6:7], s[6:7], 4
	s_ashr_i32 s5, s12, 31
	s_mov_b32 s4, s12
	s_add_u32 s6, s10, s6
	s_addc_u32 s7, s11, s7
	s_lshl_b64 s[4:5], s[4:5], 4
	v_ashrrev_i32_e32 v2, 31, v1
	s_add_u32 s4, s6, s4
	s_addc_u32 s5, s7, s5
	v_add_co_u32 v63, s6, s4, v103
	global_load_dwordx4 v[7:10], v103, s[4:5]
	s_mov_b32 s14, s13
	v_lshlrev_b64 v[2:3], 4, v[1:2]
	s_ashr_i32 s15, s13, 31
	v_add_co_ci_u32_e64 v64, null, s5, 0, s6
	s_lshl_b64 s[6:7], s[14:15], 4
	v_add_nc_u32_e32 v1, s13, v1
	v_add_co_u32 v47, vcc_lo, v63, s6
	v_add_co_ci_u32_e64 v48, null, s7, v64, vcc_lo
	v_add_co_u32 v41, vcc_lo, s4, v2
	v_add_co_ci_u32_e64 v42, null, s5, v3, vcc_lo
	s_clause 0x1
	global_load_dwordx4 v[11:14], v[47:48], off
	global_load_dwordx4 v[15:18], v[41:42], off
	v_add_nc_u32_e32 v3, s13, v1
	v_ashrrev_i32_e32 v2, 31, v1
	s_cmpk_lg_i32 s9, 0x84
	s_movk_i32 s6, 0x70
	s_movk_i32 s7, 0x80
	v_add_nc_u32_e32 v5, s13, v3
	v_lshlrev_b64 v[1:2], 4, v[1:2]
	v_ashrrev_i32_e32 v4, 31, v3
	s_movk_i32 s10, 0x90
	s_movk_i32 s11, 0xa0
	v_add_nc_u32_e32 v23, s13, v5
	v_ashrrev_i32_e32 v6, 31, v5
	v_lshlrev_b64 v[3:4], 4, v[3:4]
	v_add_co_u32 v71, vcc_lo, s4, v1
	v_add_nc_u32_e32 v27, s13, v23
	v_add_co_ci_u32_e64 v72, null, s5, v2, vcc_lo
	v_add_co_u32 v69, vcc_lo, s4, v3
	v_add_nc_u32_e32 v31, s13, v27
	v_ashrrev_i32_e32 v24, 31, v23
	v_add_co_ci_u32_e64 v70, null, s5, v4, vcc_lo
	v_lshlrev_b64 v[3:4], 4, v[5:6]
	v_add_nc_u32_e32 v33, s13, v31
	v_lshlrev_b64 v[29:30], 4, v[23:24]
	s_clause 0x1
	global_load_dwordx4 v[19:22], v[71:72], off
	global_load_dwordx4 v[23:26], v[69:70], off
	v_ashrrev_i32_e32 v28, 31, v27
	v_add_nc_u32_e32 v35, s13, v33
	v_add_co_u32 v67, vcc_lo, s4, v3
	v_add_co_ci_u32_e64 v68, null, s5, v4, vcc_lo
	v_add_nc_u32_e32 v37, s13, v35
	v_lshlrev_b64 v[44:45], 4, v[27:28]
	v_ashrrev_i32_e32 v32, 31, v31
	v_ashrrev_i32_e32 v34, 31, v33
	;; [unrolled: 1-line block ×3, first 2 shown]
	v_add_nc_u32_e32 v39, s13, v37
	v_ashrrev_i32_e32 v38, 31, v37
	v_lshlrev_b64 v[31:32], 4, v[31:32]
	s_movk_i32 s12, 0xb0
	s_movk_i32 s14, 0xd0
	v_add_nc_u32_e32 v43, s13, v39
	v_ashrrev_i32_e32 v40, 31, v39
	s_movk_i32 s15, 0xe0
	s_movk_i32 s60, 0x200
	;; [unrolled: 1-line block ×3, first 2 shown]
	v_add_nc_u32_e32 v73, s13, v43
	s_movk_i32 s62, 0x220
	s_movk_i32 s63, 0x230
	;; [unrolled: 1-line block ×4, first 2 shown]
	v_add_nc_u32_e32 v77, s13, v73
	v_ashrrev_i32_e32 v74, 31, v73
	s_movk_i32 s66, 0x260
	s_movk_i32 s67, 0x270
	;; [unrolled: 1-line block ×3, first 2 shown]
	v_add_nc_u32_e32 v82, s13, v77
	v_ashrrev_i32_e32 v78, 31, v77
	s_movk_i32 s69, 0x290
	s_movk_i32 s70, 0x2a0
	;; [unrolled: 1-line block ×3, first 2 shown]
	v_add_nc_u32_e32 v99, s13, v82
	v_ashrrev_i32_e32 v83, 31, v82
	s_movk_i32 s72, 0x2c0
	s_cselect_b32 s54, -1, 0
	s_cmpk_eq_i32 s9, 0x84
	v_add_nc_u32_e32 v101, s13, v99
	v_ashrrev_i32_e32 v100, 31, v99
	s_movk_i32 s73, 0x2d0
	v_add_nc_u32_e32 v104, s13, v101
	v_ashrrev_i32_e32 v102, 31, v101
	v_add_nc_u32_e32 v106, s13, v104
	v_ashrrev_i32_e32 v105, 31, v104
	v_add_nc_u32_e32 v108, s13, v106
	v_ashrrev_i32_e32 v107, 31, v106
	v_add_nc_u32_e32 v110, s13, v108
	v_ashrrev_i32_e32 v109, 31, v108
	v_add_nc_u32_e32 v112, s13, v110
	v_ashrrev_i32_e32 v111, 31, v110
	v_add_nc_u32_e32 v114, s13, v112
	v_ashrrev_i32_e32 v113, 31, v112
	v_add_nc_u32_e32 v116, s13, v114
	v_ashrrev_i32_e32 v115, 31, v114
	v_add_nc_u32_e32 v118, s13, v116
	v_ashrrev_i32_e32 v117, 31, v116
	v_add_nc_u32_e32 v120, s13, v118
	v_ashrrev_i32_e32 v119, 31, v118
	v_add_nc_u32_e32 v122, s13, v120
	v_ashrrev_i32_e32 v121, 31, v120
	v_add_nc_u32_e32 v124, s13, v122
	v_ashrrev_i32_e32 v123, 31, v122
	v_add_nc_u32_e32 v126, s13, v124
	v_ashrrev_i32_e32 v125, 31, v124
	v_add_nc_u32_e32 v128, s13, v126
	v_ashrrev_i32_e32 v127, 31, v126
	v_add_nc_u32_e32 v130, s13, v128
	v_ashrrev_i32_e32 v129, 31, v128
	v_add_nc_u32_e32 v132, s13, v130
	v_ashrrev_i32_e32 v131, 31, v130
	v_add_nc_u32_e32 v134, s13, v132
	v_ashrrev_i32_e32 v133, 31, v132
	v_add_nc_u32_e32 v136, s13, v134
	v_ashrrev_i32_e32 v135, 31, v134
	v_add_nc_u32_e32 v138, s13, v136
	v_ashrrev_i32_e32 v137, 31, v136
	v_add_nc_u32_e32 v79, s13, v138
	v_ashrrev_i32_e32 v139, 31, v138
	v_add_nc_u32_e32 v81, s13, v79
	v_ashrrev_i32_e32 v80, 31, v79
	v_add_nc_u32_e32 v85, s13, v81
	v_add_nc_u32_e32 v94, s13, v85
	v_ashrrev_i32_e32 v86, 31, v85
	v_add_nc_u32_e32 v87, s13, v94
	v_lshlrev_b64 v[85:86], 4, v[85:86]
	v_add_nc_u32_e32 v89, s13, v87
	v_ashrrev_i32_e32 v88, 31, v87
	v_add_nc_u32_e32 v91, s13, v89
	v_ashrrev_i32_e32 v90, 31, v89
	;; [unrolled: 2-line block ×3, first 2 shown]
	v_add_nc_u32_e32 v1, s13, v93
	s_movk_i32 s13, 0xc0
	v_ashrrev_i32_e32 v2, 31, v1
	v_lshlrev_b64 v[1:2], 4, v[1:2]
	v_add_co_u32 v5, vcc_lo, s4, v1
	v_add_co_ci_u32_e64 v6, null, s5, v2, vcc_lo
	v_add_co_u32 v65, vcc_lo, s4, v29
	v_add_co_ci_u32_e64 v66, null, s5, v30, vcc_lo
	s_clause 0x1
	global_load_dwordx4 v[27:30], v[67:68], off
	global_load_dwordx4 v[1:4], v[5:6], off
	v_add_co_u32 v49, vcc_lo, s4, v44
	v_add_co_ci_u32_e64 v50, null, s5, v45, vcc_lo
	v_add_co_u32 v45, vcc_lo, s4, v31
	v_add_co_ci_u32_e64 v46, null, s5, v32, vcc_lo
	v_lshlrev_b64 v[31:32], 4, v[33:34]
	v_lshlrev_b64 v[33:34], 4, v[35:36]
	;; [unrolled: 1-line block ×3, first 2 shown]
	v_ashrrev_i32_e32 v44, 31, v43
	s_waitcnt vmcnt(6)
	buffer_store_dword v10, off, s[0:3], 0 offset:12
	buffer_store_dword v9, off, s[0:3], 0 offset:8
	;; [unrolled: 1-line block ×3, first 2 shown]
	buffer_store_dword v7, off, s[0:3], 0
	global_load_dwordx4 v[7:10], v[65:66], off
	v_add_co_u32 v59, vcc_lo, s4, v31
	v_add_co_ci_u32_e64 v60, null, s5, v32, vcc_lo
	v_add_co_u32 v55, vcc_lo, s4, v33
	s_waitcnt vmcnt(6)
	buffer_store_dword v14, off, s[0:3], 0 offset:28
	buffer_store_dword v13, off, s[0:3], 0 offset:24
	;; [unrolled: 1-line block ×4, first 2 shown]
	global_load_dwordx4 v[11:14], v[49:50], off
	s_waitcnt vmcnt(6)
	buffer_store_dword v18, off, s[0:3], 0 offset:44
	buffer_store_dword v17, off, s[0:3], 0 offset:40
	buffer_store_dword v16, off, s[0:3], 0 offset:36
	buffer_store_dword v15, off, s[0:3], 0 offset:32
	global_load_dwordx4 v[15:18], v[45:46], off
	s_waitcnt vmcnt(6)
	buffer_store_dword v22, off, s[0:3], 0 offset:60
	buffer_store_dword v21, off, s[0:3], 0 offset:56
	buffer_store_dword v20, off, s[0:3], 0 offset:52
	buffer_store_dword v19, off, s[0:3], 0 offset:48
	v_lshlrev_b64 v[19:20], 4, v[39:40]
	v_add_co_ci_u32_e64 v56, null, s5, v34, vcc_lo
	v_add_co_u32 v61, vcc_lo, s4, v35
	global_load_dwordx4 v[31:34], v[59:60], off
	v_add_co_ci_u32_e64 v62, null, s5, v36, vcc_lo
	v_add_co_u32 v57, vcc_lo, s4, v19
	s_waitcnt vmcnt(6)
	buffer_store_dword v26, off, s[0:3], 0 offset:76
	buffer_store_dword v25, off, s[0:3], 0 offset:72
	;; [unrolled: 1-line block ×4, first 2 shown]
	global_load_dwordx4 v[21:24], v[55:56], off
	v_add_co_ci_u32_e64 v58, null, s5, v20, vcc_lo
	v_lshlrev_b64 v[35:36], 4, v[43:44]
	v_lshlrev_b64 v[39:40], 4, v[124:125]
	;; [unrolled: 1-line block ×4, first 2 shown]
	s_waitcnt vmcnt(6)
	buffer_store_dword v30, off, s[0:3], 0 offset:92
	buffer_store_dword v29, off, s[0:3], 0 offset:88
	;; [unrolled: 1-line block ×4, first 2 shown]
	global_load_dwordx4 v[25:28], v[61:62], off
	v_add_co_u32 v37, vcc_lo, s4, v35
	v_add_co_ci_u32_e64 v38, null, s5, v36, vcc_lo
	s_waitcnt vmcnt(5)
	buffer_store_dword v10, off, s[0:3], 0 offset:108
	buffer_store_dword v9, off, s[0:3], 0 offset:104
	;; [unrolled: 1-line block ×4, first 2 shown]
	global_load_dwordx4 v[51:54], v[57:58], off
	v_lshlrev_b64 v[7:8], 4, v[73:74]
	v_lshlrev_b64 v[9:10], 4, v[82:83]
	;; [unrolled: 1-line block ×3, first 2 shown]
	v_ashrrev_i32_e32 v82, 31, v81
	s_waitcnt vmcnt(5)
	buffer_store_dword v14, off, s[0:3], 0 offset:124
	buffer_store_dword v13, off, s[0:3], 0 offset:120
	;; [unrolled: 1-line block ×4, first 2 shown]
	v_add_co_u32 v19, vcc_lo, s4, v7
	v_add_co_ci_u32_e64 v20, null, s5, v8, vcc_lo
	global_load_dwordx4 v[73:76], v[37:38], off
	s_waitcnt vmcnt(5)
	buffer_store_dword v18, off, s[0:3], 0 offset:140
	buffer_store_dword v17, off, s[0:3], 0 offset:136
	;; [unrolled: 1-line block ×4, first 2 shown]
	v_lshlrev_b64 v[7:8], 4, v[77:78]
	global_load_dwordx4 v[95:98], v[19:20], off
	v_lshlrev_b64 v[11:12], 4, v[99:100]
	s_waitcnt vmcnt(5)
	buffer_store_dword v31, off, s[0:3], 0 offset:144
	buffer_store_dword v32, off, s[0:3], 0 offset:148
	;; [unrolled: 1-line block ×4, first 2 shown]
	v_add_co_u32 v13, vcc_lo, s4, v7
	v_add_co_ci_u32_e64 v14, null, s5, v8, vcc_lo
	v_add_co_u32 v7, vcc_lo, s4, v9
	v_add_co_ci_u32_e64 v8, null, s5, v10, vcc_lo
	v_lshlrev_b64 v[9:10], 4, v[101:102]
	v_add_co_u32 v15, vcc_lo, s4, v11
	global_load_dwordx4 v[29:32], v[13:14], off
	v_add_co_ci_u32_e64 v16, null, s5, v12, vcc_lo
	v_add_co_u32 v11, vcc_lo, s4, v9
	s_waitcnt vmcnt(5)
	buffer_store_dword v21, off, s[0:3], 0 offset:160
	buffer_store_dword v22, off, s[0:3], 0 offset:164
	;; [unrolled: 1-line block ×4, first 2 shown]
	global_load_dwordx4 v[33:36], v[7:8], off
	v_add_co_ci_u32_e64 v12, null, s5, v10, vcc_lo
	v_lshlrev_b64 v[17:18], 4, v[104:105]
	v_lshlrev_b64 v[9:10], 4, v[106:107]
	;; [unrolled: 1-line block ×4, first 2 shown]
	s_waitcnt vmcnt(5)
	buffer_store_dword v25, off, s[0:3], 0 offset:176
	buffer_store_dword v26, off, s[0:3], 0 offset:180
	;; [unrolled: 1-line block ×4, first 2 shown]
	global_load_dwordx4 v[99:102], v[15:16], off
	v_add_co_u32 v17, vcc_lo, s4, v17
	v_add_co_ci_u32_e64 v18, null, s5, v18, vcc_lo
	v_add_co_u32 v9, vcc_lo, s4, v9
	v_add_co_ci_u32_e64 v10, null, s5, v10, vcc_lo
	v_lshlrev_b64 v[25:26], 4, v[110:111]
	v_add_co_u32 v23, vcc_lo, s4, v21
	v_lshlrev_b64 v[27:28], 4, v[112:113]
	v_add_co_ci_u32_e64 v24, null, s5, v22, vcc_lo
	v_add_co_u32 v21, vcc_lo, s4, v25
	v_add_co_ci_u32_e64 v22, null, s5, v26, vcc_lo
	v_lshlrev_b64 v[25:26], 4, v[114:115]
	s_waitcnt vmcnt(5)
	buffer_store_dword v54, off, s[0:3], 0 offset:204
	buffer_store_dword v53, off, s[0:3], 0 offset:200
	buffer_store_dword v52, off, s[0:3], 0 offset:196
	buffer_store_dword v51, off, s[0:3], 0 offset:192
	global_load_dwordx4 v[51:54], v[11:12], off
	s_waitcnt vmcnt(5)
	buffer_store_dword v76, off, s[0:3], 0 offset:220
	buffer_store_dword v75, off, s[0:3], 0 offset:216
	buffer_store_dword v74, off, s[0:3], 0 offset:212
	buffer_store_dword v73, off, s[0:3], 0 offset:208
	global_load_dwordx4 v[73:76], v[17:18], off
	;; [unrolled: 6-line block ×3, first 2 shown]
	s_waitcnt vmcnt(5)
	buffer_store_dword v32, off, s[0:3], 0 offset:252
	buffer_store_dword v31, off, s[0:3], 0 offset:248
	;; [unrolled: 1-line block ×4, first 2 shown]
	v_add_co_u32 v29, vcc_lo, s4, v27
	v_add_co_ci_u32_e64 v30, null, s5, v28, vcc_lo
	v_add_co_u32 v27, vcc_lo, s4, v25
	global_load_dwordx4 v[104:107], v[23:24], off
	s_waitcnt vmcnt(5)
	buffer_store_dword v36, off, s[0:3], 0 offset:268
	buffer_store_dword v35, off, s[0:3], 0 offset:264
	;; [unrolled: 1-line block ×4, first 2 shown]
	global_load_dwordx4 v[108:111], v[21:22], off
	v_add_co_ci_u32_e64 v28, null, s5, v26, vcc_lo
	v_lshlrev_b64 v[31:32], 4, v[116:117]
	v_lshlrev_b64 v[25:26], 4, v[118:119]
	;; [unrolled: 1-line block ×5, first 2 shown]
	s_waitcnt vmcnt(5)
	buffer_store_dword v102, off, s[0:3], 0 offset:284
	buffer_store_dword v101, off, s[0:3], 0 offset:280
	;; [unrolled: 1-line block ×4, first 2 shown]
	global_load_dwordx4 v[99:102], v[29:30], off
	v_add_co_u32 v31, vcc_lo, s4, v31
	v_add_co_ci_u32_e64 v32, null, s5, v32, vcc_lo
	v_add_co_u32 v25, vcc_lo, s4, v25
	v_add_co_ci_u32_e64 v26, null, s5, v26, vcc_lo
	;; [unrolled: 2-line block ×6, first 2 shown]
	s_waitcnt vmcnt(5)
	buffer_store_dword v54, off, s[0:3], 0 offset:300
	buffer_store_dword v53, off, s[0:3], 0 offset:296
	buffer_store_dword v52, off, s[0:3], 0 offset:292
	buffer_store_dword v51, off, s[0:3], 0 offset:288
	global_load_dwordx4 v[51:54], v[27:28], off
	s_waitcnt vmcnt(5)
	buffer_store_dword v76, off, s[0:3], 0 offset:316
	buffer_store_dword v75, off, s[0:3], 0 offset:312
	buffer_store_dword v74, off, s[0:3], 0 offset:308
	buffer_store_dword v73, off, s[0:3], 0 offset:304
	global_load_dwordx4 v[73:76], v[31:32], off
	;; [unrolled: 6-line block ×7, first 2 shown]
	v_lshlrev_b64 v[53:54], 4, v[130:131]
	v_add_co_u32 v51, vcc_lo, s4, v77
	v_add_co_ci_u32_e64 v52, null, s5, v78, vcc_lo
	s_waitcnt vmcnt(5)
	buffer_store_dword v76, off, s[0:3], 0 offset:412
	buffer_store_dword v75, off, s[0:3], 0 offset:408
	;; [unrolled: 1-line block ×4, first 2 shown]
	v_add_co_u32 v53, vcc_lo, s4, v53
	v_add_co_ci_u32_e64 v54, null, s5, v54, vcc_lo
	global_load_dwordx4 v[116:119], v[51:52], off
	s_waitcnt vmcnt(5)
	buffer_store_dword v98, off, s[0:3], 0 offset:428
	buffer_store_dword v97, off, s[0:3], 0 offset:424
	;; [unrolled: 1-line block ×4, first 2 shown]
	v_lshlrev_b64 v[73:74], 4, v[132:133]
	global_load_dwordx4 v[95:98], v[53:54], off
	v_lshlrev_b64 v[75:76], 4, v[134:135]
	v_lshlrev_b64 v[77:78], 4, v[136:137]
	s_waitcnt vmcnt(5)
	buffer_store_dword v107, off, s[0:3], 0 offset:444
	buffer_store_dword v106, off, s[0:3], 0 offset:440
	;; [unrolled: 1-line block ×4, first 2 shown]
	v_add_co_u32 v73, vcc_lo, s4, v73
	v_add_co_ci_u32_e64 v74, null, s5, v74, vcc_lo
	v_add_co_u32 v75, vcc_lo, s4, v75
	v_add_co_ci_u32_e64 v76, null, s5, v76, vcc_lo
	;; [unrolled: 2-line block ×3, first 2 shown]
	v_add_co_u32 v79, vcc_lo, s4, v83
	global_load_dwordx4 v[104:107], v[73:74], off
	s_waitcnt vmcnt(5)
	buffer_store_dword v111, off, s[0:3], 0 offset:460
	buffer_store_dword v110, off, s[0:3], 0 offset:456
	;; [unrolled: 1-line block ×4, first 2 shown]
	global_load_dwordx4 v[108:111], v[75:76], off
	v_add_co_ci_u32_e64 v80, null, s5, v84, vcc_lo
	v_lshlrev_b64 v[83:84], 4, v[81:82]
	v_add_co_u32 v81, vcc_lo, s4, v120
	v_add_co_ci_u32_e64 v82, null, s5, v121, vcc_lo
	s_waitcnt vmcnt(5)
	buffer_store_dword v102, off, s[0:3], 0 offset:476
	buffer_store_dword v101, off, s[0:3], 0 offset:472
	;; [unrolled: 1-line block ×4, first 2 shown]
	global_load_dwordx4 v[99:102], v[77:78], off
	v_add_co_u32 v83, vcc_lo, s4, v83
	v_add_co_ci_u32_e64 v84, null, s5, v84, vcc_lo
	v_add_co_u32 v85, vcc_lo, s4, v85
	v_add_co_ci_u32_e64 v86, null, s5, v86, vcc_lo
	s_waitcnt vmcnt(5)
	buffer_store_dword v115, off, s[0:3], 0 offset:492
	buffer_store_dword v114, off, s[0:3], 0 offset:488
	buffer_store_dword v113, off, s[0:3], 0 offset:484
	buffer_store_dword v112, off, s[0:3], 0 offset:480
	global_load_dwordx4 v[112:115], v[79:80], off
	s_waitcnt vmcnt(5)
	buffer_store_dword v119, off, s[0:3], 0 offset:508
	buffer_store_dword v118, off, s[0:3], 0 offset:504
	buffer_store_dword v117, off, s[0:3], 0 offset:500
	buffer_store_dword v116, off, s[0:3], 0 offset:496
	global_load_dwordx4 v[116:119], v[81:82], off
	s_waitcnt vmcnt(5)
	buffer_store_dword v98, off, s[0:3], 0 offset:524
	buffer_store_dword v97, off, s[0:3], 0 offset:520
	buffer_store_dword v96, off, s[0:3], 0 offset:516
	buffer_store_dword v95, off, s[0:3], 0 offset:512
	global_load_dwordx4 v[120:123], v[83:84], off
	v_ashrrev_i32_e32 v95, 31, v94
	v_lshlrev_b64 v[96:97], 4, v[87:88]
	s_waitcnt vmcnt(5)
	buffer_store_dword v107, off, s[0:3], 0 offset:540
	buffer_store_dword v106, off, s[0:3], 0 offset:536
	;; [unrolled: 1-line block ×4, first 2 shown]
	s_waitcnt vmcnt(4)
	buffer_store_dword v111, off, s[0:3], 0 offset:556
	buffer_store_dword v110, off, s[0:3], 0 offset:552
	;; [unrolled: 1-line block ×4, first 2 shown]
	v_lshlrev_b64 v[94:95], 4, v[94:95]
	v_add_co_u32 v87, vcc_lo, s4, v94
	v_add_co_ci_u32_e64 v88, null, s5, v95, vcc_lo
	v_add_co_u32 v89, vcc_lo, s4, v96
	v_add_co_ci_u32_e64 v90, null, s5, v97, vcc_lo
	v_lshlrev_b64 v[95:96], 4, v[91:92]
	v_add_co_u32 v91, vcc_lo, s4, v124
	v_add_co_ci_u32_e64 v92, null, s5, v125, vcc_lo
	s_clause 0x1
	global_load_dwordx4 v[104:107], v[85:86], off
	global_load_dwordx4 v[108:111], v[87:88], off
	v_ashrrev_i32_e32 v94, 31, v93
	s_waitcnt vmcnt(5)
	buffer_store_dword v102, off, s[0:3], 0 offset:572
	buffer_store_dword v101, off, s[0:3], 0 offset:568
	;; [unrolled: 1-line block ×4, first 2 shown]
	s_waitcnt vmcnt(4)
	buffer_store_dword v115, off, s[0:3], 0 offset:588
	buffer_store_dword v114, off, s[0:3], 0 offset:584
	buffer_store_dword v113, off, s[0:3], 0 offset:580
	buffer_store_dword v112, off, s[0:3], 0 offset:576
	s_clause 0x1
	global_load_dwordx4 v[97:100], v[89:90], off
	global_load_dwordx4 v[112:115], v[91:92], off
	v_lshlrev_b64 v[124:125], 4, v[93:94]
	v_add_co_u32 v93, vcc_lo, s4, v95
	v_add_co_ci_u32_e64 v94, null, s5, v96, vcc_lo
	s_waitcnt vmcnt(5)
	buffer_store_dword v119, off, s[0:3], 0 offset:604
	buffer_store_dword v118, off, s[0:3], 0 offset:600
	;; [unrolled: 1-line block ×4, first 2 shown]
	v_add_co_u32 v95, vcc_lo, s4, v124
	v_add_co_ci_u32_e64 v96, null, s5, v125, vcc_lo
	global_load_dwordx4 v[116:119], v[93:94], off
	s_waitcnt vmcnt(5)
	buffer_store_dword v123, off, s[0:3], 0 offset:620
	buffer_store_dword v122, off, s[0:3], 0 offset:616
	;; [unrolled: 1-line block ×4, first 2 shown]
	s_movk_i32 s4, 0x50
	global_load_dwordx4 v[120:123], v[95:96], off
	s_movk_i32 s5, 0x60
	s_waitcnt vmcnt(5)
	buffer_store_dword v107, off, s[0:3], 0 offset:636
	buffer_store_dword v106, off, s[0:3], 0 offset:632
	buffer_store_dword v105, off, s[0:3], 0 offset:628
	buffer_store_dword v104, off, s[0:3], 0 offset:624
	s_waitcnt vmcnt(4)
	buffer_store_dword v111, off, s[0:3], 0 offset:652
	buffer_store_dword v110, off, s[0:3], 0 offset:648
	buffer_store_dword v109, off, s[0:3], 0 offset:644
	buffer_store_dword v108, off, s[0:3], 0 offset:640
	s_waitcnt vmcnt(3)
	buffer_store_dword v100, off, s[0:3], 0 offset:668
	buffer_store_dword v99, off, s[0:3], 0 offset:664
	buffer_store_dword v98, off, s[0:3], 0 offset:660
	buffer_store_dword v97, off, s[0:3], 0 offset:656
	s_waitcnt vmcnt(2)
	buffer_store_dword v115, off, s[0:3], 0 offset:684
	buffer_store_dword v114, off, s[0:3], 0 offset:680
	buffer_store_dword v113, off, s[0:3], 0 offset:676
	buffer_store_dword v112, off, s[0:3], 0 offset:672
	s_waitcnt vmcnt(1)
	buffer_store_dword v119, off, s[0:3], 0 offset:700
	buffer_store_dword v118, off, s[0:3], 0 offset:696
	buffer_store_dword v117, off, s[0:3], 0 offset:692
	buffer_store_dword v116, off, s[0:3], 0 offset:688
	s_waitcnt vmcnt(0)
	buffer_store_dword v123, off, s[0:3], 0 offset:716
	buffer_store_dword v122, off, s[0:3], 0 offset:712
	buffer_store_dword v121, off, s[0:3], 0 offset:708
	buffer_store_dword v120, off, s[0:3], 0 offset:704
	buffer_store_dword v4, off, s[0:3], 0 offset:732
	buffer_store_dword v3, off, s[0:3], 0 offset:728
	;; [unrolled: 1-line block ×4, first 2 shown]
	s_cbranch_scc1 .LBB45_7
; %bb.2:
	v_lshl_add_u32 v104, v0, 4, 0
                                        ; implicit-def: $vgpr99_vgpr100
                                        ; implicit-def: $vgpr3_vgpr4
	s_clause 0x3
	buffer_load_dword v97, v104, s[0:3], 0 offen
	buffer_load_dword v98, v104, s[0:3], 0 offen offset:4
	buffer_load_dword v101, v104, s[0:3], 0 offen offset:8
	buffer_load_dword v102, v104, s[0:3], 0 offen offset:12
	s_waitcnt vmcnt(0)
	v_cmp_ngt_f64_e64 s9, |v[97:98]|, |v[101:102]|
	s_and_saveexec_b32 s28, s9
	s_xor_b32 s9, exec_lo, s28
	s_cbranch_execz .LBB45_4
; %bb.3:
	v_div_scale_f64 v[1:2], null, v[101:102], v[101:102], v[97:98]
	v_div_scale_f64 v[105:106], vcc_lo, v[97:98], v[101:102], v[97:98]
	v_rcp_f64_e32 v[3:4], v[1:2]
	v_fma_f64 v[99:100], -v[1:2], v[3:4], 1.0
	v_fma_f64 v[3:4], v[3:4], v[99:100], v[3:4]
	v_fma_f64 v[99:100], -v[1:2], v[3:4], 1.0
	v_fma_f64 v[3:4], v[3:4], v[99:100], v[3:4]
	v_mul_f64 v[99:100], v[105:106], v[3:4]
	v_fma_f64 v[1:2], -v[1:2], v[99:100], v[105:106]
	v_div_fmas_f64 v[1:2], v[1:2], v[3:4], v[99:100]
	v_div_fixup_f64 v[1:2], v[1:2], v[101:102], v[97:98]
	v_fma_f64 v[3:4], v[97:98], v[1:2], v[101:102]
	v_div_scale_f64 v[97:98], null, v[3:4], v[3:4], 1.0
	v_div_scale_f64 v[105:106], vcc_lo, 1.0, v[3:4], 1.0
	v_rcp_f64_e32 v[99:100], v[97:98]
	v_fma_f64 v[101:102], -v[97:98], v[99:100], 1.0
	v_fma_f64 v[99:100], v[99:100], v[101:102], v[99:100]
	v_fma_f64 v[101:102], -v[97:98], v[99:100], 1.0
	v_fma_f64 v[99:100], v[99:100], v[101:102], v[99:100]
	v_mul_f64 v[101:102], v[105:106], v[99:100]
	v_fma_f64 v[97:98], -v[97:98], v[101:102], v[105:106]
	v_div_fmas_f64 v[97:98], v[97:98], v[99:100], v[101:102]
                                        ; implicit-def: $vgpr101_vgpr102
	v_div_fixup_f64 v[3:4], v[97:98], v[3:4], 1.0
                                        ; implicit-def: $vgpr97_vgpr98
	v_mul_f64 v[99:100], v[1:2], v[3:4]
	v_xor_b32_e32 v4, 0x80000000, v4
	v_xor_b32_e32 v2, 0x80000000, v100
	v_mov_b32_e32 v1, v99
.LBB45_4:
	s_andn2_saveexec_b32 s9, s9
	s_cbranch_execz .LBB45_6
; %bb.5:
	v_div_scale_f64 v[1:2], null, v[97:98], v[97:98], v[101:102]
	v_div_scale_f64 v[105:106], vcc_lo, v[101:102], v[97:98], v[101:102]
	v_rcp_f64_e32 v[3:4], v[1:2]
	v_fma_f64 v[99:100], -v[1:2], v[3:4], 1.0
	v_fma_f64 v[3:4], v[3:4], v[99:100], v[3:4]
	v_fma_f64 v[99:100], -v[1:2], v[3:4], 1.0
	v_fma_f64 v[3:4], v[3:4], v[99:100], v[3:4]
	v_mul_f64 v[99:100], v[105:106], v[3:4]
	v_fma_f64 v[1:2], -v[1:2], v[99:100], v[105:106]
	v_div_fmas_f64 v[1:2], v[1:2], v[3:4], v[99:100]
	v_div_fixup_f64 v[1:2], v[1:2], v[97:98], v[101:102]
	v_fma_f64 v[3:4], v[101:102], v[1:2], v[97:98]
	v_div_scale_f64 v[97:98], null, v[3:4], v[3:4], 1.0
	v_rcp_f64_e32 v[99:100], v[97:98]
	v_fma_f64 v[101:102], -v[97:98], v[99:100], 1.0
	v_fma_f64 v[99:100], v[99:100], v[101:102], v[99:100]
	v_fma_f64 v[101:102], -v[97:98], v[99:100], 1.0
	v_fma_f64 v[99:100], v[99:100], v[101:102], v[99:100]
	v_div_scale_f64 v[101:102], vcc_lo, 1.0, v[3:4], 1.0
	v_mul_f64 v[105:106], v[101:102], v[99:100]
	v_fma_f64 v[97:98], -v[97:98], v[105:106], v[101:102]
	v_div_fmas_f64 v[97:98], v[97:98], v[99:100], v[105:106]
	v_div_fixup_f64 v[99:100], v[97:98], v[3:4], 1.0
	v_mul_f64 v[3:4], v[1:2], -v[99:100]
	v_xor_b32_e32 v2, 0x80000000, v100
	v_mov_b32_e32 v1, v99
.LBB45_6:
	s_or_b32 exec_lo, exec_lo, s9
	buffer_store_dword v4, v104, s[0:3], 0 offen offset:12
	v_xor_b32_e32 v4, 0x80000000, v4
	buffer_store_dword v100, v104, s[0:3], 0 offen offset:4
	buffer_store_dword v99, v104, s[0:3], 0 offen
	buffer_store_dword v3, v104, s[0:3], 0 offen offset:8
	s_branch .LBB45_8
.LBB45_7:
	v_mov_b32_e32 v1, 0
	v_mov_b32_e32 v3, 0
	;; [unrolled: 1-line block ×4, first 2 shown]
.LBB45_8:
	v_add_nc_u32_e32 v98, 0x2e0, v103
	v_mov_b32_e32 v97, v103
	s_mov_b32 s52, 16
	s_mov_b32 s53, 32
	;; [unrolled: 1-line block ×44, first 2 shown]
	s_cmpk_eq_i32 s8, 0x79
	ds_write_b128 v103, v[1:4]
	s_cbranch_scc1 .LBB45_364
; %bb.9:
	v_mov_b32_e32 v4, s9
	v_cmp_eq_u32_e64 s4, 45, v0
	s_clause 0x3
	buffer_load_dword v1, v4, s[0:3], 0 offen
	buffer_load_dword v2, v4, s[0:3], 0 offen offset:4
	buffer_load_dword v3, v4, s[0:3], 0 offen offset:8
	buffer_load_dword v4, v4, s[0:3], 0 offen offset:12
	s_waitcnt vmcnt(0)
	ds_write_b128 v98, v[1:4]
	s_waitcnt lgkmcnt(0)
	s_waitcnt_vscnt null, 0x0
	s_barrier
	buffer_gl0_inv
	s_and_saveexec_b32 s5, s4
	s_cbranch_execz .LBB45_13
; %bb.10:
	ds_read_b128 v[1:4], v98
	s_andn2_b32 vcc_lo, exec_lo, s54
	s_cbranch_vccnz .LBB45_12
; %bb.11:
	s_clause 0x3
	buffer_load_dword v99, v97, s[0:3], 0 offen offset:8
	buffer_load_dword v100, v97, s[0:3], 0 offen offset:12
	buffer_load_dword v101, v97, s[0:3], 0 offen
	buffer_load_dword v102, v97, s[0:3], 0 offen offset:4
	s_waitcnt vmcnt(2) lgkmcnt(0)
	v_mul_f64 v[104:105], v[3:4], v[99:100]
	v_mul_f64 v[99:100], v[1:2], v[99:100]
	s_waitcnt vmcnt(0)
	v_fma_f64 v[1:2], v[1:2], v[101:102], -v[104:105]
	v_fma_f64 v[3:4], v[3:4], v[101:102], v[99:100]
.LBB45_12:
	v_mov_b32_e32 v99, 0
	ds_read_b128 v[99:102], v99 offset:704
	s_waitcnt lgkmcnt(0)
	v_mul_f64 v[104:105], v[3:4], v[101:102]
	v_mul_f64 v[101:102], v[1:2], v[101:102]
	v_fma_f64 v[1:2], v[1:2], v[99:100], -v[104:105]
	v_fma_f64 v[3:4], v[3:4], v[99:100], v[101:102]
	buffer_store_dword v2, off, s[0:3], 0 offset:708
	buffer_store_dword v1, off, s[0:3], 0 offset:704
	;; [unrolled: 1-line block ×4, first 2 shown]
.LBB45_13:
	s_or_b32 exec_lo, exec_lo, s5
	v_mov_b32_e32 v4, s10
	v_cmp_lt_u32_e64 s5, 43, v0
	s_clause 0x3
	buffer_load_dword v1, v4, s[0:3], 0 offen
	buffer_load_dword v2, v4, s[0:3], 0 offen offset:4
	buffer_load_dword v3, v4, s[0:3], 0 offen offset:8
	;; [unrolled: 1-line block ×3, first 2 shown]
	s_waitcnt vmcnt(0)
	ds_write_b128 v98, v[1:4]
	s_waitcnt lgkmcnt(0)
	s_waitcnt_vscnt null, 0x0
	s_barrier
	buffer_gl0_inv
	s_and_saveexec_b32 s6, s5
	s_cbranch_execz .LBB45_19
; %bb.14:
	ds_read_b128 v[1:4], v98
	s_andn2_b32 vcc_lo, exec_lo, s54
	s_cbranch_vccnz .LBB45_16
; %bb.15:
	s_clause 0x3
	buffer_load_dword v99, v97, s[0:3], 0 offen offset:8
	buffer_load_dword v100, v97, s[0:3], 0 offen offset:12
	buffer_load_dword v101, v97, s[0:3], 0 offen
	buffer_load_dword v102, v97, s[0:3], 0 offen offset:4
	s_waitcnt vmcnt(2) lgkmcnt(0)
	v_mul_f64 v[104:105], v[3:4], v[99:100]
	v_mul_f64 v[99:100], v[1:2], v[99:100]
	s_waitcnt vmcnt(0)
	v_fma_f64 v[1:2], v[1:2], v[101:102], -v[104:105]
	v_fma_f64 v[3:4], v[3:4], v[101:102], v[99:100]
.LBB45_16:
	s_and_saveexec_b32 s8, s4
	s_cbranch_execz .LBB45_18
; %bb.17:
	s_clause 0x3
	buffer_load_dword v104, off, s[0:3], 0 offset:712
	buffer_load_dword v105, off, s[0:3], 0 offset:716
	;; [unrolled: 1-line block ×4, first 2 shown]
	v_mov_b32_e32 v99, 0
	ds_read_b128 v[99:102], v99 offset:1440
	s_waitcnt vmcnt(2) lgkmcnt(0)
	v_mul_f64 v[108:109], v[99:100], v[104:105]
	v_mul_f64 v[104:105], v[101:102], v[104:105]
	s_waitcnt vmcnt(0)
	v_fma_f64 v[101:102], v[101:102], v[106:107], v[108:109]
	v_fma_f64 v[99:100], v[99:100], v[106:107], -v[104:105]
	v_add_f64 v[3:4], v[3:4], v[101:102]
	v_add_f64 v[1:2], v[1:2], v[99:100]
.LBB45_18:
	s_or_b32 exec_lo, exec_lo, s8
	v_mov_b32_e32 v99, 0
	ds_read_b128 v[99:102], v99 offset:688
	s_waitcnt lgkmcnt(0)
	v_mul_f64 v[104:105], v[3:4], v[101:102]
	v_mul_f64 v[101:102], v[1:2], v[101:102]
	v_fma_f64 v[1:2], v[1:2], v[99:100], -v[104:105]
	v_fma_f64 v[3:4], v[3:4], v[99:100], v[101:102]
	buffer_store_dword v2, off, s[0:3], 0 offset:692
	buffer_store_dword v1, off, s[0:3], 0 offset:688
	;; [unrolled: 1-line block ×4, first 2 shown]
.LBB45_19:
	s_or_b32 exec_lo, exec_lo, s6
	v_mov_b32_e32 v4, s11
	v_cmp_lt_u32_e64 s4, 42, v0
	s_clause 0x3
	buffer_load_dword v1, v4, s[0:3], 0 offen
	buffer_load_dword v2, v4, s[0:3], 0 offen offset:4
	buffer_load_dword v3, v4, s[0:3], 0 offen offset:8
	;; [unrolled: 1-line block ×3, first 2 shown]
	s_waitcnt vmcnt(0)
	ds_write_b128 v98, v[1:4]
	s_waitcnt lgkmcnt(0)
	s_waitcnt_vscnt null, 0x0
	s_barrier
	buffer_gl0_inv
	s_and_saveexec_b32 s6, s4
	s_cbranch_execz .LBB45_27
; %bb.20:
	ds_read_b128 v[1:4], v98
	s_andn2_b32 vcc_lo, exec_lo, s54
	s_cbranch_vccnz .LBB45_22
; %bb.21:
	s_clause 0x3
	buffer_load_dword v99, v97, s[0:3], 0 offen offset:8
	buffer_load_dword v100, v97, s[0:3], 0 offen offset:12
	buffer_load_dword v101, v97, s[0:3], 0 offen
	buffer_load_dword v102, v97, s[0:3], 0 offen offset:4
	s_waitcnt vmcnt(2) lgkmcnt(0)
	v_mul_f64 v[104:105], v[3:4], v[99:100]
	v_mul_f64 v[99:100], v[1:2], v[99:100]
	s_waitcnt vmcnt(0)
	v_fma_f64 v[1:2], v[1:2], v[101:102], -v[104:105]
	v_fma_f64 v[3:4], v[3:4], v[101:102], v[99:100]
.LBB45_22:
	s_and_saveexec_b32 s8, s5
	s_cbranch_execz .LBB45_26
; %bb.23:
	v_subrev_nc_u32_e32 v99, 43, v0
	s_movk_i32 s55, 0x590
	s_mov_b32 s5, 0
	s_mov_b32 s56, s10
	.p2align	6
.LBB45_24:                              ; =>This Inner Loop Header: Depth=1
	v_mov_b32_e32 v102, s56
	v_add_nc_u32_e32 v99, -1, v99
	s_add_i32 s56, s56, 16
	s_clause 0x3
	buffer_load_dword v100, v102, s[0:3], 0 offen offset:8
	buffer_load_dword v101, v102, s[0:3], 0 offen offset:12
	buffer_load_dword v108, v102, s[0:3], 0 offen
	buffer_load_dword v109, v102, s[0:3], 0 offen offset:4
	v_mov_b32_e32 v102, s55
	v_cmp_eq_u32_e32 vcc_lo, 0, v99
	s_add_i32 s55, s55, 16
	ds_read_b128 v[104:107], v102
	s_or_b32 s5, vcc_lo, s5
	s_waitcnt vmcnt(2) lgkmcnt(0)
	v_mul_f64 v[110:111], v[106:107], v[100:101]
	v_mul_f64 v[100:101], v[104:105], v[100:101]
	s_waitcnt vmcnt(0)
	v_fma_f64 v[104:105], v[104:105], v[108:109], -v[110:111]
	v_fma_f64 v[100:101], v[106:107], v[108:109], v[100:101]
	v_add_f64 v[1:2], v[1:2], v[104:105]
	v_add_f64 v[3:4], v[3:4], v[100:101]
	s_andn2_b32 exec_lo, exec_lo, s5
	s_cbranch_execnz .LBB45_24
; %bb.25:
	s_or_b32 exec_lo, exec_lo, s5
.LBB45_26:
	s_or_b32 exec_lo, exec_lo, s8
	v_mov_b32_e32 v99, 0
	ds_read_b128 v[99:102], v99 offset:672
	s_waitcnt lgkmcnt(0)
	v_mul_f64 v[104:105], v[3:4], v[101:102]
	v_mul_f64 v[101:102], v[1:2], v[101:102]
	v_fma_f64 v[1:2], v[1:2], v[99:100], -v[104:105]
	v_fma_f64 v[3:4], v[3:4], v[99:100], v[101:102]
	buffer_store_dword v2, off, s[0:3], 0 offset:676
	buffer_store_dword v1, off, s[0:3], 0 offset:672
	;; [unrolled: 1-line block ×4, first 2 shown]
.LBB45_27:
	s_or_b32 exec_lo, exec_lo, s6
	v_mov_b32_e32 v4, s12
	v_cmp_lt_u32_e64 s5, 41, v0
	s_clause 0x3
	buffer_load_dword v1, v4, s[0:3], 0 offen
	buffer_load_dword v2, v4, s[0:3], 0 offen offset:4
	buffer_load_dword v3, v4, s[0:3], 0 offen offset:8
	;; [unrolled: 1-line block ×3, first 2 shown]
	s_waitcnt vmcnt(0)
	ds_write_b128 v98, v[1:4]
	s_waitcnt lgkmcnt(0)
	s_waitcnt_vscnt null, 0x0
	s_barrier
	buffer_gl0_inv
	s_and_saveexec_b32 s6, s5
	s_cbranch_execz .LBB45_35
; %bb.28:
	ds_read_b128 v[1:4], v98
	s_andn2_b32 vcc_lo, exec_lo, s54
	s_cbranch_vccnz .LBB45_30
; %bb.29:
	s_clause 0x3
	buffer_load_dword v99, v97, s[0:3], 0 offen offset:8
	buffer_load_dword v100, v97, s[0:3], 0 offen offset:12
	buffer_load_dword v101, v97, s[0:3], 0 offen
	buffer_load_dword v102, v97, s[0:3], 0 offen offset:4
	s_waitcnt vmcnt(2) lgkmcnt(0)
	v_mul_f64 v[104:105], v[3:4], v[99:100]
	v_mul_f64 v[99:100], v[1:2], v[99:100]
	s_waitcnt vmcnt(0)
	v_fma_f64 v[1:2], v[1:2], v[101:102], -v[104:105]
	v_fma_f64 v[3:4], v[3:4], v[101:102], v[99:100]
.LBB45_30:
	s_and_saveexec_b32 s8, s4
	s_cbranch_execz .LBB45_34
; %bb.31:
	v_subrev_nc_u32_e32 v99, 42, v0
	s_movk_i32 s55, 0x580
	s_mov_b32 s4, 0
	s_mov_b32 s56, s11
	.p2align	6
.LBB45_32:                              ; =>This Inner Loop Header: Depth=1
	v_mov_b32_e32 v102, s56
	v_add_nc_u32_e32 v99, -1, v99
	s_add_i32 s56, s56, 16
	s_clause 0x3
	buffer_load_dword v100, v102, s[0:3], 0 offen offset:8
	buffer_load_dword v101, v102, s[0:3], 0 offen offset:12
	buffer_load_dword v108, v102, s[0:3], 0 offen
	buffer_load_dword v109, v102, s[0:3], 0 offen offset:4
	v_mov_b32_e32 v102, s55
	v_cmp_eq_u32_e32 vcc_lo, 0, v99
	s_add_i32 s55, s55, 16
	ds_read_b128 v[104:107], v102
	s_or_b32 s4, vcc_lo, s4
	s_waitcnt vmcnt(2) lgkmcnt(0)
	v_mul_f64 v[110:111], v[106:107], v[100:101]
	v_mul_f64 v[100:101], v[104:105], v[100:101]
	s_waitcnt vmcnt(0)
	v_fma_f64 v[104:105], v[104:105], v[108:109], -v[110:111]
	v_fma_f64 v[100:101], v[106:107], v[108:109], v[100:101]
	v_add_f64 v[1:2], v[1:2], v[104:105]
	v_add_f64 v[3:4], v[3:4], v[100:101]
	s_andn2_b32 exec_lo, exec_lo, s4
	s_cbranch_execnz .LBB45_32
; %bb.33:
	s_or_b32 exec_lo, exec_lo, s4
.LBB45_34:
	s_or_b32 exec_lo, exec_lo, s8
	v_mov_b32_e32 v99, 0
	ds_read_b128 v[99:102], v99 offset:656
	s_waitcnt lgkmcnt(0)
	v_mul_f64 v[104:105], v[3:4], v[101:102]
	v_mul_f64 v[101:102], v[1:2], v[101:102]
	v_fma_f64 v[1:2], v[1:2], v[99:100], -v[104:105]
	v_fma_f64 v[3:4], v[3:4], v[99:100], v[101:102]
	buffer_store_dword v2, off, s[0:3], 0 offset:660
	buffer_store_dword v1, off, s[0:3], 0 offset:656
	;; [unrolled: 1-line block ×4, first 2 shown]
.LBB45_35:
	s_or_b32 exec_lo, exec_lo, s6
	v_mov_b32_e32 v4, s13
	v_cmp_lt_u32_e64 s4, 40, v0
	s_clause 0x3
	buffer_load_dword v1, v4, s[0:3], 0 offen
	buffer_load_dword v2, v4, s[0:3], 0 offen offset:4
	buffer_load_dword v3, v4, s[0:3], 0 offen offset:8
	;; [unrolled: 1-line block ×3, first 2 shown]
	s_waitcnt vmcnt(0)
	ds_write_b128 v98, v[1:4]
	s_waitcnt lgkmcnt(0)
	s_waitcnt_vscnt null, 0x0
	s_barrier
	buffer_gl0_inv
	s_and_saveexec_b32 s6, s4
	s_cbranch_execz .LBB45_43
; %bb.36:
	ds_read_b128 v[1:4], v98
	s_andn2_b32 vcc_lo, exec_lo, s54
	s_cbranch_vccnz .LBB45_38
; %bb.37:
	s_clause 0x3
	buffer_load_dword v99, v97, s[0:3], 0 offen offset:8
	buffer_load_dword v100, v97, s[0:3], 0 offen offset:12
	buffer_load_dword v101, v97, s[0:3], 0 offen
	buffer_load_dword v102, v97, s[0:3], 0 offen offset:4
	s_waitcnt vmcnt(2) lgkmcnt(0)
	v_mul_f64 v[104:105], v[3:4], v[99:100]
	v_mul_f64 v[99:100], v[1:2], v[99:100]
	s_waitcnt vmcnt(0)
	v_fma_f64 v[1:2], v[1:2], v[101:102], -v[104:105]
	v_fma_f64 v[3:4], v[3:4], v[101:102], v[99:100]
.LBB45_38:
	s_and_saveexec_b32 s8, s5
	s_cbranch_execz .LBB45_42
; %bb.39:
	v_subrev_nc_u32_e32 v99, 41, v0
	s_movk_i32 s55, 0x570
	s_mov_b32 s5, 0
	s_mov_b32 s56, s12
	.p2align	6
.LBB45_40:                              ; =>This Inner Loop Header: Depth=1
	v_mov_b32_e32 v102, s56
	v_add_nc_u32_e32 v99, -1, v99
	s_add_i32 s56, s56, 16
	s_clause 0x3
	buffer_load_dword v100, v102, s[0:3], 0 offen offset:8
	buffer_load_dword v101, v102, s[0:3], 0 offen offset:12
	buffer_load_dword v108, v102, s[0:3], 0 offen
	buffer_load_dword v109, v102, s[0:3], 0 offen offset:4
	v_mov_b32_e32 v102, s55
	v_cmp_eq_u32_e32 vcc_lo, 0, v99
	s_add_i32 s55, s55, 16
	ds_read_b128 v[104:107], v102
	s_or_b32 s5, vcc_lo, s5
	s_waitcnt vmcnt(2) lgkmcnt(0)
	v_mul_f64 v[110:111], v[106:107], v[100:101]
	v_mul_f64 v[100:101], v[104:105], v[100:101]
	s_waitcnt vmcnt(0)
	v_fma_f64 v[104:105], v[104:105], v[108:109], -v[110:111]
	v_fma_f64 v[100:101], v[106:107], v[108:109], v[100:101]
	v_add_f64 v[1:2], v[1:2], v[104:105]
	v_add_f64 v[3:4], v[3:4], v[100:101]
	s_andn2_b32 exec_lo, exec_lo, s5
	s_cbranch_execnz .LBB45_40
; %bb.41:
	s_or_b32 exec_lo, exec_lo, s5
.LBB45_42:
	s_or_b32 exec_lo, exec_lo, s8
	v_mov_b32_e32 v99, 0
	ds_read_b128 v[99:102], v99 offset:640
	s_waitcnt lgkmcnt(0)
	v_mul_f64 v[104:105], v[3:4], v[101:102]
	v_mul_f64 v[101:102], v[1:2], v[101:102]
	v_fma_f64 v[1:2], v[1:2], v[99:100], -v[104:105]
	v_fma_f64 v[3:4], v[3:4], v[99:100], v[101:102]
	buffer_store_dword v2, off, s[0:3], 0 offset:644
	buffer_store_dword v1, off, s[0:3], 0 offset:640
	;; [unrolled: 1-line block ×4, first 2 shown]
.LBB45_43:
	s_or_b32 exec_lo, exec_lo, s6
	v_mov_b32_e32 v4, s14
	v_cmp_lt_u32_e64 s5, 39, v0
	s_clause 0x3
	buffer_load_dword v1, v4, s[0:3], 0 offen
	buffer_load_dword v2, v4, s[0:3], 0 offen offset:4
	buffer_load_dword v3, v4, s[0:3], 0 offen offset:8
	buffer_load_dword v4, v4, s[0:3], 0 offen offset:12
	s_waitcnt vmcnt(0)
	ds_write_b128 v98, v[1:4]
	s_waitcnt lgkmcnt(0)
	s_waitcnt_vscnt null, 0x0
	s_barrier
	buffer_gl0_inv
	s_and_saveexec_b32 s6, s5
	s_cbranch_execz .LBB45_51
; %bb.44:
	ds_read_b128 v[1:4], v98
	s_andn2_b32 vcc_lo, exec_lo, s54
	s_cbranch_vccnz .LBB45_46
; %bb.45:
	s_clause 0x3
	buffer_load_dword v99, v97, s[0:3], 0 offen offset:8
	buffer_load_dword v100, v97, s[0:3], 0 offen offset:12
	buffer_load_dword v101, v97, s[0:3], 0 offen
	buffer_load_dword v102, v97, s[0:3], 0 offen offset:4
	s_waitcnt vmcnt(2) lgkmcnt(0)
	v_mul_f64 v[104:105], v[3:4], v[99:100]
	v_mul_f64 v[99:100], v[1:2], v[99:100]
	s_waitcnt vmcnt(0)
	v_fma_f64 v[1:2], v[1:2], v[101:102], -v[104:105]
	v_fma_f64 v[3:4], v[3:4], v[101:102], v[99:100]
.LBB45_46:
	s_and_saveexec_b32 s8, s4
	s_cbranch_execz .LBB45_50
; %bb.47:
	v_subrev_nc_u32_e32 v99, 40, v0
	s_movk_i32 s55, 0x560
	s_mov_b32 s4, 0
	s_mov_b32 s56, s13
	.p2align	6
.LBB45_48:                              ; =>This Inner Loop Header: Depth=1
	v_mov_b32_e32 v102, s56
	v_add_nc_u32_e32 v99, -1, v99
	s_add_i32 s56, s56, 16
	s_clause 0x3
	buffer_load_dword v100, v102, s[0:3], 0 offen offset:8
	buffer_load_dword v101, v102, s[0:3], 0 offen offset:12
	buffer_load_dword v108, v102, s[0:3], 0 offen
	buffer_load_dword v109, v102, s[0:3], 0 offen offset:4
	v_mov_b32_e32 v102, s55
	v_cmp_eq_u32_e32 vcc_lo, 0, v99
	s_add_i32 s55, s55, 16
	ds_read_b128 v[104:107], v102
	s_or_b32 s4, vcc_lo, s4
	s_waitcnt vmcnt(2) lgkmcnt(0)
	v_mul_f64 v[110:111], v[106:107], v[100:101]
	v_mul_f64 v[100:101], v[104:105], v[100:101]
	s_waitcnt vmcnt(0)
	v_fma_f64 v[104:105], v[104:105], v[108:109], -v[110:111]
	v_fma_f64 v[100:101], v[106:107], v[108:109], v[100:101]
	v_add_f64 v[1:2], v[1:2], v[104:105]
	v_add_f64 v[3:4], v[3:4], v[100:101]
	s_andn2_b32 exec_lo, exec_lo, s4
	s_cbranch_execnz .LBB45_48
; %bb.49:
	s_or_b32 exec_lo, exec_lo, s4
.LBB45_50:
	s_or_b32 exec_lo, exec_lo, s8
	v_mov_b32_e32 v99, 0
	ds_read_b128 v[99:102], v99 offset:624
	s_waitcnt lgkmcnt(0)
	v_mul_f64 v[104:105], v[3:4], v[101:102]
	v_mul_f64 v[101:102], v[1:2], v[101:102]
	v_fma_f64 v[1:2], v[1:2], v[99:100], -v[104:105]
	v_fma_f64 v[3:4], v[3:4], v[99:100], v[101:102]
	buffer_store_dword v2, off, s[0:3], 0 offset:628
	buffer_store_dword v1, off, s[0:3], 0 offset:624
	;; [unrolled: 1-line block ×4, first 2 shown]
.LBB45_51:
	s_or_b32 exec_lo, exec_lo, s6
	v_mov_b32_e32 v4, s15
	v_cmp_lt_u32_e64 s4, 38, v0
	s_clause 0x3
	buffer_load_dword v1, v4, s[0:3], 0 offen
	buffer_load_dword v2, v4, s[0:3], 0 offen offset:4
	buffer_load_dword v3, v4, s[0:3], 0 offen offset:8
	;; [unrolled: 1-line block ×3, first 2 shown]
	s_waitcnt vmcnt(0)
	ds_write_b128 v98, v[1:4]
	s_waitcnt lgkmcnt(0)
	s_waitcnt_vscnt null, 0x0
	s_barrier
	buffer_gl0_inv
	s_and_saveexec_b32 s6, s4
	s_cbranch_execz .LBB45_59
; %bb.52:
	ds_read_b128 v[1:4], v98
	s_andn2_b32 vcc_lo, exec_lo, s54
	s_cbranch_vccnz .LBB45_54
; %bb.53:
	s_clause 0x3
	buffer_load_dword v99, v97, s[0:3], 0 offen offset:8
	buffer_load_dword v100, v97, s[0:3], 0 offen offset:12
	buffer_load_dword v101, v97, s[0:3], 0 offen
	buffer_load_dword v102, v97, s[0:3], 0 offen offset:4
	s_waitcnt vmcnt(2) lgkmcnt(0)
	v_mul_f64 v[104:105], v[3:4], v[99:100]
	v_mul_f64 v[99:100], v[1:2], v[99:100]
	s_waitcnt vmcnt(0)
	v_fma_f64 v[1:2], v[1:2], v[101:102], -v[104:105]
	v_fma_f64 v[3:4], v[3:4], v[101:102], v[99:100]
.LBB45_54:
	s_and_saveexec_b32 s8, s5
	s_cbranch_execz .LBB45_58
; %bb.55:
	v_subrev_nc_u32_e32 v99, 39, v0
	s_movk_i32 s55, 0x550
	s_mov_b32 s5, 0
	s_mov_b32 s56, s14
	.p2align	6
.LBB45_56:                              ; =>This Inner Loop Header: Depth=1
	v_mov_b32_e32 v102, s56
	v_add_nc_u32_e32 v99, -1, v99
	s_add_i32 s56, s56, 16
	s_clause 0x3
	buffer_load_dword v100, v102, s[0:3], 0 offen offset:8
	buffer_load_dword v101, v102, s[0:3], 0 offen offset:12
	buffer_load_dword v108, v102, s[0:3], 0 offen
	buffer_load_dword v109, v102, s[0:3], 0 offen offset:4
	v_mov_b32_e32 v102, s55
	v_cmp_eq_u32_e32 vcc_lo, 0, v99
	s_add_i32 s55, s55, 16
	ds_read_b128 v[104:107], v102
	s_or_b32 s5, vcc_lo, s5
	s_waitcnt vmcnt(2) lgkmcnt(0)
	v_mul_f64 v[110:111], v[106:107], v[100:101]
	v_mul_f64 v[100:101], v[104:105], v[100:101]
	s_waitcnt vmcnt(0)
	v_fma_f64 v[104:105], v[104:105], v[108:109], -v[110:111]
	v_fma_f64 v[100:101], v[106:107], v[108:109], v[100:101]
	v_add_f64 v[1:2], v[1:2], v[104:105]
	v_add_f64 v[3:4], v[3:4], v[100:101]
	s_andn2_b32 exec_lo, exec_lo, s5
	s_cbranch_execnz .LBB45_56
; %bb.57:
	s_or_b32 exec_lo, exec_lo, s5
.LBB45_58:
	s_or_b32 exec_lo, exec_lo, s8
	v_mov_b32_e32 v99, 0
	ds_read_b128 v[99:102], v99 offset:608
	s_waitcnt lgkmcnt(0)
	v_mul_f64 v[104:105], v[3:4], v[101:102]
	v_mul_f64 v[101:102], v[1:2], v[101:102]
	v_fma_f64 v[1:2], v[1:2], v[99:100], -v[104:105]
	v_fma_f64 v[3:4], v[3:4], v[99:100], v[101:102]
	buffer_store_dword v2, off, s[0:3], 0 offset:612
	buffer_store_dword v1, off, s[0:3], 0 offset:608
	;; [unrolled: 1-line block ×4, first 2 shown]
.LBB45_59:
	s_or_b32 exec_lo, exec_lo, s6
	v_mov_b32_e32 v4, s16
	v_cmp_lt_u32_e64 s5, 37, v0
	s_clause 0x3
	buffer_load_dword v1, v4, s[0:3], 0 offen
	buffer_load_dword v2, v4, s[0:3], 0 offen offset:4
	buffer_load_dword v3, v4, s[0:3], 0 offen offset:8
	;; [unrolled: 1-line block ×3, first 2 shown]
	s_waitcnt vmcnt(0)
	ds_write_b128 v98, v[1:4]
	s_waitcnt lgkmcnt(0)
	s_waitcnt_vscnt null, 0x0
	s_barrier
	buffer_gl0_inv
	s_and_saveexec_b32 s6, s5
	s_cbranch_execz .LBB45_67
; %bb.60:
	ds_read_b128 v[1:4], v98
	s_andn2_b32 vcc_lo, exec_lo, s54
	s_cbranch_vccnz .LBB45_62
; %bb.61:
	s_clause 0x3
	buffer_load_dword v99, v97, s[0:3], 0 offen offset:8
	buffer_load_dword v100, v97, s[0:3], 0 offen offset:12
	buffer_load_dword v101, v97, s[0:3], 0 offen
	buffer_load_dword v102, v97, s[0:3], 0 offen offset:4
	s_waitcnt vmcnt(2) lgkmcnt(0)
	v_mul_f64 v[104:105], v[3:4], v[99:100]
	v_mul_f64 v[99:100], v[1:2], v[99:100]
	s_waitcnt vmcnt(0)
	v_fma_f64 v[1:2], v[1:2], v[101:102], -v[104:105]
	v_fma_f64 v[3:4], v[3:4], v[101:102], v[99:100]
.LBB45_62:
	s_and_saveexec_b32 s8, s4
	s_cbranch_execz .LBB45_66
; %bb.63:
	v_subrev_nc_u32_e32 v99, 38, v0
	s_movk_i32 s55, 0x540
	s_mov_b32 s4, 0
	s_mov_b32 s56, s15
	.p2align	6
.LBB45_64:                              ; =>This Inner Loop Header: Depth=1
	v_mov_b32_e32 v102, s56
	v_add_nc_u32_e32 v99, -1, v99
	s_add_i32 s56, s56, 16
	s_clause 0x3
	buffer_load_dword v100, v102, s[0:3], 0 offen offset:8
	buffer_load_dword v101, v102, s[0:3], 0 offen offset:12
	buffer_load_dword v108, v102, s[0:3], 0 offen
	buffer_load_dword v109, v102, s[0:3], 0 offen offset:4
	v_mov_b32_e32 v102, s55
	v_cmp_eq_u32_e32 vcc_lo, 0, v99
	s_add_i32 s55, s55, 16
	ds_read_b128 v[104:107], v102
	s_or_b32 s4, vcc_lo, s4
	s_waitcnt vmcnt(2) lgkmcnt(0)
	v_mul_f64 v[110:111], v[106:107], v[100:101]
	v_mul_f64 v[100:101], v[104:105], v[100:101]
	s_waitcnt vmcnt(0)
	v_fma_f64 v[104:105], v[104:105], v[108:109], -v[110:111]
	v_fma_f64 v[100:101], v[106:107], v[108:109], v[100:101]
	v_add_f64 v[1:2], v[1:2], v[104:105]
	v_add_f64 v[3:4], v[3:4], v[100:101]
	s_andn2_b32 exec_lo, exec_lo, s4
	s_cbranch_execnz .LBB45_64
; %bb.65:
	s_or_b32 exec_lo, exec_lo, s4
.LBB45_66:
	s_or_b32 exec_lo, exec_lo, s8
	v_mov_b32_e32 v99, 0
	ds_read_b128 v[99:102], v99 offset:592
	s_waitcnt lgkmcnt(0)
	v_mul_f64 v[104:105], v[3:4], v[101:102]
	v_mul_f64 v[101:102], v[1:2], v[101:102]
	v_fma_f64 v[1:2], v[1:2], v[99:100], -v[104:105]
	v_fma_f64 v[3:4], v[3:4], v[99:100], v[101:102]
	buffer_store_dword v2, off, s[0:3], 0 offset:596
	buffer_store_dword v1, off, s[0:3], 0 offset:592
	;; [unrolled: 1-line block ×4, first 2 shown]
.LBB45_67:
	s_or_b32 exec_lo, exec_lo, s6
	v_mov_b32_e32 v4, s17
	v_cmp_lt_u32_e64 s4, 36, v0
	s_clause 0x3
	buffer_load_dword v1, v4, s[0:3], 0 offen
	buffer_load_dword v2, v4, s[0:3], 0 offen offset:4
	buffer_load_dword v3, v4, s[0:3], 0 offen offset:8
	;; [unrolled: 1-line block ×3, first 2 shown]
	s_waitcnt vmcnt(0)
	ds_write_b128 v98, v[1:4]
	s_waitcnt lgkmcnt(0)
	s_waitcnt_vscnt null, 0x0
	s_barrier
	buffer_gl0_inv
	s_and_saveexec_b32 s6, s4
	s_cbranch_execz .LBB45_75
; %bb.68:
	ds_read_b128 v[1:4], v98
	s_andn2_b32 vcc_lo, exec_lo, s54
	s_cbranch_vccnz .LBB45_70
; %bb.69:
	s_clause 0x3
	buffer_load_dword v99, v97, s[0:3], 0 offen offset:8
	buffer_load_dword v100, v97, s[0:3], 0 offen offset:12
	buffer_load_dword v101, v97, s[0:3], 0 offen
	buffer_load_dword v102, v97, s[0:3], 0 offen offset:4
	s_waitcnt vmcnt(2) lgkmcnt(0)
	v_mul_f64 v[104:105], v[3:4], v[99:100]
	v_mul_f64 v[99:100], v[1:2], v[99:100]
	s_waitcnt vmcnt(0)
	v_fma_f64 v[1:2], v[1:2], v[101:102], -v[104:105]
	v_fma_f64 v[3:4], v[3:4], v[101:102], v[99:100]
.LBB45_70:
	s_and_saveexec_b32 s8, s5
	s_cbranch_execz .LBB45_74
; %bb.71:
	v_subrev_nc_u32_e32 v99, 37, v0
	s_movk_i32 s55, 0x530
	s_mov_b32 s5, 0
	s_mov_b32 s56, s16
	.p2align	6
.LBB45_72:                              ; =>This Inner Loop Header: Depth=1
	v_mov_b32_e32 v102, s56
	v_add_nc_u32_e32 v99, -1, v99
	s_add_i32 s56, s56, 16
	s_clause 0x3
	buffer_load_dword v100, v102, s[0:3], 0 offen offset:8
	buffer_load_dword v101, v102, s[0:3], 0 offen offset:12
	buffer_load_dword v108, v102, s[0:3], 0 offen
	buffer_load_dword v109, v102, s[0:3], 0 offen offset:4
	v_mov_b32_e32 v102, s55
	v_cmp_eq_u32_e32 vcc_lo, 0, v99
	s_add_i32 s55, s55, 16
	ds_read_b128 v[104:107], v102
	s_or_b32 s5, vcc_lo, s5
	s_waitcnt vmcnt(2) lgkmcnt(0)
	v_mul_f64 v[110:111], v[106:107], v[100:101]
	v_mul_f64 v[100:101], v[104:105], v[100:101]
	s_waitcnt vmcnt(0)
	v_fma_f64 v[104:105], v[104:105], v[108:109], -v[110:111]
	v_fma_f64 v[100:101], v[106:107], v[108:109], v[100:101]
	v_add_f64 v[1:2], v[1:2], v[104:105]
	v_add_f64 v[3:4], v[3:4], v[100:101]
	s_andn2_b32 exec_lo, exec_lo, s5
	s_cbranch_execnz .LBB45_72
; %bb.73:
	s_or_b32 exec_lo, exec_lo, s5
.LBB45_74:
	s_or_b32 exec_lo, exec_lo, s8
	v_mov_b32_e32 v99, 0
	ds_read_b128 v[99:102], v99 offset:576
	s_waitcnt lgkmcnt(0)
	v_mul_f64 v[104:105], v[3:4], v[101:102]
	v_mul_f64 v[101:102], v[1:2], v[101:102]
	v_fma_f64 v[1:2], v[1:2], v[99:100], -v[104:105]
	v_fma_f64 v[3:4], v[3:4], v[99:100], v[101:102]
	buffer_store_dword v2, off, s[0:3], 0 offset:580
	buffer_store_dword v1, off, s[0:3], 0 offset:576
	;; [unrolled: 1-line block ×4, first 2 shown]
.LBB45_75:
	s_or_b32 exec_lo, exec_lo, s6
	v_mov_b32_e32 v4, s18
	v_cmp_lt_u32_e64 s5, 35, v0
	s_clause 0x3
	buffer_load_dword v1, v4, s[0:3], 0 offen
	buffer_load_dword v2, v4, s[0:3], 0 offen offset:4
	buffer_load_dword v3, v4, s[0:3], 0 offen offset:8
	;; [unrolled: 1-line block ×3, first 2 shown]
	s_waitcnt vmcnt(0)
	ds_write_b128 v98, v[1:4]
	s_waitcnt lgkmcnt(0)
	s_waitcnt_vscnt null, 0x0
	s_barrier
	buffer_gl0_inv
	s_and_saveexec_b32 s6, s5
	s_cbranch_execz .LBB45_83
; %bb.76:
	ds_read_b128 v[1:4], v98
	s_andn2_b32 vcc_lo, exec_lo, s54
	s_cbranch_vccnz .LBB45_78
; %bb.77:
	s_clause 0x3
	buffer_load_dword v99, v97, s[0:3], 0 offen offset:8
	buffer_load_dword v100, v97, s[0:3], 0 offen offset:12
	buffer_load_dword v101, v97, s[0:3], 0 offen
	buffer_load_dword v102, v97, s[0:3], 0 offen offset:4
	s_waitcnt vmcnt(2) lgkmcnt(0)
	v_mul_f64 v[104:105], v[3:4], v[99:100]
	v_mul_f64 v[99:100], v[1:2], v[99:100]
	s_waitcnt vmcnt(0)
	v_fma_f64 v[1:2], v[1:2], v[101:102], -v[104:105]
	v_fma_f64 v[3:4], v[3:4], v[101:102], v[99:100]
.LBB45_78:
	s_and_saveexec_b32 s8, s4
	s_cbranch_execz .LBB45_82
; %bb.79:
	v_subrev_nc_u32_e32 v99, 36, v0
	s_movk_i32 s55, 0x520
	s_mov_b32 s4, 0
	s_mov_b32 s56, s17
	.p2align	6
.LBB45_80:                              ; =>This Inner Loop Header: Depth=1
	v_mov_b32_e32 v102, s56
	v_add_nc_u32_e32 v99, -1, v99
	s_add_i32 s56, s56, 16
	s_clause 0x3
	buffer_load_dword v100, v102, s[0:3], 0 offen offset:8
	buffer_load_dword v101, v102, s[0:3], 0 offen offset:12
	buffer_load_dword v108, v102, s[0:3], 0 offen
	buffer_load_dword v109, v102, s[0:3], 0 offen offset:4
	v_mov_b32_e32 v102, s55
	v_cmp_eq_u32_e32 vcc_lo, 0, v99
	s_add_i32 s55, s55, 16
	ds_read_b128 v[104:107], v102
	s_or_b32 s4, vcc_lo, s4
	s_waitcnt vmcnt(2) lgkmcnt(0)
	v_mul_f64 v[110:111], v[106:107], v[100:101]
	v_mul_f64 v[100:101], v[104:105], v[100:101]
	s_waitcnt vmcnt(0)
	v_fma_f64 v[104:105], v[104:105], v[108:109], -v[110:111]
	v_fma_f64 v[100:101], v[106:107], v[108:109], v[100:101]
	v_add_f64 v[1:2], v[1:2], v[104:105]
	v_add_f64 v[3:4], v[3:4], v[100:101]
	s_andn2_b32 exec_lo, exec_lo, s4
	s_cbranch_execnz .LBB45_80
; %bb.81:
	s_or_b32 exec_lo, exec_lo, s4
.LBB45_82:
	s_or_b32 exec_lo, exec_lo, s8
	v_mov_b32_e32 v99, 0
	ds_read_b128 v[99:102], v99 offset:560
	s_waitcnt lgkmcnt(0)
	v_mul_f64 v[104:105], v[3:4], v[101:102]
	v_mul_f64 v[101:102], v[1:2], v[101:102]
	v_fma_f64 v[1:2], v[1:2], v[99:100], -v[104:105]
	v_fma_f64 v[3:4], v[3:4], v[99:100], v[101:102]
	buffer_store_dword v2, off, s[0:3], 0 offset:564
	buffer_store_dword v1, off, s[0:3], 0 offset:560
	;; [unrolled: 1-line block ×4, first 2 shown]
.LBB45_83:
	s_or_b32 exec_lo, exec_lo, s6
	v_mov_b32_e32 v4, s19
	v_cmp_lt_u32_e64 s4, 34, v0
	s_clause 0x3
	buffer_load_dword v1, v4, s[0:3], 0 offen
	buffer_load_dword v2, v4, s[0:3], 0 offen offset:4
	buffer_load_dword v3, v4, s[0:3], 0 offen offset:8
	;; [unrolled: 1-line block ×3, first 2 shown]
	s_waitcnt vmcnt(0)
	ds_write_b128 v98, v[1:4]
	s_waitcnt lgkmcnt(0)
	s_waitcnt_vscnt null, 0x0
	s_barrier
	buffer_gl0_inv
	s_and_saveexec_b32 s6, s4
	s_cbranch_execz .LBB45_91
; %bb.84:
	ds_read_b128 v[1:4], v98
	s_andn2_b32 vcc_lo, exec_lo, s54
	s_cbranch_vccnz .LBB45_86
; %bb.85:
	s_clause 0x3
	buffer_load_dword v99, v97, s[0:3], 0 offen offset:8
	buffer_load_dword v100, v97, s[0:3], 0 offen offset:12
	buffer_load_dword v101, v97, s[0:3], 0 offen
	buffer_load_dword v102, v97, s[0:3], 0 offen offset:4
	s_waitcnt vmcnt(2) lgkmcnt(0)
	v_mul_f64 v[104:105], v[3:4], v[99:100]
	v_mul_f64 v[99:100], v[1:2], v[99:100]
	s_waitcnt vmcnt(0)
	v_fma_f64 v[1:2], v[1:2], v[101:102], -v[104:105]
	v_fma_f64 v[3:4], v[3:4], v[101:102], v[99:100]
.LBB45_86:
	s_and_saveexec_b32 s8, s5
	s_cbranch_execz .LBB45_90
; %bb.87:
	v_subrev_nc_u32_e32 v99, 35, v0
	s_movk_i32 s55, 0x510
	s_mov_b32 s5, 0
	s_mov_b32 s56, s18
	.p2align	6
.LBB45_88:                              ; =>This Inner Loop Header: Depth=1
	v_mov_b32_e32 v102, s56
	v_add_nc_u32_e32 v99, -1, v99
	s_add_i32 s56, s56, 16
	s_clause 0x3
	buffer_load_dword v100, v102, s[0:3], 0 offen offset:8
	buffer_load_dword v101, v102, s[0:3], 0 offen offset:12
	buffer_load_dword v108, v102, s[0:3], 0 offen
	buffer_load_dword v109, v102, s[0:3], 0 offen offset:4
	v_mov_b32_e32 v102, s55
	v_cmp_eq_u32_e32 vcc_lo, 0, v99
	s_add_i32 s55, s55, 16
	ds_read_b128 v[104:107], v102
	s_or_b32 s5, vcc_lo, s5
	s_waitcnt vmcnt(2) lgkmcnt(0)
	v_mul_f64 v[110:111], v[106:107], v[100:101]
	v_mul_f64 v[100:101], v[104:105], v[100:101]
	s_waitcnt vmcnt(0)
	v_fma_f64 v[104:105], v[104:105], v[108:109], -v[110:111]
	v_fma_f64 v[100:101], v[106:107], v[108:109], v[100:101]
	v_add_f64 v[1:2], v[1:2], v[104:105]
	v_add_f64 v[3:4], v[3:4], v[100:101]
	s_andn2_b32 exec_lo, exec_lo, s5
	s_cbranch_execnz .LBB45_88
; %bb.89:
	s_or_b32 exec_lo, exec_lo, s5
.LBB45_90:
	s_or_b32 exec_lo, exec_lo, s8
	v_mov_b32_e32 v99, 0
	ds_read_b128 v[99:102], v99 offset:544
	s_waitcnt lgkmcnt(0)
	v_mul_f64 v[104:105], v[3:4], v[101:102]
	v_mul_f64 v[101:102], v[1:2], v[101:102]
	v_fma_f64 v[1:2], v[1:2], v[99:100], -v[104:105]
	v_fma_f64 v[3:4], v[3:4], v[99:100], v[101:102]
	buffer_store_dword v2, off, s[0:3], 0 offset:548
	buffer_store_dword v1, off, s[0:3], 0 offset:544
	;; [unrolled: 1-line block ×4, first 2 shown]
.LBB45_91:
	s_or_b32 exec_lo, exec_lo, s6
	v_mov_b32_e32 v4, s20
	v_cmp_lt_u32_e64 s5, 33, v0
	s_clause 0x3
	buffer_load_dword v1, v4, s[0:3], 0 offen
	buffer_load_dword v2, v4, s[0:3], 0 offen offset:4
	buffer_load_dword v3, v4, s[0:3], 0 offen offset:8
	;; [unrolled: 1-line block ×3, first 2 shown]
	s_waitcnt vmcnt(0)
	ds_write_b128 v98, v[1:4]
	s_waitcnt lgkmcnt(0)
	s_waitcnt_vscnt null, 0x0
	s_barrier
	buffer_gl0_inv
	s_and_saveexec_b32 s6, s5
	s_cbranch_execz .LBB45_99
; %bb.92:
	ds_read_b128 v[1:4], v98
	s_andn2_b32 vcc_lo, exec_lo, s54
	s_cbranch_vccnz .LBB45_94
; %bb.93:
	s_clause 0x3
	buffer_load_dword v99, v97, s[0:3], 0 offen offset:8
	buffer_load_dword v100, v97, s[0:3], 0 offen offset:12
	buffer_load_dword v101, v97, s[0:3], 0 offen
	buffer_load_dword v102, v97, s[0:3], 0 offen offset:4
	s_waitcnt vmcnt(2) lgkmcnt(0)
	v_mul_f64 v[104:105], v[3:4], v[99:100]
	v_mul_f64 v[99:100], v[1:2], v[99:100]
	s_waitcnt vmcnt(0)
	v_fma_f64 v[1:2], v[1:2], v[101:102], -v[104:105]
	v_fma_f64 v[3:4], v[3:4], v[101:102], v[99:100]
.LBB45_94:
	s_and_saveexec_b32 s8, s4
	s_cbranch_execz .LBB45_98
; %bb.95:
	v_subrev_nc_u32_e32 v99, 34, v0
	s_movk_i32 s55, 0x500
	s_mov_b32 s4, 0
	s_mov_b32 s56, s19
	.p2align	6
.LBB45_96:                              ; =>This Inner Loop Header: Depth=1
	v_mov_b32_e32 v102, s56
	v_add_nc_u32_e32 v99, -1, v99
	s_add_i32 s56, s56, 16
	s_clause 0x3
	buffer_load_dword v100, v102, s[0:3], 0 offen offset:8
	buffer_load_dword v101, v102, s[0:3], 0 offen offset:12
	buffer_load_dword v108, v102, s[0:3], 0 offen
	buffer_load_dword v109, v102, s[0:3], 0 offen offset:4
	v_mov_b32_e32 v102, s55
	v_cmp_eq_u32_e32 vcc_lo, 0, v99
	s_add_i32 s55, s55, 16
	ds_read_b128 v[104:107], v102
	s_or_b32 s4, vcc_lo, s4
	s_waitcnt vmcnt(2) lgkmcnt(0)
	v_mul_f64 v[110:111], v[106:107], v[100:101]
	v_mul_f64 v[100:101], v[104:105], v[100:101]
	s_waitcnt vmcnt(0)
	v_fma_f64 v[104:105], v[104:105], v[108:109], -v[110:111]
	v_fma_f64 v[100:101], v[106:107], v[108:109], v[100:101]
	v_add_f64 v[1:2], v[1:2], v[104:105]
	v_add_f64 v[3:4], v[3:4], v[100:101]
	s_andn2_b32 exec_lo, exec_lo, s4
	s_cbranch_execnz .LBB45_96
; %bb.97:
	s_or_b32 exec_lo, exec_lo, s4
.LBB45_98:
	s_or_b32 exec_lo, exec_lo, s8
	v_mov_b32_e32 v99, 0
	ds_read_b128 v[99:102], v99 offset:528
	s_waitcnt lgkmcnt(0)
	v_mul_f64 v[104:105], v[3:4], v[101:102]
	v_mul_f64 v[101:102], v[1:2], v[101:102]
	v_fma_f64 v[1:2], v[1:2], v[99:100], -v[104:105]
	v_fma_f64 v[3:4], v[3:4], v[99:100], v[101:102]
	buffer_store_dword v2, off, s[0:3], 0 offset:532
	buffer_store_dword v1, off, s[0:3], 0 offset:528
	buffer_store_dword v4, off, s[0:3], 0 offset:540
	buffer_store_dword v3, off, s[0:3], 0 offset:536
.LBB45_99:
	s_or_b32 exec_lo, exec_lo, s6
	v_mov_b32_e32 v4, s21
	v_cmp_lt_u32_e64 s4, 32, v0
	s_clause 0x3
	buffer_load_dword v1, v4, s[0:3], 0 offen
	buffer_load_dword v2, v4, s[0:3], 0 offen offset:4
	buffer_load_dword v3, v4, s[0:3], 0 offen offset:8
	;; [unrolled: 1-line block ×3, first 2 shown]
	s_waitcnt vmcnt(0)
	ds_write_b128 v98, v[1:4]
	s_waitcnt lgkmcnt(0)
	s_waitcnt_vscnt null, 0x0
	s_barrier
	buffer_gl0_inv
	s_and_saveexec_b32 s6, s4
	s_cbranch_execz .LBB45_107
; %bb.100:
	ds_read_b128 v[1:4], v98
	s_andn2_b32 vcc_lo, exec_lo, s54
	s_cbranch_vccnz .LBB45_102
; %bb.101:
	s_clause 0x3
	buffer_load_dword v99, v97, s[0:3], 0 offen offset:8
	buffer_load_dword v100, v97, s[0:3], 0 offen offset:12
	buffer_load_dword v101, v97, s[0:3], 0 offen
	buffer_load_dword v102, v97, s[0:3], 0 offen offset:4
	s_waitcnt vmcnt(2) lgkmcnt(0)
	v_mul_f64 v[104:105], v[3:4], v[99:100]
	v_mul_f64 v[99:100], v[1:2], v[99:100]
	s_waitcnt vmcnt(0)
	v_fma_f64 v[1:2], v[1:2], v[101:102], -v[104:105]
	v_fma_f64 v[3:4], v[3:4], v[101:102], v[99:100]
.LBB45_102:
	s_and_saveexec_b32 s8, s5
	s_cbranch_execz .LBB45_106
; %bb.103:
	v_subrev_nc_u32_e32 v99, 33, v0
	s_movk_i32 s55, 0x4f0
	s_mov_b32 s5, 0
	s_mov_b32 s56, s20
	.p2align	6
.LBB45_104:                             ; =>This Inner Loop Header: Depth=1
	v_mov_b32_e32 v102, s56
	v_add_nc_u32_e32 v99, -1, v99
	s_add_i32 s56, s56, 16
	s_clause 0x3
	buffer_load_dword v100, v102, s[0:3], 0 offen offset:8
	buffer_load_dword v101, v102, s[0:3], 0 offen offset:12
	buffer_load_dword v108, v102, s[0:3], 0 offen
	buffer_load_dword v109, v102, s[0:3], 0 offen offset:4
	v_mov_b32_e32 v102, s55
	v_cmp_eq_u32_e32 vcc_lo, 0, v99
	s_add_i32 s55, s55, 16
	ds_read_b128 v[104:107], v102
	s_or_b32 s5, vcc_lo, s5
	s_waitcnt vmcnt(2) lgkmcnt(0)
	v_mul_f64 v[110:111], v[106:107], v[100:101]
	v_mul_f64 v[100:101], v[104:105], v[100:101]
	s_waitcnt vmcnt(0)
	v_fma_f64 v[104:105], v[104:105], v[108:109], -v[110:111]
	v_fma_f64 v[100:101], v[106:107], v[108:109], v[100:101]
	v_add_f64 v[1:2], v[1:2], v[104:105]
	v_add_f64 v[3:4], v[3:4], v[100:101]
	s_andn2_b32 exec_lo, exec_lo, s5
	s_cbranch_execnz .LBB45_104
; %bb.105:
	s_or_b32 exec_lo, exec_lo, s5
.LBB45_106:
	s_or_b32 exec_lo, exec_lo, s8
	v_mov_b32_e32 v99, 0
	ds_read_b128 v[99:102], v99 offset:512
	s_waitcnt lgkmcnt(0)
	v_mul_f64 v[104:105], v[3:4], v[101:102]
	v_mul_f64 v[101:102], v[1:2], v[101:102]
	v_fma_f64 v[1:2], v[1:2], v[99:100], -v[104:105]
	v_fma_f64 v[3:4], v[3:4], v[99:100], v[101:102]
	buffer_store_dword v2, off, s[0:3], 0 offset:516
	buffer_store_dword v1, off, s[0:3], 0 offset:512
	;; [unrolled: 1-line block ×4, first 2 shown]
.LBB45_107:
	s_or_b32 exec_lo, exec_lo, s6
	v_mov_b32_e32 v4, s22
	v_cmp_lt_u32_e64 s5, 31, v0
	s_clause 0x3
	buffer_load_dword v1, v4, s[0:3], 0 offen
	buffer_load_dword v2, v4, s[0:3], 0 offen offset:4
	buffer_load_dword v3, v4, s[0:3], 0 offen offset:8
	;; [unrolled: 1-line block ×3, first 2 shown]
	s_waitcnt vmcnt(0)
	ds_write_b128 v98, v[1:4]
	s_waitcnt lgkmcnt(0)
	s_waitcnt_vscnt null, 0x0
	s_barrier
	buffer_gl0_inv
	s_and_saveexec_b32 s6, s5
	s_cbranch_execz .LBB45_115
; %bb.108:
	ds_read_b128 v[1:4], v98
	s_andn2_b32 vcc_lo, exec_lo, s54
	s_cbranch_vccnz .LBB45_110
; %bb.109:
	s_clause 0x3
	buffer_load_dword v99, v97, s[0:3], 0 offen offset:8
	buffer_load_dword v100, v97, s[0:3], 0 offen offset:12
	buffer_load_dword v101, v97, s[0:3], 0 offen
	buffer_load_dword v102, v97, s[0:3], 0 offen offset:4
	s_waitcnt vmcnt(2) lgkmcnt(0)
	v_mul_f64 v[104:105], v[3:4], v[99:100]
	v_mul_f64 v[99:100], v[1:2], v[99:100]
	s_waitcnt vmcnt(0)
	v_fma_f64 v[1:2], v[1:2], v[101:102], -v[104:105]
	v_fma_f64 v[3:4], v[3:4], v[101:102], v[99:100]
.LBB45_110:
	s_and_saveexec_b32 s8, s4
	s_cbranch_execz .LBB45_114
; %bb.111:
	v_subrev_nc_u32_e32 v99, 32, v0
	s_movk_i32 s55, 0x4e0
	s_mov_b32 s4, 0
	s_mov_b32 s56, s21
	.p2align	6
.LBB45_112:                             ; =>This Inner Loop Header: Depth=1
	v_mov_b32_e32 v102, s56
	v_add_nc_u32_e32 v99, -1, v99
	s_add_i32 s56, s56, 16
	s_clause 0x3
	buffer_load_dword v100, v102, s[0:3], 0 offen offset:8
	buffer_load_dword v101, v102, s[0:3], 0 offen offset:12
	buffer_load_dword v108, v102, s[0:3], 0 offen
	buffer_load_dword v109, v102, s[0:3], 0 offen offset:4
	v_mov_b32_e32 v102, s55
	v_cmp_eq_u32_e32 vcc_lo, 0, v99
	s_add_i32 s55, s55, 16
	ds_read_b128 v[104:107], v102
	s_or_b32 s4, vcc_lo, s4
	s_waitcnt vmcnt(2) lgkmcnt(0)
	v_mul_f64 v[110:111], v[106:107], v[100:101]
	v_mul_f64 v[100:101], v[104:105], v[100:101]
	s_waitcnt vmcnt(0)
	v_fma_f64 v[104:105], v[104:105], v[108:109], -v[110:111]
	v_fma_f64 v[100:101], v[106:107], v[108:109], v[100:101]
	v_add_f64 v[1:2], v[1:2], v[104:105]
	v_add_f64 v[3:4], v[3:4], v[100:101]
	s_andn2_b32 exec_lo, exec_lo, s4
	s_cbranch_execnz .LBB45_112
; %bb.113:
	s_or_b32 exec_lo, exec_lo, s4
.LBB45_114:
	s_or_b32 exec_lo, exec_lo, s8
	v_mov_b32_e32 v99, 0
	ds_read_b128 v[99:102], v99 offset:496
	s_waitcnt lgkmcnt(0)
	v_mul_f64 v[104:105], v[3:4], v[101:102]
	v_mul_f64 v[101:102], v[1:2], v[101:102]
	v_fma_f64 v[1:2], v[1:2], v[99:100], -v[104:105]
	v_fma_f64 v[3:4], v[3:4], v[99:100], v[101:102]
	buffer_store_dword v2, off, s[0:3], 0 offset:500
	buffer_store_dword v1, off, s[0:3], 0 offset:496
	;; [unrolled: 1-line block ×4, first 2 shown]
.LBB45_115:
	s_or_b32 exec_lo, exec_lo, s6
	v_mov_b32_e32 v4, s23
	v_cmp_lt_u32_e64 s4, 30, v0
	s_clause 0x3
	buffer_load_dword v1, v4, s[0:3], 0 offen
	buffer_load_dword v2, v4, s[0:3], 0 offen offset:4
	buffer_load_dword v3, v4, s[0:3], 0 offen offset:8
	;; [unrolled: 1-line block ×3, first 2 shown]
	s_waitcnt vmcnt(0)
	ds_write_b128 v98, v[1:4]
	s_waitcnt lgkmcnt(0)
	s_waitcnt_vscnt null, 0x0
	s_barrier
	buffer_gl0_inv
	s_and_saveexec_b32 s6, s4
	s_cbranch_execz .LBB45_123
; %bb.116:
	ds_read_b128 v[1:4], v98
	s_andn2_b32 vcc_lo, exec_lo, s54
	s_cbranch_vccnz .LBB45_118
; %bb.117:
	s_clause 0x3
	buffer_load_dword v99, v97, s[0:3], 0 offen offset:8
	buffer_load_dword v100, v97, s[0:3], 0 offen offset:12
	buffer_load_dword v101, v97, s[0:3], 0 offen
	buffer_load_dword v102, v97, s[0:3], 0 offen offset:4
	s_waitcnt vmcnt(2) lgkmcnt(0)
	v_mul_f64 v[104:105], v[3:4], v[99:100]
	v_mul_f64 v[99:100], v[1:2], v[99:100]
	s_waitcnt vmcnt(0)
	v_fma_f64 v[1:2], v[1:2], v[101:102], -v[104:105]
	v_fma_f64 v[3:4], v[3:4], v[101:102], v[99:100]
.LBB45_118:
	s_and_saveexec_b32 s8, s5
	s_cbranch_execz .LBB45_122
; %bb.119:
	v_subrev_nc_u32_e32 v99, 31, v0
	s_movk_i32 s55, 0x4d0
	s_mov_b32 s5, 0
	s_mov_b32 s56, s22
	.p2align	6
.LBB45_120:                             ; =>This Inner Loop Header: Depth=1
	v_mov_b32_e32 v102, s56
	v_add_nc_u32_e32 v99, -1, v99
	s_add_i32 s56, s56, 16
	s_clause 0x3
	buffer_load_dword v100, v102, s[0:3], 0 offen offset:8
	buffer_load_dword v101, v102, s[0:3], 0 offen offset:12
	buffer_load_dword v108, v102, s[0:3], 0 offen
	buffer_load_dword v109, v102, s[0:3], 0 offen offset:4
	v_mov_b32_e32 v102, s55
	v_cmp_eq_u32_e32 vcc_lo, 0, v99
	s_add_i32 s55, s55, 16
	ds_read_b128 v[104:107], v102
	s_or_b32 s5, vcc_lo, s5
	s_waitcnt vmcnt(2) lgkmcnt(0)
	v_mul_f64 v[110:111], v[106:107], v[100:101]
	v_mul_f64 v[100:101], v[104:105], v[100:101]
	s_waitcnt vmcnt(0)
	v_fma_f64 v[104:105], v[104:105], v[108:109], -v[110:111]
	v_fma_f64 v[100:101], v[106:107], v[108:109], v[100:101]
	v_add_f64 v[1:2], v[1:2], v[104:105]
	v_add_f64 v[3:4], v[3:4], v[100:101]
	s_andn2_b32 exec_lo, exec_lo, s5
	s_cbranch_execnz .LBB45_120
; %bb.121:
	s_or_b32 exec_lo, exec_lo, s5
.LBB45_122:
	s_or_b32 exec_lo, exec_lo, s8
	v_mov_b32_e32 v99, 0
	ds_read_b128 v[99:102], v99 offset:480
	s_waitcnt lgkmcnt(0)
	v_mul_f64 v[104:105], v[3:4], v[101:102]
	v_mul_f64 v[101:102], v[1:2], v[101:102]
	v_fma_f64 v[1:2], v[1:2], v[99:100], -v[104:105]
	v_fma_f64 v[3:4], v[3:4], v[99:100], v[101:102]
	buffer_store_dword v2, off, s[0:3], 0 offset:484
	buffer_store_dword v1, off, s[0:3], 0 offset:480
	;; [unrolled: 1-line block ×4, first 2 shown]
.LBB45_123:
	s_or_b32 exec_lo, exec_lo, s6
	v_mov_b32_e32 v4, s24
	v_cmp_lt_u32_e64 s5, 29, v0
	s_clause 0x3
	buffer_load_dword v1, v4, s[0:3], 0 offen
	buffer_load_dword v2, v4, s[0:3], 0 offen offset:4
	buffer_load_dword v3, v4, s[0:3], 0 offen offset:8
	;; [unrolled: 1-line block ×3, first 2 shown]
	s_waitcnt vmcnt(0)
	ds_write_b128 v98, v[1:4]
	s_waitcnt lgkmcnt(0)
	s_waitcnt_vscnt null, 0x0
	s_barrier
	buffer_gl0_inv
	s_and_saveexec_b32 s6, s5
	s_cbranch_execz .LBB45_131
; %bb.124:
	ds_read_b128 v[1:4], v98
	s_andn2_b32 vcc_lo, exec_lo, s54
	s_cbranch_vccnz .LBB45_126
; %bb.125:
	s_clause 0x3
	buffer_load_dword v99, v97, s[0:3], 0 offen offset:8
	buffer_load_dword v100, v97, s[0:3], 0 offen offset:12
	buffer_load_dword v101, v97, s[0:3], 0 offen
	buffer_load_dword v102, v97, s[0:3], 0 offen offset:4
	s_waitcnt vmcnt(2) lgkmcnt(0)
	v_mul_f64 v[104:105], v[3:4], v[99:100]
	v_mul_f64 v[99:100], v[1:2], v[99:100]
	s_waitcnt vmcnt(0)
	v_fma_f64 v[1:2], v[1:2], v[101:102], -v[104:105]
	v_fma_f64 v[3:4], v[3:4], v[101:102], v[99:100]
.LBB45_126:
	s_and_saveexec_b32 s8, s4
	s_cbranch_execz .LBB45_130
; %bb.127:
	v_subrev_nc_u32_e32 v99, 30, v0
	s_movk_i32 s55, 0x4c0
	s_mov_b32 s4, 0
	s_mov_b32 s56, s23
	.p2align	6
.LBB45_128:                             ; =>This Inner Loop Header: Depth=1
	v_mov_b32_e32 v102, s56
	v_add_nc_u32_e32 v99, -1, v99
	s_add_i32 s56, s56, 16
	s_clause 0x3
	buffer_load_dword v100, v102, s[0:3], 0 offen offset:8
	buffer_load_dword v101, v102, s[0:3], 0 offen offset:12
	buffer_load_dword v108, v102, s[0:3], 0 offen
	buffer_load_dword v109, v102, s[0:3], 0 offen offset:4
	v_mov_b32_e32 v102, s55
	v_cmp_eq_u32_e32 vcc_lo, 0, v99
	s_add_i32 s55, s55, 16
	ds_read_b128 v[104:107], v102
	s_or_b32 s4, vcc_lo, s4
	s_waitcnt vmcnt(2) lgkmcnt(0)
	v_mul_f64 v[110:111], v[106:107], v[100:101]
	v_mul_f64 v[100:101], v[104:105], v[100:101]
	s_waitcnt vmcnt(0)
	v_fma_f64 v[104:105], v[104:105], v[108:109], -v[110:111]
	v_fma_f64 v[100:101], v[106:107], v[108:109], v[100:101]
	v_add_f64 v[1:2], v[1:2], v[104:105]
	v_add_f64 v[3:4], v[3:4], v[100:101]
	s_andn2_b32 exec_lo, exec_lo, s4
	s_cbranch_execnz .LBB45_128
; %bb.129:
	s_or_b32 exec_lo, exec_lo, s4
.LBB45_130:
	s_or_b32 exec_lo, exec_lo, s8
	v_mov_b32_e32 v99, 0
	ds_read_b128 v[99:102], v99 offset:464
	s_waitcnt lgkmcnt(0)
	v_mul_f64 v[104:105], v[3:4], v[101:102]
	v_mul_f64 v[101:102], v[1:2], v[101:102]
	v_fma_f64 v[1:2], v[1:2], v[99:100], -v[104:105]
	v_fma_f64 v[3:4], v[3:4], v[99:100], v[101:102]
	buffer_store_dword v2, off, s[0:3], 0 offset:468
	buffer_store_dword v1, off, s[0:3], 0 offset:464
	;; [unrolled: 1-line block ×4, first 2 shown]
.LBB45_131:
	s_or_b32 exec_lo, exec_lo, s6
	v_mov_b32_e32 v4, s25
	v_cmp_lt_u32_e64 s4, 28, v0
	s_clause 0x3
	buffer_load_dword v1, v4, s[0:3], 0 offen
	buffer_load_dword v2, v4, s[0:3], 0 offen offset:4
	buffer_load_dword v3, v4, s[0:3], 0 offen offset:8
	;; [unrolled: 1-line block ×3, first 2 shown]
	s_waitcnt vmcnt(0)
	ds_write_b128 v98, v[1:4]
	s_waitcnt lgkmcnt(0)
	s_waitcnt_vscnt null, 0x0
	s_barrier
	buffer_gl0_inv
	s_and_saveexec_b32 s6, s4
	s_cbranch_execz .LBB45_139
; %bb.132:
	ds_read_b128 v[1:4], v98
	s_andn2_b32 vcc_lo, exec_lo, s54
	s_cbranch_vccnz .LBB45_134
; %bb.133:
	s_clause 0x3
	buffer_load_dword v99, v97, s[0:3], 0 offen offset:8
	buffer_load_dword v100, v97, s[0:3], 0 offen offset:12
	buffer_load_dword v101, v97, s[0:3], 0 offen
	buffer_load_dword v102, v97, s[0:3], 0 offen offset:4
	s_waitcnt vmcnt(2) lgkmcnt(0)
	v_mul_f64 v[104:105], v[3:4], v[99:100]
	v_mul_f64 v[99:100], v[1:2], v[99:100]
	s_waitcnt vmcnt(0)
	v_fma_f64 v[1:2], v[1:2], v[101:102], -v[104:105]
	v_fma_f64 v[3:4], v[3:4], v[101:102], v[99:100]
.LBB45_134:
	s_and_saveexec_b32 s8, s5
	s_cbranch_execz .LBB45_138
; %bb.135:
	v_subrev_nc_u32_e32 v99, 29, v0
	s_movk_i32 s55, 0x4b0
	s_mov_b32 s5, 0
	s_mov_b32 s56, s24
	.p2align	6
.LBB45_136:                             ; =>This Inner Loop Header: Depth=1
	v_mov_b32_e32 v102, s56
	v_add_nc_u32_e32 v99, -1, v99
	s_add_i32 s56, s56, 16
	s_clause 0x3
	buffer_load_dword v100, v102, s[0:3], 0 offen offset:8
	buffer_load_dword v101, v102, s[0:3], 0 offen offset:12
	buffer_load_dword v108, v102, s[0:3], 0 offen
	buffer_load_dword v109, v102, s[0:3], 0 offen offset:4
	v_mov_b32_e32 v102, s55
	v_cmp_eq_u32_e32 vcc_lo, 0, v99
	s_add_i32 s55, s55, 16
	ds_read_b128 v[104:107], v102
	s_or_b32 s5, vcc_lo, s5
	s_waitcnt vmcnt(2) lgkmcnt(0)
	v_mul_f64 v[110:111], v[106:107], v[100:101]
	v_mul_f64 v[100:101], v[104:105], v[100:101]
	s_waitcnt vmcnt(0)
	v_fma_f64 v[104:105], v[104:105], v[108:109], -v[110:111]
	v_fma_f64 v[100:101], v[106:107], v[108:109], v[100:101]
	v_add_f64 v[1:2], v[1:2], v[104:105]
	v_add_f64 v[3:4], v[3:4], v[100:101]
	s_andn2_b32 exec_lo, exec_lo, s5
	s_cbranch_execnz .LBB45_136
; %bb.137:
	s_or_b32 exec_lo, exec_lo, s5
.LBB45_138:
	s_or_b32 exec_lo, exec_lo, s8
	v_mov_b32_e32 v99, 0
	ds_read_b128 v[99:102], v99 offset:448
	s_waitcnt lgkmcnt(0)
	v_mul_f64 v[104:105], v[3:4], v[101:102]
	v_mul_f64 v[101:102], v[1:2], v[101:102]
	v_fma_f64 v[1:2], v[1:2], v[99:100], -v[104:105]
	v_fma_f64 v[3:4], v[3:4], v[99:100], v[101:102]
	buffer_store_dword v2, off, s[0:3], 0 offset:452
	buffer_store_dword v1, off, s[0:3], 0 offset:448
	;; [unrolled: 1-line block ×4, first 2 shown]
.LBB45_139:
	s_or_b32 exec_lo, exec_lo, s6
	v_mov_b32_e32 v4, s26
	v_cmp_lt_u32_e64 s5, 27, v0
	s_clause 0x3
	buffer_load_dword v1, v4, s[0:3], 0 offen
	buffer_load_dword v2, v4, s[0:3], 0 offen offset:4
	buffer_load_dword v3, v4, s[0:3], 0 offen offset:8
	buffer_load_dword v4, v4, s[0:3], 0 offen offset:12
	s_waitcnt vmcnt(0)
	ds_write_b128 v98, v[1:4]
	s_waitcnt lgkmcnt(0)
	s_waitcnt_vscnt null, 0x0
	s_barrier
	buffer_gl0_inv
	s_and_saveexec_b32 s6, s5
	s_cbranch_execz .LBB45_147
; %bb.140:
	ds_read_b128 v[1:4], v98
	s_andn2_b32 vcc_lo, exec_lo, s54
	s_cbranch_vccnz .LBB45_142
; %bb.141:
	s_clause 0x3
	buffer_load_dword v99, v97, s[0:3], 0 offen offset:8
	buffer_load_dword v100, v97, s[0:3], 0 offen offset:12
	buffer_load_dword v101, v97, s[0:3], 0 offen
	buffer_load_dword v102, v97, s[0:3], 0 offen offset:4
	s_waitcnt vmcnt(2) lgkmcnt(0)
	v_mul_f64 v[104:105], v[3:4], v[99:100]
	v_mul_f64 v[99:100], v[1:2], v[99:100]
	s_waitcnt vmcnt(0)
	v_fma_f64 v[1:2], v[1:2], v[101:102], -v[104:105]
	v_fma_f64 v[3:4], v[3:4], v[101:102], v[99:100]
.LBB45_142:
	s_and_saveexec_b32 s8, s4
	s_cbranch_execz .LBB45_146
; %bb.143:
	v_subrev_nc_u32_e32 v99, 28, v0
	s_movk_i32 s55, 0x4a0
	s_mov_b32 s4, 0
	s_mov_b32 s56, s25
	.p2align	6
.LBB45_144:                             ; =>This Inner Loop Header: Depth=1
	v_mov_b32_e32 v102, s56
	v_add_nc_u32_e32 v99, -1, v99
	s_add_i32 s56, s56, 16
	s_clause 0x3
	buffer_load_dword v100, v102, s[0:3], 0 offen offset:8
	buffer_load_dword v101, v102, s[0:3], 0 offen offset:12
	buffer_load_dword v108, v102, s[0:3], 0 offen
	buffer_load_dword v109, v102, s[0:3], 0 offen offset:4
	v_mov_b32_e32 v102, s55
	v_cmp_eq_u32_e32 vcc_lo, 0, v99
	s_add_i32 s55, s55, 16
	ds_read_b128 v[104:107], v102
	s_or_b32 s4, vcc_lo, s4
	s_waitcnt vmcnt(2) lgkmcnt(0)
	v_mul_f64 v[110:111], v[106:107], v[100:101]
	v_mul_f64 v[100:101], v[104:105], v[100:101]
	s_waitcnt vmcnt(0)
	v_fma_f64 v[104:105], v[104:105], v[108:109], -v[110:111]
	v_fma_f64 v[100:101], v[106:107], v[108:109], v[100:101]
	v_add_f64 v[1:2], v[1:2], v[104:105]
	v_add_f64 v[3:4], v[3:4], v[100:101]
	s_andn2_b32 exec_lo, exec_lo, s4
	s_cbranch_execnz .LBB45_144
; %bb.145:
	s_or_b32 exec_lo, exec_lo, s4
.LBB45_146:
	s_or_b32 exec_lo, exec_lo, s8
	v_mov_b32_e32 v99, 0
	ds_read_b128 v[99:102], v99 offset:432
	s_waitcnt lgkmcnt(0)
	v_mul_f64 v[104:105], v[3:4], v[101:102]
	v_mul_f64 v[101:102], v[1:2], v[101:102]
	v_fma_f64 v[1:2], v[1:2], v[99:100], -v[104:105]
	v_fma_f64 v[3:4], v[3:4], v[99:100], v[101:102]
	buffer_store_dword v2, off, s[0:3], 0 offset:436
	buffer_store_dword v1, off, s[0:3], 0 offset:432
	;; [unrolled: 1-line block ×4, first 2 shown]
.LBB45_147:
	s_or_b32 exec_lo, exec_lo, s6
	v_mov_b32_e32 v4, s27
	v_cmp_lt_u32_e64 s4, 26, v0
	s_clause 0x3
	buffer_load_dword v1, v4, s[0:3], 0 offen
	buffer_load_dword v2, v4, s[0:3], 0 offen offset:4
	buffer_load_dword v3, v4, s[0:3], 0 offen offset:8
	;; [unrolled: 1-line block ×3, first 2 shown]
	s_waitcnt vmcnt(0)
	ds_write_b128 v98, v[1:4]
	s_waitcnt lgkmcnt(0)
	s_waitcnt_vscnt null, 0x0
	s_barrier
	buffer_gl0_inv
	s_and_saveexec_b32 s6, s4
	s_cbranch_execz .LBB45_155
; %bb.148:
	ds_read_b128 v[1:4], v98
	s_andn2_b32 vcc_lo, exec_lo, s54
	s_cbranch_vccnz .LBB45_150
; %bb.149:
	s_clause 0x3
	buffer_load_dword v99, v97, s[0:3], 0 offen offset:8
	buffer_load_dword v100, v97, s[0:3], 0 offen offset:12
	buffer_load_dword v101, v97, s[0:3], 0 offen
	buffer_load_dword v102, v97, s[0:3], 0 offen offset:4
	s_waitcnt vmcnt(2) lgkmcnt(0)
	v_mul_f64 v[104:105], v[3:4], v[99:100]
	v_mul_f64 v[99:100], v[1:2], v[99:100]
	s_waitcnt vmcnt(0)
	v_fma_f64 v[1:2], v[1:2], v[101:102], -v[104:105]
	v_fma_f64 v[3:4], v[3:4], v[101:102], v[99:100]
.LBB45_150:
	s_and_saveexec_b32 s8, s5
	s_cbranch_execz .LBB45_154
; %bb.151:
	v_subrev_nc_u32_e32 v99, 27, v0
	s_movk_i32 s55, 0x490
	s_mov_b32 s5, 0
	s_mov_b32 s56, s26
	.p2align	6
.LBB45_152:                             ; =>This Inner Loop Header: Depth=1
	v_mov_b32_e32 v102, s56
	v_add_nc_u32_e32 v99, -1, v99
	s_add_i32 s56, s56, 16
	s_clause 0x3
	buffer_load_dword v100, v102, s[0:3], 0 offen offset:8
	buffer_load_dword v101, v102, s[0:3], 0 offen offset:12
	buffer_load_dword v108, v102, s[0:3], 0 offen
	buffer_load_dword v109, v102, s[0:3], 0 offen offset:4
	v_mov_b32_e32 v102, s55
	v_cmp_eq_u32_e32 vcc_lo, 0, v99
	s_add_i32 s55, s55, 16
	ds_read_b128 v[104:107], v102
	s_or_b32 s5, vcc_lo, s5
	s_waitcnt vmcnt(2) lgkmcnt(0)
	v_mul_f64 v[110:111], v[106:107], v[100:101]
	v_mul_f64 v[100:101], v[104:105], v[100:101]
	s_waitcnt vmcnt(0)
	v_fma_f64 v[104:105], v[104:105], v[108:109], -v[110:111]
	v_fma_f64 v[100:101], v[106:107], v[108:109], v[100:101]
	v_add_f64 v[1:2], v[1:2], v[104:105]
	v_add_f64 v[3:4], v[3:4], v[100:101]
	s_andn2_b32 exec_lo, exec_lo, s5
	s_cbranch_execnz .LBB45_152
; %bb.153:
	s_or_b32 exec_lo, exec_lo, s5
.LBB45_154:
	s_or_b32 exec_lo, exec_lo, s8
	v_mov_b32_e32 v99, 0
	ds_read_b128 v[99:102], v99 offset:416
	s_waitcnt lgkmcnt(0)
	v_mul_f64 v[104:105], v[3:4], v[101:102]
	v_mul_f64 v[101:102], v[1:2], v[101:102]
	v_fma_f64 v[1:2], v[1:2], v[99:100], -v[104:105]
	v_fma_f64 v[3:4], v[3:4], v[99:100], v[101:102]
	buffer_store_dword v2, off, s[0:3], 0 offset:420
	buffer_store_dword v1, off, s[0:3], 0 offset:416
	buffer_store_dword v4, off, s[0:3], 0 offset:428
	buffer_store_dword v3, off, s[0:3], 0 offset:424
.LBB45_155:
	s_or_b32 exec_lo, exec_lo, s6
	v_mov_b32_e32 v4, s28
	v_cmp_lt_u32_e64 s5, 25, v0
	s_clause 0x3
	buffer_load_dword v1, v4, s[0:3], 0 offen
	buffer_load_dword v2, v4, s[0:3], 0 offen offset:4
	buffer_load_dword v3, v4, s[0:3], 0 offen offset:8
	;; [unrolled: 1-line block ×3, first 2 shown]
	s_waitcnt vmcnt(0)
	ds_write_b128 v98, v[1:4]
	s_waitcnt lgkmcnt(0)
	s_waitcnt_vscnt null, 0x0
	s_barrier
	buffer_gl0_inv
	s_and_saveexec_b32 s6, s5
	s_cbranch_execz .LBB45_163
; %bb.156:
	ds_read_b128 v[1:4], v98
	s_andn2_b32 vcc_lo, exec_lo, s54
	s_cbranch_vccnz .LBB45_158
; %bb.157:
	s_clause 0x3
	buffer_load_dword v99, v97, s[0:3], 0 offen offset:8
	buffer_load_dword v100, v97, s[0:3], 0 offen offset:12
	buffer_load_dword v101, v97, s[0:3], 0 offen
	buffer_load_dword v102, v97, s[0:3], 0 offen offset:4
	s_waitcnt vmcnt(2) lgkmcnt(0)
	v_mul_f64 v[104:105], v[3:4], v[99:100]
	v_mul_f64 v[99:100], v[1:2], v[99:100]
	s_waitcnt vmcnt(0)
	v_fma_f64 v[1:2], v[1:2], v[101:102], -v[104:105]
	v_fma_f64 v[3:4], v[3:4], v[101:102], v[99:100]
.LBB45_158:
	s_and_saveexec_b32 s8, s4
	s_cbranch_execz .LBB45_162
; %bb.159:
	v_subrev_nc_u32_e32 v99, 26, v0
	s_movk_i32 s55, 0x480
	s_mov_b32 s4, 0
	s_mov_b32 s56, s27
	.p2align	6
.LBB45_160:                             ; =>This Inner Loop Header: Depth=1
	v_mov_b32_e32 v102, s56
	v_add_nc_u32_e32 v99, -1, v99
	s_add_i32 s56, s56, 16
	s_clause 0x3
	buffer_load_dword v100, v102, s[0:3], 0 offen offset:8
	buffer_load_dword v101, v102, s[0:3], 0 offen offset:12
	buffer_load_dword v108, v102, s[0:3], 0 offen
	buffer_load_dword v109, v102, s[0:3], 0 offen offset:4
	v_mov_b32_e32 v102, s55
	v_cmp_eq_u32_e32 vcc_lo, 0, v99
	s_add_i32 s55, s55, 16
	ds_read_b128 v[104:107], v102
	s_or_b32 s4, vcc_lo, s4
	s_waitcnt vmcnt(2) lgkmcnt(0)
	v_mul_f64 v[110:111], v[106:107], v[100:101]
	v_mul_f64 v[100:101], v[104:105], v[100:101]
	s_waitcnt vmcnt(0)
	v_fma_f64 v[104:105], v[104:105], v[108:109], -v[110:111]
	v_fma_f64 v[100:101], v[106:107], v[108:109], v[100:101]
	v_add_f64 v[1:2], v[1:2], v[104:105]
	v_add_f64 v[3:4], v[3:4], v[100:101]
	s_andn2_b32 exec_lo, exec_lo, s4
	s_cbranch_execnz .LBB45_160
; %bb.161:
	s_or_b32 exec_lo, exec_lo, s4
.LBB45_162:
	s_or_b32 exec_lo, exec_lo, s8
	v_mov_b32_e32 v99, 0
	ds_read_b128 v[99:102], v99 offset:400
	s_waitcnt lgkmcnt(0)
	v_mul_f64 v[104:105], v[3:4], v[101:102]
	v_mul_f64 v[101:102], v[1:2], v[101:102]
	v_fma_f64 v[1:2], v[1:2], v[99:100], -v[104:105]
	v_fma_f64 v[3:4], v[3:4], v[99:100], v[101:102]
	buffer_store_dword v2, off, s[0:3], 0 offset:404
	buffer_store_dword v1, off, s[0:3], 0 offset:400
	;; [unrolled: 1-line block ×4, first 2 shown]
.LBB45_163:
	s_or_b32 exec_lo, exec_lo, s6
	v_mov_b32_e32 v4, s29
	v_cmp_lt_u32_e64 s4, 24, v0
	s_clause 0x3
	buffer_load_dword v1, v4, s[0:3], 0 offen
	buffer_load_dword v2, v4, s[0:3], 0 offen offset:4
	buffer_load_dword v3, v4, s[0:3], 0 offen offset:8
	;; [unrolled: 1-line block ×3, first 2 shown]
	s_waitcnt vmcnt(0)
	ds_write_b128 v98, v[1:4]
	s_waitcnt lgkmcnt(0)
	s_waitcnt_vscnt null, 0x0
	s_barrier
	buffer_gl0_inv
	s_and_saveexec_b32 s6, s4
	s_cbranch_execz .LBB45_171
; %bb.164:
	ds_read_b128 v[1:4], v98
	s_andn2_b32 vcc_lo, exec_lo, s54
	s_cbranch_vccnz .LBB45_166
; %bb.165:
	s_clause 0x3
	buffer_load_dword v99, v97, s[0:3], 0 offen offset:8
	buffer_load_dword v100, v97, s[0:3], 0 offen offset:12
	buffer_load_dword v101, v97, s[0:3], 0 offen
	buffer_load_dword v102, v97, s[0:3], 0 offen offset:4
	s_waitcnt vmcnt(2) lgkmcnt(0)
	v_mul_f64 v[104:105], v[3:4], v[99:100]
	v_mul_f64 v[99:100], v[1:2], v[99:100]
	s_waitcnt vmcnt(0)
	v_fma_f64 v[1:2], v[1:2], v[101:102], -v[104:105]
	v_fma_f64 v[3:4], v[3:4], v[101:102], v[99:100]
.LBB45_166:
	s_and_saveexec_b32 s8, s5
	s_cbranch_execz .LBB45_170
; %bb.167:
	v_subrev_nc_u32_e32 v99, 25, v0
	s_movk_i32 s55, 0x470
	s_mov_b32 s5, 0
	s_mov_b32 s56, s28
	.p2align	6
.LBB45_168:                             ; =>This Inner Loop Header: Depth=1
	v_mov_b32_e32 v102, s56
	v_add_nc_u32_e32 v99, -1, v99
	s_add_i32 s56, s56, 16
	s_clause 0x3
	buffer_load_dword v100, v102, s[0:3], 0 offen offset:8
	buffer_load_dword v101, v102, s[0:3], 0 offen offset:12
	buffer_load_dword v108, v102, s[0:3], 0 offen
	buffer_load_dword v109, v102, s[0:3], 0 offen offset:4
	v_mov_b32_e32 v102, s55
	v_cmp_eq_u32_e32 vcc_lo, 0, v99
	s_add_i32 s55, s55, 16
	ds_read_b128 v[104:107], v102
	s_or_b32 s5, vcc_lo, s5
	s_waitcnt vmcnt(2) lgkmcnt(0)
	v_mul_f64 v[110:111], v[106:107], v[100:101]
	v_mul_f64 v[100:101], v[104:105], v[100:101]
	s_waitcnt vmcnt(0)
	v_fma_f64 v[104:105], v[104:105], v[108:109], -v[110:111]
	v_fma_f64 v[100:101], v[106:107], v[108:109], v[100:101]
	v_add_f64 v[1:2], v[1:2], v[104:105]
	v_add_f64 v[3:4], v[3:4], v[100:101]
	s_andn2_b32 exec_lo, exec_lo, s5
	s_cbranch_execnz .LBB45_168
; %bb.169:
	s_or_b32 exec_lo, exec_lo, s5
.LBB45_170:
	s_or_b32 exec_lo, exec_lo, s8
	v_mov_b32_e32 v99, 0
	ds_read_b128 v[99:102], v99 offset:384
	s_waitcnt lgkmcnt(0)
	v_mul_f64 v[104:105], v[3:4], v[101:102]
	v_mul_f64 v[101:102], v[1:2], v[101:102]
	v_fma_f64 v[1:2], v[1:2], v[99:100], -v[104:105]
	v_fma_f64 v[3:4], v[3:4], v[99:100], v[101:102]
	buffer_store_dword v2, off, s[0:3], 0 offset:388
	buffer_store_dword v1, off, s[0:3], 0 offset:384
	;; [unrolled: 1-line block ×4, first 2 shown]
.LBB45_171:
	s_or_b32 exec_lo, exec_lo, s6
	v_mov_b32_e32 v4, s30
	v_cmp_lt_u32_e64 s5, 23, v0
	s_clause 0x3
	buffer_load_dword v1, v4, s[0:3], 0 offen
	buffer_load_dword v2, v4, s[0:3], 0 offen offset:4
	buffer_load_dword v3, v4, s[0:3], 0 offen offset:8
	;; [unrolled: 1-line block ×3, first 2 shown]
	s_waitcnt vmcnt(0)
	ds_write_b128 v98, v[1:4]
	s_waitcnt lgkmcnt(0)
	s_waitcnt_vscnt null, 0x0
	s_barrier
	buffer_gl0_inv
	s_and_saveexec_b32 s6, s5
	s_cbranch_execz .LBB45_179
; %bb.172:
	ds_read_b128 v[1:4], v98
	s_andn2_b32 vcc_lo, exec_lo, s54
	s_cbranch_vccnz .LBB45_174
; %bb.173:
	s_clause 0x3
	buffer_load_dword v99, v97, s[0:3], 0 offen offset:8
	buffer_load_dword v100, v97, s[0:3], 0 offen offset:12
	buffer_load_dword v101, v97, s[0:3], 0 offen
	buffer_load_dword v102, v97, s[0:3], 0 offen offset:4
	s_waitcnt vmcnt(2) lgkmcnt(0)
	v_mul_f64 v[104:105], v[3:4], v[99:100]
	v_mul_f64 v[99:100], v[1:2], v[99:100]
	s_waitcnt vmcnt(0)
	v_fma_f64 v[1:2], v[1:2], v[101:102], -v[104:105]
	v_fma_f64 v[3:4], v[3:4], v[101:102], v[99:100]
.LBB45_174:
	s_and_saveexec_b32 s8, s4
	s_cbranch_execz .LBB45_178
; %bb.175:
	v_subrev_nc_u32_e32 v99, 24, v0
	s_movk_i32 s55, 0x460
	s_mov_b32 s4, 0
	s_mov_b32 s56, s29
	.p2align	6
.LBB45_176:                             ; =>This Inner Loop Header: Depth=1
	v_mov_b32_e32 v102, s56
	v_add_nc_u32_e32 v99, -1, v99
	s_add_i32 s56, s56, 16
	s_clause 0x3
	buffer_load_dword v100, v102, s[0:3], 0 offen offset:8
	buffer_load_dword v101, v102, s[0:3], 0 offen offset:12
	buffer_load_dword v108, v102, s[0:3], 0 offen
	buffer_load_dword v109, v102, s[0:3], 0 offen offset:4
	v_mov_b32_e32 v102, s55
	v_cmp_eq_u32_e32 vcc_lo, 0, v99
	s_add_i32 s55, s55, 16
	ds_read_b128 v[104:107], v102
	s_or_b32 s4, vcc_lo, s4
	s_waitcnt vmcnt(2) lgkmcnt(0)
	v_mul_f64 v[110:111], v[106:107], v[100:101]
	v_mul_f64 v[100:101], v[104:105], v[100:101]
	s_waitcnt vmcnt(0)
	v_fma_f64 v[104:105], v[104:105], v[108:109], -v[110:111]
	v_fma_f64 v[100:101], v[106:107], v[108:109], v[100:101]
	v_add_f64 v[1:2], v[1:2], v[104:105]
	v_add_f64 v[3:4], v[3:4], v[100:101]
	s_andn2_b32 exec_lo, exec_lo, s4
	s_cbranch_execnz .LBB45_176
; %bb.177:
	s_or_b32 exec_lo, exec_lo, s4
.LBB45_178:
	s_or_b32 exec_lo, exec_lo, s8
	v_mov_b32_e32 v99, 0
	ds_read_b128 v[99:102], v99 offset:368
	s_waitcnt lgkmcnt(0)
	v_mul_f64 v[104:105], v[3:4], v[101:102]
	v_mul_f64 v[101:102], v[1:2], v[101:102]
	v_fma_f64 v[1:2], v[1:2], v[99:100], -v[104:105]
	v_fma_f64 v[3:4], v[3:4], v[99:100], v[101:102]
	buffer_store_dword v2, off, s[0:3], 0 offset:372
	buffer_store_dword v1, off, s[0:3], 0 offset:368
	;; [unrolled: 1-line block ×4, first 2 shown]
.LBB45_179:
	s_or_b32 exec_lo, exec_lo, s6
	v_mov_b32_e32 v4, s31
	v_cmp_lt_u32_e64 s4, 22, v0
	s_clause 0x3
	buffer_load_dword v1, v4, s[0:3], 0 offen
	buffer_load_dword v2, v4, s[0:3], 0 offen offset:4
	buffer_load_dword v3, v4, s[0:3], 0 offen offset:8
	;; [unrolled: 1-line block ×3, first 2 shown]
	s_waitcnt vmcnt(0)
	ds_write_b128 v98, v[1:4]
	s_waitcnt lgkmcnt(0)
	s_waitcnt_vscnt null, 0x0
	s_barrier
	buffer_gl0_inv
	s_and_saveexec_b32 s6, s4
	s_cbranch_execz .LBB45_187
; %bb.180:
	ds_read_b128 v[1:4], v98
	s_andn2_b32 vcc_lo, exec_lo, s54
	s_cbranch_vccnz .LBB45_182
; %bb.181:
	s_clause 0x3
	buffer_load_dword v99, v97, s[0:3], 0 offen offset:8
	buffer_load_dword v100, v97, s[0:3], 0 offen offset:12
	buffer_load_dword v101, v97, s[0:3], 0 offen
	buffer_load_dword v102, v97, s[0:3], 0 offen offset:4
	s_waitcnt vmcnt(2) lgkmcnt(0)
	v_mul_f64 v[104:105], v[3:4], v[99:100]
	v_mul_f64 v[99:100], v[1:2], v[99:100]
	s_waitcnt vmcnt(0)
	v_fma_f64 v[1:2], v[1:2], v[101:102], -v[104:105]
	v_fma_f64 v[3:4], v[3:4], v[101:102], v[99:100]
.LBB45_182:
	s_and_saveexec_b32 s8, s5
	s_cbranch_execz .LBB45_186
; %bb.183:
	v_subrev_nc_u32_e32 v99, 23, v0
	s_movk_i32 s55, 0x450
	s_mov_b32 s5, 0
	s_mov_b32 s56, s30
	.p2align	6
.LBB45_184:                             ; =>This Inner Loop Header: Depth=1
	v_mov_b32_e32 v102, s56
	v_add_nc_u32_e32 v99, -1, v99
	s_add_i32 s56, s56, 16
	s_clause 0x3
	buffer_load_dword v100, v102, s[0:3], 0 offen offset:8
	buffer_load_dword v101, v102, s[0:3], 0 offen offset:12
	buffer_load_dword v108, v102, s[0:3], 0 offen
	buffer_load_dword v109, v102, s[0:3], 0 offen offset:4
	v_mov_b32_e32 v102, s55
	v_cmp_eq_u32_e32 vcc_lo, 0, v99
	s_add_i32 s55, s55, 16
	ds_read_b128 v[104:107], v102
	s_or_b32 s5, vcc_lo, s5
	s_waitcnt vmcnt(2) lgkmcnt(0)
	v_mul_f64 v[110:111], v[106:107], v[100:101]
	v_mul_f64 v[100:101], v[104:105], v[100:101]
	s_waitcnt vmcnt(0)
	v_fma_f64 v[104:105], v[104:105], v[108:109], -v[110:111]
	v_fma_f64 v[100:101], v[106:107], v[108:109], v[100:101]
	v_add_f64 v[1:2], v[1:2], v[104:105]
	v_add_f64 v[3:4], v[3:4], v[100:101]
	s_andn2_b32 exec_lo, exec_lo, s5
	s_cbranch_execnz .LBB45_184
; %bb.185:
	s_or_b32 exec_lo, exec_lo, s5
.LBB45_186:
	s_or_b32 exec_lo, exec_lo, s8
	v_mov_b32_e32 v99, 0
	ds_read_b128 v[99:102], v99 offset:352
	s_waitcnt lgkmcnt(0)
	v_mul_f64 v[104:105], v[3:4], v[101:102]
	v_mul_f64 v[101:102], v[1:2], v[101:102]
	v_fma_f64 v[1:2], v[1:2], v[99:100], -v[104:105]
	v_fma_f64 v[3:4], v[3:4], v[99:100], v[101:102]
	buffer_store_dword v2, off, s[0:3], 0 offset:356
	buffer_store_dword v1, off, s[0:3], 0 offset:352
	;; [unrolled: 1-line block ×4, first 2 shown]
.LBB45_187:
	s_or_b32 exec_lo, exec_lo, s6
	v_mov_b32_e32 v4, s33
	v_cmp_lt_u32_e64 s5, 21, v0
	s_clause 0x3
	buffer_load_dword v1, v4, s[0:3], 0 offen
	buffer_load_dword v2, v4, s[0:3], 0 offen offset:4
	buffer_load_dword v3, v4, s[0:3], 0 offen offset:8
	;; [unrolled: 1-line block ×3, first 2 shown]
	s_waitcnt vmcnt(0)
	ds_write_b128 v98, v[1:4]
	s_waitcnt lgkmcnt(0)
	s_waitcnt_vscnt null, 0x0
	s_barrier
	buffer_gl0_inv
	s_and_saveexec_b32 s6, s5
	s_cbranch_execz .LBB45_195
; %bb.188:
	ds_read_b128 v[1:4], v98
	s_andn2_b32 vcc_lo, exec_lo, s54
	s_cbranch_vccnz .LBB45_190
; %bb.189:
	s_clause 0x3
	buffer_load_dword v99, v97, s[0:3], 0 offen offset:8
	buffer_load_dword v100, v97, s[0:3], 0 offen offset:12
	buffer_load_dword v101, v97, s[0:3], 0 offen
	buffer_load_dword v102, v97, s[0:3], 0 offen offset:4
	s_waitcnt vmcnt(2) lgkmcnt(0)
	v_mul_f64 v[104:105], v[3:4], v[99:100]
	v_mul_f64 v[99:100], v[1:2], v[99:100]
	s_waitcnt vmcnt(0)
	v_fma_f64 v[1:2], v[1:2], v[101:102], -v[104:105]
	v_fma_f64 v[3:4], v[3:4], v[101:102], v[99:100]
.LBB45_190:
	s_and_saveexec_b32 s8, s4
	s_cbranch_execz .LBB45_194
; %bb.191:
	v_subrev_nc_u32_e32 v99, 22, v0
	s_movk_i32 s55, 0x440
	s_mov_b32 s4, 0
	s_mov_b32 s56, s31
	.p2align	6
.LBB45_192:                             ; =>This Inner Loop Header: Depth=1
	v_mov_b32_e32 v102, s56
	v_add_nc_u32_e32 v99, -1, v99
	s_add_i32 s56, s56, 16
	s_clause 0x3
	buffer_load_dword v100, v102, s[0:3], 0 offen offset:8
	buffer_load_dword v101, v102, s[0:3], 0 offen offset:12
	buffer_load_dword v108, v102, s[0:3], 0 offen
	buffer_load_dword v109, v102, s[0:3], 0 offen offset:4
	v_mov_b32_e32 v102, s55
	v_cmp_eq_u32_e32 vcc_lo, 0, v99
	s_add_i32 s55, s55, 16
	ds_read_b128 v[104:107], v102
	s_or_b32 s4, vcc_lo, s4
	s_waitcnt vmcnt(2) lgkmcnt(0)
	v_mul_f64 v[110:111], v[106:107], v[100:101]
	v_mul_f64 v[100:101], v[104:105], v[100:101]
	s_waitcnt vmcnt(0)
	v_fma_f64 v[104:105], v[104:105], v[108:109], -v[110:111]
	v_fma_f64 v[100:101], v[106:107], v[108:109], v[100:101]
	v_add_f64 v[1:2], v[1:2], v[104:105]
	v_add_f64 v[3:4], v[3:4], v[100:101]
	s_andn2_b32 exec_lo, exec_lo, s4
	s_cbranch_execnz .LBB45_192
; %bb.193:
	s_or_b32 exec_lo, exec_lo, s4
.LBB45_194:
	s_or_b32 exec_lo, exec_lo, s8
	v_mov_b32_e32 v99, 0
	ds_read_b128 v[99:102], v99 offset:336
	s_waitcnt lgkmcnt(0)
	v_mul_f64 v[104:105], v[3:4], v[101:102]
	v_mul_f64 v[101:102], v[1:2], v[101:102]
	v_fma_f64 v[1:2], v[1:2], v[99:100], -v[104:105]
	v_fma_f64 v[3:4], v[3:4], v[99:100], v[101:102]
	buffer_store_dword v2, off, s[0:3], 0 offset:340
	buffer_store_dword v1, off, s[0:3], 0 offset:336
	;; [unrolled: 1-line block ×4, first 2 shown]
.LBB45_195:
	s_or_b32 exec_lo, exec_lo, s6
	v_mov_b32_e32 v4, s34
	v_cmp_lt_u32_e64 s4, 20, v0
	s_clause 0x3
	buffer_load_dword v1, v4, s[0:3], 0 offen
	buffer_load_dword v2, v4, s[0:3], 0 offen offset:4
	buffer_load_dword v3, v4, s[0:3], 0 offen offset:8
	buffer_load_dword v4, v4, s[0:3], 0 offen offset:12
	s_waitcnt vmcnt(0)
	ds_write_b128 v98, v[1:4]
	s_waitcnt lgkmcnt(0)
	s_waitcnt_vscnt null, 0x0
	s_barrier
	buffer_gl0_inv
	s_and_saveexec_b32 s6, s4
	s_cbranch_execz .LBB45_203
; %bb.196:
	ds_read_b128 v[1:4], v98
	s_andn2_b32 vcc_lo, exec_lo, s54
	s_cbranch_vccnz .LBB45_198
; %bb.197:
	s_clause 0x3
	buffer_load_dword v99, v97, s[0:3], 0 offen offset:8
	buffer_load_dword v100, v97, s[0:3], 0 offen offset:12
	buffer_load_dword v101, v97, s[0:3], 0 offen
	buffer_load_dword v102, v97, s[0:3], 0 offen offset:4
	s_waitcnt vmcnt(2) lgkmcnt(0)
	v_mul_f64 v[104:105], v[3:4], v[99:100]
	v_mul_f64 v[99:100], v[1:2], v[99:100]
	s_waitcnt vmcnt(0)
	v_fma_f64 v[1:2], v[1:2], v[101:102], -v[104:105]
	v_fma_f64 v[3:4], v[3:4], v[101:102], v[99:100]
.LBB45_198:
	s_and_saveexec_b32 s8, s5
	s_cbranch_execz .LBB45_202
; %bb.199:
	v_subrev_nc_u32_e32 v99, 21, v0
	s_movk_i32 s55, 0x430
	s_mov_b32 s5, 0
	s_mov_b32 s56, s33
	.p2align	6
.LBB45_200:                             ; =>This Inner Loop Header: Depth=1
	v_mov_b32_e32 v102, s56
	v_add_nc_u32_e32 v99, -1, v99
	s_add_i32 s56, s56, 16
	s_clause 0x3
	buffer_load_dword v100, v102, s[0:3], 0 offen offset:8
	buffer_load_dword v101, v102, s[0:3], 0 offen offset:12
	buffer_load_dword v108, v102, s[0:3], 0 offen
	buffer_load_dword v109, v102, s[0:3], 0 offen offset:4
	v_mov_b32_e32 v102, s55
	v_cmp_eq_u32_e32 vcc_lo, 0, v99
	s_add_i32 s55, s55, 16
	ds_read_b128 v[104:107], v102
	s_or_b32 s5, vcc_lo, s5
	s_waitcnt vmcnt(2) lgkmcnt(0)
	v_mul_f64 v[110:111], v[106:107], v[100:101]
	v_mul_f64 v[100:101], v[104:105], v[100:101]
	s_waitcnt vmcnt(0)
	v_fma_f64 v[104:105], v[104:105], v[108:109], -v[110:111]
	v_fma_f64 v[100:101], v[106:107], v[108:109], v[100:101]
	v_add_f64 v[1:2], v[1:2], v[104:105]
	v_add_f64 v[3:4], v[3:4], v[100:101]
	s_andn2_b32 exec_lo, exec_lo, s5
	s_cbranch_execnz .LBB45_200
; %bb.201:
	s_or_b32 exec_lo, exec_lo, s5
.LBB45_202:
	s_or_b32 exec_lo, exec_lo, s8
	v_mov_b32_e32 v99, 0
	ds_read_b128 v[99:102], v99 offset:320
	s_waitcnt lgkmcnt(0)
	v_mul_f64 v[104:105], v[3:4], v[101:102]
	v_mul_f64 v[101:102], v[1:2], v[101:102]
	v_fma_f64 v[1:2], v[1:2], v[99:100], -v[104:105]
	v_fma_f64 v[3:4], v[3:4], v[99:100], v[101:102]
	buffer_store_dword v2, off, s[0:3], 0 offset:324
	buffer_store_dword v1, off, s[0:3], 0 offset:320
	;; [unrolled: 1-line block ×4, first 2 shown]
.LBB45_203:
	s_or_b32 exec_lo, exec_lo, s6
	v_mov_b32_e32 v4, s35
	v_cmp_lt_u32_e64 s5, 19, v0
	s_clause 0x3
	buffer_load_dword v1, v4, s[0:3], 0 offen
	buffer_load_dword v2, v4, s[0:3], 0 offen offset:4
	buffer_load_dword v3, v4, s[0:3], 0 offen offset:8
	;; [unrolled: 1-line block ×3, first 2 shown]
	s_waitcnt vmcnt(0)
	ds_write_b128 v98, v[1:4]
	s_waitcnt lgkmcnt(0)
	s_waitcnt_vscnt null, 0x0
	s_barrier
	buffer_gl0_inv
	s_and_saveexec_b32 s6, s5
	s_cbranch_execz .LBB45_211
; %bb.204:
	ds_read_b128 v[1:4], v98
	s_andn2_b32 vcc_lo, exec_lo, s54
	s_cbranch_vccnz .LBB45_206
; %bb.205:
	s_clause 0x3
	buffer_load_dword v99, v97, s[0:3], 0 offen offset:8
	buffer_load_dword v100, v97, s[0:3], 0 offen offset:12
	buffer_load_dword v101, v97, s[0:3], 0 offen
	buffer_load_dword v102, v97, s[0:3], 0 offen offset:4
	s_waitcnt vmcnt(2) lgkmcnt(0)
	v_mul_f64 v[104:105], v[3:4], v[99:100]
	v_mul_f64 v[99:100], v[1:2], v[99:100]
	s_waitcnt vmcnt(0)
	v_fma_f64 v[1:2], v[1:2], v[101:102], -v[104:105]
	v_fma_f64 v[3:4], v[3:4], v[101:102], v[99:100]
.LBB45_206:
	s_and_saveexec_b32 s8, s4
	s_cbranch_execz .LBB45_210
; %bb.207:
	v_subrev_nc_u32_e32 v99, 20, v0
	s_movk_i32 s55, 0x420
	s_mov_b32 s4, 0
	s_mov_b32 s56, s34
	.p2align	6
.LBB45_208:                             ; =>This Inner Loop Header: Depth=1
	v_mov_b32_e32 v102, s56
	v_add_nc_u32_e32 v99, -1, v99
	s_add_i32 s56, s56, 16
	s_clause 0x3
	buffer_load_dword v100, v102, s[0:3], 0 offen offset:8
	buffer_load_dword v101, v102, s[0:3], 0 offen offset:12
	buffer_load_dword v108, v102, s[0:3], 0 offen
	buffer_load_dword v109, v102, s[0:3], 0 offen offset:4
	v_mov_b32_e32 v102, s55
	v_cmp_eq_u32_e32 vcc_lo, 0, v99
	s_add_i32 s55, s55, 16
	ds_read_b128 v[104:107], v102
	s_or_b32 s4, vcc_lo, s4
	s_waitcnt vmcnt(2) lgkmcnt(0)
	v_mul_f64 v[110:111], v[106:107], v[100:101]
	v_mul_f64 v[100:101], v[104:105], v[100:101]
	s_waitcnt vmcnt(0)
	v_fma_f64 v[104:105], v[104:105], v[108:109], -v[110:111]
	v_fma_f64 v[100:101], v[106:107], v[108:109], v[100:101]
	v_add_f64 v[1:2], v[1:2], v[104:105]
	v_add_f64 v[3:4], v[3:4], v[100:101]
	s_andn2_b32 exec_lo, exec_lo, s4
	s_cbranch_execnz .LBB45_208
; %bb.209:
	s_or_b32 exec_lo, exec_lo, s4
.LBB45_210:
	s_or_b32 exec_lo, exec_lo, s8
	v_mov_b32_e32 v99, 0
	ds_read_b128 v[99:102], v99 offset:304
	s_waitcnt lgkmcnt(0)
	v_mul_f64 v[104:105], v[3:4], v[101:102]
	v_mul_f64 v[101:102], v[1:2], v[101:102]
	v_fma_f64 v[1:2], v[1:2], v[99:100], -v[104:105]
	v_fma_f64 v[3:4], v[3:4], v[99:100], v[101:102]
	buffer_store_dword v2, off, s[0:3], 0 offset:308
	buffer_store_dword v1, off, s[0:3], 0 offset:304
	buffer_store_dword v4, off, s[0:3], 0 offset:316
	buffer_store_dword v3, off, s[0:3], 0 offset:312
.LBB45_211:
	s_or_b32 exec_lo, exec_lo, s6
	v_mov_b32_e32 v4, s36
	v_cmp_lt_u32_e64 s4, 18, v0
	s_clause 0x3
	buffer_load_dword v1, v4, s[0:3], 0 offen
	buffer_load_dword v2, v4, s[0:3], 0 offen offset:4
	buffer_load_dword v3, v4, s[0:3], 0 offen offset:8
	;; [unrolled: 1-line block ×3, first 2 shown]
	s_waitcnt vmcnt(0)
	ds_write_b128 v98, v[1:4]
	s_waitcnt lgkmcnt(0)
	s_waitcnt_vscnt null, 0x0
	s_barrier
	buffer_gl0_inv
	s_and_saveexec_b32 s6, s4
	s_cbranch_execz .LBB45_219
; %bb.212:
	ds_read_b128 v[1:4], v98
	s_andn2_b32 vcc_lo, exec_lo, s54
	s_cbranch_vccnz .LBB45_214
; %bb.213:
	s_clause 0x3
	buffer_load_dword v99, v97, s[0:3], 0 offen offset:8
	buffer_load_dword v100, v97, s[0:3], 0 offen offset:12
	buffer_load_dword v101, v97, s[0:3], 0 offen
	buffer_load_dword v102, v97, s[0:3], 0 offen offset:4
	s_waitcnt vmcnt(2) lgkmcnt(0)
	v_mul_f64 v[104:105], v[3:4], v[99:100]
	v_mul_f64 v[99:100], v[1:2], v[99:100]
	s_waitcnt vmcnt(0)
	v_fma_f64 v[1:2], v[1:2], v[101:102], -v[104:105]
	v_fma_f64 v[3:4], v[3:4], v[101:102], v[99:100]
.LBB45_214:
	s_and_saveexec_b32 s8, s5
	s_cbranch_execz .LBB45_218
; %bb.215:
	v_subrev_nc_u32_e32 v99, 19, v0
	s_movk_i32 s55, 0x410
	s_mov_b32 s5, 0
	s_mov_b32 s56, s35
	.p2align	6
.LBB45_216:                             ; =>This Inner Loop Header: Depth=1
	v_mov_b32_e32 v102, s56
	v_add_nc_u32_e32 v99, -1, v99
	s_add_i32 s56, s56, 16
	s_clause 0x3
	buffer_load_dword v100, v102, s[0:3], 0 offen offset:8
	buffer_load_dword v101, v102, s[0:3], 0 offen offset:12
	buffer_load_dword v108, v102, s[0:3], 0 offen
	buffer_load_dword v109, v102, s[0:3], 0 offen offset:4
	v_mov_b32_e32 v102, s55
	v_cmp_eq_u32_e32 vcc_lo, 0, v99
	s_add_i32 s55, s55, 16
	ds_read_b128 v[104:107], v102
	s_or_b32 s5, vcc_lo, s5
	s_waitcnt vmcnt(2) lgkmcnt(0)
	v_mul_f64 v[110:111], v[106:107], v[100:101]
	v_mul_f64 v[100:101], v[104:105], v[100:101]
	s_waitcnt vmcnt(0)
	v_fma_f64 v[104:105], v[104:105], v[108:109], -v[110:111]
	v_fma_f64 v[100:101], v[106:107], v[108:109], v[100:101]
	v_add_f64 v[1:2], v[1:2], v[104:105]
	v_add_f64 v[3:4], v[3:4], v[100:101]
	s_andn2_b32 exec_lo, exec_lo, s5
	s_cbranch_execnz .LBB45_216
; %bb.217:
	s_or_b32 exec_lo, exec_lo, s5
.LBB45_218:
	s_or_b32 exec_lo, exec_lo, s8
	v_mov_b32_e32 v99, 0
	ds_read_b128 v[99:102], v99 offset:288
	s_waitcnt lgkmcnt(0)
	v_mul_f64 v[104:105], v[3:4], v[101:102]
	v_mul_f64 v[101:102], v[1:2], v[101:102]
	v_fma_f64 v[1:2], v[1:2], v[99:100], -v[104:105]
	v_fma_f64 v[3:4], v[3:4], v[99:100], v[101:102]
	buffer_store_dword v2, off, s[0:3], 0 offset:292
	buffer_store_dword v1, off, s[0:3], 0 offset:288
	;; [unrolled: 1-line block ×4, first 2 shown]
.LBB45_219:
	s_or_b32 exec_lo, exec_lo, s6
	v_mov_b32_e32 v4, s37
	v_cmp_lt_u32_e64 s5, 17, v0
	s_clause 0x3
	buffer_load_dword v1, v4, s[0:3], 0 offen
	buffer_load_dword v2, v4, s[0:3], 0 offen offset:4
	buffer_load_dword v3, v4, s[0:3], 0 offen offset:8
	;; [unrolled: 1-line block ×3, first 2 shown]
	s_waitcnt vmcnt(0)
	ds_write_b128 v98, v[1:4]
	s_waitcnt lgkmcnt(0)
	s_waitcnt_vscnt null, 0x0
	s_barrier
	buffer_gl0_inv
	s_and_saveexec_b32 s6, s5
	s_cbranch_execz .LBB45_227
; %bb.220:
	ds_read_b128 v[1:4], v98
	s_andn2_b32 vcc_lo, exec_lo, s54
	s_cbranch_vccnz .LBB45_222
; %bb.221:
	s_clause 0x3
	buffer_load_dword v99, v97, s[0:3], 0 offen offset:8
	buffer_load_dword v100, v97, s[0:3], 0 offen offset:12
	buffer_load_dword v101, v97, s[0:3], 0 offen
	buffer_load_dword v102, v97, s[0:3], 0 offen offset:4
	s_waitcnt vmcnt(2) lgkmcnt(0)
	v_mul_f64 v[104:105], v[3:4], v[99:100]
	v_mul_f64 v[99:100], v[1:2], v[99:100]
	s_waitcnt vmcnt(0)
	v_fma_f64 v[1:2], v[1:2], v[101:102], -v[104:105]
	v_fma_f64 v[3:4], v[3:4], v[101:102], v[99:100]
.LBB45_222:
	s_and_saveexec_b32 s8, s4
	s_cbranch_execz .LBB45_226
; %bb.223:
	v_subrev_nc_u32_e32 v99, 18, v0
	s_movk_i32 s55, 0x400
	s_mov_b32 s4, 0
	s_mov_b32 s56, s36
	.p2align	6
.LBB45_224:                             ; =>This Inner Loop Header: Depth=1
	v_mov_b32_e32 v102, s56
	v_add_nc_u32_e32 v99, -1, v99
	s_add_i32 s56, s56, 16
	s_clause 0x3
	buffer_load_dword v100, v102, s[0:3], 0 offen offset:8
	buffer_load_dword v101, v102, s[0:3], 0 offen offset:12
	buffer_load_dword v108, v102, s[0:3], 0 offen
	buffer_load_dword v109, v102, s[0:3], 0 offen offset:4
	v_mov_b32_e32 v102, s55
	v_cmp_eq_u32_e32 vcc_lo, 0, v99
	s_add_i32 s55, s55, 16
	ds_read_b128 v[104:107], v102
	s_or_b32 s4, vcc_lo, s4
	s_waitcnt vmcnt(2) lgkmcnt(0)
	v_mul_f64 v[110:111], v[106:107], v[100:101]
	v_mul_f64 v[100:101], v[104:105], v[100:101]
	s_waitcnt vmcnt(0)
	v_fma_f64 v[104:105], v[104:105], v[108:109], -v[110:111]
	v_fma_f64 v[100:101], v[106:107], v[108:109], v[100:101]
	v_add_f64 v[1:2], v[1:2], v[104:105]
	v_add_f64 v[3:4], v[3:4], v[100:101]
	s_andn2_b32 exec_lo, exec_lo, s4
	s_cbranch_execnz .LBB45_224
; %bb.225:
	s_or_b32 exec_lo, exec_lo, s4
.LBB45_226:
	s_or_b32 exec_lo, exec_lo, s8
	v_mov_b32_e32 v99, 0
	ds_read_b128 v[99:102], v99 offset:272
	s_waitcnt lgkmcnt(0)
	v_mul_f64 v[104:105], v[3:4], v[101:102]
	v_mul_f64 v[101:102], v[1:2], v[101:102]
	v_fma_f64 v[1:2], v[1:2], v[99:100], -v[104:105]
	v_fma_f64 v[3:4], v[3:4], v[99:100], v[101:102]
	buffer_store_dword v2, off, s[0:3], 0 offset:276
	buffer_store_dword v1, off, s[0:3], 0 offset:272
	;; [unrolled: 1-line block ×4, first 2 shown]
.LBB45_227:
	s_or_b32 exec_lo, exec_lo, s6
	v_mov_b32_e32 v4, s38
	v_cmp_lt_u32_e64 s4, 16, v0
	s_clause 0x3
	buffer_load_dword v1, v4, s[0:3], 0 offen
	buffer_load_dword v2, v4, s[0:3], 0 offen offset:4
	buffer_load_dword v3, v4, s[0:3], 0 offen offset:8
	;; [unrolled: 1-line block ×3, first 2 shown]
	s_waitcnt vmcnt(0)
	ds_write_b128 v98, v[1:4]
	s_waitcnt lgkmcnt(0)
	s_waitcnt_vscnt null, 0x0
	s_barrier
	buffer_gl0_inv
	s_and_saveexec_b32 s6, s4
	s_cbranch_execz .LBB45_235
; %bb.228:
	ds_read_b128 v[1:4], v98
	s_andn2_b32 vcc_lo, exec_lo, s54
	s_cbranch_vccnz .LBB45_230
; %bb.229:
	s_clause 0x3
	buffer_load_dword v99, v97, s[0:3], 0 offen offset:8
	buffer_load_dword v100, v97, s[0:3], 0 offen offset:12
	buffer_load_dword v101, v97, s[0:3], 0 offen
	buffer_load_dword v102, v97, s[0:3], 0 offen offset:4
	s_waitcnt vmcnt(2) lgkmcnt(0)
	v_mul_f64 v[104:105], v[3:4], v[99:100]
	v_mul_f64 v[99:100], v[1:2], v[99:100]
	s_waitcnt vmcnt(0)
	v_fma_f64 v[1:2], v[1:2], v[101:102], -v[104:105]
	v_fma_f64 v[3:4], v[3:4], v[101:102], v[99:100]
.LBB45_230:
	s_and_saveexec_b32 s8, s5
	s_cbranch_execz .LBB45_234
; %bb.231:
	v_subrev_nc_u32_e32 v99, 17, v0
	s_movk_i32 s55, 0x3f0
	s_mov_b32 s5, 0
	s_mov_b32 s56, s37
	.p2align	6
.LBB45_232:                             ; =>This Inner Loop Header: Depth=1
	v_mov_b32_e32 v102, s56
	v_add_nc_u32_e32 v99, -1, v99
	s_add_i32 s56, s56, 16
	s_clause 0x3
	buffer_load_dword v100, v102, s[0:3], 0 offen offset:8
	buffer_load_dword v101, v102, s[0:3], 0 offen offset:12
	buffer_load_dword v108, v102, s[0:3], 0 offen
	buffer_load_dword v109, v102, s[0:3], 0 offen offset:4
	v_mov_b32_e32 v102, s55
	v_cmp_eq_u32_e32 vcc_lo, 0, v99
	s_add_i32 s55, s55, 16
	ds_read_b128 v[104:107], v102
	s_or_b32 s5, vcc_lo, s5
	s_waitcnt vmcnt(2) lgkmcnt(0)
	v_mul_f64 v[110:111], v[106:107], v[100:101]
	v_mul_f64 v[100:101], v[104:105], v[100:101]
	s_waitcnt vmcnt(0)
	v_fma_f64 v[104:105], v[104:105], v[108:109], -v[110:111]
	v_fma_f64 v[100:101], v[106:107], v[108:109], v[100:101]
	v_add_f64 v[1:2], v[1:2], v[104:105]
	v_add_f64 v[3:4], v[3:4], v[100:101]
	s_andn2_b32 exec_lo, exec_lo, s5
	s_cbranch_execnz .LBB45_232
; %bb.233:
	s_or_b32 exec_lo, exec_lo, s5
.LBB45_234:
	s_or_b32 exec_lo, exec_lo, s8
	v_mov_b32_e32 v99, 0
	ds_read_b128 v[99:102], v99 offset:256
	s_waitcnt lgkmcnt(0)
	v_mul_f64 v[104:105], v[3:4], v[101:102]
	v_mul_f64 v[101:102], v[1:2], v[101:102]
	v_fma_f64 v[1:2], v[1:2], v[99:100], -v[104:105]
	v_fma_f64 v[3:4], v[3:4], v[99:100], v[101:102]
	buffer_store_dword v2, off, s[0:3], 0 offset:260
	buffer_store_dword v1, off, s[0:3], 0 offset:256
	;; [unrolled: 1-line block ×4, first 2 shown]
.LBB45_235:
	s_or_b32 exec_lo, exec_lo, s6
	v_mov_b32_e32 v4, s39
	v_cmp_lt_u32_e64 s5, 15, v0
	s_clause 0x3
	buffer_load_dword v1, v4, s[0:3], 0 offen
	buffer_load_dword v2, v4, s[0:3], 0 offen offset:4
	buffer_load_dword v3, v4, s[0:3], 0 offen offset:8
	;; [unrolled: 1-line block ×3, first 2 shown]
	s_waitcnt vmcnt(0)
	ds_write_b128 v98, v[1:4]
	s_waitcnt lgkmcnt(0)
	s_waitcnt_vscnt null, 0x0
	s_barrier
	buffer_gl0_inv
	s_and_saveexec_b32 s6, s5
	s_cbranch_execz .LBB45_243
; %bb.236:
	ds_read_b128 v[1:4], v98
	s_andn2_b32 vcc_lo, exec_lo, s54
	s_cbranch_vccnz .LBB45_238
; %bb.237:
	s_clause 0x3
	buffer_load_dword v99, v97, s[0:3], 0 offen offset:8
	buffer_load_dword v100, v97, s[0:3], 0 offen offset:12
	buffer_load_dword v101, v97, s[0:3], 0 offen
	buffer_load_dword v102, v97, s[0:3], 0 offen offset:4
	s_waitcnt vmcnt(2) lgkmcnt(0)
	v_mul_f64 v[104:105], v[3:4], v[99:100]
	v_mul_f64 v[99:100], v[1:2], v[99:100]
	s_waitcnt vmcnt(0)
	v_fma_f64 v[1:2], v[1:2], v[101:102], -v[104:105]
	v_fma_f64 v[3:4], v[3:4], v[101:102], v[99:100]
.LBB45_238:
	s_and_saveexec_b32 s8, s4
	s_cbranch_execz .LBB45_242
; %bb.239:
	v_add_nc_u32_e32 v99, -16, v0
	s_movk_i32 s55, 0x3e0
	s_mov_b32 s4, 0
	s_mov_b32 s56, s38
	.p2align	6
.LBB45_240:                             ; =>This Inner Loop Header: Depth=1
	v_mov_b32_e32 v102, s56
	v_add_nc_u32_e32 v99, -1, v99
	s_add_i32 s56, s56, 16
	s_clause 0x3
	buffer_load_dword v100, v102, s[0:3], 0 offen offset:8
	buffer_load_dword v101, v102, s[0:3], 0 offen offset:12
	buffer_load_dword v108, v102, s[0:3], 0 offen
	buffer_load_dword v109, v102, s[0:3], 0 offen offset:4
	v_mov_b32_e32 v102, s55
	v_cmp_eq_u32_e32 vcc_lo, 0, v99
	s_add_i32 s55, s55, 16
	ds_read_b128 v[104:107], v102
	s_or_b32 s4, vcc_lo, s4
	s_waitcnt vmcnt(2) lgkmcnt(0)
	v_mul_f64 v[110:111], v[106:107], v[100:101]
	v_mul_f64 v[100:101], v[104:105], v[100:101]
	s_waitcnt vmcnt(0)
	v_fma_f64 v[104:105], v[104:105], v[108:109], -v[110:111]
	v_fma_f64 v[100:101], v[106:107], v[108:109], v[100:101]
	v_add_f64 v[1:2], v[1:2], v[104:105]
	v_add_f64 v[3:4], v[3:4], v[100:101]
	s_andn2_b32 exec_lo, exec_lo, s4
	s_cbranch_execnz .LBB45_240
; %bb.241:
	s_or_b32 exec_lo, exec_lo, s4
.LBB45_242:
	s_or_b32 exec_lo, exec_lo, s8
	v_mov_b32_e32 v99, 0
	ds_read_b128 v[99:102], v99 offset:240
	s_waitcnt lgkmcnt(0)
	v_mul_f64 v[104:105], v[3:4], v[101:102]
	v_mul_f64 v[101:102], v[1:2], v[101:102]
	v_fma_f64 v[1:2], v[1:2], v[99:100], -v[104:105]
	v_fma_f64 v[3:4], v[3:4], v[99:100], v[101:102]
	buffer_store_dword v2, off, s[0:3], 0 offset:244
	buffer_store_dword v1, off, s[0:3], 0 offset:240
	;; [unrolled: 1-line block ×4, first 2 shown]
.LBB45_243:
	s_or_b32 exec_lo, exec_lo, s6
	v_mov_b32_e32 v4, s40
	v_cmp_lt_u32_e64 s4, 14, v0
	s_clause 0x3
	buffer_load_dword v1, v4, s[0:3], 0 offen
	buffer_load_dword v2, v4, s[0:3], 0 offen offset:4
	buffer_load_dword v3, v4, s[0:3], 0 offen offset:8
	;; [unrolled: 1-line block ×3, first 2 shown]
	s_waitcnt vmcnt(0)
	ds_write_b128 v98, v[1:4]
	s_waitcnt lgkmcnt(0)
	s_waitcnt_vscnt null, 0x0
	s_barrier
	buffer_gl0_inv
	s_and_saveexec_b32 s6, s4
	s_cbranch_execz .LBB45_251
; %bb.244:
	ds_read_b128 v[1:4], v98
	s_andn2_b32 vcc_lo, exec_lo, s54
	s_cbranch_vccnz .LBB45_246
; %bb.245:
	s_clause 0x3
	buffer_load_dword v99, v97, s[0:3], 0 offen offset:8
	buffer_load_dword v100, v97, s[0:3], 0 offen offset:12
	buffer_load_dword v101, v97, s[0:3], 0 offen
	buffer_load_dword v102, v97, s[0:3], 0 offen offset:4
	s_waitcnt vmcnt(2) lgkmcnt(0)
	v_mul_f64 v[104:105], v[3:4], v[99:100]
	v_mul_f64 v[99:100], v[1:2], v[99:100]
	s_waitcnt vmcnt(0)
	v_fma_f64 v[1:2], v[1:2], v[101:102], -v[104:105]
	v_fma_f64 v[3:4], v[3:4], v[101:102], v[99:100]
.LBB45_246:
	s_and_saveexec_b32 s8, s5
	s_cbranch_execz .LBB45_250
; %bb.247:
	v_add_nc_u32_e32 v99, -15, v0
	s_movk_i32 s55, 0x3d0
	s_mov_b32 s5, 0
	s_mov_b32 s56, s39
	.p2align	6
.LBB45_248:                             ; =>This Inner Loop Header: Depth=1
	v_mov_b32_e32 v102, s56
	v_add_nc_u32_e32 v99, -1, v99
	s_add_i32 s56, s56, 16
	s_clause 0x3
	buffer_load_dword v100, v102, s[0:3], 0 offen offset:8
	buffer_load_dword v101, v102, s[0:3], 0 offen offset:12
	buffer_load_dword v108, v102, s[0:3], 0 offen
	buffer_load_dword v109, v102, s[0:3], 0 offen offset:4
	v_mov_b32_e32 v102, s55
	v_cmp_eq_u32_e32 vcc_lo, 0, v99
	s_add_i32 s55, s55, 16
	ds_read_b128 v[104:107], v102
	s_or_b32 s5, vcc_lo, s5
	s_waitcnt vmcnt(2) lgkmcnt(0)
	v_mul_f64 v[110:111], v[106:107], v[100:101]
	v_mul_f64 v[100:101], v[104:105], v[100:101]
	s_waitcnt vmcnt(0)
	v_fma_f64 v[104:105], v[104:105], v[108:109], -v[110:111]
	v_fma_f64 v[100:101], v[106:107], v[108:109], v[100:101]
	v_add_f64 v[1:2], v[1:2], v[104:105]
	v_add_f64 v[3:4], v[3:4], v[100:101]
	s_andn2_b32 exec_lo, exec_lo, s5
	s_cbranch_execnz .LBB45_248
; %bb.249:
	s_or_b32 exec_lo, exec_lo, s5
.LBB45_250:
	s_or_b32 exec_lo, exec_lo, s8
	v_mov_b32_e32 v99, 0
	ds_read_b128 v[99:102], v99 offset:224
	s_waitcnt lgkmcnt(0)
	v_mul_f64 v[104:105], v[3:4], v[101:102]
	v_mul_f64 v[101:102], v[1:2], v[101:102]
	v_fma_f64 v[1:2], v[1:2], v[99:100], -v[104:105]
	v_fma_f64 v[3:4], v[3:4], v[99:100], v[101:102]
	buffer_store_dword v2, off, s[0:3], 0 offset:228
	buffer_store_dword v1, off, s[0:3], 0 offset:224
	;; [unrolled: 1-line block ×4, first 2 shown]
.LBB45_251:
	s_or_b32 exec_lo, exec_lo, s6
	v_mov_b32_e32 v4, s41
	v_cmp_lt_u32_e64 s5, 13, v0
	s_clause 0x3
	buffer_load_dword v1, v4, s[0:3], 0 offen
	buffer_load_dword v2, v4, s[0:3], 0 offen offset:4
	buffer_load_dword v3, v4, s[0:3], 0 offen offset:8
	;; [unrolled: 1-line block ×3, first 2 shown]
	s_waitcnt vmcnt(0)
	ds_write_b128 v98, v[1:4]
	s_waitcnt lgkmcnt(0)
	s_waitcnt_vscnt null, 0x0
	s_barrier
	buffer_gl0_inv
	s_and_saveexec_b32 s6, s5
	s_cbranch_execz .LBB45_259
; %bb.252:
	ds_read_b128 v[1:4], v98
	s_andn2_b32 vcc_lo, exec_lo, s54
	s_cbranch_vccnz .LBB45_254
; %bb.253:
	s_clause 0x3
	buffer_load_dword v99, v97, s[0:3], 0 offen offset:8
	buffer_load_dword v100, v97, s[0:3], 0 offen offset:12
	buffer_load_dword v101, v97, s[0:3], 0 offen
	buffer_load_dword v102, v97, s[0:3], 0 offen offset:4
	s_waitcnt vmcnt(2) lgkmcnt(0)
	v_mul_f64 v[104:105], v[3:4], v[99:100]
	v_mul_f64 v[99:100], v[1:2], v[99:100]
	s_waitcnt vmcnt(0)
	v_fma_f64 v[1:2], v[1:2], v[101:102], -v[104:105]
	v_fma_f64 v[3:4], v[3:4], v[101:102], v[99:100]
.LBB45_254:
	s_and_saveexec_b32 s8, s4
	s_cbranch_execz .LBB45_258
; %bb.255:
	v_add_nc_u32_e32 v99, -14, v0
	s_movk_i32 s55, 0x3c0
	s_mov_b32 s4, 0
	s_mov_b32 s56, s40
	.p2align	6
.LBB45_256:                             ; =>This Inner Loop Header: Depth=1
	v_mov_b32_e32 v102, s56
	v_add_nc_u32_e32 v99, -1, v99
	s_add_i32 s56, s56, 16
	s_clause 0x3
	buffer_load_dword v100, v102, s[0:3], 0 offen offset:8
	buffer_load_dword v101, v102, s[0:3], 0 offen offset:12
	buffer_load_dword v108, v102, s[0:3], 0 offen
	buffer_load_dword v109, v102, s[0:3], 0 offen offset:4
	v_mov_b32_e32 v102, s55
	v_cmp_eq_u32_e32 vcc_lo, 0, v99
	s_add_i32 s55, s55, 16
	ds_read_b128 v[104:107], v102
	s_or_b32 s4, vcc_lo, s4
	s_waitcnt vmcnt(2) lgkmcnt(0)
	v_mul_f64 v[110:111], v[106:107], v[100:101]
	v_mul_f64 v[100:101], v[104:105], v[100:101]
	s_waitcnt vmcnt(0)
	v_fma_f64 v[104:105], v[104:105], v[108:109], -v[110:111]
	v_fma_f64 v[100:101], v[106:107], v[108:109], v[100:101]
	v_add_f64 v[1:2], v[1:2], v[104:105]
	v_add_f64 v[3:4], v[3:4], v[100:101]
	s_andn2_b32 exec_lo, exec_lo, s4
	s_cbranch_execnz .LBB45_256
; %bb.257:
	s_or_b32 exec_lo, exec_lo, s4
.LBB45_258:
	s_or_b32 exec_lo, exec_lo, s8
	v_mov_b32_e32 v99, 0
	ds_read_b128 v[99:102], v99 offset:208
	s_waitcnt lgkmcnt(0)
	v_mul_f64 v[104:105], v[3:4], v[101:102]
	v_mul_f64 v[101:102], v[1:2], v[101:102]
	v_fma_f64 v[1:2], v[1:2], v[99:100], -v[104:105]
	v_fma_f64 v[3:4], v[3:4], v[99:100], v[101:102]
	buffer_store_dword v2, off, s[0:3], 0 offset:212
	buffer_store_dword v1, off, s[0:3], 0 offset:208
	;; [unrolled: 1-line block ×4, first 2 shown]
.LBB45_259:
	s_or_b32 exec_lo, exec_lo, s6
	v_mov_b32_e32 v4, s42
	v_cmp_lt_u32_e64 s4, 12, v0
	s_clause 0x3
	buffer_load_dword v1, v4, s[0:3], 0 offen
	buffer_load_dword v2, v4, s[0:3], 0 offen offset:4
	buffer_load_dword v3, v4, s[0:3], 0 offen offset:8
	;; [unrolled: 1-line block ×3, first 2 shown]
	s_waitcnt vmcnt(0)
	ds_write_b128 v98, v[1:4]
	s_waitcnt lgkmcnt(0)
	s_waitcnt_vscnt null, 0x0
	s_barrier
	buffer_gl0_inv
	s_and_saveexec_b32 s6, s4
	s_cbranch_execz .LBB45_267
; %bb.260:
	ds_read_b128 v[1:4], v98
	s_andn2_b32 vcc_lo, exec_lo, s54
	s_cbranch_vccnz .LBB45_262
; %bb.261:
	s_clause 0x3
	buffer_load_dword v99, v97, s[0:3], 0 offen offset:8
	buffer_load_dword v100, v97, s[0:3], 0 offen offset:12
	buffer_load_dword v101, v97, s[0:3], 0 offen
	buffer_load_dword v102, v97, s[0:3], 0 offen offset:4
	s_waitcnt vmcnt(2) lgkmcnt(0)
	v_mul_f64 v[104:105], v[3:4], v[99:100]
	v_mul_f64 v[99:100], v[1:2], v[99:100]
	s_waitcnt vmcnt(0)
	v_fma_f64 v[1:2], v[1:2], v[101:102], -v[104:105]
	v_fma_f64 v[3:4], v[3:4], v[101:102], v[99:100]
.LBB45_262:
	s_and_saveexec_b32 s8, s5
	s_cbranch_execz .LBB45_266
; %bb.263:
	v_add_nc_u32_e32 v99, -13, v0
	s_movk_i32 s55, 0x3b0
	s_mov_b32 s5, 0
	s_mov_b32 s56, s41
	.p2align	6
.LBB45_264:                             ; =>This Inner Loop Header: Depth=1
	v_mov_b32_e32 v102, s56
	v_add_nc_u32_e32 v99, -1, v99
	s_add_i32 s56, s56, 16
	s_clause 0x3
	buffer_load_dword v100, v102, s[0:3], 0 offen offset:8
	buffer_load_dword v101, v102, s[0:3], 0 offen offset:12
	buffer_load_dword v108, v102, s[0:3], 0 offen
	buffer_load_dword v109, v102, s[0:3], 0 offen offset:4
	v_mov_b32_e32 v102, s55
	v_cmp_eq_u32_e32 vcc_lo, 0, v99
	s_add_i32 s55, s55, 16
	ds_read_b128 v[104:107], v102
	s_or_b32 s5, vcc_lo, s5
	s_waitcnt vmcnt(2) lgkmcnt(0)
	v_mul_f64 v[110:111], v[106:107], v[100:101]
	v_mul_f64 v[100:101], v[104:105], v[100:101]
	s_waitcnt vmcnt(0)
	v_fma_f64 v[104:105], v[104:105], v[108:109], -v[110:111]
	v_fma_f64 v[100:101], v[106:107], v[108:109], v[100:101]
	v_add_f64 v[1:2], v[1:2], v[104:105]
	v_add_f64 v[3:4], v[3:4], v[100:101]
	s_andn2_b32 exec_lo, exec_lo, s5
	s_cbranch_execnz .LBB45_264
; %bb.265:
	s_or_b32 exec_lo, exec_lo, s5
.LBB45_266:
	s_or_b32 exec_lo, exec_lo, s8
	v_mov_b32_e32 v99, 0
	ds_read_b128 v[99:102], v99 offset:192
	s_waitcnt lgkmcnt(0)
	v_mul_f64 v[104:105], v[3:4], v[101:102]
	v_mul_f64 v[101:102], v[1:2], v[101:102]
	v_fma_f64 v[1:2], v[1:2], v[99:100], -v[104:105]
	v_fma_f64 v[3:4], v[3:4], v[99:100], v[101:102]
	buffer_store_dword v2, off, s[0:3], 0 offset:196
	buffer_store_dword v1, off, s[0:3], 0 offset:192
	;; [unrolled: 1-line block ×4, first 2 shown]
.LBB45_267:
	s_or_b32 exec_lo, exec_lo, s6
	v_mov_b32_e32 v4, s43
	v_cmp_lt_u32_e64 s5, 11, v0
	s_clause 0x3
	buffer_load_dword v1, v4, s[0:3], 0 offen
	buffer_load_dword v2, v4, s[0:3], 0 offen offset:4
	buffer_load_dword v3, v4, s[0:3], 0 offen offset:8
	;; [unrolled: 1-line block ×3, first 2 shown]
	s_waitcnt vmcnt(0)
	ds_write_b128 v98, v[1:4]
	s_waitcnt lgkmcnt(0)
	s_waitcnt_vscnt null, 0x0
	s_barrier
	buffer_gl0_inv
	s_and_saveexec_b32 s6, s5
	s_cbranch_execz .LBB45_275
; %bb.268:
	ds_read_b128 v[1:4], v98
	s_andn2_b32 vcc_lo, exec_lo, s54
	s_cbranch_vccnz .LBB45_270
; %bb.269:
	s_clause 0x3
	buffer_load_dword v99, v97, s[0:3], 0 offen offset:8
	buffer_load_dword v100, v97, s[0:3], 0 offen offset:12
	buffer_load_dword v101, v97, s[0:3], 0 offen
	buffer_load_dword v102, v97, s[0:3], 0 offen offset:4
	s_waitcnt vmcnt(2) lgkmcnt(0)
	v_mul_f64 v[104:105], v[3:4], v[99:100]
	v_mul_f64 v[99:100], v[1:2], v[99:100]
	s_waitcnt vmcnt(0)
	v_fma_f64 v[1:2], v[1:2], v[101:102], -v[104:105]
	v_fma_f64 v[3:4], v[3:4], v[101:102], v[99:100]
.LBB45_270:
	s_and_saveexec_b32 s8, s4
	s_cbranch_execz .LBB45_274
; %bb.271:
	v_add_nc_u32_e32 v99, -12, v0
	s_movk_i32 s55, 0x3a0
	s_mov_b32 s4, 0
	s_mov_b32 s56, s42
	.p2align	6
.LBB45_272:                             ; =>This Inner Loop Header: Depth=1
	v_mov_b32_e32 v102, s56
	v_add_nc_u32_e32 v99, -1, v99
	s_add_i32 s56, s56, 16
	s_clause 0x3
	buffer_load_dword v100, v102, s[0:3], 0 offen offset:8
	buffer_load_dword v101, v102, s[0:3], 0 offen offset:12
	buffer_load_dword v108, v102, s[0:3], 0 offen
	buffer_load_dword v109, v102, s[0:3], 0 offen offset:4
	v_mov_b32_e32 v102, s55
	v_cmp_eq_u32_e32 vcc_lo, 0, v99
	s_add_i32 s55, s55, 16
	ds_read_b128 v[104:107], v102
	s_or_b32 s4, vcc_lo, s4
	s_waitcnt vmcnt(2) lgkmcnt(0)
	v_mul_f64 v[110:111], v[106:107], v[100:101]
	v_mul_f64 v[100:101], v[104:105], v[100:101]
	s_waitcnt vmcnt(0)
	v_fma_f64 v[104:105], v[104:105], v[108:109], -v[110:111]
	v_fma_f64 v[100:101], v[106:107], v[108:109], v[100:101]
	v_add_f64 v[1:2], v[1:2], v[104:105]
	v_add_f64 v[3:4], v[3:4], v[100:101]
	s_andn2_b32 exec_lo, exec_lo, s4
	s_cbranch_execnz .LBB45_272
; %bb.273:
	s_or_b32 exec_lo, exec_lo, s4
.LBB45_274:
	s_or_b32 exec_lo, exec_lo, s8
	v_mov_b32_e32 v99, 0
	ds_read_b128 v[99:102], v99 offset:176
	s_waitcnt lgkmcnt(0)
	v_mul_f64 v[104:105], v[3:4], v[101:102]
	v_mul_f64 v[101:102], v[1:2], v[101:102]
	v_fma_f64 v[1:2], v[1:2], v[99:100], -v[104:105]
	v_fma_f64 v[3:4], v[3:4], v[99:100], v[101:102]
	buffer_store_dword v2, off, s[0:3], 0 offset:180
	buffer_store_dword v1, off, s[0:3], 0 offset:176
	;; [unrolled: 1-line block ×4, first 2 shown]
.LBB45_275:
	s_or_b32 exec_lo, exec_lo, s6
	v_mov_b32_e32 v4, s44
	v_cmp_lt_u32_e64 s4, 10, v0
	s_clause 0x3
	buffer_load_dword v1, v4, s[0:3], 0 offen
	buffer_load_dword v2, v4, s[0:3], 0 offen offset:4
	buffer_load_dword v3, v4, s[0:3], 0 offen offset:8
	;; [unrolled: 1-line block ×3, first 2 shown]
	s_waitcnt vmcnt(0)
	ds_write_b128 v98, v[1:4]
	s_waitcnt lgkmcnt(0)
	s_waitcnt_vscnt null, 0x0
	s_barrier
	buffer_gl0_inv
	s_and_saveexec_b32 s6, s4
	s_cbranch_execz .LBB45_283
; %bb.276:
	ds_read_b128 v[1:4], v98
	s_andn2_b32 vcc_lo, exec_lo, s54
	s_cbranch_vccnz .LBB45_278
; %bb.277:
	s_clause 0x3
	buffer_load_dword v99, v97, s[0:3], 0 offen offset:8
	buffer_load_dword v100, v97, s[0:3], 0 offen offset:12
	buffer_load_dword v101, v97, s[0:3], 0 offen
	buffer_load_dword v102, v97, s[0:3], 0 offen offset:4
	s_waitcnt vmcnt(2) lgkmcnt(0)
	v_mul_f64 v[104:105], v[3:4], v[99:100]
	v_mul_f64 v[99:100], v[1:2], v[99:100]
	s_waitcnt vmcnt(0)
	v_fma_f64 v[1:2], v[1:2], v[101:102], -v[104:105]
	v_fma_f64 v[3:4], v[3:4], v[101:102], v[99:100]
.LBB45_278:
	s_and_saveexec_b32 s8, s5
	s_cbranch_execz .LBB45_282
; %bb.279:
	v_add_nc_u32_e32 v99, -11, v0
	s_movk_i32 s55, 0x390
	s_mov_b32 s5, 0
	s_mov_b32 s56, s43
	.p2align	6
.LBB45_280:                             ; =>This Inner Loop Header: Depth=1
	v_mov_b32_e32 v102, s56
	v_add_nc_u32_e32 v99, -1, v99
	s_add_i32 s56, s56, 16
	s_clause 0x3
	buffer_load_dword v100, v102, s[0:3], 0 offen offset:8
	buffer_load_dword v101, v102, s[0:3], 0 offen offset:12
	buffer_load_dword v108, v102, s[0:3], 0 offen
	buffer_load_dword v109, v102, s[0:3], 0 offen offset:4
	v_mov_b32_e32 v102, s55
	v_cmp_eq_u32_e32 vcc_lo, 0, v99
	s_add_i32 s55, s55, 16
	ds_read_b128 v[104:107], v102
	s_or_b32 s5, vcc_lo, s5
	s_waitcnt vmcnt(2) lgkmcnt(0)
	v_mul_f64 v[110:111], v[106:107], v[100:101]
	v_mul_f64 v[100:101], v[104:105], v[100:101]
	s_waitcnt vmcnt(0)
	v_fma_f64 v[104:105], v[104:105], v[108:109], -v[110:111]
	v_fma_f64 v[100:101], v[106:107], v[108:109], v[100:101]
	v_add_f64 v[1:2], v[1:2], v[104:105]
	v_add_f64 v[3:4], v[3:4], v[100:101]
	s_andn2_b32 exec_lo, exec_lo, s5
	s_cbranch_execnz .LBB45_280
; %bb.281:
	s_or_b32 exec_lo, exec_lo, s5
.LBB45_282:
	s_or_b32 exec_lo, exec_lo, s8
	v_mov_b32_e32 v99, 0
	ds_read_b128 v[99:102], v99 offset:160
	s_waitcnt lgkmcnt(0)
	v_mul_f64 v[104:105], v[3:4], v[101:102]
	v_mul_f64 v[101:102], v[1:2], v[101:102]
	v_fma_f64 v[1:2], v[1:2], v[99:100], -v[104:105]
	v_fma_f64 v[3:4], v[3:4], v[99:100], v[101:102]
	buffer_store_dword v2, off, s[0:3], 0 offset:164
	buffer_store_dword v1, off, s[0:3], 0 offset:160
	;; [unrolled: 1-line block ×4, first 2 shown]
.LBB45_283:
	s_or_b32 exec_lo, exec_lo, s6
	v_mov_b32_e32 v4, s45
	v_cmp_lt_u32_e64 s5, 9, v0
	s_clause 0x3
	buffer_load_dword v1, v4, s[0:3], 0 offen
	buffer_load_dword v2, v4, s[0:3], 0 offen offset:4
	buffer_load_dword v3, v4, s[0:3], 0 offen offset:8
	;; [unrolled: 1-line block ×3, first 2 shown]
	s_waitcnt vmcnt(0)
	ds_write_b128 v98, v[1:4]
	s_waitcnt lgkmcnt(0)
	s_waitcnt_vscnt null, 0x0
	s_barrier
	buffer_gl0_inv
	s_and_saveexec_b32 s6, s5
	s_cbranch_execz .LBB45_291
; %bb.284:
	ds_read_b128 v[1:4], v98
	s_andn2_b32 vcc_lo, exec_lo, s54
	s_cbranch_vccnz .LBB45_286
; %bb.285:
	s_clause 0x3
	buffer_load_dword v99, v97, s[0:3], 0 offen offset:8
	buffer_load_dword v100, v97, s[0:3], 0 offen offset:12
	buffer_load_dword v101, v97, s[0:3], 0 offen
	buffer_load_dword v102, v97, s[0:3], 0 offen offset:4
	s_waitcnt vmcnt(2) lgkmcnt(0)
	v_mul_f64 v[104:105], v[3:4], v[99:100]
	v_mul_f64 v[99:100], v[1:2], v[99:100]
	s_waitcnt vmcnt(0)
	v_fma_f64 v[1:2], v[1:2], v[101:102], -v[104:105]
	v_fma_f64 v[3:4], v[3:4], v[101:102], v[99:100]
.LBB45_286:
	s_and_saveexec_b32 s8, s4
	s_cbranch_execz .LBB45_290
; %bb.287:
	v_add_nc_u32_e32 v99, -10, v0
	s_movk_i32 s55, 0x380
	s_mov_b32 s4, 0
	s_mov_b32 s56, s44
	.p2align	6
.LBB45_288:                             ; =>This Inner Loop Header: Depth=1
	v_mov_b32_e32 v102, s56
	v_add_nc_u32_e32 v99, -1, v99
	s_add_i32 s56, s56, 16
	s_clause 0x3
	buffer_load_dword v100, v102, s[0:3], 0 offen offset:8
	buffer_load_dword v101, v102, s[0:3], 0 offen offset:12
	buffer_load_dword v108, v102, s[0:3], 0 offen
	buffer_load_dword v109, v102, s[0:3], 0 offen offset:4
	v_mov_b32_e32 v102, s55
	v_cmp_eq_u32_e32 vcc_lo, 0, v99
	s_add_i32 s55, s55, 16
	ds_read_b128 v[104:107], v102
	s_or_b32 s4, vcc_lo, s4
	s_waitcnt vmcnt(2) lgkmcnt(0)
	v_mul_f64 v[110:111], v[106:107], v[100:101]
	v_mul_f64 v[100:101], v[104:105], v[100:101]
	s_waitcnt vmcnt(0)
	v_fma_f64 v[104:105], v[104:105], v[108:109], -v[110:111]
	v_fma_f64 v[100:101], v[106:107], v[108:109], v[100:101]
	v_add_f64 v[1:2], v[1:2], v[104:105]
	v_add_f64 v[3:4], v[3:4], v[100:101]
	s_andn2_b32 exec_lo, exec_lo, s4
	s_cbranch_execnz .LBB45_288
; %bb.289:
	s_or_b32 exec_lo, exec_lo, s4
.LBB45_290:
	s_or_b32 exec_lo, exec_lo, s8
	v_mov_b32_e32 v99, 0
	ds_read_b128 v[99:102], v99 offset:144
	s_waitcnt lgkmcnt(0)
	v_mul_f64 v[104:105], v[3:4], v[101:102]
	v_mul_f64 v[101:102], v[1:2], v[101:102]
	v_fma_f64 v[1:2], v[1:2], v[99:100], -v[104:105]
	v_fma_f64 v[3:4], v[3:4], v[99:100], v[101:102]
	buffer_store_dword v2, off, s[0:3], 0 offset:148
	buffer_store_dword v1, off, s[0:3], 0 offset:144
	;; [unrolled: 1-line block ×4, first 2 shown]
.LBB45_291:
	s_or_b32 exec_lo, exec_lo, s6
	v_mov_b32_e32 v4, s46
	v_cmp_lt_u32_e64 s4, 8, v0
	s_clause 0x3
	buffer_load_dword v1, v4, s[0:3], 0 offen
	buffer_load_dword v2, v4, s[0:3], 0 offen offset:4
	buffer_load_dword v3, v4, s[0:3], 0 offen offset:8
	;; [unrolled: 1-line block ×3, first 2 shown]
	s_waitcnt vmcnt(0)
	ds_write_b128 v98, v[1:4]
	s_waitcnt lgkmcnt(0)
	s_waitcnt_vscnt null, 0x0
	s_barrier
	buffer_gl0_inv
	s_and_saveexec_b32 s6, s4
	s_cbranch_execz .LBB45_299
; %bb.292:
	ds_read_b128 v[1:4], v98
	s_andn2_b32 vcc_lo, exec_lo, s54
	s_cbranch_vccnz .LBB45_294
; %bb.293:
	s_clause 0x3
	buffer_load_dword v99, v97, s[0:3], 0 offen offset:8
	buffer_load_dword v100, v97, s[0:3], 0 offen offset:12
	buffer_load_dword v101, v97, s[0:3], 0 offen
	buffer_load_dword v102, v97, s[0:3], 0 offen offset:4
	s_waitcnt vmcnt(2) lgkmcnt(0)
	v_mul_f64 v[104:105], v[3:4], v[99:100]
	v_mul_f64 v[99:100], v[1:2], v[99:100]
	s_waitcnt vmcnt(0)
	v_fma_f64 v[1:2], v[1:2], v[101:102], -v[104:105]
	v_fma_f64 v[3:4], v[3:4], v[101:102], v[99:100]
.LBB45_294:
	s_and_saveexec_b32 s8, s5
	s_cbranch_execz .LBB45_298
; %bb.295:
	v_add_nc_u32_e32 v99, -9, v0
	s_movk_i32 s55, 0x370
	s_mov_b32 s5, 0
	s_mov_b32 s56, s45
	.p2align	6
.LBB45_296:                             ; =>This Inner Loop Header: Depth=1
	v_mov_b32_e32 v102, s56
	v_add_nc_u32_e32 v99, -1, v99
	s_add_i32 s56, s56, 16
	s_clause 0x3
	buffer_load_dword v100, v102, s[0:3], 0 offen offset:8
	buffer_load_dword v101, v102, s[0:3], 0 offen offset:12
	buffer_load_dword v108, v102, s[0:3], 0 offen
	buffer_load_dword v109, v102, s[0:3], 0 offen offset:4
	v_mov_b32_e32 v102, s55
	v_cmp_eq_u32_e32 vcc_lo, 0, v99
	s_add_i32 s55, s55, 16
	ds_read_b128 v[104:107], v102
	s_or_b32 s5, vcc_lo, s5
	s_waitcnt vmcnt(2) lgkmcnt(0)
	v_mul_f64 v[110:111], v[106:107], v[100:101]
	v_mul_f64 v[100:101], v[104:105], v[100:101]
	s_waitcnt vmcnt(0)
	v_fma_f64 v[104:105], v[104:105], v[108:109], -v[110:111]
	v_fma_f64 v[100:101], v[106:107], v[108:109], v[100:101]
	v_add_f64 v[1:2], v[1:2], v[104:105]
	v_add_f64 v[3:4], v[3:4], v[100:101]
	s_andn2_b32 exec_lo, exec_lo, s5
	s_cbranch_execnz .LBB45_296
; %bb.297:
	s_or_b32 exec_lo, exec_lo, s5
.LBB45_298:
	s_or_b32 exec_lo, exec_lo, s8
	v_mov_b32_e32 v99, 0
	ds_read_b128 v[99:102], v99 offset:128
	s_waitcnt lgkmcnt(0)
	v_mul_f64 v[104:105], v[3:4], v[101:102]
	v_mul_f64 v[101:102], v[1:2], v[101:102]
	v_fma_f64 v[1:2], v[1:2], v[99:100], -v[104:105]
	v_fma_f64 v[3:4], v[3:4], v[99:100], v[101:102]
	buffer_store_dword v2, off, s[0:3], 0 offset:132
	buffer_store_dword v1, off, s[0:3], 0 offset:128
	;; [unrolled: 1-line block ×4, first 2 shown]
.LBB45_299:
	s_or_b32 exec_lo, exec_lo, s6
	v_mov_b32_e32 v4, s47
	v_cmp_lt_u32_e64 s5, 7, v0
	s_clause 0x3
	buffer_load_dword v1, v4, s[0:3], 0 offen
	buffer_load_dword v2, v4, s[0:3], 0 offen offset:4
	buffer_load_dword v3, v4, s[0:3], 0 offen offset:8
	;; [unrolled: 1-line block ×3, first 2 shown]
	s_waitcnt vmcnt(0)
	ds_write_b128 v98, v[1:4]
	s_waitcnt lgkmcnt(0)
	s_waitcnt_vscnt null, 0x0
	s_barrier
	buffer_gl0_inv
	s_and_saveexec_b32 s6, s5
	s_cbranch_execz .LBB45_307
; %bb.300:
	ds_read_b128 v[1:4], v98
	s_andn2_b32 vcc_lo, exec_lo, s54
	s_cbranch_vccnz .LBB45_302
; %bb.301:
	s_clause 0x3
	buffer_load_dword v99, v97, s[0:3], 0 offen offset:8
	buffer_load_dword v100, v97, s[0:3], 0 offen offset:12
	buffer_load_dword v101, v97, s[0:3], 0 offen
	buffer_load_dword v102, v97, s[0:3], 0 offen offset:4
	s_waitcnt vmcnt(2) lgkmcnt(0)
	v_mul_f64 v[104:105], v[3:4], v[99:100]
	v_mul_f64 v[99:100], v[1:2], v[99:100]
	s_waitcnt vmcnt(0)
	v_fma_f64 v[1:2], v[1:2], v[101:102], -v[104:105]
	v_fma_f64 v[3:4], v[3:4], v[101:102], v[99:100]
.LBB45_302:
	s_and_saveexec_b32 s8, s4
	s_cbranch_execz .LBB45_306
; %bb.303:
	v_add_nc_u32_e32 v99, -8, v0
	s_movk_i32 s55, 0x360
	s_mov_b32 s4, 0
	s_mov_b32 s56, s46
	.p2align	6
.LBB45_304:                             ; =>This Inner Loop Header: Depth=1
	v_mov_b32_e32 v102, s56
	v_add_nc_u32_e32 v99, -1, v99
	s_add_i32 s56, s56, 16
	s_clause 0x3
	buffer_load_dword v100, v102, s[0:3], 0 offen offset:8
	buffer_load_dword v101, v102, s[0:3], 0 offen offset:12
	buffer_load_dword v108, v102, s[0:3], 0 offen
	buffer_load_dword v109, v102, s[0:3], 0 offen offset:4
	v_mov_b32_e32 v102, s55
	v_cmp_eq_u32_e32 vcc_lo, 0, v99
	s_add_i32 s55, s55, 16
	ds_read_b128 v[104:107], v102
	s_or_b32 s4, vcc_lo, s4
	s_waitcnt vmcnt(2) lgkmcnt(0)
	v_mul_f64 v[110:111], v[106:107], v[100:101]
	v_mul_f64 v[100:101], v[104:105], v[100:101]
	s_waitcnt vmcnt(0)
	v_fma_f64 v[104:105], v[104:105], v[108:109], -v[110:111]
	v_fma_f64 v[100:101], v[106:107], v[108:109], v[100:101]
	v_add_f64 v[1:2], v[1:2], v[104:105]
	v_add_f64 v[3:4], v[3:4], v[100:101]
	s_andn2_b32 exec_lo, exec_lo, s4
	s_cbranch_execnz .LBB45_304
; %bb.305:
	s_or_b32 exec_lo, exec_lo, s4
.LBB45_306:
	s_or_b32 exec_lo, exec_lo, s8
	v_mov_b32_e32 v99, 0
	ds_read_b128 v[99:102], v99 offset:112
	s_waitcnt lgkmcnt(0)
	v_mul_f64 v[104:105], v[3:4], v[101:102]
	v_mul_f64 v[101:102], v[1:2], v[101:102]
	v_fma_f64 v[1:2], v[1:2], v[99:100], -v[104:105]
	v_fma_f64 v[3:4], v[3:4], v[99:100], v[101:102]
	buffer_store_dword v2, off, s[0:3], 0 offset:116
	buffer_store_dword v1, off, s[0:3], 0 offset:112
	;; [unrolled: 1-line block ×4, first 2 shown]
.LBB45_307:
	s_or_b32 exec_lo, exec_lo, s6
	v_mov_b32_e32 v4, s48
	v_cmp_lt_u32_e64 s4, 6, v0
	s_clause 0x3
	buffer_load_dword v1, v4, s[0:3], 0 offen
	buffer_load_dword v2, v4, s[0:3], 0 offen offset:4
	buffer_load_dword v3, v4, s[0:3], 0 offen offset:8
	;; [unrolled: 1-line block ×3, first 2 shown]
	s_waitcnt vmcnt(0)
	ds_write_b128 v98, v[1:4]
	s_waitcnt lgkmcnt(0)
	s_waitcnt_vscnt null, 0x0
	s_barrier
	buffer_gl0_inv
	s_and_saveexec_b32 s6, s4
	s_cbranch_execz .LBB45_315
; %bb.308:
	ds_read_b128 v[1:4], v98
	s_andn2_b32 vcc_lo, exec_lo, s54
	s_cbranch_vccnz .LBB45_310
; %bb.309:
	s_clause 0x3
	buffer_load_dword v99, v97, s[0:3], 0 offen offset:8
	buffer_load_dword v100, v97, s[0:3], 0 offen offset:12
	buffer_load_dword v101, v97, s[0:3], 0 offen
	buffer_load_dword v102, v97, s[0:3], 0 offen offset:4
	s_waitcnt vmcnt(2) lgkmcnt(0)
	v_mul_f64 v[104:105], v[3:4], v[99:100]
	v_mul_f64 v[99:100], v[1:2], v[99:100]
	s_waitcnt vmcnt(0)
	v_fma_f64 v[1:2], v[1:2], v[101:102], -v[104:105]
	v_fma_f64 v[3:4], v[3:4], v[101:102], v[99:100]
.LBB45_310:
	s_and_saveexec_b32 s8, s5
	s_cbranch_execz .LBB45_314
; %bb.311:
	v_add_nc_u32_e32 v99, -7, v0
	s_movk_i32 s55, 0x350
	s_mov_b32 s5, 0
	s_mov_b32 s56, s47
	.p2align	6
.LBB45_312:                             ; =>This Inner Loop Header: Depth=1
	v_mov_b32_e32 v102, s56
	v_add_nc_u32_e32 v99, -1, v99
	s_add_i32 s56, s56, 16
	s_clause 0x3
	buffer_load_dword v100, v102, s[0:3], 0 offen offset:8
	buffer_load_dword v101, v102, s[0:3], 0 offen offset:12
	buffer_load_dword v108, v102, s[0:3], 0 offen
	buffer_load_dword v109, v102, s[0:3], 0 offen offset:4
	v_mov_b32_e32 v102, s55
	v_cmp_eq_u32_e32 vcc_lo, 0, v99
	s_add_i32 s55, s55, 16
	ds_read_b128 v[104:107], v102
	s_or_b32 s5, vcc_lo, s5
	s_waitcnt vmcnt(2) lgkmcnt(0)
	v_mul_f64 v[110:111], v[106:107], v[100:101]
	v_mul_f64 v[100:101], v[104:105], v[100:101]
	s_waitcnt vmcnt(0)
	v_fma_f64 v[104:105], v[104:105], v[108:109], -v[110:111]
	v_fma_f64 v[100:101], v[106:107], v[108:109], v[100:101]
	v_add_f64 v[1:2], v[1:2], v[104:105]
	v_add_f64 v[3:4], v[3:4], v[100:101]
	s_andn2_b32 exec_lo, exec_lo, s5
	s_cbranch_execnz .LBB45_312
; %bb.313:
	s_or_b32 exec_lo, exec_lo, s5
.LBB45_314:
	s_or_b32 exec_lo, exec_lo, s8
	v_mov_b32_e32 v99, 0
	ds_read_b128 v[99:102], v99 offset:96
	s_waitcnt lgkmcnt(0)
	v_mul_f64 v[104:105], v[3:4], v[101:102]
	v_mul_f64 v[101:102], v[1:2], v[101:102]
	v_fma_f64 v[1:2], v[1:2], v[99:100], -v[104:105]
	v_fma_f64 v[3:4], v[3:4], v[99:100], v[101:102]
	buffer_store_dword v2, off, s[0:3], 0 offset:100
	buffer_store_dword v1, off, s[0:3], 0 offset:96
	;; [unrolled: 1-line block ×4, first 2 shown]
.LBB45_315:
	s_or_b32 exec_lo, exec_lo, s6
	v_mov_b32_e32 v4, s49
	v_cmp_lt_u32_e64 s5, 5, v0
	s_clause 0x3
	buffer_load_dword v1, v4, s[0:3], 0 offen
	buffer_load_dword v2, v4, s[0:3], 0 offen offset:4
	buffer_load_dword v3, v4, s[0:3], 0 offen offset:8
	;; [unrolled: 1-line block ×3, first 2 shown]
	s_waitcnt vmcnt(0)
	ds_write_b128 v98, v[1:4]
	s_waitcnt lgkmcnt(0)
	s_waitcnt_vscnt null, 0x0
	s_barrier
	buffer_gl0_inv
	s_and_saveexec_b32 s6, s5
	s_cbranch_execz .LBB45_323
; %bb.316:
	ds_read_b128 v[1:4], v98
	s_andn2_b32 vcc_lo, exec_lo, s54
	s_cbranch_vccnz .LBB45_318
; %bb.317:
	s_clause 0x3
	buffer_load_dword v99, v97, s[0:3], 0 offen offset:8
	buffer_load_dword v100, v97, s[0:3], 0 offen offset:12
	buffer_load_dword v101, v97, s[0:3], 0 offen
	buffer_load_dword v102, v97, s[0:3], 0 offen offset:4
	s_waitcnt vmcnt(2) lgkmcnt(0)
	v_mul_f64 v[104:105], v[3:4], v[99:100]
	v_mul_f64 v[99:100], v[1:2], v[99:100]
	s_waitcnt vmcnt(0)
	v_fma_f64 v[1:2], v[1:2], v[101:102], -v[104:105]
	v_fma_f64 v[3:4], v[3:4], v[101:102], v[99:100]
.LBB45_318:
	s_and_saveexec_b32 s8, s4
	s_cbranch_execz .LBB45_322
; %bb.319:
	v_add_nc_u32_e32 v99, -6, v0
	s_movk_i32 s55, 0x340
	s_mov_b32 s4, 0
	s_mov_b32 s56, s48
	.p2align	6
.LBB45_320:                             ; =>This Inner Loop Header: Depth=1
	v_mov_b32_e32 v102, s56
	v_add_nc_u32_e32 v99, -1, v99
	s_add_i32 s56, s56, 16
	s_clause 0x3
	buffer_load_dword v100, v102, s[0:3], 0 offen offset:8
	buffer_load_dword v101, v102, s[0:3], 0 offen offset:12
	buffer_load_dword v108, v102, s[0:3], 0 offen
	buffer_load_dword v109, v102, s[0:3], 0 offen offset:4
	v_mov_b32_e32 v102, s55
	v_cmp_eq_u32_e32 vcc_lo, 0, v99
	s_add_i32 s55, s55, 16
	ds_read_b128 v[104:107], v102
	s_or_b32 s4, vcc_lo, s4
	s_waitcnt vmcnt(2) lgkmcnt(0)
	v_mul_f64 v[110:111], v[106:107], v[100:101]
	v_mul_f64 v[100:101], v[104:105], v[100:101]
	s_waitcnt vmcnt(0)
	v_fma_f64 v[104:105], v[104:105], v[108:109], -v[110:111]
	v_fma_f64 v[100:101], v[106:107], v[108:109], v[100:101]
	v_add_f64 v[1:2], v[1:2], v[104:105]
	v_add_f64 v[3:4], v[3:4], v[100:101]
	s_andn2_b32 exec_lo, exec_lo, s4
	s_cbranch_execnz .LBB45_320
; %bb.321:
	s_or_b32 exec_lo, exec_lo, s4
.LBB45_322:
	s_or_b32 exec_lo, exec_lo, s8
	v_mov_b32_e32 v99, 0
	ds_read_b128 v[99:102], v99 offset:80
	s_waitcnt lgkmcnt(0)
	v_mul_f64 v[104:105], v[3:4], v[101:102]
	v_mul_f64 v[101:102], v[1:2], v[101:102]
	v_fma_f64 v[1:2], v[1:2], v[99:100], -v[104:105]
	v_fma_f64 v[3:4], v[3:4], v[99:100], v[101:102]
	buffer_store_dword v2, off, s[0:3], 0 offset:84
	buffer_store_dword v1, off, s[0:3], 0 offset:80
	;; [unrolled: 1-line block ×4, first 2 shown]
.LBB45_323:
	s_or_b32 exec_lo, exec_lo, s6
	v_mov_b32_e32 v4, s50
	v_cmp_lt_u32_e64 s4, 4, v0
	s_clause 0x3
	buffer_load_dword v1, v4, s[0:3], 0 offen
	buffer_load_dword v2, v4, s[0:3], 0 offen offset:4
	buffer_load_dword v3, v4, s[0:3], 0 offen offset:8
	;; [unrolled: 1-line block ×3, first 2 shown]
	s_waitcnt vmcnt(0)
	ds_write_b128 v98, v[1:4]
	s_waitcnt lgkmcnt(0)
	s_waitcnt_vscnt null, 0x0
	s_barrier
	buffer_gl0_inv
	s_and_saveexec_b32 s6, s4
	s_cbranch_execz .LBB45_331
; %bb.324:
	ds_read_b128 v[1:4], v98
	s_andn2_b32 vcc_lo, exec_lo, s54
	s_cbranch_vccnz .LBB45_326
; %bb.325:
	s_clause 0x3
	buffer_load_dword v99, v97, s[0:3], 0 offen offset:8
	buffer_load_dword v100, v97, s[0:3], 0 offen offset:12
	buffer_load_dword v101, v97, s[0:3], 0 offen
	buffer_load_dword v102, v97, s[0:3], 0 offen offset:4
	s_waitcnt vmcnt(2) lgkmcnt(0)
	v_mul_f64 v[104:105], v[3:4], v[99:100]
	v_mul_f64 v[99:100], v[1:2], v[99:100]
	s_waitcnt vmcnt(0)
	v_fma_f64 v[1:2], v[1:2], v[101:102], -v[104:105]
	v_fma_f64 v[3:4], v[3:4], v[101:102], v[99:100]
.LBB45_326:
	s_and_saveexec_b32 s8, s5
	s_cbranch_execz .LBB45_330
; %bb.327:
	v_add_nc_u32_e32 v99, -5, v0
	s_movk_i32 s55, 0x330
	s_mov_b32 s5, 0
	s_mov_b32 s56, s49
	.p2align	6
.LBB45_328:                             ; =>This Inner Loop Header: Depth=1
	v_mov_b32_e32 v102, s56
	v_add_nc_u32_e32 v99, -1, v99
	s_add_i32 s56, s56, 16
	s_clause 0x3
	buffer_load_dword v100, v102, s[0:3], 0 offen offset:8
	buffer_load_dword v101, v102, s[0:3], 0 offen offset:12
	buffer_load_dword v108, v102, s[0:3], 0 offen
	buffer_load_dword v109, v102, s[0:3], 0 offen offset:4
	v_mov_b32_e32 v102, s55
	v_cmp_eq_u32_e32 vcc_lo, 0, v99
	s_add_i32 s55, s55, 16
	ds_read_b128 v[104:107], v102
	s_or_b32 s5, vcc_lo, s5
	s_waitcnt vmcnt(2) lgkmcnt(0)
	v_mul_f64 v[110:111], v[106:107], v[100:101]
	v_mul_f64 v[100:101], v[104:105], v[100:101]
	s_waitcnt vmcnt(0)
	v_fma_f64 v[104:105], v[104:105], v[108:109], -v[110:111]
	v_fma_f64 v[100:101], v[106:107], v[108:109], v[100:101]
	v_add_f64 v[1:2], v[1:2], v[104:105]
	v_add_f64 v[3:4], v[3:4], v[100:101]
	s_andn2_b32 exec_lo, exec_lo, s5
	s_cbranch_execnz .LBB45_328
; %bb.329:
	s_or_b32 exec_lo, exec_lo, s5
.LBB45_330:
	s_or_b32 exec_lo, exec_lo, s8
	v_mov_b32_e32 v99, 0
	ds_read_b128 v[99:102], v99 offset:64
	s_waitcnt lgkmcnt(0)
	v_mul_f64 v[104:105], v[3:4], v[101:102]
	v_mul_f64 v[101:102], v[1:2], v[101:102]
	v_fma_f64 v[1:2], v[1:2], v[99:100], -v[104:105]
	v_fma_f64 v[3:4], v[3:4], v[99:100], v[101:102]
	buffer_store_dword v2, off, s[0:3], 0 offset:68
	buffer_store_dword v1, off, s[0:3], 0 offset:64
	;; [unrolled: 1-line block ×4, first 2 shown]
.LBB45_331:
	s_or_b32 exec_lo, exec_lo, s6
	v_mov_b32_e32 v4, s51
	v_cmp_lt_u32_e64 s5, 3, v0
	s_clause 0x3
	buffer_load_dword v1, v4, s[0:3], 0 offen
	buffer_load_dword v2, v4, s[0:3], 0 offen offset:4
	buffer_load_dword v3, v4, s[0:3], 0 offen offset:8
	;; [unrolled: 1-line block ×3, first 2 shown]
	s_waitcnt vmcnt(0)
	ds_write_b128 v98, v[1:4]
	s_waitcnt lgkmcnt(0)
	s_waitcnt_vscnt null, 0x0
	s_barrier
	buffer_gl0_inv
	s_and_saveexec_b32 s6, s5
	s_cbranch_execz .LBB45_339
; %bb.332:
	ds_read_b128 v[1:4], v98
	s_andn2_b32 vcc_lo, exec_lo, s54
	s_cbranch_vccnz .LBB45_334
; %bb.333:
	s_clause 0x3
	buffer_load_dword v99, v97, s[0:3], 0 offen offset:8
	buffer_load_dword v100, v97, s[0:3], 0 offen offset:12
	buffer_load_dword v101, v97, s[0:3], 0 offen
	buffer_load_dword v102, v97, s[0:3], 0 offen offset:4
	s_waitcnt vmcnt(2) lgkmcnt(0)
	v_mul_f64 v[104:105], v[3:4], v[99:100]
	v_mul_f64 v[99:100], v[1:2], v[99:100]
	s_waitcnt vmcnt(0)
	v_fma_f64 v[1:2], v[1:2], v[101:102], -v[104:105]
	v_fma_f64 v[3:4], v[3:4], v[101:102], v[99:100]
.LBB45_334:
	s_and_saveexec_b32 s8, s4
	s_cbranch_execz .LBB45_338
; %bb.335:
	v_add_nc_u32_e32 v99, -4, v0
	s_movk_i32 s55, 0x320
	s_mov_b32 s4, 0
	s_mov_b32 s56, s50
	.p2align	6
.LBB45_336:                             ; =>This Inner Loop Header: Depth=1
	v_mov_b32_e32 v102, s56
	v_add_nc_u32_e32 v99, -1, v99
	s_add_i32 s56, s56, 16
	s_clause 0x3
	buffer_load_dword v100, v102, s[0:3], 0 offen offset:8
	buffer_load_dword v101, v102, s[0:3], 0 offen offset:12
	buffer_load_dword v108, v102, s[0:3], 0 offen
	buffer_load_dword v109, v102, s[0:3], 0 offen offset:4
	v_mov_b32_e32 v102, s55
	v_cmp_eq_u32_e32 vcc_lo, 0, v99
	s_add_i32 s55, s55, 16
	ds_read_b128 v[104:107], v102
	s_or_b32 s4, vcc_lo, s4
	s_waitcnt vmcnt(2) lgkmcnt(0)
	v_mul_f64 v[110:111], v[106:107], v[100:101]
	v_mul_f64 v[100:101], v[104:105], v[100:101]
	s_waitcnt vmcnt(0)
	v_fma_f64 v[104:105], v[104:105], v[108:109], -v[110:111]
	v_fma_f64 v[100:101], v[106:107], v[108:109], v[100:101]
	v_add_f64 v[1:2], v[1:2], v[104:105]
	v_add_f64 v[3:4], v[3:4], v[100:101]
	s_andn2_b32 exec_lo, exec_lo, s4
	s_cbranch_execnz .LBB45_336
; %bb.337:
	s_or_b32 exec_lo, exec_lo, s4
.LBB45_338:
	s_or_b32 exec_lo, exec_lo, s8
	v_mov_b32_e32 v99, 0
	ds_read_b128 v[99:102], v99 offset:48
	s_waitcnt lgkmcnt(0)
	v_mul_f64 v[104:105], v[3:4], v[101:102]
	v_mul_f64 v[101:102], v[1:2], v[101:102]
	v_fma_f64 v[1:2], v[1:2], v[99:100], -v[104:105]
	v_fma_f64 v[3:4], v[3:4], v[99:100], v[101:102]
	buffer_store_dword v2, off, s[0:3], 0 offset:52
	buffer_store_dword v1, off, s[0:3], 0 offset:48
	;; [unrolled: 1-line block ×4, first 2 shown]
.LBB45_339:
	s_or_b32 exec_lo, exec_lo, s6
	v_mov_b32_e32 v4, s53
	v_cmp_lt_u32_e64 s6, 2, v0
	s_clause 0x3
	buffer_load_dword v1, v4, s[0:3], 0 offen
	buffer_load_dword v2, v4, s[0:3], 0 offen offset:4
	buffer_load_dword v3, v4, s[0:3], 0 offen offset:8
	;; [unrolled: 1-line block ×3, first 2 shown]
	s_waitcnt vmcnt(0)
	ds_write_b128 v98, v[1:4]
	s_waitcnt lgkmcnt(0)
	s_waitcnt_vscnt null, 0x0
	s_barrier
	buffer_gl0_inv
	s_and_saveexec_b32 s4, s6
	s_cbranch_execz .LBB45_347
; %bb.340:
	ds_read_b128 v[1:4], v98
	s_andn2_b32 vcc_lo, exec_lo, s54
	s_cbranch_vccnz .LBB45_342
; %bb.341:
	s_clause 0x3
	buffer_load_dword v99, v97, s[0:3], 0 offen offset:8
	buffer_load_dword v100, v97, s[0:3], 0 offen offset:12
	buffer_load_dword v101, v97, s[0:3], 0 offen
	buffer_load_dword v102, v97, s[0:3], 0 offen offset:4
	s_waitcnt vmcnt(2) lgkmcnt(0)
	v_mul_f64 v[104:105], v[3:4], v[99:100]
	v_mul_f64 v[99:100], v[1:2], v[99:100]
	s_waitcnt vmcnt(0)
	v_fma_f64 v[1:2], v[1:2], v[101:102], -v[104:105]
	v_fma_f64 v[3:4], v[3:4], v[101:102], v[99:100]
.LBB45_342:
	s_and_saveexec_b32 s8, s5
	s_cbranch_execz .LBB45_346
; %bb.343:
	v_add_nc_u32_e32 v99, -3, v0
	s_movk_i32 s55, 0x310
	s_mov_b32 s5, 0
	s_mov_b32 s56, s51
	.p2align	6
.LBB45_344:                             ; =>This Inner Loop Header: Depth=1
	v_mov_b32_e32 v102, s56
	v_add_nc_u32_e32 v99, -1, v99
	s_add_i32 s56, s56, 16
	s_clause 0x3
	buffer_load_dword v100, v102, s[0:3], 0 offen offset:8
	buffer_load_dword v101, v102, s[0:3], 0 offen offset:12
	buffer_load_dword v108, v102, s[0:3], 0 offen
	buffer_load_dword v109, v102, s[0:3], 0 offen offset:4
	v_mov_b32_e32 v102, s55
	v_cmp_eq_u32_e32 vcc_lo, 0, v99
	s_add_i32 s55, s55, 16
	ds_read_b128 v[104:107], v102
	s_or_b32 s5, vcc_lo, s5
	s_waitcnt vmcnt(2) lgkmcnt(0)
	v_mul_f64 v[110:111], v[106:107], v[100:101]
	v_mul_f64 v[100:101], v[104:105], v[100:101]
	s_waitcnt vmcnt(0)
	v_fma_f64 v[104:105], v[104:105], v[108:109], -v[110:111]
	v_fma_f64 v[100:101], v[106:107], v[108:109], v[100:101]
	v_add_f64 v[1:2], v[1:2], v[104:105]
	v_add_f64 v[3:4], v[3:4], v[100:101]
	s_andn2_b32 exec_lo, exec_lo, s5
	s_cbranch_execnz .LBB45_344
; %bb.345:
	s_or_b32 exec_lo, exec_lo, s5
.LBB45_346:
	s_or_b32 exec_lo, exec_lo, s8
	v_mov_b32_e32 v99, 0
	ds_read_b128 v[99:102], v99 offset:32
	s_waitcnt lgkmcnt(0)
	v_mul_f64 v[104:105], v[3:4], v[101:102]
	v_mul_f64 v[101:102], v[1:2], v[101:102]
	v_fma_f64 v[1:2], v[1:2], v[99:100], -v[104:105]
	v_fma_f64 v[3:4], v[3:4], v[99:100], v[101:102]
	buffer_store_dword v2, off, s[0:3], 0 offset:36
	buffer_store_dword v1, off, s[0:3], 0 offset:32
	;; [unrolled: 1-line block ×4, first 2 shown]
.LBB45_347:
	s_or_b32 exec_lo, exec_lo, s4
	v_mov_b32_e32 v4, s52
	v_cmp_lt_u32_e64 s4, 1, v0
	s_clause 0x3
	buffer_load_dword v1, v4, s[0:3], 0 offen
	buffer_load_dword v2, v4, s[0:3], 0 offen offset:4
	buffer_load_dword v3, v4, s[0:3], 0 offen offset:8
	;; [unrolled: 1-line block ×3, first 2 shown]
	s_waitcnt vmcnt(0)
	ds_write_b128 v98, v[1:4]
	s_waitcnt lgkmcnt(0)
	s_waitcnt_vscnt null, 0x0
	s_barrier
	buffer_gl0_inv
	s_and_saveexec_b32 s5, s4
	s_cbranch_execz .LBB45_355
; %bb.348:
	ds_read_b128 v[1:4], v98
	s_andn2_b32 vcc_lo, exec_lo, s54
	s_cbranch_vccnz .LBB45_350
; %bb.349:
	s_clause 0x3
	buffer_load_dword v99, v97, s[0:3], 0 offen offset:8
	buffer_load_dword v100, v97, s[0:3], 0 offen offset:12
	buffer_load_dword v101, v97, s[0:3], 0 offen
	buffer_load_dword v102, v97, s[0:3], 0 offen offset:4
	s_waitcnt vmcnt(2) lgkmcnt(0)
	v_mul_f64 v[104:105], v[3:4], v[99:100]
	v_mul_f64 v[99:100], v[1:2], v[99:100]
	s_waitcnt vmcnt(0)
	v_fma_f64 v[1:2], v[1:2], v[101:102], -v[104:105]
	v_fma_f64 v[3:4], v[3:4], v[101:102], v[99:100]
.LBB45_350:
	s_and_saveexec_b32 s8, s6
	s_cbranch_execz .LBB45_354
; %bb.351:
	v_add_nc_u32_e32 v99, -2, v0
	s_movk_i32 s55, 0x300
	s_mov_b32 s6, 0
	s_mov_b32 s56, s53
	.p2align	6
.LBB45_352:                             ; =>This Inner Loop Header: Depth=1
	v_mov_b32_e32 v102, s56
	v_add_nc_u32_e32 v99, -1, v99
	s_add_i32 s56, s56, 16
	s_clause 0x3
	buffer_load_dword v100, v102, s[0:3], 0 offen offset:8
	buffer_load_dword v101, v102, s[0:3], 0 offen offset:12
	buffer_load_dword v108, v102, s[0:3], 0 offen
	buffer_load_dword v109, v102, s[0:3], 0 offen offset:4
	v_mov_b32_e32 v102, s55
	v_cmp_eq_u32_e32 vcc_lo, 0, v99
	s_add_i32 s55, s55, 16
	ds_read_b128 v[104:107], v102
	s_or_b32 s6, vcc_lo, s6
	s_waitcnt vmcnt(2) lgkmcnt(0)
	v_mul_f64 v[110:111], v[106:107], v[100:101]
	v_mul_f64 v[100:101], v[104:105], v[100:101]
	s_waitcnt vmcnt(0)
	v_fma_f64 v[104:105], v[104:105], v[108:109], -v[110:111]
	v_fma_f64 v[100:101], v[106:107], v[108:109], v[100:101]
	v_add_f64 v[1:2], v[1:2], v[104:105]
	v_add_f64 v[3:4], v[3:4], v[100:101]
	s_andn2_b32 exec_lo, exec_lo, s6
	s_cbranch_execnz .LBB45_352
; %bb.353:
	s_or_b32 exec_lo, exec_lo, s6
.LBB45_354:
	s_or_b32 exec_lo, exec_lo, s8
	v_mov_b32_e32 v99, 0
	ds_read_b128 v[99:102], v99 offset:16
	s_waitcnt lgkmcnt(0)
	v_mul_f64 v[104:105], v[3:4], v[101:102]
	v_mul_f64 v[101:102], v[1:2], v[101:102]
	v_fma_f64 v[1:2], v[1:2], v[99:100], -v[104:105]
	v_fma_f64 v[3:4], v[3:4], v[99:100], v[101:102]
	buffer_store_dword v2, off, s[0:3], 0 offset:20
	buffer_store_dword v1, off, s[0:3], 0 offset:16
	;; [unrolled: 1-line block ×4, first 2 shown]
.LBB45_355:
	s_or_b32 exec_lo, exec_lo, s5
	s_clause 0x3
	buffer_load_dword v1, off, s[0:3], 0
	buffer_load_dword v2, off, s[0:3], 0 offset:4
	buffer_load_dword v3, off, s[0:3], 0 offset:8
	;; [unrolled: 1-line block ×3, first 2 shown]
	s_mov_b32 s6, 0
	s_mov_b32 s5, 0
	s_mov_b32 s8, exec_lo
                                        ; implicit-def: $sgpr55
	s_waitcnt vmcnt(0)
	ds_write_b128 v98, v[1:4]
	s_waitcnt lgkmcnt(0)
	s_waitcnt_vscnt null, 0x0
	s_barrier
	buffer_gl0_inv
                                        ; implicit-def: $vgpr1_vgpr2
	v_cmpx_ne_u32_e32 0, v0
	s_cbranch_execz .LBB45_363
; %bb.356:
	ds_read_b128 v[1:4], v98
	s_andn2_b32 vcc_lo, exec_lo, s54
	s_cbranch_vccnz .LBB45_358
; %bb.357:
	s_clause 0x3
	buffer_load_dword v99, v97, s[0:3], 0 offen offset:8
	buffer_load_dword v100, v97, s[0:3], 0 offen offset:12
	buffer_load_dword v101, v97, s[0:3], 0 offen
	buffer_load_dword v102, v97, s[0:3], 0 offen offset:4
	s_waitcnt vmcnt(2) lgkmcnt(0)
	v_mul_f64 v[104:105], v[3:4], v[99:100]
	v_mul_f64 v[99:100], v[1:2], v[99:100]
	s_waitcnt vmcnt(0)
	v_fma_f64 v[1:2], v[1:2], v[101:102], -v[104:105]
	v_fma_f64 v[3:4], v[3:4], v[101:102], v[99:100]
.LBB45_358:
	s_and_saveexec_b32 s5, s4
	s_cbranch_execz .LBB45_362
; %bb.359:
	v_add_nc_u32_e32 v99, -1, v0
	s_movk_i32 s55, 0x2f0
	s_mov_b32 s4, 0
	s_mov_b32 s56, s52
	.p2align	6
.LBB45_360:                             ; =>This Inner Loop Header: Depth=1
	v_mov_b32_e32 v102, s56
	v_add_nc_u32_e32 v99, -1, v99
	s_add_i32 s56, s56, 16
	s_clause 0x3
	buffer_load_dword v100, v102, s[0:3], 0 offen offset:8
	buffer_load_dword v101, v102, s[0:3], 0 offen offset:12
	buffer_load_dword v108, v102, s[0:3], 0 offen
	buffer_load_dword v109, v102, s[0:3], 0 offen offset:4
	v_mov_b32_e32 v102, s55
	v_cmp_eq_u32_e32 vcc_lo, 0, v99
	s_add_i32 s55, s55, 16
	ds_read_b128 v[104:107], v102
	s_or_b32 s4, vcc_lo, s4
	s_waitcnt vmcnt(2) lgkmcnt(0)
	v_mul_f64 v[110:111], v[106:107], v[100:101]
	v_mul_f64 v[100:101], v[104:105], v[100:101]
	s_waitcnt vmcnt(0)
	v_fma_f64 v[104:105], v[104:105], v[108:109], -v[110:111]
	v_fma_f64 v[100:101], v[106:107], v[108:109], v[100:101]
	v_add_f64 v[1:2], v[1:2], v[104:105]
	v_add_f64 v[3:4], v[3:4], v[100:101]
	s_andn2_b32 exec_lo, exec_lo, s4
	s_cbranch_execnz .LBB45_360
; %bb.361:
	s_or_b32 exec_lo, exec_lo, s4
.LBB45_362:
	s_or_b32 exec_lo, exec_lo, s5
	v_mov_b32_e32 v99, 0
	s_mov_b32 s5, exec_lo
	s_or_b32 s55, 0, 8
	ds_read_b128 v[99:102], v99
	s_waitcnt lgkmcnt(0)
	v_mul_f64 v[104:105], v[3:4], v[101:102]
	v_mul_f64 v[101:102], v[1:2], v[101:102]
	v_fma_f64 v[104:105], v[1:2], v[99:100], -v[104:105]
	v_fma_f64 v[1:2], v[3:4], v[99:100], v[101:102]
	buffer_store_dword v105, off, s[0:3], 0 offset:4
	buffer_store_dword v104, off, s[0:3], 0
.LBB45_363:
	s_or_b32 exec_lo, exec_lo, s8
	s_and_b32 vcc_lo, exec_lo, s6
	s_cbranch_vccnz .LBB45_365
	s_branch .LBB45_720
.LBB45_364:
	s_mov_b32 s5, 0
                                        ; implicit-def: $vgpr1_vgpr2
                                        ; implicit-def: $sgpr55
	s_cbranch_execz .LBB45_720
.LBB45_365:
	v_mov_b32_e32 v4, s52
	v_cmp_eq_u32_e64 s4, 0, v0
	v_cndmask_b32_e64 v99, 0, 1, s54
	s_clause 0x3
	buffer_load_dword v1, v4, s[0:3], 0 offen
	buffer_load_dword v2, v4, s[0:3], 0 offen offset:4
	buffer_load_dword v3, v4, s[0:3], 0 offen offset:8
	;; [unrolled: 1-line block ×3, first 2 shown]
	s_waitcnt vmcnt(0)
	ds_write_b128 v98, v[1:4]
	s_waitcnt lgkmcnt(0)
	s_waitcnt_vscnt null, 0x0
	s_barrier
	buffer_gl0_inv
	s_and_saveexec_b32 s6, s4
	s_cbranch_execz .LBB45_369
; %bb.366:
	ds_read_b128 v[1:4], v98
	s_andn2_b32 vcc_lo, exec_lo, s54
	s_cbranch_vccnz .LBB45_368
; %bb.367:
	s_clause 0x3
	buffer_load_dword v100, v97, s[0:3], 0 offen offset:8
	buffer_load_dword v101, v97, s[0:3], 0 offen offset:12
	buffer_load_dword v104, v97, s[0:3], 0 offen
	buffer_load_dword v105, v97, s[0:3], 0 offen offset:4
	s_waitcnt vmcnt(2) lgkmcnt(0)
	v_mul_f64 v[106:107], v[3:4], v[100:101]
	v_mul_f64 v[100:101], v[1:2], v[100:101]
	s_waitcnt vmcnt(0)
	v_fma_f64 v[1:2], v[1:2], v[104:105], -v[106:107]
	v_fma_f64 v[3:4], v[3:4], v[104:105], v[100:101]
.LBB45_368:
	v_mov_b32_e32 v100, 0
	ds_read_b128 v[104:107], v100 offset:16
	s_waitcnt lgkmcnt(0)
	v_mul_f64 v[100:101], v[3:4], v[106:107]
	v_mul_f64 v[106:107], v[1:2], v[106:107]
	v_fma_f64 v[1:2], v[1:2], v[104:105], -v[100:101]
	v_fma_f64 v[3:4], v[3:4], v[104:105], v[106:107]
	buffer_store_dword v2, off, s[0:3], 0 offset:20
	buffer_store_dword v1, off, s[0:3], 0 offset:16
	;; [unrolled: 1-line block ×4, first 2 shown]
.LBB45_369:
	s_or_b32 exec_lo, exec_lo, s6
	v_mov_b32_e32 v4, s53
	s_mov_b32 s6, exec_lo
	s_clause 0x3
	buffer_load_dword v1, v4, s[0:3], 0 offen
	buffer_load_dword v2, v4, s[0:3], 0 offen offset:4
	buffer_load_dword v3, v4, s[0:3], 0 offen offset:8
	buffer_load_dword v4, v4, s[0:3], 0 offen offset:12
	s_waitcnt vmcnt(0)
	ds_write_b128 v98, v[1:4]
	s_waitcnt lgkmcnt(0)
	s_waitcnt_vscnt null, 0x0
	s_barrier
	buffer_gl0_inv
	v_cmpx_gt_u32_e32 2, v0
	s_cbranch_execz .LBB45_375
; %bb.370:
	ds_read_b128 v[1:4], v98
	v_cmp_ne_u32_e32 vcc_lo, 1, v99
	s_cbranch_vccnz .LBB45_372
; %bb.371:
	s_clause 0x3
	buffer_load_dword v100, v97, s[0:3], 0 offen offset:8
	buffer_load_dword v101, v97, s[0:3], 0 offen offset:12
	buffer_load_dword v104, v97, s[0:3], 0 offen
	buffer_load_dword v105, v97, s[0:3], 0 offen offset:4
	s_waitcnt vmcnt(2) lgkmcnt(0)
	v_mul_f64 v[106:107], v[3:4], v[100:101]
	v_mul_f64 v[100:101], v[1:2], v[100:101]
	s_waitcnt vmcnt(0)
	v_fma_f64 v[1:2], v[1:2], v[104:105], -v[106:107]
	v_fma_f64 v[3:4], v[3:4], v[104:105], v[100:101]
.LBB45_372:
	s_and_saveexec_b32 s8, s4
	s_cbranch_execz .LBB45_374
; %bb.373:
	s_clause 0x3
	buffer_load_dword v100, off, s[0:3], 0 offset:24
	buffer_load_dword v101, off, s[0:3], 0 offset:28
	;; [unrolled: 1-line block ×4, first 2 shown]
	v_mov_b32_e32 v102, 0
	ds_read_b128 v[104:107], v102 offset:752
	s_waitcnt vmcnt(2) lgkmcnt(0)
	v_mul_f64 v[110:111], v[106:107], v[100:101]
	v_mul_f64 v[100:101], v[104:105], v[100:101]
	s_waitcnt vmcnt(0)
	v_fma_f64 v[104:105], v[104:105], v[108:109], -v[110:111]
	v_fma_f64 v[100:101], v[106:107], v[108:109], v[100:101]
	v_add_f64 v[1:2], v[1:2], v[104:105]
	v_add_f64 v[3:4], v[3:4], v[100:101]
.LBB45_374:
	s_or_b32 exec_lo, exec_lo, s8
	v_mov_b32_e32 v100, 0
	ds_read_b128 v[104:107], v100 offset:32
	s_waitcnt lgkmcnt(0)
	v_mul_f64 v[100:101], v[3:4], v[106:107]
	v_mul_f64 v[106:107], v[1:2], v[106:107]
	v_fma_f64 v[1:2], v[1:2], v[104:105], -v[100:101]
	v_fma_f64 v[3:4], v[3:4], v[104:105], v[106:107]
	buffer_store_dword v2, off, s[0:3], 0 offset:36
	buffer_store_dword v1, off, s[0:3], 0 offset:32
	;; [unrolled: 1-line block ×4, first 2 shown]
.LBB45_375:
	s_or_b32 exec_lo, exec_lo, s6
	v_mov_b32_e32 v4, s51
	s_mov_b32 s6, exec_lo
	s_clause 0x3
	buffer_load_dword v1, v4, s[0:3], 0 offen
	buffer_load_dword v2, v4, s[0:3], 0 offen offset:4
	buffer_load_dword v3, v4, s[0:3], 0 offen offset:8
	;; [unrolled: 1-line block ×3, first 2 shown]
	s_waitcnt vmcnt(0)
	ds_write_b128 v98, v[1:4]
	s_waitcnt lgkmcnt(0)
	s_waitcnt_vscnt null, 0x0
	s_barrier
	buffer_gl0_inv
	v_cmpx_gt_u32_e32 3, v0
	s_cbranch_execz .LBB45_383
; %bb.376:
	ds_read_b128 v[1:4], v98
	v_cmp_ne_u32_e32 vcc_lo, 1, v99
	s_cbranch_vccnz .LBB45_378
; %bb.377:
	s_clause 0x3
	buffer_load_dword v100, v97, s[0:3], 0 offen offset:8
	buffer_load_dword v101, v97, s[0:3], 0 offen offset:12
	buffer_load_dword v104, v97, s[0:3], 0 offen
	buffer_load_dword v105, v97, s[0:3], 0 offen offset:4
	s_waitcnt vmcnt(2) lgkmcnt(0)
	v_mul_f64 v[106:107], v[3:4], v[100:101]
	v_mul_f64 v[100:101], v[1:2], v[100:101]
	s_waitcnt vmcnt(0)
	v_fma_f64 v[1:2], v[1:2], v[104:105], -v[106:107]
	v_fma_f64 v[3:4], v[3:4], v[104:105], v[100:101]
.LBB45_378:
	s_mov_b32 s8, exec_lo
	v_cmpx_ne_u32_e32 2, v0
	s_cbranch_execz .LBB45_382
; %bb.379:
	s_clause 0x3
	buffer_load_dword v100, v97, s[0:3], 0 offen offset:24
	buffer_load_dword v101, v97, s[0:3], 0 offen offset:28
	buffer_load_dword v108, v97, s[0:3], 0 offen offset:16
	buffer_load_dword v109, v97, s[0:3], 0 offen offset:20
	ds_read_b128 v[104:107], v98 offset:16
	s_waitcnt vmcnt(2) lgkmcnt(0)
	v_mul_f64 v[110:111], v[106:107], v[100:101]
	v_mul_f64 v[100:101], v[104:105], v[100:101]
	s_waitcnt vmcnt(0)
	v_fma_f64 v[104:105], v[104:105], v[108:109], -v[110:111]
	v_fma_f64 v[100:101], v[106:107], v[108:109], v[100:101]
	v_add_f64 v[1:2], v[1:2], v[104:105]
	v_add_f64 v[3:4], v[3:4], v[100:101]
	s_and_saveexec_b32 s54, s4
	s_cbranch_execz .LBB45_381
; %bb.380:
	s_clause 0x3
	buffer_load_dword v100, off, s[0:3], 0 offset:40
	buffer_load_dword v101, off, s[0:3], 0 offset:44
	;; [unrolled: 1-line block ×4, first 2 shown]
	v_mov_b32_e32 v102, 0
	ds_read_b128 v[104:107], v102 offset:768
	s_waitcnt vmcnt(2) lgkmcnt(0)
	v_mul_f64 v[110:111], v[104:105], v[100:101]
	v_mul_f64 v[100:101], v[106:107], v[100:101]
	s_waitcnt vmcnt(0)
	v_fma_f64 v[106:107], v[106:107], v[108:109], v[110:111]
	v_fma_f64 v[100:101], v[104:105], v[108:109], -v[100:101]
	v_add_f64 v[3:4], v[3:4], v[106:107]
	v_add_f64 v[1:2], v[1:2], v[100:101]
.LBB45_381:
	s_or_b32 exec_lo, exec_lo, s54
.LBB45_382:
	s_or_b32 exec_lo, exec_lo, s8
	v_mov_b32_e32 v100, 0
	ds_read_b128 v[104:107], v100 offset:48
	s_waitcnt lgkmcnt(0)
	v_mul_f64 v[100:101], v[3:4], v[106:107]
	v_mul_f64 v[106:107], v[1:2], v[106:107]
	v_fma_f64 v[1:2], v[1:2], v[104:105], -v[100:101]
	v_fma_f64 v[3:4], v[3:4], v[104:105], v[106:107]
	buffer_store_dword v2, off, s[0:3], 0 offset:52
	buffer_store_dword v1, off, s[0:3], 0 offset:48
	;; [unrolled: 1-line block ×4, first 2 shown]
.LBB45_383:
	s_or_b32 exec_lo, exec_lo, s6
	v_mov_b32_e32 v4, s50
	s_mov_b32 s4, exec_lo
	s_clause 0x3
	buffer_load_dword v1, v4, s[0:3], 0 offen
	buffer_load_dword v2, v4, s[0:3], 0 offen offset:4
	buffer_load_dword v3, v4, s[0:3], 0 offen offset:8
	;; [unrolled: 1-line block ×3, first 2 shown]
	s_waitcnt vmcnt(0)
	ds_write_b128 v98, v[1:4]
	s_waitcnt lgkmcnt(0)
	s_waitcnt_vscnt null, 0x0
	s_barrier
	buffer_gl0_inv
	v_cmpx_gt_u32_e32 4, v0
	s_cbranch_execz .LBB45_391
; %bb.384:
	ds_read_b128 v[1:4], v98
	v_cmp_ne_u32_e32 vcc_lo, 1, v99
	s_cbranch_vccnz .LBB45_386
; %bb.385:
	s_clause 0x3
	buffer_load_dword v100, v97, s[0:3], 0 offen offset:8
	buffer_load_dword v101, v97, s[0:3], 0 offen offset:12
	buffer_load_dword v104, v97, s[0:3], 0 offen
	buffer_load_dword v105, v97, s[0:3], 0 offen offset:4
	s_waitcnt vmcnt(2) lgkmcnt(0)
	v_mul_f64 v[106:107], v[3:4], v[100:101]
	v_mul_f64 v[100:101], v[1:2], v[100:101]
	s_waitcnt vmcnt(0)
	v_fma_f64 v[1:2], v[1:2], v[104:105], -v[106:107]
	v_fma_f64 v[3:4], v[3:4], v[104:105], v[100:101]
.LBB45_386:
	s_mov_b32 s6, exec_lo
	v_cmpx_ne_u32_e32 3, v0
	s_cbranch_execz .LBB45_390
; %bb.387:
	v_add_nc_u32_e32 v100, 0x2f0, v103
	v_add3_u32 v101, 0, v103, 16
	v_mov_b32_e32 v102, v0
	s_mov_b32 s8, 0
	.p2align	6
.LBB45_388:                             ; =>This Inner Loop Header: Depth=1
	s_clause 0x3
	buffer_load_dword v108, v101, s[0:3], 0 offen offset:8
	buffer_load_dword v109, v101, s[0:3], 0 offen offset:12
	buffer_load_dword v110, v101, s[0:3], 0 offen
	buffer_load_dword v111, v101, s[0:3], 0 offen offset:4
	ds_read_b128 v[104:107], v100
	v_add_nc_u32_e32 v102, 1, v102
	v_add_nc_u32_e32 v100, 16, v100
	v_add_nc_u32_e32 v101, 16, v101
	v_cmp_lt_u32_e32 vcc_lo, 2, v102
	s_or_b32 s8, vcc_lo, s8
	s_waitcnt vmcnt(2) lgkmcnt(0)
	v_mul_f64 v[112:113], v[106:107], v[108:109]
	v_mul_f64 v[108:109], v[104:105], v[108:109]
	s_waitcnt vmcnt(0)
	v_fma_f64 v[104:105], v[104:105], v[110:111], -v[112:113]
	v_fma_f64 v[106:107], v[106:107], v[110:111], v[108:109]
	v_add_f64 v[1:2], v[1:2], v[104:105]
	v_add_f64 v[3:4], v[3:4], v[106:107]
	s_andn2_b32 exec_lo, exec_lo, s8
	s_cbranch_execnz .LBB45_388
; %bb.389:
	s_or_b32 exec_lo, exec_lo, s8
.LBB45_390:
	s_or_b32 exec_lo, exec_lo, s6
	v_mov_b32_e32 v100, 0
	ds_read_b128 v[104:107], v100 offset:64
	s_waitcnt lgkmcnt(0)
	v_mul_f64 v[100:101], v[3:4], v[106:107]
	v_mul_f64 v[106:107], v[1:2], v[106:107]
	v_fma_f64 v[1:2], v[1:2], v[104:105], -v[100:101]
	v_fma_f64 v[3:4], v[3:4], v[104:105], v[106:107]
	buffer_store_dword v2, off, s[0:3], 0 offset:68
	buffer_store_dword v1, off, s[0:3], 0 offset:64
	;; [unrolled: 1-line block ×4, first 2 shown]
.LBB45_391:
	s_or_b32 exec_lo, exec_lo, s4
	v_mov_b32_e32 v4, s49
	s_mov_b32 s4, exec_lo
	s_clause 0x3
	buffer_load_dword v1, v4, s[0:3], 0 offen
	buffer_load_dword v2, v4, s[0:3], 0 offen offset:4
	buffer_load_dword v3, v4, s[0:3], 0 offen offset:8
	;; [unrolled: 1-line block ×3, first 2 shown]
	s_waitcnt vmcnt(0)
	ds_write_b128 v98, v[1:4]
	s_waitcnt lgkmcnt(0)
	s_waitcnt_vscnt null, 0x0
	s_barrier
	buffer_gl0_inv
	v_cmpx_gt_u32_e32 5, v0
	s_cbranch_execz .LBB45_399
; %bb.392:
	ds_read_b128 v[1:4], v98
	v_cmp_ne_u32_e32 vcc_lo, 1, v99
	s_cbranch_vccnz .LBB45_394
; %bb.393:
	s_clause 0x3
	buffer_load_dword v100, v97, s[0:3], 0 offen offset:8
	buffer_load_dword v101, v97, s[0:3], 0 offen offset:12
	buffer_load_dword v104, v97, s[0:3], 0 offen
	buffer_load_dword v105, v97, s[0:3], 0 offen offset:4
	s_waitcnt vmcnt(2) lgkmcnt(0)
	v_mul_f64 v[106:107], v[3:4], v[100:101]
	v_mul_f64 v[100:101], v[1:2], v[100:101]
	s_waitcnt vmcnt(0)
	v_fma_f64 v[1:2], v[1:2], v[104:105], -v[106:107]
	v_fma_f64 v[3:4], v[3:4], v[104:105], v[100:101]
.LBB45_394:
	s_mov_b32 s6, exec_lo
	v_cmpx_ne_u32_e32 4, v0
	s_cbranch_execz .LBB45_398
; %bb.395:
	v_add_nc_u32_e32 v100, 0x2f0, v103
	v_add3_u32 v101, 0, v103, 16
	v_mov_b32_e32 v102, v0
	s_mov_b32 s8, 0
	.p2align	6
.LBB45_396:                             ; =>This Inner Loop Header: Depth=1
	s_clause 0x3
	buffer_load_dword v108, v101, s[0:3], 0 offen offset:8
	buffer_load_dword v109, v101, s[0:3], 0 offen offset:12
	buffer_load_dword v110, v101, s[0:3], 0 offen
	buffer_load_dword v111, v101, s[0:3], 0 offen offset:4
	ds_read_b128 v[104:107], v100
	v_add_nc_u32_e32 v102, 1, v102
	v_add_nc_u32_e32 v100, 16, v100
	;; [unrolled: 1-line block ×3, first 2 shown]
	v_cmp_lt_u32_e32 vcc_lo, 3, v102
	s_or_b32 s8, vcc_lo, s8
	s_waitcnt vmcnt(2) lgkmcnt(0)
	v_mul_f64 v[112:113], v[106:107], v[108:109]
	v_mul_f64 v[108:109], v[104:105], v[108:109]
	s_waitcnt vmcnt(0)
	v_fma_f64 v[104:105], v[104:105], v[110:111], -v[112:113]
	v_fma_f64 v[106:107], v[106:107], v[110:111], v[108:109]
	v_add_f64 v[1:2], v[1:2], v[104:105]
	v_add_f64 v[3:4], v[3:4], v[106:107]
	s_andn2_b32 exec_lo, exec_lo, s8
	s_cbranch_execnz .LBB45_396
; %bb.397:
	s_or_b32 exec_lo, exec_lo, s8
.LBB45_398:
	s_or_b32 exec_lo, exec_lo, s6
	v_mov_b32_e32 v100, 0
	ds_read_b128 v[104:107], v100 offset:80
	s_waitcnt lgkmcnt(0)
	v_mul_f64 v[100:101], v[3:4], v[106:107]
	v_mul_f64 v[106:107], v[1:2], v[106:107]
	v_fma_f64 v[1:2], v[1:2], v[104:105], -v[100:101]
	v_fma_f64 v[3:4], v[3:4], v[104:105], v[106:107]
	buffer_store_dword v2, off, s[0:3], 0 offset:84
	buffer_store_dword v1, off, s[0:3], 0 offset:80
	;; [unrolled: 1-line block ×4, first 2 shown]
.LBB45_399:
	s_or_b32 exec_lo, exec_lo, s4
	v_mov_b32_e32 v4, s48
	s_mov_b32 s4, exec_lo
	s_clause 0x3
	buffer_load_dword v1, v4, s[0:3], 0 offen
	buffer_load_dword v2, v4, s[0:3], 0 offen offset:4
	buffer_load_dword v3, v4, s[0:3], 0 offen offset:8
	buffer_load_dword v4, v4, s[0:3], 0 offen offset:12
	s_waitcnt vmcnt(0)
	ds_write_b128 v98, v[1:4]
	s_waitcnt lgkmcnt(0)
	s_waitcnt_vscnt null, 0x0
	s_barrier
	buffer_gl0_inv
	v_cmpx_gt_u32_e32 6, v0
	s_cbranch_execz .LBB45_407
; %bb.400:
	ds_read_b128 v[1:4], v98
	v_cmp_ne_u32_e32 vcc_lo, 1, v99
	s_cbranch_vccnz .LBB45_402
; %bb.401:
	s_clause 0x3
	buffer_load_dword v100, v97, s[0:3], 0 offen offset:8
	buffer_load_dword v101, v97, s[0:3], 0 offen offset:12
	buffer_load_dword v104, v97, s[0:3], 0 offen
	buffer_load_dword v105, v97, s[0:3], 0 offen offset:4
	s_waitcnt vmcnt(2) lgkmcnt(0)
	v_mul_f64 v[106:107], v[3:4], v[100:101]
	v_mul_f64 v[100:101], v[1:2], v[100:101]
	s_waitcnt vmcnt(0)
	v_fma_f64 v[1:2], v[1:2], v[104:105], -v[106:107]
	v_fma_f64 v[3:4], v[3:4], v[104:105], v[100:101]
.LBB45_402:
	s_mov_b32 s6, exec_lo
	v_cmpx_ne_u32_e32 5, v0
	s_cbranch_execz .LBB45_406
; %bb.403:
	v_add_nc_u32_e32 v100, 0x2f0, v103
	v_add3_u32 v101, 0, v103, 16
	v_mov_b32_e32 v102, v0
	s_mov_b32 s8, 0
	.p2align	6
.LBB45_404:                             ; =>This Inner Loop Header: Depth=1
	s_clause 0x3
	buffer_load_dword v108, v101, s[0:3], 0 offen offset:8
	buffer_load_dword v109, v101, s[0:3], 0 offen offset:12
	buffer_load_dword v110, v101, s[0:3], 0 offen
	buffer_load_dword v111, v101, s[0:3], 0 offen offset:4
	ds_read_b128 v[104:107], v100
	v_add_nc_u32_e32 v102, 1, v102
	v_add_nc_u32_e32 v100, 16, v100
	;; [unrolled: 1-line block ×3, first 2 shown]
	v_cmp_lt_u32_e32 vcc_lo, 4, v102
	s_or_b32 s8, vcc_lo, s8
	s_waitcnt vmcnt(2) lgkmcnt(0)
	v_mul_f64 v[112:113], v[106:107], v[108:109]
	v_mul_f64 v[108:109], v[104:105], v[108:109]
	s_waitcnt vmcnt(0)
	v_fma_f64 v[104:105], v[104:105], v[110:111], -v[112:113]
	v_fma_f64 v[106:107], v[106:107], v[110:111], v[108:109]
	v_add_f64 v[1:2], v[1:2], v[104:105]
	v_add_f64 v[3:4], v[3:4], v[106:107]
	s_andn2_b32 exec_lo, exec_lo, s8
	s_cbranch_execnz .LBB45_404
; %bb.405:
	s_or_b32 exec_lo, exec_lo, s8
.LBB45_406:
	s_or_b32 exec_lo, exec_lo, s6
	v_mov_b32_e32 v100, 0
	ds_read_b128 v[104:107], v100 offset:96
	s_waitcnt lgkmcnt(0)
	v_mul_f64 v[100:101], v[3:4], v[106:107]
	v_mul_f64 v[106:107], v[1:2], v[106:107]
	v_fma_f64 v[1:2], v[1:2], v[104:105], -v[100:101]
	v_fma_f64 v[3:4], v[3:4], v[104:105], v[106:107]
	buffer_store_dword v2, off, s[0:3], 0 offset:100
	buffer_store_dword v1, off, s[0:3], 0 offset:96
	;; [unrolled: 1-line block ×4, first 2 shown]
.LBB45_407:
	s_or_b32 exec_lo, exec_lo, s4
	v_mov_b32_e32 v4, s47
	s_mov_b32 s4, exec_lo
	s_clause 0x3
	buffer_load_dword v1, v4, s[0:3], 0 offen
	buffer_load_dword v2, v4, s[0:3], 0 offen offset:4
	buffer_load_dword v3, v4, s[0:3], 0 offen offset:8
	;; [unrolled: 1-line block ×3, first 2 shown]
	s_waitcnt vmcnt(0)
	ds_write_b128 v98, v[1:4]
	s_waitcnt lgkmcnt(0)
	s_waitcnt_vscnt null, 0x0
	s_barrier
	buffer_gl0_inv
	v_cmpx_gt_u32_e32 7, v0
	s_cbranch_execz .LBB45_415
; %bb.408:
	ds_read_b128 v[1:4], v98
	v_cmp_ne_u32_e32 vcc_lo, 1, v99
	s_cbranch_vccnz .LBB45_410
; %bb.409:
	s_clause 0x3
	buffer_load_dword v100, v97, s[0:3], 0 offen offset:8
	buffer_load_dword v101, v97, s[0:3], 0 offen offset:12
	buffer_load_dword v104, v97, s[0:3], 0 offen
	buffer_load_dword v105, v97, s[0:3], 0 offen offset:4
	s_waitcnt vmcnt(2) lgkmcnt(0)
	v_mul_f64 v[106:107], v[3:4], v[100:101]
	v_mul_f64 v[100:101], v[1:2], v[100:101]
	s_waitcnt vmcnt(0)
	v_fma_f64 v[1:2], v[1:2], v[104:105], -v[106:107]
	v_fma_f64 v[3:4], v[3:4], v[104:105], v[100:101]
.LBB45_410:
	s_mov_b32 s6, exec_lo
	v_cmpx_ne_u32_e32 6, v0
	s_cbranch_execz .LBB45_414
; %bb.411:
	v_add_nc_u32_e32 v100, 0x2f0, v103
	v_add3_u32 v101, 0, v103, 16
	v_mov_b32_e32 v102, v0
	s_mov_b32 s8, 0
	.p2align	6
.LBB45_412:                             ; =>This Inner Loop Header: Depth=1
	s_clause 0x3
	buffer_load_dword v108, v101, s[0:3], 0 offen offset:8
	buffer_load_dword v109, v101, s[0:3], 0 offen offset:12
	buffer_load_dword v110, v101, s[0:3], 0 offen
	buffer_load_dword v111, v101, s[0:3], 0 offen offset:4
	ds_read_b128 v[104:107], v100
	v_add_nc_u32_e32 v102, 1, v102
	v_add_nc_u32_e32 v100, 16, v100
	;; [unrolled: 1-line block ×3, first 2 shown]
	v_cmp_lt_u32_e32 vcc_lo, 5, v102
	s_or_b32 s8, vcc_lo, s8
	s_waitcnt vmcnt(2) lgkmcnt(0)
	v_mul_f64 v[112:113], v[106:107], v[108:109]
	v_mul_f64 v[108:109], v[104:105], v[108:109]
	s_waitcnt vmcnt(0)
	v_fma_f64 v[104:105], v[104:105], v[110:111], -v[112:113]
	v_fma_f64 v[106:107], v[106:107], v[110:111], v[108:109]
	v_add_f64 v[1:2], v[1:2], v[104:105]
	v_add_f64 v[3:4], v[3:4], v[106:107]
	s_andn2_b32 exec_lo, exec_lo, s8
	s_cbranch_execnz .LBB45_412
; %bb.413:
	s_or_b32 exec_lo, exec_lo, s8
.LBB45_414:
	s_or_b32 exec_lo, exec_lo, s6
	v_mov_b32_e32 v100, 0
	ds_read_b128 v[104:107], v100 offset:112
	s_waitcnt lgkmcnt(0)
	v_mul_f64 v[100:101], v[3:4], v[106:107]
	v_mul_f64 v[106:107], v[1:2], v[106:107]
	v_fma_f64 v[1:2], v[1:2], v[104:105], -v[100:101]
	v_fma_f64 v[3:4], v[3:4], v[104:105], v[106:107]
	buffer_store_dword v2, off, s[0:3], 0 offset:116
	buffer_store_dword v1, off, s[0:3], 0 offset:112
	;; [unrolled: 1-line block ×4, first 2 shown]
.LBB45_415:
	s_or_b32 exec_lo, exec_lo, s4
	v_mov_b32_e32 v4, s46
	s_mov_b32 s4, exec_lo
	s_clause 0x3
	buffer_load_dword v1, v4, s[0:3], 0 offen
	buffer_load_dword v2, v4, s[0:3], 0 offen offset:4
	buffer_load_dword v3, v4, s[0:3], 0 offen offset:8
	;; [unrolled: 1-line block ×3, first 2 shown]
	s_waitcnt vmcnt(0)
	ds_write_b128 v98, v[1:4]
	s_waitcnt lgkmcnt(0)
	s_waitcnt_vscnt null, 0x0
	s_barrier
	buffer_gl0_inv
	v_cmpx_gt_u32_e32 8, v0
	s_cbranch_execz .LBB45_423
; %bb.416:
	ds_read_b128 v[1:4], v98
	v_cmp_ne_u32_e32 vcc_lo, 1, v99
	s_cbranch_vccnz .LBB45_418
; %bb.417:
	s_clause 0x3
	buffer_load_dword v100, v97, s[0:3], 0 offen offset:8
	buffer_load_dword v101, v97, s[0:3], 0 offen offset:12
	buffer_load_dword v104, v97, s[0:3], 0 offen
	buffer_load_dword v105, v97, s[0:3], 0 offen offset:4
	s_waitcnt vmcnt(2) lgkmcnt(0)
	v_mul_f64 v[106:107], v[3:4], v[100:101]
	v_mul_f64 v[100:101], v[1:2], v[100:101]
	s_waitcnt vmcnt(0)
	v_fma_f64 v[1:2], v[1:2], v[104:105], -v[106:107]
	v_fma_f64 v[3:4], v[3:4], v[104:105], v[100:101]
.LBB45_418:
	s_mov_b32 s6, exec_lo
	v_cmpx_ne_u32_e32 7, v0
	s_cbranch_execz .LBB45_422
; %bb.419:
	v_add_nc_u32_e32 v100, 0x2f0, v103
	v_add3_u32 v101, 0, v103, 16
	v_mov_b32_e32 v102, v0
	s_mov_b32 s8, 0
	.p2align	6
.LBB45_420:                             ; =>This Inner Loop Header: Depth=1
	s_clause 0x3
	buffer_load_dword v108, v101, s[0:3], 0 offen offset:8
	buffer_load_dword v109, v101, s[0:3], 0 offen offset:12
	buffer_load_dword v110, v101, s[0:3], 0 offen
	buffer_load_dword v111, v101, s[0:3], 0 offen offset:4
	ds_read_b128 v[104:107], v100
	v_add_nc_u32_e32 v102, 1, v102
	v_add_nc_u32_e32 v100, 16, v100
	;; [unrolled: 1-line block ×3, first 2 shown]
	v_cmp_lt_u32_e32 vcc_lo, 6, v102
	s_or_b32 s8, vcc_lo, s8
	s_waitcnt vmcnt(2) lgkmcnt(0)
	v_mul_f64 v[112:113], v[106:107], v[108:109]
	v_mul_f64 v[108:109], v[104:105], v[108:109]
	s_waitcnt vmcnt(0)
	v_fma_f64 v[104:105], v[104:105], v[110:111], -v[112:113]
	v_fma_f64 v[106:107], v[106:107], v[110:111], v[108:109]
	v_add_f64 v[1:2], v[1:2], v[104:105]
	v_add_f64 v[3:4], v[3:4], v[106:107]
	s_andn2_b32 exec_lo, exec_lo, s8
	s_cbranch_execnz .LBB45_420
; %bb.421:
	s_or_b32 exec_lo, exec_lo, s8
.LBB45_422:
	s_or_b32 exec_lo, exec_lo, s6
	v_mov_b32_e32 v100, 0
	ds_read_b128 v[104:107], v100 offset:128
	s_waitcnt lgkmcnt(0)
	v_mul_f64 v[100:101], v[3:4], v[106:107]
	v_mul_f64 v[106:107], v[1:2], v[106:107]
	v_fma_f64 v[1:2], v[1:2], v[104:105], -v[100:101]
	v_fma_f64 v[3:4], v[3:4], v[104:105], v[106:107]
	buffer_store_dword v2, off, s[0:3], 0 offset:132
	buffer_store_dword v1, off, s[0:3], 0 offset:128
	;; [unrolled: 1-line block ×4, first 2 shown]
.LBB45_423:
	s_or_b32 exec_lo, exec_lo, s4
	v_mov_b32_e32 v4, s45
	s_mov_b32 s4, exec_lo
	s_clause 0x3
	buffer_load_dword v1, v4, s[0:3], 0 offen
	buffer_load_dword v2, v4, s[0:3], 0 offen offset:4
	buffer_load_dword v3, v4, s[0:3], 0 offen offset:8
	;; [unrolled: 1-line block ×3, first 2 shown]
	s_waitcnt vmcnt(0)
	ds_write_b128 v98, v[1:4]
	s_waitcnt lgkmcnt(0)
	s_waitcnt_vscnt null, 0x0
	s_barrier
	buffer_gl0_inv
	v_cmpx_gt_u32_e32 9, v0
	s_cbranch_execz .LBB45_431
; %bb.424:
	ds_read_b128 v[1:4], v98
	v_cmp_ne_u32_e32 vcc_lo, 1, v99
	s_cbranch_vccnz .LBB45_426
; %bb.425:
	s_clause 0x3
	buffer_load_dword v100, v97, s[0:3], 0 offen offset:8
	buffer_load_dword v101, v97, s[0:3], 0 offen offset:12
	buffer_load_dword v104, v97, s[0:3], 0 offen
	buffer_load_dword v105, v97, s[0:3], 0 offen offset:4
	s_waitcnt vmcnt(2) lgkmcnt(0)
	v_mul_f64 v[106:107], v[3:4], v[100:101]
	v_mul_f64 v[100:101], v[1:2], v[100:101]
	s_waitcnt vmcnt(0)
	v_fma_f64 v[1:2], v[1:2], v[104:105], -v[106:107]
	v_fma_f64 v[3:4], v[3:4], v[104:105], v[100:101]
.LBB45_426:
	s_mov_b32 s6, exec_lo
	v_cmpx_ne_u32_e32 8, v0
	s_cbranch_execz .LBB45_430
; %bb.427:
	v_add_nc_u32_e32 v100, 0x2f0, v103
	v_add3_u32 v101, 0, v103, 16
	v_mov_b32_e32 v102, v0
	s_mov_b32 s8, 0
	.p2align	6
.LBB45_428:                             ; =>This Inner Loop Header: Depth=1
	s_clause 0x3
	buffer_load_dword v108, v101, s[0:3], 0 offen offset:8
	buffer_load_dword v109, v101, s[0:3], 0 offen offset:12
	buffer_load_dword v110, v101, s[0:3], 0 offen
	buffer_load_dword v111, v101, s[0:3], 0 offen offset:4
	ds_read_b128 v[104:107], v100
	v_add_nc_u32_e32 v102, 1, v102
	v_add_nc_u32_e32 v100, 16, v100
	;; [unrolled: 1-line block ×3, first 2 shown]
	v_cmp_lt_u32_e32 vcc_lo, 7, v102
	s_or_b32 s8, vcc_lo, s8
	s_waitcnt vmcnt(2) lgkmcnt(0)
	v_mul_f64 v[112:113], v[106:107], v[108:109]
	v_mul_f64 v[108:109], v[104:105], v[108:109]
	s_waitcnt vmcnt(0)
	v_fma_f64 v[104:105], v[104:105], v[110:111], -v[112:113]
	v_fma_f64 v[106:107], v[106:107], v[110:111], v[108:109]
	v_add_f64 v[1:2], v[1:2], v[104:105]
	v_add_f64 v[3:4], v[3:4], v[106:107]
	s_andn2_b32 exec_lo, exec_lo, s8
	s_cbranch_execnz .LBB45_428
; %bb.429:
	s_or_b32 exec_lo, exec_lo, s8
.LBB45_430:
	s_or_b32 exec_lo, exec_lo, s6
	v_mov_b32_e32 v100, 0
	ds_read_b128 v[104:107], v100 offset:144
	s_waitcnt lgkmcnt(0)
	v_mul_f64 v[100:101], v[3:4], v[106:107]
	v_mul_f64 v[106:107], v[1:2], v[106:107]
	v_fma_f64 v[1:2], v[1:2], v[104:105], -v[100:101]
	v_fma_f64 v[3:4], v[3:4], v[104:105], v[106:107]
	buffer_store_dword v2, off, s[0:3], 0 offset:148
	buffer_store_dword v1, off, s[0:3], 0 offset:144
	buffer_store_dword v4, off, s[0:3], 0 offset:156
	buffer_store_dword v3, off, s[0:3], 0 offset:152
.LBB45_431:
	s_or_b32 exec_lo, exec_lo, s4
	v_mov_b32_e32 v4, s44
	s_mov_b32 s4, exec_lo
	s_clause 0x3
	buffer_load_dword v1, v4, s[0:3], 0 offen
	buffer_load_dword v2, v4, s[0:3], 0 offen offset:4
	buffer_load_dword v3, v4, s[0:3], 0 offen offset:8
	;; [unrolled: 1-line block ×3, first 2 shown]
	s_waitcnt vmcnt(0)
	ds_write_b128 v98, v[1:4]
	s_waitcnt lgkmcnt(0)
	s_waitcnt_vscnt null, 0x0
	s_barrier
	buffer_gl0_inv
	v_cmpx_gt_u32_e32 10, v0
	s_cbranch_execz .LBB45_439
; %bb.432:
	ds_read_b128 v[1:4], v98
	v_cmp_ne_u32_e32 vcc_lo, 1, v99
	s_cbranch_vccnz .LBB45_434
; %bb.433:
	s_clause 0x3
	buffer_load_dword v100, v97, s[0:3], 0 offen offset:8
	buffer_load_dword v101, v97, s[0:3], 0 offen offset:12
	buffer_load_dword v104, v97, s[0:3], 0 offen
	buffer_load_dword v105, v97, s[0:3], 0 offen offset:4
	s_waitcnt vmcnt(2) lgkmcnt(0)
	v_mul_f64 v[106:107], v[3:4], v[100:101]
	v_mul_f64 v[100:101], v[1:2], v[100:101]
	s_waitcnt vmcnt(0)
	v_fma_f64 v[1:2], v[1:2], v[104:105], -v[106:107]
	v_fma_f64 v[3:4], v[3:4], v[104:105], v[100:101]
.LBB45_434:
	s_mov_b32 s6, exec_lo
	v_cmpx_ne_u32_e32 9, v0
	s_cbranch_execz .LBB45_438
; %bb.435:
	v_add_nc_u32_e32 v100, 0x2f0, v103
	v_add3_u32 v101, 0, v103, 16
	v_mov_b32_e32 v102, v0
	s_mov_b32 s8, 0
	.p2align	6
.LBB45_436:                             ; =>This Inner Loop Header: Depth=1
	s_clause 0x3
	buffer_load_dword v108, v101, s[0:3], 0 offen offset:8
	buffer_load_dword v109, v101, s[0:3], 0 offen offset:12
	buffer_load_dword v110, v101, s[0:3], 0 offen
	buffer_load_dword v111, v101, s[0:3], 0 offen offset:4
	ds_read_b128 v[104:107], v100
	v_add_nc_u32_e32 v102, 1, v102
	v_add_nc_u32_e32 v100, 16, v100
	;; [unrolled: 1-line block ×3, first 2 shown]
	v_cmp_lt_u32_e32 vcc_lo, 8, v102
	s_or_b32 s8, vcc_lo, s8
	s_waitcnt vmcnt(2) lgkmcnt(0)
	v_mul_f64 v[112:113], v[106:107], v[108:109]
	v_mul_f64 v[108:109], v[104:105], v[108:109]
	s_waitcnt vmcnt(0)
	v_fma_f64 v[104:105], v[104:105], v[110:111], -v[112:113]
	v_fma_f64 v[106:107], v[106:107], v[110:111], v[108:109]
	v_add_f64 v[1:2], v[1:2], v[104:105]
	v_add_f64 v[3:4], v[3:4], v[106:107]
	s_andn2_b32 exec_lo, exec_lo, s8
	s_cbranch_execnz .LBB45_436
; %bb.437:
	s_or_b32 exec_lo, exec_lo, s8
.LBB45_438:
	s_or_b32 exec_lo, exec_lo, s6
	v_mov_b32_e32 v100, 0
	ds_read_b128 v[104:107], v100 offset:160
	s_waitcnt lgkmcnt(0)
	v_mul_f64 v[100:101], v[3:4], v[106:107]
	v_mul_f64 v[106:107], v[1:2], v[106:107]
	v_fma_f64 v[1:2], v[1:2], v[104:105], -v[100:101]
	v_fma_f64 v[3:4], v[3:4], v[104:105], v[106:107]
	buffer_store_dword v2, off, s[0:3], 0 offset:164
	buffer_store_dword v1, off, s[0:3], 0 offset:160
	;; [unrolled: 1-line block ×4, first 2 shown]
.LBB45_439:
	s_or_b32 exec_lo, exec_lo, s4
	v_mov_b32_e32 v4, s43
	s_mov_b32 s4, exec_lo
	s_clause 0x3
	buffer_load_dword v1, v4, s[0:3], 0 offen
	buffer_load_dword v2, v4, s[0:3], 0 offen offset:4
	buffer_load_dword v3, v4, s[0:3], 0 offen offset:8
	;; [unrolled: 1-line block ×3, first 2 shown]
	s_waitcnt vmcnt(0)
	ds_write_b128 v98, v[1:4]
	s_waitcnt lgkmcnt(0)
	s_waitcnt_vscnt null, 0x0
	s_barrier
	buffer_gl0_inv
	v_cmpx_gt_u32_e32 11, v0
	s_cbranch_execz .LBB45_447
; %bb.440:
	ds_read_b128 v[1:4], v98
	v_cmp_ne_u32_e32 vcc_lo, 1, v99
	s_cbranch_vccnz .LBB45_442
; %bb.441:
	s_clause 0x3
	buffer_load_dword v100, v97, s[0:3], 0 offen offset:8
	buffer_load_dword v101, v97, s[0:3], 0 offen offset:12
	buffer_load_dword v104, v97, s[0:3], 0 offen
	buffer_load_dword v105, v97, s[0:3], 0 offen offset:4
	s_waitcnt vmcnt(2) lgkmcnt(0)
	v_mul_f64 v[106:107], v[3:4], v[100:101]
	v_mul_f64 v[100:101], v[1:2], v[100:101]
	s_waitcnt vmcnt(0)
	v_fma_f64 v[1:2], v[1:2], v[104:105], -v[106:107]
	v_fma_f64 v[3:4], v[3:4], v[104:105], v[100:101]
.LBB45_442:
	s_mov_b32 s6, exec_lo
	v_cmpx_ne_u32_e32 10, v0
	s_cbranch_execz .LBB45_446
; %bb.443:
	v_add_nc_u32_e32 v100, 0x2f0, v103
	v_add3_u32 v101, 0, v103, 16
	v_mov_b32_e32 v102, v0
	s_mov_b32 s8, 0
	.p2align	6
.LBB45_444:                             ; =>This Inner Loop Header: Depth=1
	s_clause 0x3
	buffer_load_dword v108, v101, s[0:3], 0 offen offset:8
	buffer_load_dword v109, v101, s[0:3], 0 offen offset:12
	buffer_load_dword v110, v101, s[0:3], 0 offen
	buffer_load_dword v111, v101, s[0:3], 0 offen offset:4
	ds_read_b128 v[104:107], v100
	v_add_nc_u32_e32 v102, 1, v102
	v_add_nc_u32_e32 v100, 16, v100
	;; [unrolled: 1-line block ×3, first 2 shown]
	v_cmp_lt_u32_e32 vcc_lo, 9, v102
	s_or_b32 s8, vcc_lo, s8
	s_waitcnt vmcnt(2) lgkmcnt(0)
	v_mul_f64 v[112:113], v[106:107], v[108:109]
	v_mul_f64 v[108:109], v[104:105], v[108:109]
	s_waitcnt vmcnt(0)
	v_fma_f64 v[104:105], v[104:105], v[110:111], -v[112:113]
	v_fma_f64 v[106:107], v[106:107], v[110:111], v[108:109]
	v_add_f64 v[1:2], v[1:2], v[104:105]
	v_add_f64 v[3:4], v[3:4], v[106:107]
	s_andn2_b32 exec_lo, exec_lo, s8
	s_cbranch_execnz .LBB45_444
; %bb.445:
	s_or_b32 exec_lo, exec_lo, s8
.LBB45_446:
	s_or_b32 exec_lo, exec_lo, s6
	v_mov_b32_e32 v100, 0
	ds_read_b128 v[104:107], v100 offset:176
	s_waitcnt lgkmcnt(0)
	v_mul_f64 v[100:101], v[3:4], v[106:107]
	v_mul_f64 v[106:107], v[1:2], v[106:107]
	v_fma_f64 v[1:2], v[1:2], v[104:105], -v[100:101]
	v_fma_f64 v[3:4], v[3:4], v[104:105], v[106:107]
	buffer_store_dword v2, off, s[0:3], 0 offset:180
	buffer_store_dword v1, off, s[0:3], 0 offset:176
	;; [unrolled: 1-line block ×4, first 2 shown]
.LBB45_447:
	s_or_b32 exec_lo, exec_lo, s4
	v_mov_b32_e32 v4, s42
	s_mov_b32 s4, exec_lo
	s_clause 0x3
	buffer_load_dword v1, v4, s[0:3], 0 offen
	buffer_load_dword v2, v4, s[0:3], 0 offen offset:4
	buffer_load_dword v3, v4, s[0:3], 0 offen offset:8
	;; [unrolled: 1-line block ×3, first 2 shown]
	s_waitcnt vmcnt(0)
	ds_write_b128 v98, v[1:4]
	s_waitcnt lgkmcnt(0)
	s_waitcnt_vscnt null, 0x0
	s_barrier
	buffer_gl0_inv
	v_cmpx_gt_u32_e32 12, v0
	s_cbranch_execz .LBB45_455
; %bb.448:
	ds_read_b128 v[1:4], v98
	v_cmp_ne_u32_e32 vcc_lo, 1, v99
	s_cbranch_vccnz .LBB45_450
; %bb.449:
	s_clause 0x3
	buffer_load_dword v100, v97, s[0:3], 0 offen offset:8
	buffer_load_dword v101, v97, s[0:3], 0 offen offset:12
	buffer_load_dword v104, v97, s[0:3], 0 offen
	buffer_load_dword v105, v97, s[0:3], 0 offen offset:4
	s_waitcnt vmcnt(2) lgkmcnt(0)
	v_mul_f64 v[106:107], v[3:4], v[100:101]
	v_mul_f64 v[100:101], v[1:2], v[100:101]
	s_waitcnt vmcnt(0)
	v_fma_f64 v[1:2], v[1:2], v[104:105], -v[106:107]
	v_fma_f64 v[3:4], v[3:4], v[104:105], v[100:101]
.LBB45_450:
	s_mov_b32 s6, exec_lo
	v_cmpx_ne_u32_e32 11, v0
	s_cbranch_execz .LBB45_454
; %bb.451:
	v_add_nc_u32_e32 v100, 0x2f0, v103
	v_add3_u32 v101, 0, v103, 16
	v_mov_b32_e32 v102, v0
	s_mov_b32 s8, 0
	.p2align	6
.LBB45_452:                             ; =>This Inner Loop Header: Depth=1
	s_clause 0x3
	buffer_load_dword v108, v101, s[0:3], 0 offen offset:8
	buffer_load_dword v109, v101, s[0:3], 0 offen offset:12
	buffer_load_dword v110, v101, s[0:3], 0 offen
	buffer_load_dword v111, v101, s[0:3], 0 offen offset:4
	ds_read_b128 v[104:107], v100
	v_add_nc_u32_e32 v102, 1, v102
	v_add_nc_u32_e32 v100, 16, v100
	;; [unrolled: 1-line block ×3, first 2 shown]
	v_cmp_lt_u32_e32 vcc_lo, 10, v102
	s_or_b32 s8, vcc_lo, s8
	s_waitcnt vmcnt(2) lgkmcnt(0)
	v_mul_f64 v[112:113], v[106:107], v[108:109]
	v_mul_f64 v[108:109], v[104:105], v[108:109]
	s_waitcnt vmcnt(0)
	v_fma_f64 v[104:105], v[104:105], v[110:111], -v[112:113]
	v_fma_f64 v[106:107], v[106:107], v[110:111], v[108:109]
	v_add_f64 v[1:2], v[1:2], v[104:105]
	v_add_f64 v[3:4], v[3:4], v[106:107]
	s_andn2_b32 exec_lo, exec_lo, s8
	s_cbranch_execnz .LBB45_452
; %bb.453:
	s_or_b32 exec_lo, exec_lo, s8
.LBB45_454:
	s_or_b32 exec_lo, exec_lo, s6
	v_mov_b32_e32 v100, 0
	ds_read_b128 v[104:107], v100 offset:192
	s_waitcnt lgkmcnt(0)
	v_mul_f64 v[100:101], v[3:4], v[106:107]
	v_mul_f64 v[106:107], v[1:2], v[106:107]
	v_fma_f64 v[1:2], v[1:2], v[104:105], -v[100:101]
	v_fma_f64 v[3:4], v[3:4], v[104:105], v[106:107]
	buffer_store_dword v2, off, s[0:3], 0 offset:196
	buffer_store_dword v1, off, s[0:3], 0 offset:192
	;; [unrolled: 1-line block ×4, first 2 shown]
.LBB45_455:
	s_or_b32 exec_lo, exec_lo, s4
	v_mov_b32_e32 v4, s41
	s_mov_b32 s4, exec_lo
	s_clause 0x3
	buffer_load_dword v1, v4, s[0:3], 0 offen
	buffer_load_dword v2, v4, s[0:3], 0 offen offset:4
	buffer_load_dword v3, v4, s[0:3], 0 offen offset:8
	;; [unrolled: 1-line block ×3, first 2 shown]
	s_waitcnt vmcnt(0)
	ds_write_b128 v98, v[1:4]
	s_waitcnt lgkmcnt(0)
	s_waitcnt_vscnt null, 0x0
	s_barrier
	buffer_gl0_inv
	v_cmpx_gt_u32_e32 13, v0
	s_cbranch_execz .LBB45_463
; %bb.456:
	ds_read_b128 v[1:4], v98
	v_cmp_ne_u32_e32 vcc_lo, 1, v99
	s_cbranch_vccnz .LBB45_458
; %bb.457:
	s_clause 0x3
	buffer_load_dword v100, v97, s[0:3], 0 offen offset:8
	buffer_load_dword v101, v97, s[0:3], 0 offen offset:12
	buffer_load_dword v104, v97, s[0:3], 0 offen
	buffer_load_dword v105, v97, s[0:3], 0 offen offset:4
	s_waitcnt vmcnt(2) lgkmcnt(0)
	v_mul_f64 v[106:107], v[3:4], v[100:101]
	v_mul_f64 v[100:101], v[1:2], v[100:101]
	s_waitcnt vmcnt(0)
	v_fma_f64 v[1:2], v[1:2], v[104:105], -v[106:107]
	v_fma_f64 v[3:4], v[3:4], v[104:105], v[100:101]
.LBB45_458:
	s_mov_b32 s6, exec_lo
	v_cmpx_ne_u32_e32 12, v0
	s_cbranch_execz .LBB45_462
; %bb.459:
	v_add_nc_u32_e32 v100, 0x2f0, v103
	v_add3_u32 v101, 0, v103, 16
	v_mov_b32_e32 v102, v0
	s_mov_b32 s8, 0
	.p2align	6
.LBB45_460:                             ; =>This Inner Loop Header: Depth=1
	s_clause 0x3
	buffer_load_dword v108, v101, s[0:3], 0 offen offset:8
	buffer_load_dword v109, v101, s[0:3], 0 offen offset:12
	buffer_load_dword v110, v101, s[0:3], 0 offen
	buffer_load_dword v111, v101, s[0:3], 0 offen offset:4
	ds_read_b128 v[104:107], v100
	v_add_nc_u32_e32 v102, 1, v102
	v_add_nc_u32_e32 v100, 16, v100
	;; [unrolled: 1-line block ×3, first 2 shown]
	v_cmp_lt_u32_e32 vcc_lo, 11, v102
	s_or_b32 s8, vcc_lo, s8
	s_waitcnt vmcnt(2) lgkmcnt(0)
	v_mul_f64 v[112:113], v[106:107], v[108:109]
	v_mul_f64 v[108:109], v[104:105], v[108:109]
	s_waitcnt vmcnt(0)
	v_fma_f64 v[104:105], v[104:105], v[110:111], -v[112:113]
	v_fma_f64 v[106:107], v[106:107], v[110:111], v[108:109]
	v_add_f64 v[1:2], v[1:2], v[104:105]
	v_add_f64 v[3:4], v[3:4], v[106:107]
	s_andn2_b32 exec_lo, exec_lo, s8
	s_cbranch_execnz .LBB45_460
; %bb.461:
	s_or_b32 exec_lo, exec_lo, s8
.LBB45_462:
	s_or_b32 exec_lo, exec_lo, s6
	v_mov_b32_e32 v100, 0
	ds_read_b128 v[104:107], v100 offset:208
	s_waitcnt lgkmcnt(0)
	v_mul_f64 v[100:101], v[3:4], v[106:107]
	v_mul_f64 v[106:107], v[1:2], v[106:107]
	v_fma_f64 v[1:2], v[1:2], v[104:105], -v[100:101]
	v_fma_f64 v[3:4], v[3:4], v[104:105], v[106:107]
	buffer_store_dword v2, off, s[0:3], 0 offset:212
	buffer_store_dword v1, off, s[0:3], 0 offset:208
	;; [unrolled: 1-line block ×4, first 2 shown]
.LBB45_463:
	s_or_b32 exec_lo, exec_lo, s4
	v_mov_b32_e32 v4, s40
	s_mov_b32 s4, exec_lo
	s_clause 0x3
	buffer_load_dword v1, v4, s[0:3], 0 offen
	buffer_load_dword v2, v4, s[0:3], 0 offen offset:4
	buffer_load_dword v3, v4, s[0:3], 0 offen offset:8
	;; [unrolled: 1-line block ×3, first 2 shown]
	s_waitcnt vmcnt(0)
	ds_write_b128 v98, v[1:4]
	s_waitcnt lgkmcnt(0)
	s_waitcnt_vscnt null, 0x0
	s_barrier
	buffer_gl0_inv
	v_cmpx_gt_u32_e32 14, v0
	s_cbranch_execz .LBB45_471
; %bb.464:
	ds_read_b128 v[1:4], v98
	v_cmp_ne_u32_e32 vcc_lo, 1, v99
	s_cbranch_vccnz .LBB45_466
; %bb.465:
	s_clause 0x3
	buffer_load_dword v100, v97, s[0:3], 0 offen offset:8
	buffer_load_dword v101, v97, s[0:3], 0 offen offset:12
	buffer_load_dword v104, v97, s[0:3], 0 offen
	buffer_load_dword v105, v97, s[0:3], 0 offen offset:4
	s_waitcnt vmcnt(2) lgkmcnt(0)
	v_mul_f64 v[106:107], v[3:4], v[100:101]
	v_mul_f64 v[100:101], v[1:2], v[100:101]
	s_waitcnt vmcnt(0)
	v_fma_f64 v[1:2], v[1:2], v[104:105], -v[106:107]
	v_fma_f64 v[3:4], v[3:4], v[104:105], v[100:101]
.LBB45_466:
	s_mov_b32 s6, exec_lo
	v_cmpx_ne_u32_e32 13, v0
	s_cbranch_execz .LBB45_470
; %bb.467:
	v_add_nc_u32_e32 v100, 0x2f0, v103
	v_add3_u32 v101, 0, v103, 16
	v_mov_b32_e32 v102, v0
	s_mov_b32 s8, 0
	.p2align	6
.LBB45_468:                             ; =>This Inner Loop Header: Depth=1
	s_clause 0x3
	buffer_load_dword v108, v101, s[0:3], 0 offen offset:8
	buffer_load_dword v109, v101, s[0:3], 0 offen offset:12
	buffer_load_dword v110, v101, s[0:3], 0 offen
	buffer_load_dword v111, v101, s[0:3], 0 offen offset:4
	ds_read_b128 v[104:107], v100
	v_add_nc_u32_e32 v102, 1, v102
	v_add_nc_u32_e32 v100, 16, v100
	;; [unrolled: 1-line block ×3, first 2 shown]
	v_cmp_lt_u32_e32 vcc_lo, 12, v102
	s_or_b32 s8, vcc_lo, s8
	s_waitcnt vmcnt(2) lgkmcnt(0)
	v_mul_f64 v[112:113], v[106:107], v[108:109]
	v_mul_f64 v[108:109], v[104:105], v[108:109]
	s_waitcnt vmcnt(0)
	v_fma_f64 v[104:105], v[104:105], v[110:111], -v[112:113]
	v_fma_f64 v[106:107], v[106:107], v[110:111], v[108:109]
	v_add_f64 v[1:2], v[1:2], v[104:105]
	v_add_f64 v[3:4], v[3:4], v[106:107]
	s_andn2_b32 exec_lo, exec_lo, s8
	s_cbranch_execnz .LBB45_468
; %bb.469:
	s_or_b32 exec_lo, exec_lo, s8
.LBB45_470:
	s_or_b32 exec_lo, exec_lo, s6
	v_mov_b32_e32 v100, 0
	ds_read_b128 v[104:107], v100 offset:224
	s_waitcnt lgkmcnt(0)
	v_mul_f64 v[100:101], v[3:4], v[106:107]
	v_mul_f64 v[106:107], v[1:2], v[106:107]
	v_fma_f64 v[1:2], v[1:2], v[104:105], -v[100:101]
	v_fma_f64 v[3:4], v[3:4], v[104:105], v[106:107]
	buffer_store_dword v2, off, s[0:3], 0 offset:228
	buffer_store_dword v1, off, s[0:3], 0 offset:224
	;; [unrolled: 1-line block ×4, first 2 shown]
.LBB45_471:
	s_or_b32 exec_lo, exec_lo, s4
	v_mov_b32_e32 v4, s39
	s_mov_b32 s4, exec_lo
	s_clause 0x3
	buffer_load_dword v1, v4, s[0:3], 0 offen
	buffer_load_dword v2, v4, s[0:3], 0 offen offset:4
	buffer_load_dword v3, v4, s[0:3], 0 offen offset:8
	;; [unrolled: 1-line block ×3, first 2 shown]
	s_waitcnt vmcnt(0)
	ds_write_b128 v98, v[1:4]
	s_waitcnt lgkmcnt(0)
	s_waitcnt_vscnt null, 0x0
	s_barrier
	buffer_gl0_inv
	v_cmpx_gt_u32_e32 15, v0
	s_cbranch_execz .LBB45_479
; %bb.472:
	ds_read_b128 v[1:4], v98
	v_cmp_ne_u32_e32 vcc_lo, 1, v99
	s_cbranch_vccnz .LBB45_474
; %bb.473:
	s_clause 0x3
	buffer_load_dword v100, v97, s[0:3], 0 offen offset:8
	buffer_load_dword v101, v97, s[0:3], 0 offen offset:12
	buffer_load_dword v104, v97, s[0:3], 0 offen
	buffer_load_dword v105, v97, s[0:3], 0 offen offset:4
	s_waitcnt vmcnt(2) lgkmcnt(0)
	v_mul_f64 v[106:107], v[3:4], v[100:101]
	v_mul_f64 v[100:101], v[1:2], v[100:101]
	s_waitcnt vmcnt(0)
	v_fma_f64 v[1:2], v[1:2], v[104:105], -v[106:107]
	v_fma_f64 v[3:4], v[3:4], v[104:105], v[100:101]
.LBB45_474:
	s_mov_b32 s6, exec_lo
	v_cmpx_ne_u32_e32 14, v0
	s_cbranch_execz .LBB45_478
; %bb.475:
	v_add_nc_u32_e32 v100, 0x2f0, v103
	v_add3_u32 v101, 0, v103, 16
	v_mov_b32_e32 v102, v0
	s_mov_b32 s8, 0
	.p2align	6
.LBB45_476:                             ; =>This Inner Loop Header: Depth=1
	s_clause 0x3
	buffer_load_dword v108, v101, s[0:3], 0 offen offset:8
	buffer_load_dword v109, v101, s[0:3], 0 offen offset:12
	buffer_load_dword v110, v101, s[0:3], 0 offen
	buffer_load_dword v111, v101, s[0:3], 0 offen offset:4
	ds_read_b128 v[104:107], v100
	v_add_nc_u32_e32 v102, 1, v102
	v_add_nc_u32_e32 v100, 16, v100
	v_add_nc_u32_e32 v101, 16, v101
	v_cmp_lt_u32_e32 vcc_lo, 13, v102
	s_or_b32 s8, vcc_lo, s8
	s_waitcnt vmcnt(2) lgkmcnt(0)
	v_mul_f64 v[112:113], v[106:107], v[108:109]
	v_mul_f64 v[108:109], v[104:105], v[108:109]
	s_waitcnt vmcnt(0)
	v_fma_f64 v[104:105], v[104:105], v[110:111], -v[112:113]
	v_fma_f64 v[106:107], v[106:107], v[110:111], v[108:109]
	v_add_f64 v[1:2], v[1:2], v[104:105]
	v_add_f64 v[3:4], v[3:4], v[106:107]
	s_andn2_b32 exec_lo, exec_lo, s8
	s_cbranch_execnz .LBB45_476
; %bb.477:
	s_or_b32 exec_lo, exec_lo, s8
.LBB45_478:
	s_or_b32 exec_lo, exec_lo, s6
	v_mov_b32_e32 v100, 0
	ds_read_b128 v[104:107], v100 offset:240
	s_waitcnt lgkmcnt(0)
	v_mul_f64 v[100:101], v[3:4], v[106:107]
	v_mul_f64 v[106:107], v[1:2], v[106:107]
	v_fma_f64 v[1:2], v[1:2], v[104:105], -v[100:101]
	v_fma_f64 v[3:4], v[3:4], v[104:105], v[106:107]
	buffer_store_dword v2, off, s[0:3], 0 offset:244
	buffer_store_dword v1, off, s[0:3], 0 offset:240
	;; [unrolled: 1-line block ×4, first 2 shown]
.LBB45_479:
	s_or_b32 exec_lo, exec_lo, s4
	v_mov_b32_e32 v4, s38
	s_mov_b32 s4, exec_lo
	s_clause 0x3
	buffer_load_dword v1, v4, s[0:3], 0 offen
	buffer_load_dword v2, v4, s[0:3], 0 offen offset:4
	buffer_load_dword v3, v4, s[0:3], 0 offen offset:8
	;; [unrolled: 1-line block ×3, first 2 shown]
	s_waitcnt vmcnt(0)
	ds_write_b128 v98, v[1:4]
	s_waitcnt lgkmcnt(0)
	s_waitcnt_vscnt null, 0x0
	s_barrier
	buffer_gl0_inv
	v_cmpx_gt_u32_e32 16, v0
	s_cbranch_execz .LBB45_487
; %bb.480:
	ds_read_b128 v[1:4], v98
	v_cmp_ne_u32_e32 vcc_lo, 1, v99
	s_cbranch_vccnz .LBB45_482
; %bb.481:
	s_clause 0x3
	buffer_load_dword v100, v97, s[0:3], 0 offen offset:8
	buffer_load_dword v101, v97, s[0:3], 0 offen offset:12
	buffer_load_dword v104, v97, s[0:3], 0 offen
	buffer_load_dword v105, v97, s[0:3], 0 offen offset:4
	s_waitcnt vmcnt(2) lgkmcnt(0)
	v_mul_f64 v[106:107], v[3:4], v[100:101]
	v_mul_f64 v[100:101], v[1:2], v[100:101]
	s_waitcnt vmcnt(0)
	v_fma_f64 v[1:2], v[1:2], v[104:105], -v[106:107]
	v_fma_f64 v[3:4], v[3:4], v[104:105], v[100:101]
.LBB45_482:
	s_mov_b32 s6, exec_lo
	v_cmpx_ne_u32_e32 15, v0
	s_cbranch_execz .LBB45_486
; %bb.483:
	v_add_nc_u32_e32 v100, 0x2f0, v103
	v_add3_u32 v101, 0, v103, 16
	v_mov_b32_e32 v102, v0
	s_mov_b32 s8, 0
	.p2align	6
.LBB45_484:                             ; =>This Inner Loop Header: Depth=1
	s_clause 0x3
	buffer_load_dword v108, v101, s[0:3], 0 offen offset:8
	buffer_load_dword v109, v101, s[0:3], 0 offen offset:12
	buffer_load_dword v110, v101, s[0:3], 0 offen
	buffer_load_dword v111, v101, s[0:3], 0 offen offset:4
	ds_read_b128 v[104:107], v100
	v_add_nc_u32_e32 v102, 1, v102
	v_add_nc_u32_e32 v100, 16, v100
	;; [unrolled: 1-line block ×3, first 2 shown]
	v_cmp_lt_u32_e32 vcc_lo, 14, v102
	s_or_b32 s8, vcc_lo, s8
	s_waitcnt vmcnt(2) lgkmcnt(0)
	v_mul_f64 v[112:113], v[106:107], v[108:109]
	v_mul_f64 v[108:109], v[104:105], v[108:109]
	s_waitcnt vmcnt(0)
	v_fma_f64 v[104:105], v[104:105], v[110:111], -v[112:113]
	v_fma_f64 v[106:107], v[106:107], v[110:111], v[108:109]
	v_add_f64 v[1:2], v[1:2], v[104:105]
	v_add_f64 v[3:4], v[3:4], v[106:107]
	s_andn2_b32 exec_lo, exec_lo, s8
	s_cbranch_execnz .LBB45_484
; %bb.485:
	s_or_b32 exec_lo, exec_lo, s8
.LBB45_486:
	s_or_b32 exec_lo, exec_lo, s6
	v_mov_b32_e32 v100, 0
	ds_read_b128 v[104:107], v100 offset:256
	s_waitcnt lgkmcnt(0)
	v_mul_f64 v[100:101], v[3:4], v[106:107]
	v_mul_f64 v[106:107], v[1:2], v[106:107]
	v_fma_f64 v[1:2], v[1:2], v[104:105], -v[100:101]
	v_fma_f64 v[3:4], v[3:4], v[104:105], v[106:107]
	buffer_store_dword v2, off, s[0:3], 0 offset:260
	buffer_store_dword v1, off, s[0:3], 0 offset:256
	;; [unrolled: 1-line block ×4, first 2 shown]
.LBB45_487:
	s_or_b32 exec_lo, exec_lo, s4
	v_mov_b32_e32 v4, s37
	s_mov_b32 s4, exec_lo
	s_clause 0x3
	buffer_load_dword v1, v4, s[0:3], 0 offen
	buffer_load_dword v2, v4, s[0:3], 0 offen offset:4
	buffer_load_dword v3, v4, s[0:3], 0 offen offset:8
	;; [unrolled: 1-line block ×3, first 2 shown]
	s_waitcnt vmcnt(0)
	ds_write_b128 v98, v[1:4]
	s_waitcnt lgkmcnt(0)
	s_waitcnt_vscnt null, 0x0
	s_barrier
	buffer_gl0_inv
	v_cmpx_gt_u32_e32 17, v0
	s_cbranch_execz .LBB45_495
; %bb.488:
	ds_read_b128 v[1:4], v98
	v_cmp_ne_u32_e32 vcc_lo, 1, v99
	s_cbranch_vccnz .LBB45_490
; %bb.489:
	s_clause 0x3
	buffer_load_dword v100, v97, s[0:3], 0 offen offset:8
	buffer_load_dword v101, v97, s[0:3], 0 offen offset:12
	buffer_load_dword v104, v97, s[0:3], 0 offen
	buffer_load_dword v105, v97, s[0:3], 0 offen offset:4
	s_waitcnt vmcnt(2) lgkmcnt(0)
	v_mul_f64 v[106:107], v[3:4], v[100:101]
	v_mul_f64 v[100:101], v[1:2], v[100:101]
	s_waitcnt vmcnt(0)
	v_fma_f64 v[1:2], v[1:2], v[104:105], -v[106:107]
	v_fma_f64 v[3:4], v[3:4], v[104:105], v[100:101]
.LBB45_490:
	s_mov_b32 s6, exec_lo
	v_cmpx_ne_u32_e32 16, v0
	s_cbranch_execz .LBB45_494
; %bb.491:
	v_add_nc_u32_e32 v100, 0x2f0, v103
	v_add3_u32 v101, 0, v103, 16
	v_mov_b32_e32 v102, v0
	s_mov_b32 s8, 0
	.p2align	6
.LBB45_492:                             ; =>This Inner Loop Header: Depth=1
	s_clause 0x3
	buffer_load_dword v108, v101, s[0:3], 0 offen offset:8
	buffer_load_dword v109, v101, s[0:3], 0 offen offset:12
	buffer_load_dword v110, v101, s[0:3], 0 offen
	buffer_load_dword v111, v101, s[0:3], 0 offen offset:4
	ds_read_b128 v[104:107], v100
	v_add_nc_u32_e32 v102, 1, v102
	v_add_nc_u32_e32 v100, 16, v100
	;; [unrolled: 1-line block ×3, first 2 shown]
	v_cmp_lt_u32_e32 vcc_lo, 15, v102
	s_or_b32 s8, vcc_lo, s8
	s_waitcnt vmcnt(2) lgkmcnt(0)
	v_mul_f64 v[112:113], v[106:107], v[108:109]
	v_mul_f64 v[108:109], v[104:105], v[108:109]
	s_waitcnt vmcnt(0)
	v_fma_f64 v[104:105], v[104:105], v[110:111], -v[112:113]
	v_fma_f64 v[106:107], v[106:107], v[110:111], v[108:109]
	v_add_f64 v[1:2], v[1:2], v[104:105]
	v_add_f64 v[3:4], v[3:4], v[106:107]
	s_andn2_b32 exec_lo, exec_lo, s8
	s_cbranch_execnz .LBB45_492
; %bb.493:
	s_or_b32 exec_lo, exec_lo, s8
.LBB45_494:
	s_or_b32 exec_lo, exec_lo, s6
	v_mov_b32_e32 v100, 0
	ds_read_b128 v[104:107], v100 offset:272
	s_waitcnt lgkmcnt(0)
	v_mul_f64 v[100:101], v[3:4], v[106:107]
	v_mul_f64 v[106:107], v[1:2], v[106:107]
	v_fma_f64 v[1:2], v[1:2], v[104:105], -v[100:101]
	v_fma_f64 v[3:4], v[3:4], v[104:105], v[106:107]
	buffer_store_dword v2, off, s[0:3], 0 offset:276
	buffer_store_dword v1, off, s[0:3], 0 offset:272
	;; [unrolled: 1-line block ×4, first 2 shown]
.LBB45_495:
	s_or_b32 exec_lo, exec_lo, s4
	v_mov_b32_e32 v4, s36
	s_mov_b32 s4, exec_lo
	s_clause 0x3
	buffer_load_dword v1, v4, s[0:3], 0 offen
	buffer_load_dword v2, v4, s[0:3], 0 offen offset:4
	buffer_load_dword v3, v4, s[0:3], 0 offen offset:8
	;; [unrolled: 1-line block ×3, first 2 shown]
	s_waitcnt vmcnt(0)
	ds_write_b128 v98, v[1:4]
	s_waitcnt lgkmcnt(0)
	s_waitcnt_vscnt null, 0x0
	s_barrier
	buffer_gl0_inv
	v_cmpx_gt_u32_e32 18, v0
	s_cbranch_execz .LBB45_503
; %bb.496:
	ds_read_b128 v[1:4], v98
	v_cmp_ne_u32_e32 vcc_lo, 1, v99
	s_cbranch_vccnz .LBB45_498
; %bb.497:
	s_clause 0x3
	buffer_load_dword v100, v97, s[0:3], 0 offen offset:8
	buffer_load_dword v101, v97, s[0:3], 0 offen offset:12
	buffer_load_dword v104, v97, s[0:3], 0 offen
	buffer_load_dword v105, v97, s[0:3], 0 offen offset:4
	s_waitcnt vmcnt(2) lgkmcnt(0)
	v_mul_f64 v[106:107], v[3:4], v[100:101]
	v_mul_f64 v[100:101], v[1:2], v[100:101]
	s_waitcnt vmcnt(0)
	v_fma_f64 v[1:2], v[1:2], v[104:105], -v[106:107]
	v_fma_f64 v[3:4], v[3:4], v[104:105], v[100:101]
.LBB45_498:
	s_mov_b32 s6, exec_lo
	v_cmpx_ne_u32_e32 17, v0
	s_cbranch_execz .LBB45_502
; %bb.499:
	v_add_nc_u32_e32 v100, 0x2f0, v103
	v_add3_u32 v101, 0, v103, 16
	v_mov_b32_e32 v102, v0
	s_mov_b32 s8, 0
	.p2align	6
.LBB45_500:                             ; =>This Inner Loop Header: Depth=1
	s_clause 0x3
	buffer_load_dword v108, v101, s[0:3], 0 offen offset:8
	buffer_load_dword v109, v101, s[0:3], 0 offen offset:12
	buffer_load_dword v110, v101, s[0:3], 0 offen
	buffer_load_dword v111, v101, s[0:3], 0 offen offset:4
	ds_read_b128 v[104:107], v100
	v_add_nc_u32_e32 v102, 1, v102
	v_add_nc_u32_e32 v100, 16, v100
	;; [unrolled: 1-line block ×3, first 2 shown]
	v_cmp_lt_u32_e32 vcc_lo, 16, v102
	s_or_b32 s8, vcc_lo, s8
	s_waitcnt vmcnt(2) lgkmcnt(0)
	v_mul_f64 v[112:113], v[106:107], v[108:109]
	v_mul_f64 v[108:109], v[104:105], v[108:109]
	s_waitcnt vmcnt(0)
	v_fma_f64 v[104:105], v[104:105], v[110:111], -v[112:113]
	v_fma_f64 v[106:107], v[106:107], v[110:111], v[108:109]
	v_add_f64 v[1:2], v[1:2], v[104:105]
	v_add_f64 v[3:4], v[3:4], v[106:107]
	s_andn2_b32 exec_lo, exec_lo, s8
	s_cbranch_execnz .LBB45_500
; %bb.501:
	s_or_b32 exec_lo, exec_lo, s8
.LBB45_502:
	s_or_b32 exec_lo, exec_lo, s6
	v_mov_b32_e32 v100, 0
	ds_read_b128 v[104:107], v100 offset:288
	s_waitcnt lgkmcnt(0)
	v_mul_f64 v[100:101], v[3:4], v[106:107]
	v_mul_f64 v[106:107], v[1:2], v[106:107]
	v_fma_f64 v[1:2], v[1:2], v[104:105], -v[100:101]
	v_fma_f64 v[3:4], v[3:4], v[104:105], v[106:107]
	buffer_store_dword v2, off, s[0:3], 0 offset:292
	buffer_store_dword v1, off, s[0:3], 0 offset:288
	;; [unrolled: 1-line block ×4, first 2 shown]
.LBB45_503:
	s_or_b32 exec_lo, exec_lo, s4
	v_mov_b32_e32 v4, s35
	s_mov_b32 s4, exec_lo
	s_clause 0x3
	buffer_load_dword v1, v4, s[0:3], 0 offen
	buffer_load_dword v2, v4, s[0:3], 0 offen offset:4
	buffer_load_dword v3, v4, s[0:3], 0 offen offset:8
	;; [unrolled: 1-line block ×3, first 2 shown]
	s_waitcnt vmcnt(0)
	ds_write_b128 v98, v[1:4]
	s_waitcnt lgkmcnt(0)
	s_waitcnt_vscnt null, 0x0
	s_barrier
	buffer_gl0_inv
	v_cmpx_gt_u32_e32 19, v0
	s_cbranch_execz .LBB45_511
; %bb.504:
	ds_read_b128 v[1:4], v98
	v_cmp_ne_u32_e32 vcc_lo, 1, v99
	s_cbranch_vccnz .LBB45_506
; %bb.505:
	s_clause 0x3
	buffer_load_dword v100, v97, s[0:3], 0 offen offset:8
	buffer_load_dword v101, v97, s[0:3], 0 offen offset:12
	buffer_load_dword v104, v97, s[0:3], 0 offen
	buffer_load_dword v105, v97, s[0:3], 0 offen offset:4
	s_waitcnt vmcnt(2) lgkmcnt(0)
	v_mul_f64 v[106:107], v[3:4], v[100:101]
	v_mul_f64 v[100:101], v[1:2], v[100:101]
	s_waitcnt vmcnt(0)
	v_fma_f64 v[1:2], v[1:2], v[104:105], -v[106:107]
	v_fma_f64 v[3:4], v[3:4], v[104:105], v[100:101]
.LBB45_506:
	s_mov_b32 s6, exec_lo
	v_cmpx_ne_u32_e32 18, v0
	s_cbranch_execz .LBB45_510
; %bb.507:
	v_add_nc_u32_e32 v100, 0x2f0, v103
	v_add3_u32 v101, 0, v103, 16
	v_mov_b32_e32 v102, v0
	s_mov_b32 s8, 0
	.p2align	6
.LBB45_508:                             ; =>This Inner Loop Header: Depth=1
	s_clause 0x3
	buffer_load_dword v108, v101, s[0:3], 0 offen offset:8
	buffer_load_dword v109, v101, s[0:3], 0 offen offset:12
	buffer_load_dword v110, v101, s[0:3], 0 offen
	buffer_load_dword v111, v101, s[0:3], 0 offen offset:4
	ds_read_b128 v[104:107], v100
	v_add_nc_u32_e32 v102, 1, v102
	v_add_nc_u32_e32 v100, 16, v100
	;; [unrolled: 1-line block ×3, first 2 shown]
	v_cmp_lt_u32_e32 vcc_lo, 17, v102
	s_or_b32 s8, vcc_lo, s8
	s_waitcnt vmcnt(2) lgkmcnt(0)
	v_mul_f64 v[112:113], v[106:107], v[108:109]
	v_mul_f64 v[108:109], v[104:105], v[108:109]
	s_waitcnt vmcnt(0)
	v_fma_f64 v[104:105], v[104:105], v[110:111], -v[112:113]
	v_fma_f64 v[106:107], v[106:107], v[110:111], v[108:109]
	v_add_f64 v[1:2], v[1:2], v[104:105]
	v_add_f64 v[3:4], v[3:4], v[106:107]
	s_andn2_b32 exec_lo, exec_lo, s8
	s_cbranch_execnz .LBB45_508
; %bb.509:
	s_or_b32 exec_lo, exec_lo, s8
.LBB45_510:
	s_or_b32 exec_lo, exec_lo, s6
	v_mov_b32_e32 v100, 0
	ds_read_b128 v[104:107], v100 offset:304
	s_waitcnt lgkmcnt(0)
	v_mul_f64 v[100:101], v[3:4], v[106:107]
	v_mul_f64 v[106:107], v[1:2], v[106:107]
	v_fma_f64 v[1:2], v[1:2], v[104:105], -v[100:101]
	v_fma_f64 v[3:4], v[3:4], v[104:105], v[106:107]
	buffer_store_dword v2, off, s[0:3], 0 offset:308
	buffer_store_dword v1, off, s[0:3], 0 offset:304
	;; [unrolled: 1-line block ×4, first 2 shown]
.LBB45_511:
	s_or_b32 exec_lo, exec_lo, s4
	v_mov_b32_e32 v4, s34
	s_mov_b32 s4, exec_lo
	s_clause 0x3
	buffer_load_dword v1, v4, s[0:3], 0 offen
	buffer_load_dword v2, v4, s[0:3], 0 offen offset:4
	buffer_load_dword v3, v4, s[0:3], 0 offen offset:8
	;; [unrolled: 1-line block ×3, first 2 shown]
	s_waitcnt vmcnt(0)
	ds_write_b128 v98, v[1:4]
	s_waitcnt lgkmcnt(0)
	s_waitcnt_vscnt null, 0x0
	s_barrier
	buffer_gl0_inv
	v_cmpx_gt_u32_e32 20, v0
	s_cbranch_execz .LBB45_519
; %bb.512:
	ds_read_b128 v[1:4], v98
	v_cmp_ne_u32_e32 vcc_lo, 1, v99
	s_cbranch_vccnz .LBB45_514
; %bb.513:
	s_clause 0x3
	buffer_load_dword v100, v97, s[0:3], 0 offen offset:8
	buffer_load_dword v101, v97, s[0:3], 0 offen offset:12
	buffer_load_dword v104, v97, s[0:3], 0 offen
	buffer_load_dword v105, v97, s[0:3], 0 offen offset:4
	s_waitcnt vmcnt(2) lgkmcnt(0)
	v_mul_f64 v[106:107], v[3:4], v[100:101]
	v_mul_f64 v[100:101], v[1:2], v[100:101]
	s_waitcnt vmcnt(0)
	v_fma_f64 v[1:2], v[1:2], v[104:105], -v[106:107]
	v_fma_f64 v[3:4], v[3:4], v[104:105], v[100:101]
.LBB45_514:
	s_mov_b32 s6, exec_lo
	v_cmpx_ne_u32_e32 19, v0
	s_cbranch_execz .LBB45_518
; %bb.515:
	v_add_nc_u32_e32 v100, 0x2f0, v103
	v_add3_u32 v101, 0, v103, 16
	v_mov_b32_e32 v102, v0
	s_mov_b32 s8, 0
	.p2align	6
.LBB45_516:                             ; =>This Inner Loop Header: Depth=1
	s_clause 0x3
	buffer_load_dword v108, v101, s[0:3], 0 offen offset:8
	buffer_load_dword v109, v101, s[0:3], 0 offen offset:12
	buffer_load_dword v110, v101, s[0:3], 0 offen
	buffer_load_dword v111, v101, s[0:3], 0 offen offset:4
	ds_read_b128 v[104:107], v100
	v_add_nc_u32_e32 v102, 1, v102
	v_add_nc_u32_e32 v100, 16, v100
	;; [unrolled: 1-line block ×3, first 2 shown]
	v_cmp_lt_u32_e32 vcc_lo, 18, v102
	s_or_b32 s8, vcc_lo, s8
	s_waitcnt vmcnt(2) lgkmcnt(0)
	v_mul_f64 v[112:113], v[106:107], v[108:109]
	v_mul_f64 v[108:109], v[104:105], v[108:109]
	s_waitcnt vmcnt(0)
	v_fma_f64 v[104:105], v[104:105], v[110:111], -v[112:113]
	v_fma_f64 v[106:107], v[106:107], v[110:111], v[108:109]
	v_add_f64 v[1:2], v[1:2], v[104:105]
	v_add_f64 v[3:4], v[3:4], v[106:107]
	s_andn2_b32 exec_lo, exec_lo, s8
	s_cbranch_execnz .LBB45_516
; %bb.517:
	s_or_b32 exec_lo, exec_lo, s8
.LBB45_518:
	s_or_b32 exec_lo, exec_lo, s6
	v_mov_b32_e32 v100, 0
	ds_read_b128 v[104:107], v100 offset:320
	s_waitcnt lgkmcnt(0)
	v_mul_f64 v[100:101], v[3:4], v[106:107]
	v_mul_f64 v[106:107], v[1:2], v[106:107]
	v_fma_f64 v[1:2], v[1:2], v[104:105], -v[100:101]
	v_fma_f64 v[3:4], v[3:4], v[104:105], v[106:107]
	buffer_store_dword v2, off, s[0:3], 0 offset:324
	buffer_store_dword v1, off, s[0:3], 0 offset:320
	;; [unrolled: 1-line block ×4, first 2 shown]
.LBB45_519:
	s_or_b32 exec_lo, exec_lo, s4
	v_mov_b32_e32 v4, s33
	s_mov_b32 s4, exec_lo
	s_clause 0x3
	buffer_load_dword v1, v4, s[0:3], 0 offen
	buffer_load_dword v2, v4, s[0:3], 0 offen offset:4
	buffer_load_dword v3, v4, s[0:3], 0 offen offset:8
	;; [unrolled: 1-line block ×3, first 2 shown]
	s_waitcnt vmcnt(0)
	ds_write_b128 v98, v[1:4]
	s_waitcnt lgkmcnt(0)
	s_waitcnt_vscnt null, 0x0
	s_barrier
	buffer_gl0_inv
	v_cmpx_gt_u32_e32 21, v0
	s_cbranch_execz .LBB45_527
; %bb.520:
	ds_read_b128 v[1:4], v98
	v_cmp_ne_u32_e32 vcc_lo, 1, v99
	s_cbranch_vccnz .LBB45_522
; %bb.521:
	s_clause 0x3
	buffer_load_dword v100, v97, s[0:3], 0 offen offset:8
	buffer_load_dword v101, v97, s[0:3], 0 offen offset:12
	buffer_load_dword v104, v97, s[0:3], 0 offen
	buffer_load_dword v105, v97, s[0:3], 0 offen offset:4
	s_waitcnt vmcnt(2) lgkmcnt(0)
	v_mul_f64 v[106:107], v[3:4], v[100:101]
	v_mul_f64 v[100:101], v[1:2], v[100:101]
	s_waitcnt vmcnt(0)
	v_fma_f64 v[1:2], v[1:2], v[104:105], -v[106:107]
	v_fma_f64 v[3:4], v[3:4], v[104:105], v[100:101]
.LBB45_522:
	s_mov_b32 s6, exec_lo
	v_cmpx_ne_u32_e32 20, v0
	s_cbranch_execz .LBB45_526
; %bb.523:
	v_add_nc_u32_e32 v100, 0x2f0, v103
	v_add3_u32 v101, 0, v103, 16
	v_mov_b32_e32 v102, v0
	s_mov_b32 s8, 0
	.p2align	6
.LBB45_524:                             ; =>This Inner Loop Header: Depth=1
	s_clause 0x3
	buffer_load_dword v108, v101, s[0:3], 0 offen offset:8
	buffer_load_dword v109, v101, s[0:3], 0 offen offset:12
	buffer_load_dword v110, v101, s[0:3], 0 offen
	buffer_load_dword v111, v101, s[0:3], 0 offen offset:4
	ds_read_b128 v[104:107], v100
	v_add_nc_u32_e32 v102, 1, v102
	v_add_nc_u32_e32 v100, 16, v100
	;; [unrolled: 1-line block ×3, first 2 shown]
	v_cmp_lt_u32_e32 vcc_lo, 19, v102
	s_or_b32 s8, vcc_lo, s8
	s_waitcnt vmcnt(2) lgkmcnt(0)
	v_mul_f64 v[112:113], v[106:107], v[108:109]
	v_mul_f64 v[108:109], v[104:105], v[108:109]
	s_waitcnt vmcnt(0)
	v_fma_f64 v[104:105], v[104:105], v[110:111], -v[112:113]
	v_fma_f64 v[106:107], v[106:107], v[110:111], v[108:109]
	v_add_f64 v[1:2], v[1:2], v[104:105]
	v_add_f64 v[3:4], v[3:4], v[106:107]
	s_andn2_b32 exec_lo, exec_lo, s8
	s_cbranch_execnz .LBB45_524
; %bb.525:
	s_or_b32 exec_lo, exec_lo, s8
.LBB45_526:
	s_or_b32 exec_lo, exec_lo, s6
	v_mov_b32_e32 v100, 0
	ds_read_b128 v[104:107], v100 offset:336
	s_waitcnt lgkmcnt(0)
	v_mul_f64 v[100:101], v[3:4], v[106:107]
	v_mul_f64 v[106:107], v[1:2], v[106:107]
	v_fma_f64 v[1:2], v[1:2], v[104:105], -v[100:101]
	v_fma_f64 v[3:4], v[3:4], v[104:105], v[106:107]
	buffer_store_dword v2, off, s[0:3], 0 offset:340
	buffer_store_dword v1, off, s[0:3], 0 offset:336
	;; [unrolled: 1-line block ×4, first 2 shown]
.LBB45_527:
	s_or_b32 exec_lo, exec_lo, s4
	v_mov_b32_e32 v4, s31
	s_mov_b32 s4, exec_lo
	s_clause 0x3
	buffer_load_dword v1, v4, s[0:3], 0 offen
	buffer_load_dword v2, v4, s[0:3], 0 offen offset:4
	buffer_load_dword v3, v4, s[0:3], 0 offen offset:8
	;; [unrolled: 1-line block ×3, first 2 shown]
	s_waitcnt vmcnt(0)
	ds_write_b128 v98, v[1:4]
	s_waitcnt lgkmcnt(0)
	s_waitcnt_vscnt null, 0x0
	s_barrier
	buffer_gl0_inv
	v_cmpx_gt_u32_e32 22, v0
	s_cbranch_execz .LBB45_535
; %bb.528:
	ds_read_b128 v[1:4], v98
	v_cmp_ne_u32_e32 vcc_lo, 1, v99
	s_cbranch_vccnz .LBB45_530
; %bb.529:
	s_clause 0x3
	buffer_load_dword v100, v97, s[0:3], 0 offen offset:8
	buffer_load_dword v101, v97, s[0:3], 0 offen offset:12
	buffer_load_dword v104, v97, s[0:3], 0 offen
	buffer_load_dword v105, v97, s[0:3], 0 offen offset:4
	s_waitcnt vmcnt(2) lgkmcnt(0)
	v_mul_f64 v[106:107], v[3:4], v[100:101]
	v_mul_f64 v[100:101], v[1:2], v[100:101]
	s_waitcnt vmcnt(0)
	v_fma_f64 v[1:2], v[1:2], v[104:105], -v[106:107]
	v_fma_f64 v[3:4], v[3:4], v[104:105], v[100:101]
.LBB45_530:
	s_mov_b32 s6, exec_lo
	v_cmpx_ne_u32_e32 21, v0
	s_cbranch_execz .LBB45_534
; %bb.531:
	v_add_nc_u32_e32 v100, 0x2f0, v103
	v_add3_u32 v101, 0, v103, 16
	v_mov_b32_e32 v102, v0
	s_mov_b32 s8, 0
	.p2align	6
.LBB45_532:                             ; =>This Inner Loop Header: Depth=1
	s_clause 0x3
	buffer_load_dword v108, v101, s[0:3], 0 offen offset:8
	buffer_load_dword v109, v101, s[0:3], 0 offen offset:12
	buffer_load_dword v110, v101, s[0:3], 0 offen
	buffer_load_dword v111, v101, s[0:3], 0 offen offset:4
	ds_read_b128 v[104:107], v100
	v_add_nc_u32_e32 v102, 1, v102
	v_add_nc_u32_e32 v100, 16, v100
	;; [unrolled: 1-line block ×3, first 2 shown]
	v_cmp_lt_u32_e32 vcc_lo, 20, v102
	s_or_b32 s8, vcc_lo, s8
	s_waitcnt vmcnt(2) lgkmcnt(0)
	v_mul_f64 v[112:113], v[106:107], v[108:109]
	v_mul_f64 v[108:109], v[104:105], v[108:109]
	s_waitcnt vmcnt(0)
	v_fma_f64 v[104:105], v[104:105], v[110:111], -v[112:113]
	v_fma_f64 v[106:107], v[106:107], v[110:111], v[108:109]
	v_add_f64 v[1:2], v[1:2], v[104:105]
	v_add_f64 v[3:4], v[3:4], v[106:107]
	s_andn2_b32 exec_lo, exec_lo, s8
	s_cbranch_execnz .LBB45_532
; %bb.533:
	s_or_b32 exec_lo, exec_lo, s8
.LBB45_534:
	s_or_b32 exec_lo, exec_lo, s6
	v_mov_b32_e32 v100, 0
	ds_read_b128 v[104:107], v100 offset:352
	s_waitcnt lgkmcnt(0)
	v_mul_f64 v[100:101], v[3:4], v[106:107]
	v_mul_f64 v[106:107], v[1:2], v[106:107]
	v_fma_f64 v[1:2], v[1:2], v[104:105], -v[100:101]
	v_fma_f64 v[3:4], v[3:4], v[104:105], v[106:107]
	buffer_store_dword v2, off, s[0:3], 0 offset:356
	buffer_store_dword v1, off, s[0:3], 0 offset:352
	;; [unrolled: 1-line block ×4, first 2 shown]
.LBB45_535:
	s_or_b32 exec_lo, exec_lo, s4
	v_mov_b32_e32 v4, s30
	s_mov_b32 s4, exec_lo
	s_clause 0x3
	buffer_load_dword v1, v4, s[0:3], 0 offen
	buffer_load_dword v2, v4, s[0:3], 0 offen offset:4
	buffer_load_dword v3, v4, s[0:3], 0 offen offset:8
	buffer_load_dword v4, v4, s[0:3], 0 offen offset:12
	s_waitcnt vmcnt(0)
	ds_write_b128 v98, v[1:4]
	s_waitcnt lgkmcnt(0)
	s_waitcnt_vscnt null, 0x0
	s_barrier
	buffer_gl0_inv
	v_cmpx_gt_u32_e32 23, v0
	s_cbranch_execz .LBB45_543
; %bb.536:
	ds_read_b128 v[1:4], v98
	v_cmp_ne_u32_e32 vcc_lo, 1, v99
	s_cbranch_vccnz .LBB45_538
; %bb.537:
	s_clause 0x3
	buffer_load_dword v100, v97, s[0:3], 0 offen offset:8
	buffer_load_dword v101, v97, s[0:3], 0 offen offset:12
	buffer_load_dword v104, v97, s[0:3], 0 offen
	buffer_load_dword v105, v97, s[0:3], 0 offen offset:4
	s_waitcnt vmcnt(2) lgkmcnt(0)
	v_mul_f64 v[106:107], v[3:4], v[100:101]
	v_mul_f64 v[100:101], v[1:2], v[100:101]
	s_waitcnt vmcnt(0)
	v_fma_f64 v[1:2], v[1:2], v[104:105], -v[106:107]
	v_fma_f64 v[3:4], v[3:4], v[104:105], v[100:101]
.LBB45_538:
	s_mov_b32 s6, exec_lo
	v_cmpx_ne_u32_e32 22, v0
	s_cbranch_execz .LBB45_542
; %bb.539:
	v_add_nc_u32_e32 v100, 0x2f0, v103
	v_add3_u32 v101, 0, v103, 16
	v_mov_b32_e32 v102, v0
	s_mov_b32 s8, 0
	.p2align	6
.LBB45_540:                             ; =>This Inner Loop Header: Depth=1
	s_clause 0x3
	buffer_load_dword v108, v101, s[0:3], 0 offen offset:8
	buffer_load_dword v109, v101, s[0:3], 0 offen offset:12
	buffer_load_dword v110, v101, s[0:3], 0 offen
	buffer_load_dword v111, v101, s[0:3], 0 offen offset:4
	ds_read_b128 v[104:107], v100
	v_add_nc_u32_e32 v102, 1, v102
	v_add_nc_u32_e32 v100, 16, v100
	;; [unrolled: 1-line block ×3, first 2 shown]
	v_cmp_lt_u32_e32 vcc_lo, 21, v102
	s_or_b32 s8, vcc_lo, s8
	s_waitcnt vmcnt(2) lgkmcnt(0)
	v_mul_f64 v[112:113], v[106:107], v[108:109]
	v_mul_f64 v[108:109], v[104:105], v[108:109]
	s_waitcnt vmcnt(0)
	v_fma_f64 v[104:105], v[104:105], v[110:111], -v[112:113]
	v_fma_f64 v[106:107], v[106:107], v[110:111], v[108:109]
	v_add_f64 v[1:2], v[1:2], v[104:105]
	v_add_f64 v[3:4], v[3:4], v[106:107]
	s_andn2_b32 exec_lo, exec_lo, s8
	s_cbranch_execnz .LBB45_540
; %bb.541:
	s_or_b32 exec_lo, exec_lo, s8
.LBB45_542:
	s_or_b32 exec_lo, exec_lo, s6
	v_mov_b32_e32 v100, 0
	ds_read_b128 v[104:107], v100 offset:368
	s_waitcnt lgkmcnt(0)
	v_mul_f64 v[100:101], v[3:4], v[106:107]
	v_mul_f64 v[106:107], v[1:2], v[106:107]
	v_fma_f64 v[1:2], v[1:2], v[104:105], -v[100:101]
	v_fma_f64 v[3:4], v[3:4], v[104:105], v[106:107]
	buffer_store_dword v2, off, s[0:3], 0 offset:372
	buffer_store_dword v1, off, s[0:3], 0 offset:368
	;; [unrolled: 1-line block ×4, first 2 shown]
.LBB45_543:
	s_or_b32 exec_lo, exec_lo, s4
	v_mov_b32_e32 v4, s29
	s_mov_b32 s4, exec_lo
	s_clause 0x3
	buffer_load_dword v1, v4, s[0:3], 0 offen
	buffer_load_dword v2, v4, s[0:3], 0 offen offset:4
	buffer_load_dword v3, v4, s[0:3], 0 offen offset:8
	;; [unrolled: 1-line block ×3, first 2 shown]
	s_waitcnt vmcnt(0)
	ds_write_b128 v98, v[1:4]
	s_waitcnt lgkmcnt(0)
	s_waitcnt_vscnt null, 0x0
	s_barrier
	buffer_gl0_inv
	v_cmpx_gt_u32_e32 24, v0
	s_cbranch_execz .LBB45_551
; %bb.544:
	ds_read_b128 v[1:4], v98
	v_cmp_ne_u32_e32 vcc_lo, 1, v99
	s_cbranch_vccnz .LBB45_546
; %bb.545:
	s_clause 0x3
	buffer_load_dword v100, v97, s[0:3], 0 offen offset:8
	buffer_load_dword v101, v97, s[0:3], 0 offen offset:12
	buffer_load_dword v104, v97, s[0:3], 0 offen
	buffer_load_dword v105, v97, s[0:3], 0 offen offset:4
	s_waitcnt vmcnt(2) lgkmcnt(0)
	v_mul_f64 v[106:107], v[3:4], v[100:101]
	v_mul_f64 v[100:101], v[1:2], v[100:101]
	s_waitcnt vmcnt(0)
	v_fma_f64 v[1:2], v[1:2], v[104:105], -v[106:107]
	v_fma_f64 v[3:4], v[3:4], v[104:105], v[100:101]
.LBB45_546:
	s_mov_b32 s6, exec_lo
	v_cmpx_ne_u32_e32 23, v0
	s_cbranch_execz .LBB45_550
; %bb.547:
	v_add_nc_u32_e32 v100, 0x2f0, v103
	v_add3_u32 v101, 0, v103, 16
	v_mov_b32_e32 v102, v0
	s_mov_b32 s8, 0
	.p2align	6
.LBB45_548:                             ; =>This Inner Loop Header: Depth=1
	s_clause 0x3
	buffer_load_dword v108, v101, s[0:3], 0 offen offset:8
	buffer_load_dword v109, v101, s[0:3], 0 offen offset:12
	buffer_load_dword v110, v101, s[0:3], 0 offen
	buffer_load_dword v111, v101, s[0:3], 0 offen offset:4
	ds_read_b128 v[104:107], v100
	v_add_nc_u32_e32 v102, 1, v102
	v_add_nc_u32_e32 v100, 16, v100
	;; [unrolled: 1-line block ×3, first 2 shown]
	v_cmp_lt_u32_e32 vcc_lo, 22, v102
	s_or_b32 s8, vcc_lo, s8
	s_waitcnt vmcnt(2) lgkmcnt(0)
	v_mul_f64 v[112:113], v[106:107], v[108:109]
	v_mul_f64 v[108:109], v[104:105], v[108:109]
	s_waitcnt vmcnt(0)
	v_fma_f64 v[104:105], v[104:105], v[110:111], -v[112:113]
	v_fma_f64 v[106:107], v[106:107], v[110:111], v[108:109]
	v_add_f64 v[1:2], v[1:2], v[104:105]
	v_add_f64 v[3:4], v[3:4], v[106:107]
	s_andn2_b32 exec_lo, exec_lo, s8
	s_cbranch_execnz .LBB45_548
; %bb.549:
	s_or_b32 exec_lo, exec_lo, s8
.LBB45_550:
	s_or_b32 exec_lo, exec_lo, s6
	v_mov_b32_e32 v100, 0
	ds_read_b128 v[104:107], v100 offset:384
	s_waitcnt lgkmcnt(0)
	v_mul_f64 v[100:101], v[3:4], v[106:107]
	v_mul_f64 v[106:107], v[1:2], v[106:107]
	v_fma_f64 v[1:2], v[1:2], v[104:105], -v[100:101]
	v_fma_f64 v[3:4], v[3:4], v[104:105], v[106:107]
	buffer_store_dword v2, off, s[0:3], 0 offset:388
	buffer_store_dword v1, off, s[0:3], 0 offset:384
	;; [unrolled: 1-line block ×4, first 2 shown]
.LBB45_551:
	s_or_b32 exec_lo, exec_lo, s4
	v_mov_b32_e32 v4, s28
	s_mov_b32 s4, exec_lo
	s_clause 0x3
	buffer_load_dword v1, v4, s[0:3], 0 offen
	buffer_load_dword v2, v4, s[0:3], 0 offen offset:4
	buffer_load_dword v3, v4, s[0:3], 0 offen offset:8
	;; [unrolled: 1-line block ×3, first 2 shown]
	s_waitcnt vmcnt(0)
	ds_write_b128 v98, v[1:4]
	s_waitcnt lgkmcnt(0)
	s_waitcnt_vscnt null, 0x0
	s_barrier
	buffer_gl0_inv
	v_cmpx_gt_u32_e32 25, v0
	s_cbranch_execz .LBB45_559
; %bb.552:
	ds_read_b128 v[1:4], v98
	v_cmp_ne_u32_e32 vcc_lo, 1, v99
	s_cbranch_vccnz .LBB45_554
; %bb.553:
	s_clause 0x3
	buffer_load_dword v100, v97, s[0:3], 0 offen offset:8
	buffer_load_dword v101, v97, s[0:3], 0 offen offset:12
	buffer_load_dword v104, v97, s[0:3], 0 offen
	buffer_load_dword v105, v97, s[0:3], 0 offen offset:4
	s_waitcnt vmcnt(2) lgkmcnt(0)
	v_mul_f64 v[106:107], v[3:4], v[100:101]
	v_mul_f64 v[100:101], v[1:2], v[100:101]
	s_waitcnt vmcnt(0)
	v_fma_f64 v[1:2], v[1:2], v[104:105], -v[106:107]
	v_fma_f64 v[3:4], v[3:4], v[104:105], v[100:101]
.LBB45_554:
	s_mov_b32 s6, exec_lo
	v_cmpx_ne_u32_e32 24, v0
	s_cbranch_execz .LBB45_558
; %bb.555:
	v_add_nc_u32_e32 v100, 0x2f0, v103
	v_add3_u32 v101, 0, v103, 16
	v_mov_b32_e32 v102, v0
	s_mov_b32 s8, 0
	.p2align	6
.LBB45_556:                             ; =>This Inner Loop Header: Depth=1
	s_clause 0x3
	buffer_load_dword v108, v101, s[0:3], 0 offen offset:8
	buffer_load_dword v109, v101, s[0:3], 0 offen offset:12
	buffer_load_dword v110, v101, s[0:3], 0 offen
	buffer_load_dword v111, v101, s[0:3], 0 offen offset:4
	ds_read_b128 v[104:107], v100
	v_add_nc_u32_e32 v102, 1, v102
	v_add_nc_u32_e32 v100, 16, v100
	;; [unrolled: 1-line block ×3, first 2 shown]
	v_cmp_lt_u32_e32 vcc_lo, 23, v102
	s_or_b32 s8, vcc_lo, s8
	s_waitcnt vmcnt(2) lgkmcnt(0)
	v_mul_f64 v[112:113], v[106:107], v[108:109]
	v_mul_f64 v[108:109], v[104:105], v[108:109]
	s_waitcnt vmcnt(0)
	v_fma_f64 v[104:105], v[104:105], v[110:111], -v[112:113]
	v_fma_f64 v[106:107], v[106:107], v[110:111], v[108:109]
	v_add_f64 v[1:2], v[1:2], v[104:105]
	v_add_f64 v[3:4], v[3:4], v[106:107]
	s_andn2_b32 exec_lo, exec_lo, s8
	s_cbranch_execnz .LBB45_556
; %bb.557:
	s_or_b32 exec_lo, exec_lo, s8
.LBB45_558:
	s_or_b32 exec_lo, exec_lo, s6
	v_mov_b32_e32 v100, 0
	ds_read_b128 v[104:107], v100 offset:400
	s_waitcnt lgkmcnt(0)
	v_mul_f64 v[100:101], v[3:4], v[106:107]
	v_mul_f64 v[106:107], v[1:2], v[106:107]
	v_fma_f64 v[1:2], v[1:2], v[104:105], -v[100:101]
	v_fma_f64 v[3:4], v[3:4], v[104:105], v[106:107]
	buffer_store_dword v2, off, s[0:3], 0 offset:404
	buffer_store_dword v1, off, s[0:3], 0 offset:400
	;; [unrolled: 1-line block ×4, first 2 shown]
.LBB45_559:
	s_or_b32 exec_lo, exec_lo, s4
	v_mov_b32_e32 v4, s27
	s_mov_b32 s4, exec_lo
	s_clause 0x3
	buffer_load_dword v1, v4, s[0:3], 0 offen
	buffer_load_dword v2, v4, s[0:3], 0 offen offset:4
	buffer_load_dword v3, v4, s[0:3], 0 offen offset:8
	;; [unrolled: 1-line block ×3, first 2 shown]
	s_waitcnt vmcnt(0)
	ds_write_b128 v98, v[1:4]
	s_waitcnt lgkmcnt(0)
	s_waitcnt_vscnt null, 0x0
	s_barrier
	buffer_gl0_inv
	v_cmpx_gt_u32_e32 26, v0
	s_cbranch_execz .LBB45_567
; %bb.560:
	ds_read_b128 v[1:4], v98
	v_cmp_ne_u32_e32 vcc_lo, 1, v99
	s_cbranch_vccnz .LBB45_562
; %bb.561:
	s_clause 0x3
	buffer_load_dword v100, v97, s[0:3], 0 offen offset:8
	buffer_load_dword v101, v97, s[0:3], 0 offen offset:12
	buffer_load_dword v104, v97, s[0:3], 0 offen
	buffer_load_dword v105, v97, s[0:3], 0 offen offset:4
	s_waitcnt vmcnt(2) lgkmcnt(0)
	v_mul_f64 v[106:107], v[3:4], v[100:101]
	v_mul_f64 v[100:101], v[1:2], v[100:101]
	s_waitcnt vmcnt(0)
	v_fma_f64 v[1:2], v[1:2], v[104:105], -v[106:107]
	v_fma_f64 v[3:4], v[3:4], v[104:105], v[100:101]
.LBB45_562:
	s_mov_b32 s6, exec_lo
	v_cmpx_ne_u32_e32 25, v0
	s_cbranch_execz .LBB45_566
; %bb.563:
	v_add_nc_u32_e32 v100, 0x2f0, v103
	v_add3_u32 v101, 0, v103, 16
	v_mov_b32_e32 v102, v0
	s_mov_b32 s8, 0
	.p2align	6
.LBB45_564:                             ; =>This Inner Loop Header: Depth=1
	s_clause 0x3
	buffer_load_dword v108, v101, s[0:3], 0 offen offset:8
	buffer_load_dword v109, v101, s[0:3], 0 offen offset:12
	buffer_load_dword v110, v101, s[0:3], 0 offen
	buffer_load_dword v111, v101, s[0:3], 0 offen offset:4
	ds_read_b128 v[104:107], v100
	v_add_nc_u32_e32 v102, 1, v102
	v_add_nc_u32_e32 v100, 16, v100
	;; [unrolled: 1-line block ×3, first 2 shown]
	v_cmp_lt_u32_e32 vcc_lo, 24, v102
	s_or_b32 s8, vcc_lo, s8
	s_waitcnt vmcnt(2) lgkmcnt(0)
	v_mul_f64 v[112:113], v[106:107], v[108:109]
	v_mul_f64 v[108:109], v[104:105], v[108:109]
	s_waitcnt vmcnt(0)
	v_fma_f64 v[104:105], v[104:105], v[110:111], -v[112:113]
	v_fma_f64 v[106:107], v[106:107], v[110:111], v[108:109]
	v_add_f64 v[1:2], v[1:2], v[104:105]
	v_add_f64 v[3:4], v[3:4], v[106:107]
	s_andn2_b32 exec_lo, exec_lo, s8
	s_cbranch_execnz .LBB45_564
; %bb.565:
	s_or_b32 exec_lo, exec_lo, s8
.LBB45_566:
	s_or_b32 exec_lo, exec_lo, s6
	v_mov_b32_e32 v100, 0
	ds_read_b128 v[104:107], v100 offset:416
	s_waitcnt lgkmcnt(0)
	v_mul_f64 v[100:101], v[3:4], v[106:107]
	v_mul_f64 v[106:107], v[1:2], v[106:107]
	v_fma_f64 v[1:2], v[1:2], v[104:105], -v[100:101]
	v_fma_f64 v[3:4], v[3:4], v[104:105], v[106:107]
	buffer_store_dword v2, off, s[0:3], 0 offset:420
	buffer_store_dword v1, off, s[0:3], 0 offset:416
	;; [unrolled: 1-line block ×4, first 2 shown]
.LBB45_567:
	s_or_b32 exec_lo, exec_lo, s4
	v_mov_b32_e32 v4, s26
	s_mov_b32 s4, exec_lo
	s_clause 0x3
	buffer_load_dword v1, v4, s[0:3], 0 offen
	buffer_load_dword v2, v4, s[0:3], 0 offen offset:4
	buffer_load_dword v3, v4, s[0:3], 0 offen offset:8
	;; [unrolled: 1-line block ×3, first 2 shown]
	s_waitcnt vmcnt(0)
	ds_write_b128 v98, v[1:4]
	s_waitcnt lgkmcnt(0)
	s_waitcnt_vscnt null, 0x0
	s_barrier
	buffer_gl0_inv
	v_cmpx_gt_u32_e32 27, v0
	s_cbranch_execz .LBB45_575
; %bb.568:
	ds_read_b128 v[1:4], v98
	v_cmp_ne_u32_e32 vcc_lo, 1, v99
	s_cbranch_vccnz .LBB45_570
; %bb.569:
	s_clause 0x3
	buffer_load_dword v100, v97, s[0:3], 0 offen offset:8
	buffer_load_dword v101, v97, s[0:3], 0 offen offset:12
	buffer_load_dword v104, v97, s[0:3], 0 offen
	buffer_load_dword v105, v97, s[0:3], 0 offen offset:4
	s_waitcnt vmcnt(2) lgkmcnt(0)
	v_mul_f64 v[106:107], v[3:4], v[100:101]
	v_mul_f64 v[100:101], v[1:2], v[100:101]
	s_waitcnt vmcnt(0)
	v_fma_f64 v[1:2], v[1:2], v[104:105], -v[106:107]
	v_fma_f64 v[3:4], v[3:4], v[104:105], v[100:101]
.LBB45_570:
	s_mov_b32 s6, exec_lo
	v_cmpx_ne_u32_e32 26, v0
	s_cbranch_execz .LBB45_574
; %bb.571:
	v_add_nc_u32_e32 v100, 0x2f0, v103
	v_add3_u32 v101, 0, v103, 16
	v_mov_b32_e32 v102, v0
	s_mov_b32 s8, 0
	.p2align	6
.LBB45_572:                             ; =>This Inner Loop Header: Depth=1
	s_clause 0x3
	buffer_load_dword v108, v101, s[0:3], 0 offen offset:8
	buffer_load_dword v109, v101, s[0:3], 0 offen offset:12
	buffer_load_dword v110, v101, s[0:3], 0 offen
	buffer_load_dword v111, v101, s[0:3], 0 offen offset:4
	ds_read_b128 v[104:107], v100
	v_add_nc_u32_e32 v102, 1, v102
	v_add_nc_u32_e32 v100, 16, v100
	;; [unrolled: 1-line block ×3, first 2 shown]
	v_cmp_lt_u32_e32 vcc_lo, 25, v102
	s_or_b32 s8, vcc_lo, s8
	s_waitcnt vmcnt(2) lgkmcnt(0)
	v_mul_f64 v[112:113], v[106:107], v[108:109]
	v_mul_f64 v[108:109], v[104:105], v[108:109]
	s_waitcnt vmcnt(0)
	v_fma_f64 v[104:105], v[104:105], v[110:111], -v[112:113]
	v_fma_f64 v[106:107], v[106:107], v[110:111], v[108:109]
	v_add_f64 v[1:2], v[1:2], v[104:105]
	v_add_f64 v[3:4], v[3:4], v[106:107]
	s_andn2_b32 exec_lo, exec_lo, s8
	s_cbranch_execnz .LBB45_572
; %bb.573:
	s_or_b32 exec_lo, exec_lo, s8
.LBB45_574:
	s_or_b32 exec_lo, exec_lo, s6
	v_mov_b32_e32 v100, 0
	ds_read_b128 v[104:107], v100 offset:432
	s_waitcnt lgkmcnt(0)
	v_mul_f64 v[100:101], v[3:4], v[106:107]
	v_mul_f64 v[106:107], v[1:2], v[106:107]
	v_fma_f64 v[1:2], v[1:2], v[104:105], -v[100:101]
	v_fma_f64 v[3:4], v[3:4], v[104:105], v[106:107]
	buffer_store_dword v2, off, s[0:3], 0 offset:436
	buffer_store_dword v1, off, s[0:3], 0 offset:432
	;; [unrolled: 1-line block ×4, first 2 shown]
.LBB45_575:
	s_or_b32 exec_lo, exec_lo, s4
	v_mov_b32_e32 v4, s25
	s_mov_b32 s4, exec_lo
	s_clause 0x3
	buffer_load_dword v1, v4, s[0:3], 0 offen
	buffer_load_dword v2, v4, s[0:3], 0 offen offset:4
	buffer_load_dword v3, v4, s[0:3], 0 offen offset:8
	;; [unrolled: 1-line block ×3, first 2 shown]
	s_waitcnt vmcnt(0)
	ds_write_b128 v98, v[1:4]
	s_waitcnt lgkmcnt(0)
	s_waitcnt_vscnt null, 0x0
	s_barrier
	buffer_gl0_inv
	v_cmpx_gt_u32_e32 28, v0
	s_cbranch_execz .LBB45_583
; %bb.576:
	ds_read_b128 v[1:4], v98
	v_cmp_ne_u32_e32 vcc_lo, 1, v99
	s_cbranch_vccnz .LBB45_578
; %bb.577:
	s_clause 0x3
	buffer_load_dword v100, v97, s[0:3], 0 offen offset:8
	buffer_load_dword v101, v97, s[0:3], 0 offen offset:12
	buffer_load_dword v104, v97, s[0:3], 0 offen
	buffer_load_dword v105, v97, s[0:3], 0 offen offset:4
	s_waitcnt vmcnt(2) lgkmcnt(0)
	v_mul_f64 v[106:107], v[3:4], v[100:101]
	v_mul_f64 v[100:101], v[1:2], v[100:101]
	s_waitcnt vmcnt(0)
	v_fma_f64 v[1:2], v[1:2], v[104:105], -v[106:107]
	v_fma_f64 v[3:4], v[3:4], v[104:105], v[100:101]
.LBB45_578:
	s_mov_b32 s6, exec_lo
	v_cmpx_ne_u32_e32 27, v0
	s_cbranch_execz .LBB45_582
; %bb.579:
	v_add_nc_u32_e32 v100, 0x2f0, v103
	v_add3_u32 v101, 0, v103, 16
	v_mov_b32_e32 v102, v0
	s_mov_b32 s8, 0
	.p2align	6
.LBB45_580:                             ; =>This Inner Loop Header: Depth=1
	s_clause 0x3
	buffer_load_dword v108, v101, s[0:3], 0 offen offset:8
	buffer_load_dword v109, v101, s[0:3], 0 offen offset:12
	buffer_load_dword v110, v101, s[0:3], 0 offen
	buffer_load_dword v111, v101, s[0:3], 0 offen offset:4
	ds_read_b128 v[104:107], v100
	v_add_nc_u32_e32 v102, 1, v102
	v_add_nc_u32_e32 v100, 16, v100
	;; [unrolled: 1-line block ×3, first 2 shown]
	v_cmp_lt_u32_e32 vcc_lo, 26, v102
	s_or_b32 s8, vcc_lo, s8
	s_waitcnt vmcnt(2) lgkmcnt(0)
	v_mul_f64 v[112:113], v[106:107], v[108:109]
	v_mul_f64 v[108:109], v[104:105], v[108:109]
	s_waitcnt vmcnt(0)
	v_fma_f64 v[104:105], v[104:105], v[110:111], -v[112:113]
	v_fma_f64 v[106:107], v[106:107], v[110:111], v[108:109]
	v_add_f64 v[1:2], v[1:2], v[104:105]
	v_add_f64 v[3:4], v[3:4], v[106:107]
	s_andn2_b32 exec_lo, exec_lo, s8
	s_cbranch_execnz .LBB45_580
; %bb.581:
	s_or_b32 exec_lo, exec_lo, s8
.LBB45_582:
	s_or_b32 exec_lo, exec_lo, s6
	v_mov_b32_e32 v100, 0
	ds_read_b128 v[104:107], v100 offset:448
	s_waitcnt lgkmcnt(0)
	v_mul_f64 v[100:101], v[3:4], v[106:107]
	v_mul_f64 v[106:107], v[1:2], v[106:107]
	v_fma_f64 v[1:2], v[1:2], v[104:105], -v[100:101]
	v_fma_f64 v[3:4], v[3:4], v[104:105], v[106:107]
	buffer_store_dword v2, off, s[0:3], 0 offset:452
	buffer_store_dword v1, off, s[0:3], 0 offset:448
	;; [unrolled: 1-line block ×4, first 2 shown]
.LBB45_583:
	s_or_b32 exec_lo, exec_lo, s4
	v_mov_b32_e32 v4, s24
	s_mov_b32 s4, exec_lo
	s_clause 0x3
	buffer_load_dword v1, v4, s[0:3], 0 offen
	buffer_load_dword v2, v4, s[0:3], 0 offen offset:4
	buffer_load_dword v3, v4, s[0:3], 0 offen offset:8
	;; [unrolled: 1-line block ×3, first 2 shown]
	s_waitcnt vmcnt(0)
	ds_write_b128 v98, v[1:4]
	s_waitcnt lgkmcnt(0)
	s_waitcnt_vscnt null, 0x0
	s_barrier
	buffer_gl0_inv
	v_cmpx_gt_u32_e32 29, v0
	s_cbranch_execz .LBB45_591
; %bb.584:
	ds_read_b128 v[1:4], v98
	v_cmp_ne_u32_e32 vcc_lo, 1, v99
	s_cbranch_vccnz .LBB45_586
; %bb.585:
	s_clause 0x3
	buffer_load_dword v100, v97, s[0:3], 0 offen offset:8
	buffer_load_dword v101, v97, s[0:3], 0 offen offset:12
	buffer_load_dword v104, v97, s[0:3], 0 offen
	buffer_load_dword v105, v97, s[0:3], 0 offen offset:4
	s_waitcnt vmcnt(2) lgkmcnt(0)
	v_mul_f64 v[106:107], v[3:4], v[100:101]
	v_mul_f64 v[100:101], v[1:2], v[100:101]
	s_waitcnt vmcnt(0)
	v_fma_f64 v[1:2], v[1:2], v[104:105], -v[106:107]
	v_fma_f64 v[3:4], v[3:4], v[104:105], v[100:101]
.LBB45_586:
	s_mov_b32 s6, exec_lo
	v_cmpx_ne_u32_e32 28, v0
	s_cbranch_execz .LBB45_590
; %bb.587:
	v_add_nc_u32_e32 v100, 0x2f0, v103
	v_add3_u32 v101, 0, v103, 16
	v_mov_b32_e32 v102, v0
	s_mov_b32 s8, 0
	.p2align	6
.LBB45_588:                             ; =>This Inner Loop Header: Depth=1
	s_clause 0x3
	buffer_load_dword v108, v101, s[0:3], 0 offen offset:8
	buffer_load_dword v109, v101, s[0:3], 0 offen offset:12
	buffer_load_dword v110, v101, s[0:3], 0 offen
	buffer_load_dword v111, v101, s[0:3], 0 offen offset:4
	ds_read_b128 v[104:107], v100
	v_add_nc_u32_e32 v102, 1, v102
	v_add_nc_u32_e32 v100, 16, v100
	;; [unrolled: 1-line block ×3, first 2 shown]
	v_cmp_lt_u32_e32 vcc_lo, 27, v102
	s_or_b32 s8, vcc_lo, s8
	s_waitcnt vmcnt(2) lgkmcnt(0)
	v_mul_f64 v[112:113], v[106:107], v[108:109]
	v_mul_f64 v[108:109], v[104:105], v[108:109]
	s_waitcnt vmcnt(0)
	v_fma_f64 v[104:105], v[104:105], v[110:111], -v[112:113]
	v_fma_f64 v[106:107], v[106:107], v[110:111], v[108:109]
	v_add_f64 v[1:2], v[1:2], v[104:105]
	v_add_f64 v[3:4], v[3:4], v[106:107]
	s_andn2_b32 exec_lo, exec_lo, s8
	s_cbranch_execnz .LBB45_588
; %bb.589:
	s_or_b32 exec_lo, exec_lo, s8
.LBB45_590:
	s_or_b32 exec_lo, exec_lo, s6
	v_mov_b32_e32 v100, 0
	ds_read_b128 v[104:107], v100 offset:464
	s_waitcnt lgkmcnt(0)
	v_mul_f64 v[100:101], v[3:4], v[106:107]
	v_mul_f64 v[106:107], v[1:2], v[106:107]
	v_fma_f64 v[1:2], v[1:2], v[104:105], -v[100:101]
	v_fma_f64 v[3:4], v[3:4], v[104:105], v[106:107]
	buffer_store_dword v2, off, s[0:3], 0 offset:468
	buffer_store_dword v1, off, s[0:3], 0 offset:464
	;; [unrolled: 1-line block ×4, first 2 shown]
.LBB45_591:
	s_or_b32 exec_lo, exec_lo, s4
	v_mov_b32_e32 v4, s23
	s_mov_b32 s4, exec_lo
	s_clause 0x3
	buffer_load_dword v1, v4, s[0:3], 0 offen
	buffer_load_dword v2, v4, s[0:3], 0 offen offset:4
	buffer_load_dword v3, v4, s[0:3], 0 offen offset:8
	;; [unrolled: 1-line block ×3, first 2 shown]
	s_waitcnt vmcnt(0)
	ds_write_b128 v98, v[1:4]
	s_waitcnt lgkmcnt(0)
	s_waitcnt_vscnt null, 0x0
	s_barrier
	buffer_gl0_inv
	v_cmpx_gt_u32_e32 30, v0
	s_cbranch_execz .LBB45_599
; %bb.592:
	ds_read_b128 v[1:4], v98
	v_cmp_ne_u32_e32 vcc_lo, 1, v99
	s_cbranch_vccnz .LBB45_594
; %bb.593:
	s_clause 0x3
	buffer_load_dword v100, v97, s[0:3], 0 offen offset:8
	buffer_load_dword v101, v97, s[0:3], 0 offen offset:12
	buffer_load_dword v104, v97, s[0:3], 0 offen
	buffer_load_dword v105, v97, s[0:3], 0 offen offset:4
	s_waitcnt vmcnt(2) lgkmcnt(0)
	v_mul_f64 v[106:107], v[3:4], v[100:101]
	v_mul_f64 v[100:101], v[1:2], v[100:101]
	s_waitcnt vmcnt(0)
	v_fma_f64 v[1:2], v[1:2], v[104:105], -v[106:107]
	v_fma_f64 v[3:4], v[3:4], v[104:105], v[100:101]
.LBB45_594:
	s_mov_b32 s6, exec_lo
	v_cmpx_ne_u32_e32 29, v0
	s_cbranch_execz .LBB45_598
; %bb.595:
	v_add_nc_u32_e32 v100, 0x2f0, v103
	v_add3_u32 v101, 0, v103, 16
	v_mov_b32_e32 v102, v0
	s_mov_b32 s8, 0
	.p2align	6
.LBB45_596:                             ; =>This Inner Loop Header: Depth=1
	s_clause 0x3
	buffer_load_dword v108, v101, s[0:3], 0 offen offset:8
	buffer_load_dword v109, v101, s[0:3], 0 offen offset:12
	buffer_load_dword v110, v101, s[0:3], 0 offen
	buffer_load_dword v111, v101, s[0:3], 0 offen offset:4
	ds_read_b128 v[104:107], v100
	v_add_nc_u32_e32 v102, 1, v102
	v_add_nc_u32_e32 v100, 16, v100
	;; [unrolled: 1-line block ×3, first 2 shown]
	v_cmp_lt_u32_e32 vcc_lo, 28, v102
	s_or_b32 s8, vcc_lo, s8
	s_waitcnt vmcnt(2) lgkmcnt(0)
	v_mul_f64 v[112:113], v[106:107], v[108:109]
	v_mul_f64 v[108:109], v[104:105], v[108:109]
	s_waitcnt vmcnt(0)
	v_fma_f64 v[104:105], v[104:105], v[110:111], -v[112:113]
	v_fma_f64 v[106:107], v[106:107], v[110:111], v[108:109]
	v_add_f64 v[1:2], v[1:2], v[104:105]
	v_add_f64 v[3:4], v[3:4], v[106:107]
	s_andn2_b32 exec_lo, exec_lo, s8
	s_cbranch_execnz .LBB45_596
; %bb.597:
	s_or_b32 exec_lo, exec_lo, s8
.LBB45_598:
	s_or_b32 exec_lo, exec_lo, s6
	v_mov_b32_e32 v100, 0
	ds_read_b128 v[104:107], v100 offset:480
	s_waitcnt lgkmcnt(0)
	v_mul_f64 v[100:101], v[3:4], v[106:107]
	v_mul_f64 v[106:107], v[1:2], v[106:107]
	v_fma_f64 v[1:2], v[1:2], v[104:105], -v[100:101]
	v_fma_f64 v[3:4], v[3:4], v[104:105], v[106:107]
	buffer_store_dword v2, off, s[0:3], 0 offset:484
	buffer_store_dword v1, off, s[0:3], 0 offset:480
	buffer_store_dword v4, off, s[0:3], 0 offset:492
	buffer_store_dword v3, off, s[0:3], 0 offset:488
.LBB45_599:
	s_or_b32 exec_lo, exec_lo, s4
	v_mov_b32_e32 v4, s22
	s_mov_b32 s4, exec_lo
	s_clause 0x3
	buffer_load_dword v1, v4, s[0:3], 0 offen
	buffer_load_dword v2, v4, s[0:3], 0 offen offset:4
	buffer_load_dword v3, v4, s[0:3], 0 offen offset:8
	;; [unrolled: 1-line block ×3, first 2 shown]
	s_waitcnt vmcnt(0)
	ds_write_b128 v98, v[1:4]
	s_waitcnt lgkmcnt(0)
	s_waitcnt_vscnt null, 0x0
	s_barrier
	buffer_gl0_inv
	v_cmpx_gt_u32_e32 31, v0
	s_cbranch_execz .LBB45_607
; %bb.600:
	ds_read_b128 v[1:4], v98
	v_cmp_ne_u32_e32 vcc_lo, 1, v99
	s_cbranch_vccnz .LBB45_602
; %bb.601:
	s_clause 0x3
	buffer_load_dword v100, v97, s[0:3], 0 offen offset:8
	buffer_load_dword v101, v97, s[0:3], 0 offen offset:12
	buffer_load_dword v104, v97, s[0:3], 0 offen
	buffer_load_dword v105, v97, s[0:3], 0 offen offset:4
	s_waitcnt vmcnt(2) lgkmcnt(0)
	v_mul_f64 v[106:107], v[3:4], v[100:101]
	v_mul_f64 v[100:101], v[1:2], v[100:101]
	s_waitcnt vmcnt(0)
	v_fma_f64 v[1:2], v[1:2], v[104:105], -v[106:107]
	v_fma_f64 v[3:4], v[3:4], v[104:105], v[100:101]
.LBB45_602:
	s_mov_b32 s6, exec_lo
	v_cmpx_ne_u32_e32 30, v0
	s_cbranch_execz .LBB45_606
; %bb.603:
	v_add_nc_u32_e32 v100, 0x2f0, v103
	v_add3_u32 v101, 0, v103, 16
	v_mov_b32_e32 v102, v0
	s_mov_b32 s8, 0
	.p2align	6
.LBB45_604:                             ; =>This Inner Loop Header: Depth=1
	s_clause 0x3
	buffer_load_dword v108, v101, s[0:3], 0 offen offset:8
	buffer_load_dword v109, v101, s[0:3], 0 offen offset:12
	buffer_load_dword v110, v101, s[0:3], 0 offen
	buffer_load_dword v111, v101, s[0:3], 0 offen offset:4
	ds_read_b128 v[104:107], v100
	v_add_nc_u32_e32 v102, 1, v102
	v_add_nc_u32_e32 v100, 16, v100
	;; [unrolled: 1-line block ×3, first 2 shown]
	v_cmp_lt_u32_e32 vcc_lo, 29, v102
	s_or_b32 s8, vcc_lo, s8
	s_waitcnt vmcnt(2) lgkmcnt(0)
	v_mul_f64 v[112:113], v[106:107], v[108:109]
	v_mul_f64 v[108:109], v[104:105], v[108:109]
	s_waitcnt vmcnt(0)
	v_fma_f64 v[104:105], v[104:105], v[110:111], -v[112:113]
	v_fma_f64 v[106:107], v[106:107], v[110:111], v[108:109]
	v_add_f64 v[1:2], v[1:2], v[104:105]
	v_add_f64 v[3:4], v[3:4], v[106:107]
	s_andn2_b32 exec_lo, exec_lo, s8
	s_cbranch_execnz .LBB45_604
; %bb.605:
	s_or_b32 exec_lo, exec_lo, s8
.LBB45_606:
	s_or_b32 exec_lo, exec_lo, s6
	v_mov_b32_e32 v100, 0
	ds_read_b128 v[104:107], v100 offset:496
	s_waitcnt lgkmcnt(0)
	v_mul_f64 v[100:101], v[3:4], v[106:107]
	v_mul_f64 v[106:107], v[1:2], v[106:107]
	v_fma_f64 v[1:2], v[1:2], v[104:105], -v[100:101]
	v_fma_f64 v[3:4], v[3:4], v[104:105], v[106:107]
	buffer_store_dword v2, off, s[0:3], 0 offset:500
	buffer_store_dword v1, off, s[0:3], 0 offset:496
	;; [unrolled: 1-line block ×4, first 2 shown]
.LBB45_607:
	s_or_b32 exec_lo, exec_lo, s4
	v_mov_b32_e32 v4, s21
	s_mov_b32 s4, exec_lo
	s_clause 0x3
	buffer_load_dword v1, v4, s[0:3], 0 offen
	buffer_load_dword v2, v4, s[0:3], 0 offen offset:4
	buffer_load_dword v3, v4, s[0:3], 0 offen offset:8
	buffer_load_dword v4, v4, s[0:3], 0 offen offset:12
	s_waitcnt vmcnt(0)
	ds_write_b128 v98, v[1:4]
	s_waitcnt lgkmcnt(0)
	s_waitcnt_vscnt null, 0x0
	s_barrier
	buffer_gl0_inv
	v_cmpx_gt_u32_e32 32, v0
	s_cbranch_execz .LBB45_615
; %bb.608:
	ds_read_b128 v[1:4], v98
	v_cmp_ne_u32_e32 vcc_lo, 1, v99
	s_cbranch_vccnz .LBB45_610
; %bb.609:
	s_clause 0x3
	buffer_load_dword v100, v97, s[0:3], 0 offen offset:8
	buffer_load_dword v101, v97, s[0:3], 0 offen offset:12
	buffer_load_dword v104, v97, s[0:3], 0 offen
	buffer_load_dword v105, v97, s[0:3], 0 offen offset:4
	s_waitcnt vmcnt(2) lgkmcnt(0)
	v_mul_f64 v[106:107], v[3:4], v[100:101]
	v_mul_f64 v[100:101], v[1:2], v[100:101]
	s_waitcnt vmcnt(0)
	v_fma_f64 v[1:2], v[1:2], v[104:105], -v[106:107]
	v_fma_f64 v[3:4], v[3:4], v[104:105], v[100:101]
.LBB45_610:
	s_mov_b32 s6, exec_lo
	v_cmpx_ne_u32_e32 31, v0
	s_cbranch_execz .LBB45_614
; %bb.611:
	v_add_nc_u32_e32 v100, 0x2f0, v103
	v_add3_u32 v101, 0, v103, 16
	v_mov_b32_e32 v102, v0
	s_mov_b32 s8, 0
	.p2align	6
.LBB45_612:                             ; =>This Inner Loop Header: Depth=1
	s_clause 0x3
	buffer_load_dword v108, v101, s[0:3], 0 offen offset:8
	buffer_load_dword v109, v101, s[0:3], 0 offen offset:12
	buffer_load_dword v110, v101, s[0:3], 0 offen
	buffer_load_dword v111, v101, s[0:3], 0 offen offset:4
	ds_read_b128 v[104:107], v100
	v_add_nc_u32_e32 v102, 1, v102
	v_add_nc_u32_e32 v100, 16, v100
	;; [unrolled: 1-line block ×3, first 2 shown]
	v_cmp_lt_u32_e32 vcc_lo, 30, v102
	s_or_b32 s8, vcc_lo, s8
	s_waitcnt vmcnt(2) lgkmcnt(0)
	v_mul_f64 v[112:113], v[106:107], v[108:109]
	v_mul_f64 v[108:109], v[104:105], v[108:109]
	s_waitcnt vmcnt(0)
	v_fma_f64 v[104:105], v[104:105], v[110:111], -v[112:113]
	v_fma_f64 v[106:107], v[106:107], v[110:111], v[108:109]
	v_add_f64 v[1:2], v[1:2], v[104:105]
	v_add_f64 v[3:4], v[3:4], v[106:107]
	s_andn2_b32 exec_lo, exec_lo, s8
	s_cbranch_execnz .LBB45_612
; %bb.613:
	s_or_b32 exec_lo, exec_lo, s8
.LBB45_614:
	s_or_b32 exec_lo, exec_lo, s6
	v_mov_b32_e32 v100, 0
	ds_read_b128 v[104:107], v100 offset:512
	s_waitcnt lgkmcnt(0)
	v_mul_f64 v[100:101], v[3:4], v[106:107]
	v_mul_f64 v[106:107], v[1:2], v[106:107]
	v_fma_f64 v[1:2], v[1:2], v[104:105], -v[100:101]
	v_fma_f64 v[3:4], v[3:4], v[104:105], v[106:107]
	buffer_store_dword v2, off, s[0:3], 0 offset:516
	buffer_store_dword v1, off, s[0:3], 0 offset:512
	;; [unrolled: 1-line block ×4, first 2 shown]
.LBB45_615:
	s_or_b32 exec_lo, exec_lo, s4
	v_mov_b32_e32 v4, s20
	s_mov_b32 s4, exec_lo
	s_clause 0x3
	buffer_load_dword v1, v4, s[0:3], 0 offen
	buffer_load_dword v2, v4, s[0:3], 0 offen offset:4
	buffer_load_dword v3, v4, s[0:3], 0 offen offset:8
	;; [unrolled: 1-line block ×3, first 2 shown]
	s_waitcnt vmcnt(0)
	ds_write_b128 v98, v[1:4]
	s_waitcnt lgkmcnt(0)
	s_waitcnt_vscnt null, 0x0
	s_barrier
	buffer_gl0_inv
	v_cmpx_gt_u32_e32 33, v0
	s_cbranch_execz .LBB45_623
; %bb.616:
	ds_read_b128 v[1:4], v98
	v_cmp_ne_u32_e32 vcc_lo, 1, v99
	s_cbranch_vccnz .LBB45_618
; %bb.617:
	s_clause 0x3
	buffer_load_dword v100, v97, s[0:3], 0 offen offset:8
	buffer_load_dword v101, v97, s[0:3], 0 offen offset:12
	buffer_load_dword v104, v97, s[0:3], 0 offen
	buffer_load_dword v105, v97, s[0:3], 0 offen offset:4
	s_waitcnt vmcnt(2) lgkmcnt(0)
	v_mul_f64 v[106:107], v[3:4], v[100:101]
	v_mul_f64 v[100:101], v[1:2], v[100:101]
	s_waitcnt vmcnt(0)
	v_fma_f64 v[1:2], v[1:2], v[104:105], -v[106:107]
	v_fma_f64 v[3:4], v[3:4], v[104:105], v[100:101]
.LBB45_618:
	s_mov_b32 s6, exec_lo
	v_cmpx_ne_u32_e32 32, v0
	s_cbranch_execz .LBB45_622
; %bb.619:
	v_add_nc_u32_e32 v100, 0x2f0, v103
	v_add3_u32 v101, 0, v103, 16
	v_mov_b32_e32 v102, v0
	s_mov_b32 s8, 0
	.p2align	6
.LBB45_620:                             ; =>This Inner Loop Header: Depth=1
	s_clause 0x3
	buffer_load_dword v108, v101, s[0:3], 0 offen offset:8
	buffer_load_dword v109, v101, s[0:3], 0 offen offset:12
	buffer_load_dword v110, v101, s[0:3], 0 offen
	buffer_load_dword v111, v101, s[0:3], 0 offen offset:4
	ds_read_b128 v[104:107], v100
	v_add_nc_u32_e32 v102, 1, v102
	v_add_nc_u32_e32 v100, 16, v100
	;; [unrolled: 1-line block ×3, first 2 shown]
	v_cmp_lt_u32_e32 vcc_lo, 31, v102
	s_or_b32 s8, vcc_lo, s8
	s_waitcnt vmcnt(2) lgkmcnt(0)
	v_mul_f64 v[112:113], v[106:107], v[108:109]
	v_mul_f64 v[108:109], v[104:105], v[108:109]
	s_waitcnt vmcnt(0)
	v_fma_f64 v[104:105], v[104:105], v[110:111], -v[112:113]
	v_fma_f64 v[106:107], v[106:107], v[110:111], v[108:109]
	v_add_f64 v[1:2], v[1:2], v[104:105]
	v_add_f64 v[3:4], v[3:4], v[106:107]
	s_andn2_b32 exec_lo, exec_lo, s8
	s_cbranch_execnz .LBB45_620
; %bb.621:
	s_or_b32 exec_lo, exec_lo, s8
.LBB45_622:
	s_or_b32 exec_lo, exec_lo, s6
	v_mov_b32_e32 v100, 0
	ds_read_b128 v[104:107], v100 offset:528
	s_waitcnt lgkmcnt(0)
	v_mul_f64 v[100:101], v[3:4], v[106:107]
	v_mul_f64 v[106:107], v[1:2], v[106:107]
	v_fma_f64 v[1:2], v[1:2], v[104:105], -v[100:101]
	v_fma_f64 v[3:4], v[3:4], v[104:105], v[106:107]
	buffer_store_dword v2, off, s[0:3], 0 offset:532
	buffer_store_dword v1, off, s[0:3], 0 offset:528
	buffer_store_dword v4, off, s[0:3], 0 offset:540
	buffer_store_dword v3, off, s[0:3], 0 offset:536
.LBB45_623:
	s_or_b32 exec_lo, exec_lo, s4
	v_mov_b32_e32 v4, s19
	s_mov_b32 s4, exec_lo
	s_clause 0x3
	buffer_load_dword v1, v4, s[0:3], 0 offen
	buffer_load_dword v2, v4, s[0:3], 0 offen offset:4
	buffer_load_dword v3, v4, s[0:3], 0 offen offset:8
	;; [unrolled: 1-line block ×3, first 2 shown]
	s_waitcnt vmcnt(0)
	ds_write_b128 v98, v[1:4]
	s_waitcnt lgkmcnt(0)
	s_waitcnt_vscnt null, 0x0
	s_barrier
	buffer_gl0_inv
	v_cmpx_gt_u32_e32 34, v0
	s_cbranch_execz .LBB45_631
; %bb.624:
	ds_read_b128 v[1:4], v98
	v_cmp_ne_u32_e32 vcc_lo, 1, v99
	s_cbranch_vccnz .LBB45_626
; %bb.625:
	s_clause 0x3
	buffer_load_dword v100, v97, s[0:3], 0 offen offset:8
	buffer_load_dword v101, v97, s[0:3], 0 offen offset:12
	buffer_load_dword v104, v97, s[0:3], 0 offen
	buffer_load_dword v105, v97, s[0:3], 0 offen offset:4
	s_waitcnt vmcnt(2) lgkmcnt(0)
	v_mul_f64 v[106:107], v[3:4], v[100:101]
	v_mul_f64 v[100:101], v[1:2], v[100:101]
	s_waitcnt vmcnt(0)
	v_fma_f64 v[1:2], v[1:2], v[104:105], -v[106:107]
	v_fma_f64 v[3:4], v[3:4], v[104:105], v[100:101]
.LBB45_626:
	s_mov_b32 s6, exec_lo
	v_cmpx_ne_u32_e32 33, v0
	s_cbranch_execz .LBB45_630
; %bb.627:
	v_add_nc_u32_e32 v100, 0x2f0, v103
	v_add3_u32 v101, 0, v103, 16
	v_mov_b32_e32 v102, v0
	s_mov_b32 s8, 0
	.p2align	6
.LBB45_628:                             ; =>This Inner Loop Header: Depth=1
	s_clause 0x3
	buffer_load_dword v108, v101, s[0:3], 0 offen offset:8
	buffer_load_dword v109, v101, s[0:3], 0 offen offset:12
	buffer_load_dword v110, v101, s[0:3], 0 offen
	buffer_load_dword v111, v101, s[0:3], 0 offen offset:4
	ds_read_b128 v[104:107], v100
	v_add_nc_u32_e32 v102, 1, v102
	v_add_nc_u32_e32 v100, 16, v100
	;; [unrolled: 1-line block ×3, first 2 shown]
	v_cmp_lt_u32_e32 vcc_lo, 32, v102
	s_or_b32 s8, vcc_lo, s8
	s_waitcnt vmcnt(2) lgkmcnt(0)
	v_mul_f64 v[112:113], v[106:107], v[108:109]
	v_mul_f64 v[108:109], v[104:105], v[108:109]
	s_waitcnt vmcnt(0)
	v_fma_f64 v[104:105], v[104:105], v[110:111], -v[112:113]
	v_fma_f64 v[106:107], v[106:107], v[110:111], v[108:109]
	v_add_f64 v[1:2], v[1:2], v[104:105]
	v_add_f64 v[3:4], v[3:4], v[106:107]
	s_andn2_b32 exec_lo, exec_lo, s8
	s_cbranch_execnz .LBB45_628
; %bb.629:
	s_or_b32 exec_lo, exec_lo, s8
.LBB45_630:
	s_or_b32 exec_lo, exec_lo, s6
	v_mov_b32_e32 v100, 0
	ds_read_b128 v[104:107], v100 offset:544
	s_waitcnt lgkmcnt(0)
	v_mul_f64 v[100:101], v[3:4], v[106:107]
	v_mul_f64 v[106:107], v[1:2], v[106:107]
	v_fma_f64 v[1:2], v[1:2], v[104:105], -v[100:101]
	v_fma_f64 v[3:4], v[3:4], v[104:105], v[106:107]
	buffer_store_dword v2, off, s[0:3], 0 offset:548
	buffer_store_dword v1, off, s[0:3], 0 offset:544
	;; [unrolled: 1-line block ×4, first 2 shown]
.LBB45_631:
	s_or_b32 exec_lo, exec_lo, s4
	v_mov_b32_e32 v4, s18
	s_mov_b32 s4, exec_lo
	s_clause 0x3
	buffer_load_dword v1, v4, s[0:3], 0 offen
	buffer_load_dword v2, v4, s[0:3], 0 offen offset:4
	buffer_load_dword v3, v4, s[0:3], 0 offen offset:8
	;; [unrolled: 1-line block ×3, first 2 shown]
	s_waitcnt vmcnt(0)
	ds_write_b128 v98, v[1:4]
	s_waitcnt lgkmcnt(0)
	s_waitcnt_vscnt null, 0x0
	s_barrier
	buffer_gl0_inv
	v_cmpx_gt_u32_e32 35, v0
	s_cbranch_execz .LBB45_639
; %bb.632:
	ds_read_b128 v[1:4], v98
	v_cmp_ne_u32_e32 vcc_lo, 1, v99
	s_cbranch_vccnz .LBB45_634
; %bb.633:
	s_clause 0x3
	buffer_load_dword v100, v97, s[0:3], 0 offen offset:8
	buffer_load_dword v101, v97, s[0:3], 0 offen offset:12
	buffer_load_dword v104, v97, s[0:3], 0 offen
	buffer_load_dword v105, v97, s[0:3], 0 offen offset:4
	s_waitcnt vmcnt(2) lgkmcnt(0)
	v_mul_f64 v[106:107], v[3:4], v[100:101]
	v_mul_f64 v[100:101], v[1:2], v[100:101]
	s_waitcnt vmcnt(0)
	v_fma_f64 v[1:2], v[1:2], v[104:105], -v[106:107]
	v_fma_f64 v[3:4], v[3:4], v[104:105], v[100:101]
.LBB45_634:
	s_mov_b32 s6, exec_lo
	v_cmpx_ne_u32_e32 34, v0
	s_cbranch_execz .LBB45_638
; %bb.635:
	v_add_nc_u32_e32 v100, 0x2f0, v103
	v_add3_u32 v101, 0, v103, 16
	v_mov_b32_e32 v102, v0
	s_mov_b32 s8, 0
	.p2align	6
.LBB45_636:                             ; =>This Inner Loop Header: Depth=1
	s_clause 0x3
	buffer_load_dword v108, v101, s[0:3], 0 offen offset:8
	buffer_load_dword v109, v101, s[0:3], 0 offen offset:12
	buffer_load_dword v110, v101, s[0:3], 0 offen
	buffer_load_dword v111, v101, s[0:3], 0 offen offset:4
	ds_read_b128 v[104:107], v100
	v_add_nc_u32_e32 v102, 1, v102
	v_add_nc_u32_e32 v100, 16, v100
	;; [unrolled: 1-line block ×3, first 2 shown]
	v_cmp_lt_u32_e32 vcc_lo, 33, v102
	s_or_b32 s8, vcc_lo, s8
	s_waitcnt vmcnt(2) lgkmcnt(0)
	v_mul_f64 v[112:113], v[106:107], v[108:109]
	v_mul_f64 v[108:109], v[104:105], v[108:109]
	s_waitcnt vmcnt(0)
	v_fma_f64 v[104:105], v[104:105], v[110:111], -v[112:113]
	v_fma_f64 v[106:107], v[106:107], v[110:111], v[108:109]
	v_add_f64 v[1:2], v[1:2], v[104:105]
	v_add_f64 v[3:4], v[3:4], v[106:107]
	s_andn2_b32 exec_lo, exec_lo, s8
	s_cbranch_execnz .LBB45_636
; %bb.637:
	s_or_b32 exec_lo, exec_lo, s8
.LBB45_638:
	s_or_b32 exec_lo, exec_lo, s6
	v_mov_b32_e32 v100, 0
	ds_read_b128 v[104:107], v100 offset:560
	s_waitcnt lgkmcnt(0)
	v_mul_f64 v[100:101], v[3:4], v[106:107]
	v_mul_f64 v[106:107], v[1:2], v[106:107]
	v_fma_f64 v[1:2], v[1:2], v[104:105], -v[100:101]
	v_fma_f64 v[3:4], v[3:4], v[104:105], v[106:107]
	buffer_store_dword v2, off, s[0:3], 0 offset:564
	buffer_store_dword v1, off, s[0:3], 0 offset:560
	;; [unrolled: 1-line block ×4, first 2 shown]
.LBB45_639:
	s_or_b32 exec_lo, exec_lo, s4
	v_mov_b32_e32 v4, s17
	s_mov_b32 s4, exec_lo
	s_clause 0x3
	buffer_load_dword v1, v4, s[0:3], 0 offen
	buffer_load_dword v2, v4, s[0:3], 0 offen offset:4
	buffer_load_dword v3, v4, s[0:3], 0 offen offset:8
	;; [unrolled: 1-line block ×3, first 2 shown]
	s_waitcnt vmcnt(0)
	ds_write_b128 v98, v[1:4]
	s_waitcnt lgkmcnt(0)
	s_waitcnt_vscnt null, 0x0
	s_barrier
	buffer_gl0_inv
	v_cmpx_gt_u32_e32 36, v0
	s_cbranch_execz .LBB45_647
; %bb.640:
	ds_read_b128 v[1:4], v98
	v_cmp_ne_u32_e32 vcc_lo, 1, v99
	s_cbranch_vccnz .LBB45_642
; %bb.641:
	s_clause 0x3
	buffer_load_dword v100, v97, s[0:3], 0 offen offset:8
	buffer_load_dword v101, v97, s[0:3], 0 offen offset:12
	buffer_load_dword v104, v97, s[0:3], 0 offen
	buffer_load_dword v105, v97, s[0:3], 0 offen offset:4
	s_waitcnt vmcnt(2) lgkmcnt(0)
	v_mul_f64 v[106:107], v[3:4], v[100:101]
	v_mul_f64 v[100:101], v[1:2], v[100:101]
	s_waitcnt vmcnt(0)
	v_fma_f64 v[1:2], v[1:2], v[104:105], -v[106:107]
	v_fma_f64 v[3:4], v[3:4], v[104:105], v[100:101]
.LBB45_642:
	s_mov_b32 s6, exec_lo
	v_cmpx_ne_u32_e32 35, v0
	s_cbranch_execz .LBB45_646
; %bb.643:
	v_add_nc_u32_e32 v100, 0x2f0, v103
	v_add3_u32 v101, 0, v103, 16
	v_mov_b32_e32 v102, v0
	s_mov_b32 s8, 0
	.p2align	6
.LBB45_644:                             ; =>This Inner Loop Header: Depth=1
	s_clause 0x3
	buffer_load_dword v108, v101, s[0:3], 0 offen offset:8
	buffer_load_dword v109, v101, s[0:3], 0 offen offset:12
	buffer_load_dword v110, v101, s[0:3], 0 offen
	buffer_load_dword v111, v101, s[0:3], 0 offen offset:4
	ds_read_b128 v[104:107], v100
	v_add_nc_u32_e32 v102, 1, v102
	v_add_nc_u32_e32 v100, 16, v100
	v_add_nc_u32_e32 v101, 16, v101
	v_cmp_lt_u32_e32 vcc_lo, 34, v102
	s_or_b32 s8, vcc_lo, s8
	s_waitcnt vmcnt(2) lgkmcnt(0)
	v_mul_f64 v[112:113], v[106:107], v[108:109]
	v_mul_f64 v[108:109], v[104:105], v[108:109]
	s_waitcnt vmcnt(0)
	v_fma_f64 v[104:105], v[104:105], v[110:111], -v[112:113]
	v_fma_f64 v[106:107], v[106:107], v[110:111], v[108:109]
	v_add_f64 v[1:2], v[1:2], v[104:105]
	v_add_f64 v[3:4], v[3:4], v[106:107]
	s_andn2_b32 exec_lo, exec_lo, s8
	s_cbranch_execnz .LBB45_644
; %bb.645:
	s_or_b32 exec_lo, exec_lo, s8
.LBB45_646:
	s_or_b32 exec_lo, exec_lo, s6
	v_mov_b32_e32 v100, 0
	ds_read_b128 v[104:107], v100 offset:576
	s_waitcnt lgkmcnt(0)
	v_mul_f64 v[100:101], v[3:4], v[106:107]
	v_mul_f64 v[106:107], v[1:2], v[106:107]
	v_fma_f64 v[1:2], v[1:2], v[104:105], -v[100:101]
	v_fma_f64 v[3:4], v[3:4], v[104:105], v[106:107]
	buffer_store_dword v2, off, s[0:3], 0 offset:580
	buffer_store_dword v1, off, s[0:3], 0 offset:576
	;; [unrolled: 1-line block ×4, first 2 shown]
.LBB45_647:
	s_or_b32 exec_lo, exec_lo, s4
	v_mov_b32_e32 v4, s16
	s_mov_b32 s4, exec_lo
	s_clause 0x3
	buffer_load_dword v1, v4, s[0:3], 0 offen
	buffer_load_dword v2, v4, s[0:3], 0 offen offset:4
	buffer_load_dword v3, v4, s[0:3], 0 offen offset:8
	;; [unrolled: 1-line block ×3, first 2 shown]
	s_waitcnt vmcnt(0)
	ds_write_b128 v98, v[1:4]
	s_waitcnt lgkmcnt(0)
	s_waitcnt_vscnt null, 0x0
	s_barrier
	buffer_gl0_inv
	v_cmpx_gt_u32_e32 37, v0
	s_cbranch_execz .LBB45_655
; %bb.648:
	ds_read_b128 v[1:4], v98
	v_cmp_ne_u32_e32 vcc_lo, 1, v99
	s_cbranch_vccnz .LBB45_650
; %bb.649:
	s_clause 0x3
	buffer_load_dword v100, v97, s[0:3], 0 offen offset:8
	buffer_load_dword v101, v97, s[0:3], 0 offen offset:12
	buffer_load_dword v104, v97, s[0:3], 0 offen
	buffer_load_dword v105, v97, s[0:3], 0 offen offset:4
	s_waitcnt vmcnt(2) lgkmcnt(0)
	v_mul_f64 v[106:107], v[3:4], v[100:101]
	v_mul_f64 v[100:101], v[1:2], v[100:101]
	s_waitcnt vmcnt(0)
	v_fma_f64 v[1:2], v[1:2], v[104:105], -v[106:107]
	v_fma_f64 v[3:4], v[3:4], v[104:105], v[100:101]
.LBB45_650:
	s_mov_b32 s6, exec_lo
	v_cmpx_ne_u32_e32 36, v0
	s_cbranch_execz .LBB45_654
; %bb.651:
	v_add_nc_u32_e32 v100, 0x2f0, v103
	v_add3_u32 v101, 0, v103, 16
	v_mov_b32_e32 v102, v0
	s_mov_b32 s8, 0
	.p2align	6
.LBB45_652:                             ; =>This Inner Loop Header: Depth=1
	s_clause 0x3
	buffer_load_dword v108, v101, s[0:3], 0 offen offset:8
	buffer_load_dword v109, v101, s[0:3], 0 offen offset:12
	buffer_load_dword v110, v101, s[0:3], 0 offen
	buffer_load_dword v111, v101, s[0:3], 0 offen offset:4
	ds_read_b128 v[104:107], v100
	v_add_nc_u32_e32 v102, 1, v102
	v_add_nc_u32_e32 v100, 16, v100
	;; [unrolled: 1-line block ×3, first 2 shown]
	v_cmp_lt_u32_e32 vcc_lo, 35, v102
	s_or_b32 s8, vcc_lo, s8
	s_waitcnt vmcnt(2) lgkmcnt(0)
	v_mul_f64 v[112:113], v[106:107], v[108:109]
	v_mul_f64 v[108:109], v[104:105], v[108:109]
	s_waitcnt vmcnt(0)
	v_fma_f64 v[104:105], v[104:105], v[110:111], -v[112:113]
	v_fma_f64 v[106:107], v[106:107], v[110:111], v[108:109]
	v_add_f64 v[1:2], v[1:2], v[104:105]
	v_add_f64 v[3:4], v[3:4], v[106:107]
	s_andn2_b32 exec_lo, exec_lo, s8
	s_cbranch_execnz .LBB45_652
; %bb.653:
	s_or_b32 exec_lo, exec_lo, s8
.LBB45_654:
	s_or_b32 exec_lo, exec_lo, s6
	v_mov_b32_e32 v100, 0
	ds_read_b128 v[104:107], v100 offset:592
	s_waitcnt lgkmcnt(0)
	v_mul_f64 v[100:101], v[3:4], v[106:107]
	v_mul_f64 v[106:107], v[1:2], v[106:107]
	v_fma_f64 v[1:2], v[1:2], v[104:105], -v[100:101]
	v_fma_f64 v[3:4], v[3:4], v[104:105], v[106:107]
	buffer_store_dword v2, off, s[0:3], 0 offset:596
	buffer_store_dword v1, off, s[0:3], 0 offset:592
	;; [unrolled: 1-line block ×4, first 2 shown]
.LBB45_655:
	s_or_b32 exec_lo, exec_lo, s4
	v_mov_b32_e32 v4, s15
	s_mov_b32 s4, exec_lo
	s_clause 0x3
	buffer_load_dword v1, v4, s[0:3], 0 offen
	buffer_load_dword v2, v4, s[0:3], 0 offen offset:4
	buffer_load_dword v3, v4, s[0:3], 0 offen offset:8
	buffer_load_dword v4, v4, s[0:3], 0 offen offset:12
	s_waitcnt vmcnt(0)
	ds_write_b128 v98, v[1:4]
	s_waitcnt lgkmcnt(0)
	s_waitcnt_vscnt null, 0x0
	s_barrier
	buffer_gl0_inv
	v_cmpx_gt_u32_e32 38, v0
	s_cbranch_execz .LBB45_663
; %bb.656:
	ds_read_b128 v[1:4], v98
	v_cmp_ne_u32_e32 vcc_lo, 1, v99
	s_cbranch_vccnz .LBB45_658
; %bb.657:
	s_clause 0x3
	buffer_load_dword v100, v97, s[0:3], 0 offen offset:8
	buffer_load_dword v101, v97, s[0:3], 0 offen offset:12
	buffer_load_dword v104, v97, s[0:3], 0 offen
	buffer_load_dword v105, v97, s[0:3], 0 offen offset:4
	s_waitcnt vmcnt(2) lgkmcnt(0)
	v_mul_f64 v[106:107], v[3:4], v[100:101]
	v_mul_f64 v[100:101], v[1:2], v[100:101]
	s_waitcnt vmcnt(0)
	v_fma_f64 v[1:2], v[1:2], v[104:105], -v[106:107]
	v_fma_f64 v[3:4], v[3:4], v[104:105], v[100:101]
.LBB45_658:
	s_mov_b32 s6, exec_lo
	v_cmpx_ne_u32_e32 37, v0
	s_cbranch_execz .LBB45_662
; %bb.659:
	v_add_nc_u32_e32 v100, 0x2f0, v103
	v_add3_u32 v101, 0, v103, 16
	v_mov_b32_e32 v102, v0
	s_mov_b32 s8, 0
	.p2align	6
.LBB45_660:                             ; =>This Inner Loop Header: Depth=1
	s_clause 0x3
	buffer_load_dword v108, v101, s[0:3], 0 offen offset:8
	buffer_load_dword v109, v101, s[0:3], 0 offen offset:12
	buffer_load_dword v110, v101, s[0:3], 0 offen
	buffer_load_dword v111, v101, s[0:3], 0 offen offset:4
	ds_read_b128 v[104:107], v100
	v_add_nc_u32_e32 v102, 1, v102
	v_add_nc_u32_e32 v100, 16, v100
	;; [unrolled: 1-line block ×3, first 2 shown]
	v_cmp_lt_u32_e32 vcc_lo, 36, v102
	s_or_b32 s8, vcc_lo, s8
	s_waitcnt vmcnt(2) lgkmcnt(0)
	v_mul_f64 v[112:113], v[106:107], v[108:109]
	v_mul_f64 v[108:109], v[104:105], v[108:109]
	s_waitcnt vmcnt(0)
	v_fma_f64 v[104:105], v[104:105], v[110:111], -v[112:113]
	v_fma_f64 v[106:107], v[106:107], v[110:111], v[108:109]
	v_add_f64 v[1:2], v[1:2], v[104:105]
	v_add_f64 v[3:4], v[3:4], v[106:107]
	s_andn2_b32 exec_lo, exec_lo, s8
	s_cbranch_execnz .LBB45_660
; %bb.661:
	s_or_b32 exec_lo, exec_lo, s8
.LBB45_662:
	s_or_b32 exec_lo, exec_lo, s6
	v_mov_b32_e32 v100, 0
	ds_read_b128 v[104:107], v100 offset:608
	s_waitcnt lgkmcnt(0)
	v_mul_f64 v[100:101], v[3:4], v[106:107]
	v_mul_f64 v[106:107], v[1:2], v[106:107]
	v_fma_f64 v[1:2], v[1:2], v[104:105], -v[100:101]
	v_fma_f64 v[3:4], v[3:4], v[104:105], v[106:107]
	buffer_store_dword v2, off, s[0:3], 0 offset:612
	buffer_store_dword v1, off, s[0:3], 0 offset:608
	;; [unrolled: 1-line block ×4, first 2 shown]
.LBB45_663:
	s_or_b32 exec_lo, exec_lo, s4
	v_mov_b32_e32 v4, s14
	s_mov_b32 s4, exec_lo
	s_clause 0x3
	buffer_load_dword v1, v4, s[0:3], 0 offen
	buffer_load_dword v2, v4, s[0:3], 0 offen offset:4
	buffer_load_dword v3, v4, s[0:3], 0 offen offset:8
	;; [unrolled: 1-line block ×3, first 2 shown]
	s_waitcnt vmcnt(0)
	ds_write_b128 v98, v[1:4]
	s_waitcnt lgkmcnt(0)
	s_waitcnt_vscnt null, 0x0
	s_barrier
	buffer_gl0_inv
	v_cmpx_gt_u32_e32 39, v0
	s_cbranch_execz .LBB45_671
; %bb.664:
	ds_read_b128 v[1:4], v98
	v_cmp_ne_u32_e32 vcc_lo, 1, v99
	s_cbranch_vccnz .LBB45_666
; %bb.665:
	s_clause 0x3
	buffer_load_dword v100, v97, s[0:3], 0 offen offset:8
	buffer_load_dword v101, v97, s[0:3], 0 offen offset:12
	buffer_load_dword v104, v97, s[0:3], 0 offen
	buffer_load_dword v105, v97, s[0:3], 0 offen offset:4
	s_waitcnt vmcnt(2) lgkmcnt(0)
	v_mul_f64 v[106:107], v[3:4], v[100:101]
	v_mul_f64 v[100:101], v[1:2], v[100:101]
	s_waitcnt vmcnt(0)
	v_fma_f64 v[1:2], v[1:2], v[104:105], -v[106:107]
	v_fma_f64 v[3:4], v[3:4], v[104:105], v[100:101]
.LBB45_666:
	s_mov_b32 s6, exec_lo
	v_cmpx_ne_u32_e32 38, v0
	s_cbranch_execz .LBB45_670
; %bb.667:
	v_add_nc_u32_e32 v100, 0x2f0, v103
	v_add3_u32 v101, 0, v103, 16
	v_mov_b32_e32 v102, v0
	s_mov_b32 s8, 0
	.p2align	6
.LBB45_668:                             ; =>This Inner Loop Header: Depth=1
	s_clause 0x3
	buffer_load_dword v108, v101, s[0:3], 0 offen offset:8
	buffer_load_dword v109, v101, s[0:3], 0 offen offset:12
	buffer_load_dword v110, v101, s[0:3], 0 offen
	buffer_load_dword v111, v101, s[0:3], 0 offen offset:4
	ds_read_b128 v[104:107], v100
	v_add_nc_u32_e32 v102, 1, v102
	v_add_nc_u32_e32 v100, 16, v100
	;; [unrolled: 1-line block ×3, first 2 shown]
	v_cmp_lt_u32_e32 vcc_lo, 37, v102
	s_or_b32 s8, vcc_lo, s8
	s_waitcnt vmcnt(2) lgkmcnt(0)
	v_mul_f64 v[112:113], v[106:107], v[108:109]
	v_mul_f64 v[108:109], v[104:105], v[108:109]
	s_waitcnt vmcnt(0)
	v_fma_f64 v[104:105], v[104:105], v[110:111], -v[112:113]
	v_fma_f64 v[106:107], v[106:107], v[110:111], v[108:109]
	v_add_f64 v[1:2], v[1:2], v[104:105]
	v_add_f64 v[3:4], v[3:4], v[106:107]
	s_andn2_b32 exec_lo, exec_lo, s8
	s_cbranch_execnz .LBB45_668
; %bb.669:
	s_or_b32 exec_lo, exec_lo, s8
.LBB45_670:
	s_or_b32 exec_lo, exec_lo, s6
	v_mov_b32_e32 v100, 0
	ds_read_b128 v[104:107], v100 offset:624
	s_waitcnt lgkmcnt(0)
	v_mul_f64 v[100:101], v[3:4], v[106:107]
	v_mul_f64 v[106:107], v[1:2], v[106:107]
	v_fma_f64 v[1:2], v[1:2], v[104:105], -v[100:101]
	v_fma_f64 v[3:4], v[3:4], v[104:105], v[106:107]
	buffer_store_dword v2, off, s[0:3], 0 offset:628
	buffer_store_dword v1, off, s[0:3], 0 offset:624
	;; [unrolled: 1-line block ×4, first 2 shown]
.LBB45_671:
	s_or_b32 exec_lo, exec_lo, s4
	v_mov_b32_e32 v4, s13
	s_mov_b32 s4, exec_lo
	s_clause 0x3
	buffer_load_dword v1, v4, s[0:3], 0 offen
	buffer_load_dword v2, v4, s[0:3], 0 offen offset:4
	buffer_load_dword v3, v4, s[0:3], 0 offen offset:8
	;; [unrolled: 1-line block ×3, first 2 shown]
	s_waitcnt vmcnt(0)
	ds_write_b128 v98, v[1:4]
	s_waitcnt lgkmcnt(0)
	s_waitcnt_vscnt null, 0x0
	s_barrier
	buffer_gl0_inv
	v_cmpx_gt_u32_e32 40, v0
	s_cbranch_execz .LBB45_679
; %bb.672:
	ds_read_b128 v[1:4], v98
	v_cmp_ne_u32_e32 vcc_lo, 1, v99
	s_cbranch_vccnz .LBB45_674
; %bb.673:
	s_clause 0x3
	buffer_load_dword v100, v97, s[0:3], 0 offen offset:8
	buffer_load_dword v101, v97, s[0:3], 0 offen offset:12
	buffer_load_dword v104, v97, s[0:3], 0 offen
	buffer_load_dword v105, v97, s[0:3], 0 offen offset:4
	s_waitcnt vmcnt(2) lgkmcnt(0)
	v_mul_f64 v[106:107], v[3:4], v[100:101]
	v_mul_f64 v[100:101], v[1:2], v[100:101]
	s_waitcnt vmcnt(0)
	v_fma_f64 v[1:2], v[1:2], v[104:105], -v[106:107]
	v_fma_f64 v[3:4], v[3:4], v[104:105], v[100:101]
.LBB45_674:
	s_mov_b32 s6, exec_lo
	v_cmpx_ne_u32_e32 39, v0
	s_cbranch_execz .LBB45_678
; %bb.675:
	v_add_nc_u32_e32 v100, 0x2f0, v103
	v_add3_u32 v101, 0, v103, 16
	v_mov_b32_e32 v102, v0
	s_mov_b32 s8, 0
	.p2align	6
.LBB45_676:                             ; =>This Inner Loop Header: Depth=1
	s_clause 0x3
	buffer_load_dword v108, v101, s[0:3], 0 offen offset:8
	buffer_load_dword v109, v101, s[0:3], 0 offen offset:12
	buffer_load_dword v110, v101, s[0:3], 0 offen
	buffer_load_dword v111, v101, s[0:3], 0 offen offset:4
	ds_read_b128 v[104:107], v100
	v_add_nc_u32_e32 v102, 1, v102
	v_add_nc_u32_e32 v100, 16, v100
	;; [unrolled: 1-line block ×3, first 2 shown]
	v_cmp_lt_u32_e32 vcc_lo, 38, v102
	s_or_b32 s8, vcc_lo, s8
	s_waitcnt vmcnt(2) lgkmcnt(0)
	v_mul_f64 v[112:113], v[106:107], v[108:109]
	v_mul_f64 v[108:109], v[104:105], v[108:109]
	s_waitcnt vmcnt(0)
	v_fma_f64 v[104:105], v[104:105], v[110:111], -v[112:113]
	v_fma_f64 v[106:107], v[106:107], v[110:111], v[108:109]
	v_add_f64 v[1:2], v[1:2], v[104:105]
	v_add_f64 v[3:4], v[3:4], v[106:107]
	s_andn2_b32 exec_lo, exec_lo, s8
	s_cbranch_execnz .LBB45_676
; %bb.677:
	s_or_b32 exec_lo, exec_lo, s8
.LBB45_678:
	s_or_b32 exec_lo, exec_lo, s6
	v_mov_b32_e32 v100, 0
	ds_read_b128 v[104:107], v100 offset:640
	s_waitcnt lgkmcnt(0)
	v_mul_f64 v[100:101], v[3:4], v[106:107]
	v_mul_f64 v[106:107], v[1:2], v[106:107]
	v_fma_f64 v[1:2], v[1:2], v[104:105], -v[100:101]
	v_fma_f64 v[3:4], v[3:4], v[104:105], v[106:107]
	buffer_store_dword v2, off, s[0:3], 0 offset:644
	buffer_store_dword v1, off, s[0:3], 0 offset:640
	;; [unrolled: 1-line block ×4, first 2 shown]
.LBB45_679:
	s_or_b32 exec_lo, exec_lo, s4
	v_mov_b32_e32 v4, s12
	s_mov_b32 s4, exec_lo
	s_clause 0x3
	buffer_load_dword v1, v4, s[0:3], 0 offen
	buffer_load_dword v2, v4, s[0:3], 0 offen offset:4
	buffer_load_dword v3, v4, s[0:3], 0 offen offset:8
	;; [unrolled: 1-line block ×3, first 2 shown]
	s_waitcnt vmcnt(0)
	ds_write_b128 v98, v[1:4]
	s_waitcnt lgkmcnt(0)
	s_waitcnt_vscnt null, 0x0
	s_barrier
	buffer_gl0_inv
	v_cmpx_gt_u32_e32 41, v0
	s_cbranch_execz .LBB45_687
; %bb.680:
	ds_read_b128 v[1:4], v98
	v_cmp_ne_u32_e32 vcc_lo, 1, v99
	s_cbranch_vccnz .LBB45_682
; %bb.681:
	s_clause 0x3
	buffer_load_dword v100, v97, s[0:3], 0 offen offset:8
	buffer_load_dword v101, v97, s[0:3], 0 offen offset:12
	buffer_load_dword v104, v97, s[0:3], 0 offen
	buffer_load_dword v105, v97, s[0:3], 0 offen offset:4
	s_waitcnt vmcnt(2) lgkmcnt(0)
	v_mul_f64 v[106:107], v[3:4], v[100:101]
	v_mul_f64 v[100:101], v[1:2], v[100:101]
	s_waitcnt vmcnt(0)
	v_fma_f64 v[1:2], v[1:2], v[104:105], -v[106:107]
	v_fma_f64 v[3:4], v[3:4], v[104:105], v[100:101]
.LBB45_682:
	s_mov_b32 s6, exec_lo
	v_cmpx_ne_u32_e32 40, v0
	s_cbranch_execz .LBB45_686
; %bb.683:
	v_add_nc_u32_e32 v100, 0x2f0, v103
	v_add3_u32 v101, 0, v103, 16
	v_mov_b32_e32 v102, v0
	s_mov_b32 s8, 0
	.p2align	6
.LBB45_684:                             ; =>This Inner Loop Header: Depth=1
	s_clause 0x3
	buffer_load_dword v108, v101, s[0:3], 0 offen offset:8
	buffer_load_dword v109, v101, s[0:3], 0 offen offset:12
	buffer_load_dword v110, v101, s[0:3], 0 offen
	buffer_load_dword v111, v101, s[0:3], 0 offen offset:4
	ds_read_b128 v[104:107], v100
	v_add_nc_u32_e32 v102, 1, v102
	v_add_nc_u32_e32 v100, 16, v100
	;; [unrolled: 1-line block ×3, first 2 shown]
	v_cmp_lt_u32_e32 vcc_lo, 39, v102
	s_or_b32 s8, vcc_lo, s8
	s_waitcnt vmcnt(2) lgkmcnt(0)
	v_mul_f64 v[112:113], v[106:107], v[108:109]
	v_mul_f64 v[108:109], v[104:105], v[108:109]
	s_waitcnt vmcnt(0)
	v_fma_f64 v[104:105], v[104:105], v[110:111], -v[112:113]
	v_fma_f64 v[106:107], v[106:107], v[110:111], v[108:109]
	v_add_f64 v[1:2], v[1:2], v[104:105]
	v_add_f64 v[3:4], v[3:4], v[106:107]
	s_andn2_b32 exec_lo, exec_lo, s8
	s_cbranch_execnz .LBB45_684
; %bb.685:
	s_or_b32 exec_lo, exec_lo, s8
.LBB45_686:
	s_or_b32 exec_lo, exec_lo, s6
	v_mov_b32_e32 v100, 0
	ds_read_b128 v[104:107], v100 offset:656
	s_waitcnt lgkmcnt(0)
	v_mul_f64 v[100:101], v[3:4], v[106:107]
	v_mul_f64 v[106:107], v[1:2], v[106:107]
	v_fma_f64 v[1:2], v[1:2], v[104:105], -v[100:101]
	v_fma_f64 v[3:4], v[3:4], v[104:105], v[106:107]
	buffer_store_dword v2, off, s[0:3], 0 offset:660
	buffer_store_dword v1, off, s[0:3], 0 offset:656
	;; [unrolled: 1-line block ×4, first 2 shown]
.LBB45_687:
	s_or_b32 exec_lo, exec_lo, s4
	v_mov_b32_e32 v4, s11
	s_mov_b32 s4, exec_lo
	s_clause 0x3
	buffer_load_dword v1, v4, s[0:3], 0 offen
	buffer_load_dword v2, v4, s[0:3], 0 offen offset:4
	buffer_load_dword v3, v4, s[0:3], 0 offen offset:8
	;; [unrolled: 1-line block ×3, first 2 shown]
	s_waitcnt vmcnt(0)
	ds_write_b128 v98, v[1:4]
	s_waitcnt lgkmcnt(0)
	s_waitcnt_vscnt null, 0x0
	s_barrier
	buffer_gl0_inv
	v_cmpx_gt_u32_e32 42, v0
	s_cbranch_execz .LBB45_695
; %bb.688:
	ds_read_b128 v[1:4], v98
	v_cmp_ne_u32_e32 vcc_lo, 1, v99
	s_cbranch_vccnz .LBB45_690
; %bb.689:
	s_clause 0x3
	buffer_load_dword v100, v97, s[0:3], 0 offen offset:8
	buffer_load_dword v101, v97, s[0:3], 0 offen offset:12
	buffer_load_dword v104, v97, s[0:3], 0 offen
	buffer_load_dword v105, v97, s[0:3], 0 offen offset:4
	s_waitcnt vmcnt(2) lgkmcnt(0)
	v_mul_f64 v[106:107], v[3:4], v[100:101]
	v_mul_f64 v[100:101], v[1:2], v[100:101]
	s_waitcnt vmcnt(0)
	v_fma_f64 v[1:2], v[1:2], v[104:105], -v[106:107]
	v_fma_f64 v[3:4], v[3:4], v[104:105], v[100:101]
.LBB45_690:
	s_mov_b32 s6, exec_lo
	v_cmpx_ne_u32_e32 41, v0
	s_cbranch_execz .LBB45_694
; %bb.691:
	v_add_nc_u32_e32 v100, 0x2f0, v103
	v_add3_u32 v101, 0, v103, 16
	v_mov_b32_e32 v102, v0
	s_mov_b32 s8, 0
	.p2align	6
.LBB45_692:                             ; =>This Inner Loop Header: Depth=1
	s_clause 0x3
	buffer_load_dword v108, v101, s[0:3], 0 offen offset:8
	buffer_load_dword v109, v101, s[0:3], 0 offen offset:12
	buffer_load_dword v110, v101, s[0:3], 0 offen
	buffer_load_dword v111, v101, s[0:3], 0 offen offset:4
	ds_read_b128 v[104:107], v100
	v_add_nc_u32_e32 v102, 1, v102
	v_add_nc_u32_e32 v100, 16, v100
	;; [unrolled: 1-line block ×3, first 2 shown]
	v_cmp_lt_u32_e32 vcc_lo, 40, v102
	s_or_b32 s8, vcc_lo, s8
	s_waitcnt vmcnt(2) lgkmcnt(0)
	v_mul_f64 v[112:113], v[106:107], v[108:109]
	v_mul_f64 v[108:109], v[104:105], v[108:109]
	s_waitcnt vmcnt(0)
	v_fma_f64 v[104:105], v[104:105], v[110:111], -v[112:113]
	v_fma_f64 v[106:107], v[106:107], v[110:111], v[108:109]
	v_add_f64 v[1:2], v[1:2], v[104:105]
	v_add_f64 v[3:4], v[3:4], v[106:107]
	s_andn2_b32 exec_lo, exec_lo, s8
	s_cbranch_execnz .LBB45_692
; %bb.693:
	s_or_b32 exec_lo, exec_lo, s8
.LBB45_694:
	s_or_b32 exec_lo, exec_lo, s6
	v_mov_b32_e32 v100, 0
	ds_read_b128 v[104:107], v100 offset:672
	s_waitcnt lgkmcnt(0)
	v_mul_f64 v[100:101], v[3:4], v[106:107]
	v_mul_f64 v[106:107], v[1:2], v[106:107]
	v_fma_f64 v[1:2], v[1:2], v[104:105], -v[100:101]
	v_fma_f64 v[3:4], v[3:4], v[104:105], v[106:107]
	buffer_store_dword v2, off, s[0:3], 0 offset:676
	buffer_store_dword v1, off, s[0:3], 0 offset:672
	;; [unrolled: 1-line block ×4, first 2 shown]
.LBB45_695:
	s_or_b32 exec_lo, exec_lo, s4
	v_mov_b32_e32 v4, s10
	s_mov_b32 s4, exec_lo
	s_clause 0x3
	buffer_load_dword v1, v4, s[0:3], 0 offen
	buffer_load_dword v2, v4, s[0:3], 0 offen offset:4
	buffer_load_dword v3, v4, s[0:3], 0 offen offset:8
	;; [unrolled: 1-line block ×3, first 2 shown]
	s_waitcnt vmcnt(0)
	ds_write_b128 v98, v[1:4]
	s_waitcnt lgkmcnt(0)
	s_waitcnt_vscnt null, 0x0
	s_barrier
	buffer_gl0_inv
	v_cmpx_gt_u32_e32 43, v0
	s_cbranch_execz .LBB45_703
; %bb.696:
	ds_read_b128 v[1:4], v98
	v_cmp_ne_u32_e32 vcc_lo, 1, v99
	s_cbranch_vccnz .LBB45_698
; %bb.697:
	s_clause 0x3
	buffer_load_dword v100, v97, s[0:3], 0 offen offset:8
	buffer_load_dword v101, v97, s[0:3], 0 offen offset:12
	buffer_load_dword v104, v97, s[0:3], 0 offen
	buffer_load_dword v105, v97, s[0:3], 0 offen offset:4
	s_waitcnt vmcnt(2) lgkmcnt(0)
	v_mul_f64 v[106:107], v[3:4], v[100:101]
	v_mul_f64 v[100:101], v[1:2], v[100:101]
	s_waitcnt vmcnt(0)
	v_fma_f64 v[1:2], v[1:2], v[104:105], -v[106:107]
	v_fma_f64 v[3:4], v[3:4], v[104:105], v[100:101]
.LBB45_698:
	s_mov_b32 s6, exec_lo
	v_cmpx_ne_u32_e32 42, v0
	s_cbranch_execz .LBB45_702
; %bb.699:
	v_add_nc_u32_e32 v100, 0x2f0, v103
	v_add3_u32 v101, 0, v103, 16
	v_mov_b32_e32 v102, v0
	s_mov_b32 s8, 0
	.p2align	6
.LBB45_700:                             ; =>This Inner Loop Header: Depth=1
	s_clause 0x3
	buffer_load_dword v108, v101, s[0:3], 0 offen offset:8
	buffer_load_dword v109, v101, s[0:3], 0 offen offset:12
	buffer_load_dword v110, v101, s[0:3], 0 offen
	buffer_load_dword v111, v101, s[0:3], 0 offen offset:4
	ds_read_b128 v[104:107], v100
	v_add_nc_u32_e32 v102, 1, v102
	v_add_nc_u32_e32 v100, 16, v100
	;; [unrolled: 1-line block ×3, first 2 shown]
	v_cmp_lt_u32_e32 vcc_lo, 41, v102
	s_or_b32 s8, vcc_lo, s8
	s_waitcnt vmcnt(2) lgkmcnt(0)
	v_mul_f64 v[112:113], v[106:107], v[108:109]
	v_mul_f64 v[108:109], v[104:105], v[108:109]
	s_waitcnt vmcnt(0)
	v_fma_f64 v[104:105], v[104:105], v[110:111], -v[112:113]
	v_fma_f64 v[106:107], v[106:107], v[110:111], v[108:109]
	v_add_f64 v[1:2], v[1:2], v[104:105]
	v_add_f64 v[3:4], v[3:4], v[106:107]
	s_andn2_b32 exec_lo, exec_lo, s8
	s_cbranch_execnz .LBB45_700
; %bb.701:
	s_or_b32 exec_lo, exec_lo, s8
.LBB45_702:
	s_or_b32 exec_lo, exec_lo, s6
	v_mov_b32_e32 v100, 0
	ds_read_b128 v[104:107], v100 offset:688
	s_waitcnt lgkmcnt(0)
	v_mul_f64 v[100:101], v[3:4], v[106:107]
	v_mul_f64 v[106:107], v[1:2], v[106:107]
	v_fma_f64 v[1:2], v[1:2], v[104:105], -v[100:101]
	v_fma_f64 v[3:4], v[3:4], v[104:105], v[106:107]
	buffer_store_dword v2, off, s[0:3], 0 offset:692
	buffer_store_dword v1, off, s[0:3], 0 offset:688
	buffer_store_dword v4, off, s[0:3], 0 offset:700
	buffer_store_dword v3, off, s[0:3], 0 offset:696
.LBB45_703:
	s_or_b32 exec_lo, exec_lo, s4
	v_mov_b32_e32 v4, s9
	v_cmp_gt_u32_e64 s4, 44, v0
	s_clause 0x3
	buffer_load_dword v1, v4, s[0:3], 0 offen
	buffer_load_dword v2, v4, s[0:3], 0 offen offset:4
	buffer_load_dword v3, v4, s[0:3], 0 offen offset:8
	;; [unrolled: 1-line block ×3, first 2 shown]
	s_waitcnt vmcnt(0)
	ds_write_b128 v98, v[1:4]
	s_waitcnt lgkmcnt(0)
	s_waitcnt_vscnt null, 0x0
	s_barrier
	buffer_gl0_inv
	s_and_saveexec_b32 s6, s4
	s_cbranch_execz .LBB45_711
; %bb.704:
	ds_read_b128 v[1:4], v98
	v_cmp_ne_u32_e32 vcc_lo, 1, v99
	s_cbranch_vccnz .LBB45_706
; %bb.705:
	s_clause 0x3
	buffer_load_dword v100, v97, s[0:3], 0 offen offset:8
	buffer_load_dword v101, v97, s[0:3], 0 offen offset:12
	buffer_load_dword v104, v97, s[0:3], 0 offen
	buffer_load_dword v105, v97, s[0:3], 0 offen offset:4
	s_waitcnt vmcnt(2) lgkmcnt(0)
	v_mul_f64 v[106:107], v[3:4], v[100:101]
	v_mul_f64 v[100:101], v[1:2], v[100:101]
	s_waitcnt vmcnt(0)
	v_fma_f64 v[1:2], v[1:2], v[104:105], -v[106:107]
	v_fma_f64 v[3:4], v[3:4], v[104:105], v[100:101]
.LBB45_706:
	s_mov_b32 s8, exec_lo
	v_cmpx_ne_u32_e32 43, v0
	s_cbranch_execz .LBB45_710
; %bb.707:
	v_add_nc_u32_e32 v100, 0x2f0, v103
	v_add3_u32 v101, 0, v103, 16
	v_mov_b32_e32 v102, v0
	s_mov_b32 s54, 0
	.p2align	6
.LBB45_708:                             ; =>This Inner Loop Header: Depth=1
	s_clause 0x3
	buffer_load_dword v108, v101, s[0:3], 0 offen offset:8
	buffer_load_dword v109, v101, s[0:3], 0 offen offset:12
	buffer_load_dword v110, v101, s[0:3], 0 offen
	buffer_load_dword v111, v101, s[0:3], 0 offen offset:4
	ds_read_b128 v[104:107], v100
	v_add_nc_u32_e32 v102, 1, v102
	v_add_nc_u32_e32 v100, 16, v100
	;; [unrolled: 1-line block ×3, first 2 shown]
	v_cmp_lt_u32_e32 vcc_lo, 42, v102
	s_or_b32 s54, vcc_lo, s54
	s_waitcnt vmcnt(2) lgkmcnt(0)
	v_mul_f64 v[112:113], v[106:107], v[108:109]
	v_mul_f64 v[108:109], v[104:105], v[108:109]
	s_waitcnt vmcnt(0)
	v_fma_f64 v[104:105], v[104:105], v[110:111], -v[112:113]
	v_fma_f64 v[106:107], v[106:107], v[110:111], v[108:109]
	v_add_f64 v[1:2], v[1:2], v[104:105]
	v_add_f64 v[3:4], v[3:4], v[106:107]
	s_andn2_b32 exec_lo, exec_lo, s54
	s_cbranch_execnz .LBB45_708
; %bb.709:
	s_or_b32 exec_lo, exec_lo, s54
.LBB45_710:
	s_or_b32 exec_lo, exec_lo, s8
	v_mov_b32_e32 v100, 0
	ds_read_b128 v[104:107], v100 offset:704
	s_waitcnt lgkmcnt(0)
	v_mul_f64 v[100:101], v[3:4], v[106:107]
	v_mul_f64 v[106:107], v[1:2], v[106:107]
	v_fma_f64 v[1:2], v[1:2], v[104:105], -v[100:101]
	v_fma_f64 v[3:4], v[3:4], v[104:105], v[106:107]
	buffer_store_dword v2, off, s[0:3], 0 offset:708
	buffer_store_dword v1, off, s[0:3], 0 offset:704
	;; [unrolled: 1-line block ×4, first 2 shown]
.LBB45_711:
	s_or_b32 exec_lo, exec_lo, s6
	v_mov_b32_e32 v4, s7
	s_mov_b32 s6, exec_lo
                                        ; implicit-def: $sgpr55
	s_clause 0x3
	buffer_load_dword v1, v4, s[0:3], 0 offen
	buffer_load_dword v2, v4, s[0:3], 0 offen offset:4
	buffer_load_dword v3, v4, s[0:3], 0 offen offset:8
	;; [unrolled: 1-line block ×3, first 2 shown]
	s_waitcnt vmcnt(0)
	ds_write_b128 v98, v[1:4]
	s_waitcnt lgkmcnt(0)
	s_waitcnt_vscnt null, 0x0
	s_barrier
	buffer_gl0_inv
                                        ; implicit-def: $vgpr1_vgpr2
	v_cmpx_ne_u32_e32 45, v0
	s_cbranch_execz .LBB45_719
; %bb.712:
	ds_read_b128 v[1:4], v98
	v_cmp_ne_u32_e32 vcc_lo, 1, v99
	s_cbranch_vccnz .LBB45_714
; %bb.713:
	s_clause 0x3
	buffer_load_dword v98, v97, s[0:3], 0 offen offset:8
	buffer_load_dword v99, v97, s[0:3], 0 offen offset:12
	buffer_load_dword v100, v97, s[0:3], 0 offen
	buffer_load_dword v101, v97, s[0:3], 0 offen offset:4
	s_waitcnt vmcnt(2) lgkmcnt(0)
	v_mul_f64 v[104:105], v[3:4], v[98:99]
	v_mul_f64 v[97:98], v[1:2], v[98:99]
	s_waitcnt vmcnt(0)
	v_fma_f64 v[1:2], v[1:2], v[100:101], -v[104:105]
	v_fma_f64 v[3:4], v[3:4], v[100:101], v[97:98]
.LBB45_714:
	s_and_saveexec_b32 s8, s4
	s_cbranch_execz .LBB45_718
; %bb.715:
	v_add_nc_u32_e32 v97, 0x2f0, v103
	v_add3_u32 v98, 0, v103, 16
	s_mov_b32 s4, 0
	.p2align	6
.LBB45_716:                             ; =>This Inner Loop Header: Depth=1
	s_clause 0x3
	buffer_load_dword v103, v98, s[0:3], 0 offen offset:8
	buffer_load_dword v104, v98, s[0:3], 0 offen offset:12
	buffer_load_dword v105, v98, s[0:3], 0 offen
	buffer_load_dword v106, v98, s[0:3], 0 offen offset:4
	ds_read_b128 v[99:102], v97
	v_add_nc_u32_e32 v0, 1, v0
	v_add_nc_u32_e32 v97, 16, v97
	;; [unrolled: 1-line block ×3, first 2 shown]
	v_cmp_lt_u32_e32 vcc_lo, 43, v0
	s_or_b32 s4, vcc_lo, s4
	s_waitcnt vmcnt(2) lgkmcnt(0)
	v_mul_f64 v[107:108], v[101:102], v[103:104]
	v_mul_f64 v[103:104], v[99:100], v[103:104]
	s_waitcnt vmcnt(0)
	v_fma_f64 v[99:100], v[99:100], v[105:106], -v[107:108]
	v_fma_f64 v[101:102], v[101:102], v[105:106], v[103:104]
	v_add_f64 v[1:2], v[1:2], v[99:100]
	v_add_f64 v[3:4], v[3:4], v[101:102]
	s_andn2_b32 exec_lo, exec_lo, s4
	s_cbranch_execnz .LBB45_716
; %bb.717:
	s_or_b32 exec_lo, exec_lo, s4
.LBB45_718:
	s_or_b32 exec_lo, exec_lo, s8
	v_mov_b32_e32 v0, 0
	s_movk_i32 s55, 0x2d8
	s_or_b32 s5, s5, exec_lo
	ds_read_b128 v[97:100], v0 offset:720
	s_waitcnt lgkmcnt(0)
	v_mul_f64 v[101:102], v[3:4], v[99:100]
	v_mul_f64 v[99:100], v[1:2], v[99:100]
	v_fma_f64 v[101:102], v[1:2], v[97:98], -v[101:102]
	v_fma_f64 v[1:2], v[3:4], v[97:98], v[99:100]
	buffer_store_dword v102, off, s[0:3], 0 offset:724
	buffer_store_dword v101, off, s[0:3], 0 offset:720
.LBB45_719:
	s_or_b32 exec_lo, exec_lo, s6
.LBB45_720:
	s_and_saveexec_b32 s4, s5
	s_cbranch_execz .LBB45_722
; %bb.721:
	v_mov_b32_e32 v0, s55
	buffer_store_dword v2, v0, s[0:3], 0 offen offset:4
	buffer_store_dword v1, v0, s[0:3], 0 offen
.LBB45_722:
	s_or_b32 exec_lo, exec_lo, s4
	v_mov_b32_e32 v3, s53
	v_mov_b32_e32 v104, s50
	;; [unrolled: 1-line block ×7, first 2 shown]
	s_clause 0x1f
	buffer_load_dword v0, v3, s[0:3], 0 offen
	buffer_load_dword v1, v3, s[0:3], 0 offen offset:4
	buffer_load_dword v2, v3, s[0:3], 0 offen offset:8
	buffer_load_dword v3, v3, s[0:3], 0 offen offset:12
	buffer_load_dword v97, v100, s[0:3], 0 offen
	buffer_load_dword v98, v100, s[0:3], 0 offen offset:4
	buffer_load_dword v99, v100, s[0:3], 0 offen offset:8
	buffer_load_dword v100, v100, s[0:3], 0 offen offset:12
	;; [unrolled: 4-line block ×7, first 2 shown]
	buffer_load_dword v121, off, s[0:3], 0
	buffer_load_dword v122, off, s[0:3], 0 offset:4
	buffer_load_dword v123, off, s[0:3], 0 offset:8
	;; [unrolled: 1-line block ×3, first 2 shown]
	v_mov_b32_e32 v4, s46
	v_mov_b32_e32 v133, s17
	;; [unrolled: 1-line block ×11, first 2 shown]
	s_waitcnt vmcnt(0)
	global_store_dwordx4 v[63:64], v[121:124], off
	s_clause 0x3
	buffer_load_dword v121, v4, s[0:3], 0 offen
	buffer_load_dword v122, v4, s[0:3], 0 offen offset:4
	buffer_load_dword v123, v4, s[0:3], 0 offen offset:8
	;; [unrolled: 1-line block ×3, first 2 shown]
	v_mov_b32_e32 v4, s45
	global_store_dwordx4 v[47:48], v[117:120], off
	s_clause 0x3
	buffer_load_dword v117, v4, s[0:3], 0 offen
	buffer_load_dword v118, v4, s[0:3], 0 offen offset:4
	buffer_load_dword v119, v4, s[0:3], 0 offen offset:8
	;; [unrolled: 1-line block ×3, first 2 shown]
	v_mov_b32_e32 v4, s44
	s_clause 0x3
	buffer_load_dword v125, v4, s[0:3], 0 offen
	buffer_load_dword v126, v4, s[0:3], 0 offen offset:4
	buffer_load_dword v127, v4, s[0:3], 0 offen offset:8
	;; [unrolled: 1-line block ×3, first 2 shown]
	global_store_dwordx4 v[41:42], v[0:3], off
	v_mov_b32_e32 v3, s43
	s_clause 0x3
	buffer_load_dword v0, v3, s[0:3], 0 offen
	buffer_load_dword v1, v3, s[0:3], 0 offen offset:4
	buffer_load_dword v2, v3, s[0:3], 0 offen offset:8
	;; [unrolled: 1-line block ×3, first 2 shown]
	v_mov_b32_e32 v4, s42
	v_mov_b32_e32 v41, s41
	global_store_dwordx4 v[71:72], v[97:100], off
	s_clause 0x3
	buffer_load_dword v97, v4, s[0:3], 0 offen
	buffer_load_dword v98, v4, s[0:3], 0 offen offset:4
	buffer_load_dword v99, v4, s[0:3], 0 offen offset:8
	;; [unrolled: 1-line block ×3, first 2 shown]
	v_mov_b32_e32 v4, s40
	global_store_dwordx4 v[69:70], v[101:104], off
	s_clause 0x3
	buffer_load_dword v69, v41, s[0:3], 0 offen
	buffer_load_dword v70, v41, s[0:3], 0 offen offset:4
	buffer_load_dword v71, v41, s[0:3], 0 offen offset:8
	;; [unrolled: 1-line block ×3, first 2 shown]
	v_mov_b32_e32 v41, s39
	s_clause 0x3
	buffer_load_dword v101, v4, s[0:3], 0 offen
	buffer_load_dword v102, v4, s[0:3], 0 offen offset:4
	buffer_load_dword v103, v4, s[0:3], 0 offen offset:8
	;; [unrolled: 1-line block ×3, first 2 shown]
	v_mov_b32_e32 v4, s38
	global_store_dwordx4 v[67:68], v[105:108], off
	s_clause 0x7
	buffer_load_dword v105, v41, s[0:3], 0 offen
	buffer_load_dword v106, v41, s[0:3], 0 offen offset:4
	buffer_load_dword v107, v41, s[0:3], 0 offen offset:8
	;; [unrolled: 1-line block ×3, first 2 shown]
	buffer_load_dword v129, v4, s[0:3], 0 offen
	buffer_load_dword v130, v4, s[0:3], 0 offen offset:4
	buffer_load_dword v131, v4, s[0:3], 0 offen offset:8
	;; [unrolled: 1-line block ×3, first 2 shown]
	v_mov_b32_e32 v4, s37
	global_store_dwordx4 v[65:66], v[109:112], off
	s_clause 0x3
	buffer_load_dword v63, v4, s[0:3], 0 offen
	buffer_load_dword v64, v4, s[0:3], 0 offen offset:4
	buffer_load_dword v65, v4, s[0:3], 0 offen offset:8
	;; [unrolled: 1-line block ×3, first 2 shown]
	v_mov_b32_e32 v4, s36
	v_mov_b32_e32 v41, s35
	global_store_dwordx4 v[49:50], v[113:116], off
	s_clause 0x7
	buffer_load_dword v47, v4, s[0:3], 0 offen
	buffer_load_dword v48, v4, s[0:3], 0 offen offset:4
	buffer_load_dword v49, v4, s[0:3], 0 offen offset:8
	buffer_load_dword v50, v4, s[0:3], 0 offen offset:12
	buffer_load_dword v109, v41, s[0:3], 0 offen
	buffer_load_dword v110, v41, s[0:3], 0 offen offset:4
	buffer_load_dword v111, v41, s[0:3], 0 offen offset:8
	;; [unrolled: 1-line block ×3, first 2 shown]
	v_mov_b32_e32 v4, s34
	v_mov_b32_e32 v41, s31
	;; [unrolled: 1-line block ×3, first 2 shown]
	s_waitcnt vmcnt(44)
	global_store_dwordx4 v[45:46], v[121:124], off
	s_clause 0x3
	buffer_load_dword v113, v4, s[0:3], 0 offen
	buffer_load_dword v114, v4, s[0:3], 0 offen offset:4
	buffer_load_dword v115, v4, s[0:3], 0 offen offset:8
	;; [unrolled: 1-line block ×3, first 2 shown]
	v_mov_b32_e32 v4, s33
	v_mov_b32_e32 v45, s24
	s_waitcnt vmcnt(44)
	global_store_dwordx4 v[59:60], v[117:120], off
	s_clause 0x7
	buffer_load_dword v117, v4, s[0:3], 0 offen
	buffer_load_dword v118, v4, s[0:3], 0 offen offset:4
	buffer_load_dword v119, v4, s[0:3], 0 offen offset:8
	buffer_load_dword v120, v4, s[0:3], 0 offen offset:12
	buffer_load_dword v121, v41, s[0:3], 0 offen
	buffer_load_dword v122, v41, s[0:3], 0 offen offset:4
	buffer_load_dword v123, v41, s[0:3], 0 offen offset:8
	;; [unrolled: 1-line block ×3, first 2 shown]
	v_mov_b32_e32 v4, s30
	v_mov_b32_e32 v41, s26
	s_waitcnt vmcnt(48)
	global_store_dwordx4 v[55:56], v[125:128], off
	s_clause 0x3
	buffer_load_dword v125, v4, s[0:3], 0 offen
	buffer_load_dword v126, v4, s[0:3], 0 offen offset:4
	buffer_load_dword v127, v4, s[0:3], 0 offen offset:8
	;; [unrolled: 1-line block ×3, first 2 shown]
	v_mov_b32_e32 v4, s29
	s_waitcnt vmcnt(48)
	global_store_dwordx4 v[61:62], v[0:3], off
	s_clause 0x3
	buffer_load_dword v0, v4, s[0:3], 0 offen
	buffer_load_dword v1, v4, s[0:3], 0 offen offset:4
	buffer_load_dword v2, v4, s[0:3], 0 offen offset:8
	;; [unrolled: 1-line block ×3, first 2 shown]
	v_mov_b32_e32 v4, s28
	s_clause 0x3
	buffer_load_dword v59, v4, s[0:3], 0 offen
	buffer_load_dword v60, v4, s[0:3], 0 offen offset:4
	buffer_load_dword v61, v4, s[0:3], 0 offen offset:8
	;; [unrolled: 1-line block ×3, first 2 shown]
	v_mov_b32_e32 v4, s27
	s_waitcnt vmcnt(52)
	global_store_dwordx4 v[57:58], v[97:100], off
	v_mov_b32_e32 v97, s23
	s_waitcnt vmcnt(48)
	global_store_dwordx4 v[37:38], v[69:72], off
	v_mov_b32_e32 v37, s21
	v_mov_b32_e32 v71, s19
	s_waitcnt vmcnt(44)
	global_store_dwordx4 v[19:20], v[101:104], off
	s_waitcnt vmcnt(40)
	global_store_dwordx4 v[13:14], v[105:108], off
	;; [unrolled: 2-line block ×3, first 2 shown]
	s_clause 0x7
	buffer_load_dword v55, v4, s[0:3], 0 offen
	buffer_load_dword v56, v4, s[0:3], 0 offen offset:4
	buffer_load_dword v57, v4, s[0:3], 0 offen offset:8
	;; [unrolled: 1-line block ×3, first 2 shown]
	buffer_load_dword v67, v41, s[0:3], 0 offen
	buffer_load_dword v68, v41, s[0:3], 0 offen offset:4
	buffer_load_dword v69, v41, s[0:3], 0 offen offset:8
	;; [unrolled: 1-line block ×3, first 2 shown]
	v_mov_b32_e32 v100, s22
	v_mov_b32_e32 v38, s20
	;; [unrolled: 1-line block ×3, first 2 shown]
	s_waitcnt vmcnt(40)
	global_store_dwordx4 v[15:16], v[63:66], off
	s_clause 0x7
	buffer_load_dword v13, v42, s[0:3], 0 offen
	buffer_load_dword v14, v42, s[0:3], 0 offen offset:4
	buffer_load_dword v15, v42, s[0:3], 0 offen offset:8
	buffer_load_dword v16, v42, s[0:3], 0 offen offset:12
	buffer_load_dword v63, v45, s[0:3], 0 offen
	buffer_load_dword v64, v45, s[0:3], 0 offen offset:4
	buffer_load_dword v65, v45, s[0:3], 0 offen offset:8
	buffer_load_dword v66, v45, s[0:3], 0 offen offset:12
	s_waitcnt vmcnt(44)
	global_store_dwordx4 v[11:12], v[47:50], off
	s_clause 0x7
	buffer_load_dword v45, v97, s[0:3], 0 offen
	buffer_load_dword v46, v97, s[0:3], 0 offen offset:4
	buffer_load_dword v47, v97, s[0:3], 0 offen offset:8
	buffer_load_dword v48, v97, s[0:3], 0 offen offset:12
	buffer_load_dword v97, v100, s[0:3], 0 offen
	buffer_load_dword v98, v100, s[0:3], 0 offen offset:4
	buffer_load_dword v99, v100, s[0:3], 0 offen offset:8
	buffer_load_dword v100, v100, s[0:3], 0 offen offset:12
	;; [unrolled: 11-line block ×8, first 2 shown]
	global_store_dwordx4 v[31:32], v[59:62], off
	s_clause 0x7
	buffer_load_dword v59, v141, s[0:3], 0 offen
	buffer_load_dword v60, v141, s[0:3], 0 offen offset:4
	buffer_load_dword v61, v141, s[0:3], 0 offen offset:8
	;; [unrolled: 1-line block ×3, first 2 shown]
	buffer_load_dword v129, v142, s[0:3], 0 offen
	buffer_load_dword v130, v142, s[0:3], 0 offen offset:4
	buffer_load_dword v131, v142, s[0:3], 0 offen offset:8
	;; [unrolled: 1-line block ×3, first 2 shown]
	s_waitcnt vmcnt(62)
	global_store_dwordx4 v[25:26], v[55:58], off
	global_store_dwordx4 v[33:34], v[67:70], off
	;; [unrolled: 1-line block ×4, first 2 shown]
	s_waitcnt vmcnt(60)
	global_store_dwordx4 v[43:44], v[45:48], off
	s_waitcnt vmcnt(56)
	global_store_dwordx4 v[51:52], v[97:100], off
	;; [unrolled: 2-line block ×16, first 2 shown]
.LBB45_723:
	s_endpgm
	.section	.rodata,"a",@progbits
	.p2align	6, 0x0
	.amdhsa_kernel _ZN9rocsolver6v33100L18trti2_kernel_smallILi46E19rocblas_complex_numIdEPS3_EEv13rocblas_fill_17rocblas_diagonal_T1_iil
		.amdhsa_group_segment_fixed_size 1472
		.amdhsa_private_segment_fixed_size 752
		.amdhsa_kernarg_size 32
		.amdhsa_user_sgpr_count 6
		.amdhsa_user_sgpr_private_segment_buffer 1
		.amdhsa_user_sgpr_dispatch_ptr 0
		.amdhsa_user_sgpr_queue_ptr 0
		.amdhsa_user_sgpr_kernarg_segment_ptr 1
		.amdhsa_user_sgpr_dispatch_id 0
		.amdhsa_user_sgpr_flat_scratch_init 0
		.amdhsa_user_sgpr_private_segment_size 0
		.amdhsa_wavefront_size32 1
		.amdhsa_uses_dynamic_stack 0
		.amdhsa_system_sgpr_private_segment_wavefront_offset 1
		.amdhsa_system_sgpr_workgroup_id_x 1
		.amdhsa_system_sgpr_workgroup_id_y 0
		.amdhsa_system_sgpr_workgroup_id_z 0
		.amdhsa_system_sgpr_workgroup_info 0
		.amdhsa_system_vgpr_workitem_id 0
		.amdhsa_next_free_vgpr 143
		.amdhsa_next_free_sgpr 74
		.amdhsa_reserve_vcc 1
		.amdhsa_reserve_flat_scratch 0
		.amdhsa_float_round_mode_32 0
		.amdhsa_float_round_mode_16_64 0
		.amdhsa_float_denorm_mode_32 3
		.amdhsa_float_denorm_mode_16_64 3
		.amdhsa_dx10_clamp 1
		.amdhsa_ieee_mode 1
		.amdhsa_fp16_overflow 0
		.amdhsa_workgroup_processor_mode 1
		.amdhsa_memory_ordered 1
		.amdhsa_forward_progress 1
		.amdhsa_shared_vgpr_count 0
		.amdhsa_exception_fp_ieee_invalid_op 0
		.amdhsa_exception_fp_denorm_src 0
		.amdhsa_exception_fp_ieee_div_zero 0
		.amdhsa_exception_fp_ieee_overflow 0
		.amdhsa_exception_fp_ieee_underflow 0
		.amdhsa_exception_fp_ieee_inexact 0
		.amdhsa_exception_int_div_zero 0
	.end_amdhsa_kernel
	.section	.text._ZN9rocsolver6v33100L18trti2_kernel_smallILi46E19rocblas_complex_numIdEPS3_EEv13rocblas_fill_17rocblas_diagonal_T1_iil,"axG",@progbits,_ZN9rocsolver6v33100L18trti2_kernel_smallILi46E19rocblas_complex_numIdEPS3_EEv13rocblas_fill_17rocblas_diagonal_T1_iil,comdat
.Lfunc_end45:
	.size	_ZN9rocsolver6v33100L18trti2_kernel_smallILi46E19rocblas_complex_numIdEPS3_EEv13rocblas_fill_17rocblas_diagonal_T1_iil, .Lfunc_end45-_ZN9rocsolver6v33100L18trti2_kernel_smallILi46E19rocblas_complex_numIdEPS3_EEv13rocblas_fill_17rocblas_diagonal_T1_iil
                                        ; -- End function
	.set _ZN9rocsolver6v33100L18trti2_kernel_smallILi46E19rocblas_complex_numIdEPS3_EEv13rocblas_fill_17rocblas_diagonal_T1_iil.num_vgpr, 143
	.set _ZN9rocsolver6v33100L18trti2_kernel_smallILi46E19rocblas_complex_numIdEPS3_EEv13rocblas_fill_17rocblas_diagonal_T1_iil.num_agpr, 0
	.set _ZN9rocsolver6v33100L18trti2_kernel_smallILi46E19rocblas_complex_numIdEPS3_EEv13rocblas_fill_17rocblas_diagonal_T1_iil.numbered_sgpr, 74
	.set _ZN9rocsolver6v33100L18trti2_kernel_smallILi46E19rocblas_complex_numIdEPS3_EEv13rocblas_fill_17rocblas_diagonal_T1_iil.num_named_barrier, 0
	.set _ZN9rocsolver6v33100L18trti2_kernel_smallILi46E19rocblas_complex_numIdEPS3_EEv13rocblas_fill_17rocblas_diagonal_T1_iil.private_seg_size, 752
	.set _ZN9rocsolver6v33100L18trti2_kernel_smallILi46E19rocblas_complex_numIdEPS3_EEv13rocblas_fill_17rocblas_diagonal_T1_iil.uses_vcc, 1
	.set _ZN9rocsolver6v33100L18trti2_kernel_smallILi46E19rocblas_complex_numIdEPS3_EEv13rocblas_fill_17rocblas_diagonal_T1_iil.uses_flat_scratch, 0
	.set _ZN9rocsolver6v33100L18trti2_kernel_smallILi46E19rocblas_complex_numIdEPS3_EEv13rocblas_fill_17rocblas_diagonal_T1_iil.has_dyn_sized_stack, 0
	.set _ZN9rocsolver6v33100L18trti2_kernel_smallILi46E19rocblas_complex_numIdEPS3_EEv13rocblas_fill_17rocblas_diagonal_T1_iil.has_recursion, 0
	.set _ZN9rocsolver6v33100L18trti2_kernel_smallILi46E19rocblas_complex_numIdEPS3_EEv13rocblas_fill_17rocblas_diagonal_T1_iil.has_indirect_call, 0
	.section	.AMDGPU.csdata,"",@progbits
; Kernel info:
; codeLenInByte = 46672
; TotalNumSgprs: 76
; NumVgprs: 143
; ScratchSize: 752
; MemoryBound: 0
; FloatMode: 240
; IeeeMode: 1
; LDSByteSize: 1472 bytes/workgroup (compile time only)
; SGPRBlocks: 0
; VGPRBlocks: 17
; NumSGPRsForWavesPerEU: 76
; NumVGPRsForWavesPerEU: 143
; Occupancy: 7
; WaveLimiterHint : 0
; COMPUTE_PGM_RSRC2:SCRATCH_EN: 1
; COMPUTE_PGM_RSRC2:USER_SGPR: 6
; COMPUTE_PGM_RSRC2:TRAP_HANDLER: 0
; COMPUTE_PGM_RSRC2:TGID_X_EN: 1
; COMPUTE_PGM_RSRC2:TGID_Y_EN: 0
; COMPUTE_PGM_RSRC2:TGID_Z_EN: 0
; COMPUTE_PGM_RSRC2:TIDIG_COMP_CNT: 0
	.section	.text._ZN9rocsolver6v33100L18trti2_kernel_smallILi47E19rocblas_complex_numIdEPS3_EEv13rocblas_fill_17rocblas_diagonal_T1_iil,"axG",@progbits,_ZN9rocsolver6v33100L18trti2_kernel_smallILi47E19rocblas_complex_numIdEPS3_EEv13rocblas_fill_17rocblas_diagonal_T1_iil,comdat
	.globl	_ZN9rocsolver6v33100L18trti2_kernel_smallILi47E19rocblas_complex_numIdEPS3_EEv13rocblas_fill_17rocblas_diagonal_T1_iil ; -- Begin function _ZN9rocsolver6v33100L18trti2_kernel_smallILi47E19rocblas_complex_numIdEPS3_EEv13rocblas_fill_17rocblas_diagonal_T1_iil
	.p2align	8
	.type	_ZN9rocsolver6v33100L18trti2_kernel_smallILi47E19rocblas_complex_numIdEPS3_EEv13rocblas_fill_17rocblas_diagonal_T1_iil,@function
_ZN9rocsolver6v33100L18trti2_kernel_smallILi47E19rocblas_complex_numIdEPS3_EEv13rocblas_fill_17rocblas_diagonal_T1_iil: ; @_ZN9rocsolver6v33100L18trti2_kernel_smallILi47E19rocblas_complex_numIdEPS3_EEv13rocblas_fill_17rocblas_diagonal_T1_iil
; %bb.0:
	s_add_u32 s0, s0, s7
	s_addc_u32 s1, s1, 0
	s_mov_b32 s7, exec_lo
	v_cmpx_gt_u32_e32 47, v0
	s_cbranch_execz .LBB46_739
; %bb.1:
	s_load_dwordx8 s[8:15], s[4:5], 0x0
	s_ashr_i32 s4, s6, 31
	v_lshlrev_b32_e32 v117, 4, v0
	s_movk_i32 s17, 0x100
	s_movk_i32 s18, 0x110
	;; [unrolled: 1-line block ×17, first 2 shown]
	s_waitcnt lgkmcnt(0)
	v_add3_u32 v1, s13, s13, v0
	s_mul_hi_u32 s5, s14, s6
	s_mul_i32 s16, s14, s4
	s_mul_i32 s15, s15, s6
	s_add_i32 s5, s5, s16
	v_add_nc_u32_e32 v5, s13, v1
	s_mul_i32 s4, s14, s6
	s_add_i32 s5, s5, s15
	s_ashr_i32 s7, s12, 31
	s_lshl_b64 s[4:5], s[4:5], 4
	s_mov_b32 s6, s12
	s_add_u32 s10, s10, s4
	v_add_nc_u32_e32 v17, s13, v5
	v_ashrrev_i32_e32 v2, 31, v1
	s_addc_u32 s11, s11, s5
	s_lshl_b64 s[4:5], s[6:7], 4
	v_ashrrev_i32_e32 v6, 31, v5
	s_add_u32 s4, s10, s4
	s_addc_u32 s5, s11, s5
	v_add_co_u32 v27, s6, s4, v117
	v_ashrrev_i32_e32 v18, 31, v17
	s_mov_b32 s14, s13
	v_lshlrev_b64 v[7:8], 4, v[1:2]
	s_ashr_i32 s15, s13, 31
	v_add_co_ci_u32_e64 v28, null, s5, 0, s6
	s_lshl_b64 s[6:7], s[14:15], 4
	v_lshlrev_b64 v[9:10], 4, v[5:6]
	v_add_co_u32 v29, vcc_lo, v27, s6
	v_lshlrev_b64 v[18:19], 4, v[17:18]
	v_add_co_ci_u32_e64 v30, null, s7, v28, vcc_lo
	v_add_co_u32 v25, vcc_lo, s4, v7
	v_add_co_ci_u32_e64 v26, null, s5, v8, vcc_lo
	v_add_co_u32 v91, vcc_lo, s4, v9
	;; [unrolled: 2-line block ×3, first 2 shown]
	v_add_co_ci_u32_e64 v86, null, s5, v19, vcc_lo
	s_clause 0x3
	global_load_dwordx4 v[1:4], v117, s[4:5]
	global_load_dwordx4 v[5:8], v[29:30], off
	global_load_dwordx4 v[9:12], v[25:26], off
	;; [unrolled: 1-line block ×3, first 2 shown]
	v_add_nc_u32_e32 v21, s13, v17
	global_load_dwordx4 v[17:20], v[85:86], off
	s_cmpk_lg_i32 s9, 0x84
	s_movk_i32 s6, 0x70
	s_movk_i32 s7, 0x80
	v_add_nc_u32_e32 v23, s13, v21
	v_ashrrev_i32_e32 v22, 31, v21
	s_movk_i32 s10, 0x90
	s_movk_i32 s11, 0xa0
	;; [unrolled: 1-line block ×3, first 2 shown]
	v_add_nc_u32_e32 v31, s13, v23
	v_ashrrev_i32_e32 v24, 31, v23
	v_lshlrev_b64 v[21:22], 4, v[21:22]
	s_movk_i32 s14, 0xd0
	s_movk_i32 s15, 0xe0
	v_add_nc_u32_e32 v33, s13, v31
	v_ashrrev_i32_e32 v32, 31, v31
	v_lshlrev_b64 v[23:24], 4, v[23:24]
	v_add_co_u32 v87, vcc_lo, s4, v21
	v_add_nc_u32_e32 v35, s13, v33
	v_lshlrev_b64 v[31:32], 4, v[31:32]
	v_ashrrev_i32_e32 v34, 31, v33
	v_add_co_ci_u32_e64 v88, null, s5, v22, vcc_lo
	v_ashrrev_i32_e32 v36, 31, v35
	v_add_nc_u32_e32 v37, s13, v35
	v_add_co_u32 v79, vcc_lo, s4, v23
	v_lshlrev_b64 v[33:34], 4, v[33:34]
	v_add_co_ci_u32_e64 v80, null, s5, v24, vcc_lo
	v_add_co_u32 v81, vcc_lo, s4, v31
	v_add_co_ci_u32_e64 v82, null, s5, v32, vcc_lo
	v_lshlrev_b64 v[31:32], 4, v[35:36]
	v_ashrrev_i32_e32 v38, 31, v37
	v_add_nc_u32_e32 v35, s13, v37
	v_add_co_u32 v75, vcc_lo, s4, v33
	v_add_co_ci_u32_e64 v76, null, s5, v34, vcc_lo
	v_lshlrev_b64 v[33:34], 4, v[37:38]
	v_ashrrev_i32_e32 v36, 31, v35
	v_add_nc_u32_e32 v37, s13, v35
	;; [unrolled: 5-line block ×8, first 2 shown]
	v_add_co_u32 v41, vcc_lo, s4, v31
	v_add_co_ci_u32_e64 v42, null, s5, v32, vcc_lo
	v_lshlrev_b64 v[31:32], 4, v[35:36]
	v_add_nc_u32_e32 v35, s13, v37
	v_ashrrev_i32_e32 v38, 31, v37
	v_add_co_u32 v39, vcc_lo, s4, v33
	v_add_co_ci_u32_e64 v40, null, s5, v34, vcc_lo
	v_add_nc_u32_e32 v43, s13, v35
	v_ashrrev_i32_e32 v36, 31, v35
	v_lshlrev_b64 v[33:34], 4, v[37:38]
	v_add_co_u32 v37, vcc_lo, s4, v31
	v_add_nc_u32_e32 v45, s13, v43
	v_ashrrev_i32_e32 v44, 31, v43
	v_add_co_ci_u32_e64 v38, null, s5, v32, vcc_lo
	v_lshlrev_b64 v[31:32], 4, v[35:36]
	v_add_nc_u32_e32 v47, s13, v45
	v_ashrrev_i32_e32 v46, 31, v45
	v_lshlrev_b64 v[43:44], 4, v[43:44]
	v_add_co_u32 v35, vcc_lo, s4, v33
	v_add_nc_u32_e32 v49, s13, v47
	v_ashrrev_i32_e32 v48, 31, v47
	v_lshlrev_b64 v[45:46], 4, v[45:46]
	v_add_co_ci_u32_e64 v36, null, s5, v34, vcc_lo
	v_add_nc_u32_e32 v53, s13, v49
	v_ashrrev_i32_e32 v50, 31, v49
	v_add_co_u32 v33, vcc_lo, s4, v31
	v_lshlrev_b64 v[47:48], 4, v[47:48]
	v_add_nc_u32_e32 v55, s13, v53
	v_ashrrev_i32_e32 v54, 31, v53
	v_add_co_ci_u32_e64 v34, null, s5, v32, vcc_lo
	v_add_co_u32 v31, vcc_lo, s4, v43
	v_add_nc_u32_e32 v57, s13, v55
	v_ashrrev_i32_e32 v56, 31, v55
	v_lshlrev_b64 v[49:50], 4, v[49:50]
	v_add_co_ci_u32_e64 v32, null, s5, v44, vcc_lo
	v_add_nc_u32_e32 v61, s13, v57
	v_ashrrev_i32_e32 v58, 31, v57
	v_add_co_u32 v43, vcc_lo, s4, v45
	v_lshlrev_b64 v[53:54], 4, v[53:54]
	v_add_nc_u32_e32 v65, s13, v61
	v_ashrrev_i32_e32 v62, 31, v61
	v_add_co_ci_u32_e64 v44, null, s5, v46, vcc_lo
	v_add_co_u32 v45, vcc_lo, s4, v47
	v_add_nc_u32_e32 v71, s13, v65
	v_lshlrev_b64 v[55:56], 4, v[55:56]
	v_ashrrev_i32_e32 v66, 31, v65
	v_add_co_ci_u32_e64 v46, null, s5, v48, vcc_lo
	v_add_nc_u32_e32 v77, s13, v71
	v_add_co_u32 v47, vcc_lo, s4, v49
	v_lshlrev_b64 v[57:58], 4, v[57:58]
	v_ashrrev_i32_e32 v72, 31, v71
	v_add_nc_u32_e32 v83, s13, v77
	v_add_co_ci_u32_e64 v48, null, s5, v50, vcc_lo
	v_add_co_u32 v49, vcc_lo, s4, v53
	v_add_nc_u32_e32 v89, s13, v83
	v_lshlrev_b64 v[61:62], 4, v[61:62]
	v_ashrrev_i32_e32 v78, 31, v77
	v_add_co_ci_u32_e64 v50, null, s5, v54, vcc_lo
	v_add_nc_u32_e32 v93, s13, v89
	v_add_co_u32 v53, vcc_lo, s4, v55
	v_lshlrev_b64 v[65:66], 4, v[65:66]
	v_ashrrev_i32_e32 v84, 31, v83
	v_add_nc_u32_e32 v95, s13, v93
	;; [unrolled: 11-line block ×4, first 2 shown]
	v_add_co_ci_u32_e64 v66, null, s5, v72, vcc_lo
	v_add_co_u32 v71, vcc_lo, s4, v77
	v_add_nc_u32_e32 v109, s13, v107
	v_lshlrev_b64 v[93:94], 4, v[93:94]
	v_ashrrev_i32_e32 v100, 31, v99
	v_add_co_ci_u32_e64 v72, null, s5, v78, vcc_lo
	v_add_nc_u32_e32 v111, s13, v109
	v_add_co_u32 v77, vcc_lo, s4, v83
	v_lshlrev_b64 v[95:96], 4, v[95:96]
	v_ashrrev_i32_e32 v102, 31, v101
	v_add_co_ci_u32_e64 v78, null, s5, v84, vcc_lo
	v_add_co_u32 v83, vcc_lo, s4, v89
	v_lshlrev_b64 v[97:98], 4, v[97:98]
	v_add_nc_u32_e32 v113, s13, v111
	v_ashrrev_i32_e32 v104, 31, v103
	v_add_co_ci_u32_e64 v84, null, s5, v90, vcc_lo
	v_add_co_u32 v89, vcc_lo, s4, v93
	v_lshlrev_b64 v[99:100], 4, v[99:100]
	v_ashrrev_i32_e32 v106, 31, v105
	v_add_co_ci_u32_e64 v90, null, s5, v94, vcc_lo
	v_add_co_u32 v93, vcc_lo, s4, v95
	v_lshlrev_b64 v[101:102], 4, v[101:102]
	v_ashrrev_i32_e32 v108, 31, v107
	v_add_nc_u32_e32 v115, s13, v113
	v_add_co_ci_u32_e64 v94, null, s5, v96, vcc_lo
	v_add_co_u32 v95, vcc_lo, s4, v97
	v_lshlrev_b64 v[103:104], 4, v[103:104]
	v_ashrrev_i32_e32 v110, 31, v109
	v_add_co_ci_u32_e64 v96, null, s5, v98, vcc_lo
	v_add_co_u32 v97, vcc_lo, s4, v99
	v_lshlrev_b64 v[105:106], 4, v[105:106]
	v_ashrrev_i32_e32 v112, 31, v111
	v_add_co_ci_u32_e64 v98, null, s5, v100, vcc_lo
	v_add_co_u32 v99, vcc_lo, s4, v101
	v_lshlrev_b64 v[107:108], 4, v[107:108]
	v_add_nc_u32_e32 v122, s13, v115
	v_ashrrev_i32_e32 v114, 31, v113
	v_add_co_ci_u32_e64 v100, null, s5, v102, vcc_lo
	v_add_co_u32 v101, vcc_lo, s4, v103
	v_lshlrev_b64 v[109:110], 4, v[109:110]
	v_ashrrev_i32_e32 v116, 31, v115
	v_add_co_ci_u32_e64 v102, null, s5, v104, vcc_lo
	v_add_co_u32 v103, vcc_lo, s4, v105
	v_lshlrev_b64 v[111:112], 4, v[111:112]
	;; [unrolled: 4-line block ×3, first 2 shown]
	v_add_co_ci_u32_e64 v106, null, s5, v108, vcc_lo
	v_add_co_u32 v107, vcc_lo, s4, v109
	v_lshlrev_b64 v[115:116], 4, v[115:116]
	v_add_co_ci_u32_e64 v108, null, s5, v110, vcc_lo
	v_add_co_u32 v109, vcc_lo, s4, v111
	v_lshlrev_b64 v[118:119], 4, v[122:123]
	v_add_co_ci_u32_e64 v110, null, s5, v112, vcc_lo
	v_add_co_u32 v111, vcc_lo, s4, v113
	v_add_co_ci_u32_e64 v112, null, s5, v114, vcc_lo
	v_add_co_u32 v113, vcc_lo, s4, v115
	;; [unrolled: 2-line block ×3, first 2 shown]
	global_load_dwordx4 v[21:24], v[87:88], off
	v_add_co_ci_u32_e64 v116, null, s5, v119, vcc_lo
	global_load_dwordx4 v[118:121], v[79:80], off
	s_waitcnt vmcnt(6)
	buffer_store_dword v4, off, s[0:3], 0 offset:12
	buffer_store_dword v3, off, s[0:3], 0 offset:8
	;; [unrolled: 1-line block ×3, first 2 shown]
	buffer_store_dword v1, off, s[0:3], 0
	global_load_dwordx4 v[1:4], v[81:82], off
	s_waitcnt vmcnt(6)
	buffer_store_dword v8, off, s[0:3], 0 offset:28
	buffer_store_dword v7, off, s[0:3], 0 offset:24
	buffer_store_dword v6, off, s[0:3], 0 offset:20
	buffer_store_dword v5, off, s[0:3], 0 offset:16
	global_load_dwordx4 v[5:8], v[75:76], off
	s_waitcnt vmcnt(6)
	buffer_store_dword v12, off, s[0:3], 0 offset:44
	buffer_store_dword v11, off, s[0:3], 0 offset:40
	buffer_store_dword v10, off, s[0:3], 0 offset:36
	buffer_store_dword v9, off, s[0:3], 0 offset:32
	;; [unrolled: 6-line block ×25, first 2 shown]
	global_load_dwordx4 v[17:20], v[83:84], off
	v_add_nc_u32_e32 v126, s13, v122
	s_movk_i32 s13, 0xc0
	s_movk_i32 s16, 0xf0
	;; [unrolled: 1-line block ×4, first 2 shown]
	v_ashrrev_i32_e32 v127, 31, v126
	s_movk_i32 s63, 0x230
	s_movk_i32 s64, 0x240
	;; [unrolled: 1-line block ×11, first 2 shown]
	s_cselect_b32 s54, -1, 0
	s_cmpk_eq_i32 s9, 0x84
	s_movk_i32 s74, 0x2e0
	s_waitcnt vmcnt(6)
	buffer_store_dword v24, off, s[0:3], 0 offset:428
	buffer_store_dword v23, off, s[0:3], 0 offset:424
	buffer_store_dword v22, off, s[0:3], 0 offset:420
	buffer_store_dword v21, off, s[0:3], 0 offset:416
	s_waitcnt vmcnt(5)
	buffer_store_dword v121, off, s[0:3], 0 offset:444
	buffer_store_dword v120, off, s[0:3], 0 offset:440
	buffer_store_dword v119, off, s[0:3], 0 offset:436
	buffer_store_dword v118, off, s[0:3], 0 offset:432
	s_clause 0x1
	global_load_dwordx4 v[21:24], v[89:90], off
	global_load_dwordx4 v[118:121], v[93:94], off
	s_waitcnt vmcnt(6)
	buffer_store_dword v4, off, s[0:3], 0 offset:460
	buffer_store_dword v3, off, s[0:3], 0 offset:456
	buffer_store_dword v2, off, s[0:3], 0 offset:452
	buffer_store_dword v1, off, s[0:3], 0 offset:448
	s_waitcnt vmcnt(5)
	buffer_store_dword v8, off, s[0:3], 0 offset:476
	buffer_store_dword v7, off, s[0:3], 0 offset:472
	buffer_store_dword v6, off, s[0:3], 0 offset:468
	buffer_store_dword v5, off, s[0:3], 0 offset:464
	s_clause 0x1
	global_load_dwordx4 v[1:4], v[95:96], off
	global_load_dwordx4 v[122:125], v[97:98], off
	;; [unrolled: 13-line block ×3, first 2 shown]
	s_waitcnt vmcnt(6)
	buffer_store_dword v20, off, s[0:3], 0 offset:524
	buffer_store_dword v19, off, s[0:3], 0 offset:520
	buffer_store_dword v18, off, s[0:3], 0 offset:516
	buffer_store_dword v17, off, s[0:3], 0 offset:512
	global_load_dwordx4 v[15:18], v[103:104], off
	v_lshlrev_b64 v[5:6], 4, v[126:127]
	s_waitcnt vmcnt(6)
	buffer_store_dword v24, off, s[0:3], 0 offset:540
	buffer_store_dword v23, off, s[0:3], 0 offset:536
	;; [unrolled: 1-line block ×4, first 2 shown]
	v_add_co_u32 v5, vcc_lo, s4, v5
	v_add_co_ci_u32_e64 v6, null, s5, v6, vcc_lo
	global_load_dwordx4 v[19:22], v[105:106], off
	s_waitcnt vmcnt(6)
	buffer_store_dword v121, off, s[0:3], 0 offset:556
	buffer_store_dword v120, off, s[0:3], 0 offset:552
	;; [unrolled: 1-line block ×4, first 2 shown]
	s_waitcnt vmcnt(5)
	buffer_store_dword v4, off, s[0:3], 0 offset:572
	buffer_store_dword v3, off, s[0:3], 0 offset:568
	;; [unrolled: 1-line block ×4, first 2 shown]
	s_clause 0x1
	global_load_dwordx4 v[1:4], v[107:108], off
	global_load_dwordx4 v[118:121], v[109:110], off
	s_waitcnt vmcnt(6)
	buffer_store_dword v125, off, s[0:3], 0 offset:588
	buffer_store_dword v124, off, s[0:3], 0 offset:584
	buffer_store_dword v123, off, s[0:3], 0 offset:580
	buffer_store_dword v122, off, s[0:3], 0 offset:576
	global_load_dwordx4 v[122:125], v[111:112], off
	s_waitcnt vmcnt(6)
	buffer_store_dword v10, off, s[0:3], 0 offset:604
	buffer_store_dword v9, off, s[0:3], 0 offset:600
	buffer_store_dword v8, off, s[0:3], 0 offset:596
	buffer_store_dword v7, off, s[0:3], 0 offset:592
	;; [unrolled: 6-line block ×4, first 2 shown]
	global_load_dwordx4 v[15:18], v[5:6], off
	s_movk_i32 s4, 0x50
	s_movk_i32 s5, 0x60
	s_waitcnt vmcnt(6)
	buffer_store_dword v22, off, s[0:3], 0 offset:652
	buffer_store_dword v21, off, s[0:3], 0 offset:648
	buffer_store_dword v20, off, s[0:3], 0 offset:644
	buffer_store_dword v19, off, s[0:3], 0 offset:640
	s_waitcnt vmcnt(5)
	buffer_store_dword v4, off, s[0:3], 0 offset:668
	buffer_store_dword v3, off, s[0:3], 0 offset:664
	buffer_store_dword v2, off, s[0:3], 0 offset:660
	buffer_store_dword v1, off, s[0:3], 0 offset:656
	;; [unrolled: 5-line block ×7, first 2 shown]
	s_cbranch_scc1 .LBB46_7
; %bb.2:
	v_lshl_add_u32 v13, v0, 4, 0
                                        ; implicit-def: $vgpr9_vgpr10
                                        ; implicit-def: $vgpr3_vgpr4
	s_clause 0x3
	buffer_load_dword v7, v13, s[0:3], 0 offen
	buffer_load_dword v8, v13, s[0:3], 0 offen offset:4
	buffer_load_dword v11, v13, s[0:3], 0 offen offset:8
	;; [unrolled: 1-line block ×3, first 2 shown]
	s_waitcnt vmcnt(0)
	v_cmp_ngt_f64_e64 s9, |v[7:8]|, |v[11:12]|
	s_and_saveexec_b32 s28, s9
	s_xor_b32 s9, exec_lo, s28
	s_cbranch_execz .LBB46_4
; %bb.3:
	v_div_scale_f64 v[1:2], null, v[11:12], v[11:12], v[7:8]
	v_div_scale_f64 v[14:15], vcc_lo, v[7:8], v[11:12], v[7:8]
	v_rcp_f64_e32 v[3:4], v[1:2]
	v_fma_f64 v[9:10], -v[1:2], v[3:4], 1.0
	v_fma_f64 v[3:4], v[3:4], v[9:10], v[3:4]
	v_fma_f64 v[9:10], -v[1:2], v[3:4], 1.0
	v_fma_f64 v[3:4], v[3:4], v[9:10], v[3:4]
	v_mul_f64 v[9:10], v[14:15], v[3:4]
	v_fma_f64 v[1:2], -v[1:2], v[9:10], v[14:15]
	v_div_fmas_f64 v[1:2], v[1:2], v[3:4], v[9:10]
	v_div_fixup_f64 v[1:2], v[1:2], v[11:12], v[7:8]
	v_fma_f64 v[3:4], v[7:8], v[1:2], v[11:12]
	v_div_scale_f64 v[7:8], null, v[3:4], v[3:4], 1.0
	v_div_scale_f64 v[14:15], vcc_lo, 1.0, v[3:4], 1.0
	v_rcp_f64_e32 v[9:10], v[7:8]
	v_fma_f64 v[11:12], -v[7:8], v[9:10], 1.0
	v_fma_f64 v[9:10], v[9:10], v[11:12], v[9:10]
	v_fma_f64 v[11:12], -v[7:8], v[9:10], 1.0
	v_fma_f64 v[9:10], v[9:10], v[11:12], v[9:10]
	v_mul_f64 v[11:12], v[14:15], v[9:10]
	v_fma_f64 v[7:8], -v[7:8], v[11:12], v[14:15]
	v_div_fmas_f64 v[7:8], v[7:8], v[9:10], v[11:12]
                                        ; implicit-def: $vgpr11_vgpr12
	v_div_fixup_f64 v[3:4], v[7:8], v[3:4], 1.0
                                        ; implicit-def: $vgpr7_vgpr8
	v_mul_f64 v[9:10], v[1:2], v[3:4]
	v_xor_b32_e32 v4, 0x80000000, v4
	v_xor_b32_e32 v2, 0x80000000, v10
	v_mov_b32_e32 v1, v9
.LBB46_4:
	s_andn2_saveexec_b32 s9, s9
	s_cbranch_execz .LBB46_6
; %bb.5:
	v_div_scale_f64 v[1:2], null, v[7:8], v[7:8], v[11:12]
	v_div_scale_f64 v[14:15], vcc_lo, v[11:12], v[7:8], v[11:12]
	v_rcp_f64_e32 v[3:4], v[1:2]
	v_fma_f64 v[9:10], -v[1:2], v[3:4], 1.0
	v_fma_f64 v[3:4], v[3:4], v[9:10], v[3:4]
	v_fma_f64 v[9:10], -v[1:2], v[3:4], 1.0
	v_fma_f64 v[3:4], v[3:4], v[9:10], v[3:4]
	v_mul_f64 v[9:10], v[14:15], v[3:4]
	v_fma_f64 v[1:2], -v[1:2], v[9:10], v[14:15]
	v_div_fmas_f64 v[1:2], v[1:2], v[3:4], v[9:10]
	v_div_fixup_f64 v[1:2], v[1:2], v[7:8], v[11:12]
	v_fma_f64 v[3:4], v[11:12], v[1:2], v[7:8]
	v_div_scale_f64 v[7:8], null, v[3:4], v[3:4], 1.0
	v_rcp_f64_e32 v[9:10], v[7:8]
	v_fma_f64 v[11:12], -v[7:8], v[9:10], 1.0
	v_fma_f64 v[9:10], v[9:10], v[11:12], v[9:10]
	v_fma_f64 v[11:12], -v[7:8], v[9:10], 1.0
	v_fma_f64 v[9:10], v[9:10], v[11:12], v[9:10]
	v_div_scale_f64 v[11:12], vcc_lo, 1.0, v[3:4], 1.0
	v_mul_f64 v[14:15], v[11:12], v[9:10]
	v_fma_f64 v[7:8], -v[7:8], v[14:15], v[11:12]
	v_div_fmas_f64 v[7:8], v[7:8], v[9:10], v[14:15]
	v_div_fixup_f64 v[9:10], v[7:8], v[3:4], 1.0
	v_mul_f64 v[3:4], v[1:2], -v[9:10]
	v_xor_b32_e32 v2, 0x80000000, v10
	v_mov_b32_e32 v1, v9
.LBB46_6:
	s_or_b32 exec_lo, exec_lo, s9
	buffer_store_dword v4, v13, s[0:3], 0 offen offset:12
	v_xor_b32_e32 v4, 0x80000000, v4
	buffer_store_dword v10, v13, s[0:3], 0 offen offset:4
	buffer_store_dword v9, v13, s[0:3], 0 offen
	buffer_store_dword v3, v13, s[0:3], 0 offen offset:8
	s_branch .LBB46_8
.LBB46_7:
	v_mov_b32_e32 v1, 0
	v_mov_b32_e32 v3, 0
	;; [unrolled: 1-line block ×4, first 2 shown]
.LBB46_8:
	v_add_nc_u32_e32 v8, 0x2f0, v117
	v_mov_b32_e32 v7, v117
	s_mov_b32 s53, 16
	s_mov_b32 s52, 32
	;; [unrolled: 1-line block ×45, first 2 shown]
	s_cmpk_eq_i32 s8, 0x79
	ds_write_b128 v117, v[1:4]
	s_cbranch_scc1 .LBB46_372
; %bb.9:
	v_mov_b32_e32 v4, s7
	v_cmp_eq_u32_e64 s4, 46, v0
	s_clause 0x3
	buffer_load_dword v1, v4, s[0:3], 0 offen
	buffer_load_dword v2, v4, s[0:3], 0 offen offset:4
	buffer_load_dword v3, v4, s[0:3], 0 offen offset:8
	;; [unrolled: 1-line block ×3, first 2 shown]
	s_waitcnt vmcnt(0)
	ds_write_b128 v8, v[1:4]
	s_waitcnt lgkmcnt(0)
	s_waitcnt_vscnt null, 0x0
	s_barrier
	buffer_gl0_inv
	s_and_saveexec_b32 s5, s4
	s_cbranch_execz .LBB46_13
; %bb.10:
	ds_read_b128 v[1:4], v8
	s_andn2_b32 vcc_lo, exec_lo, s54
	s_cbranch_vccnz .LBB46_12
; %bb.11:
	s_clause 0x3
	buffer_load_dword v9, v7, s[0:3], 0 offen offset:8
	buffer_load_dword v10, v7, s[0:3], 0 offen offset:12
	buffer_load_dword v11, v7, s[0:3], 0 offen
	buffer_load_dword v12, v7, s[0:3], 0 offen offset:4
	s_waitcnt vmcnt(2) lgkmcnt(0)
	v_mul_f64 v[13:14], v[3:4], v[9:10]
	v_mul_f64 v[9:10], v[1:2], v[9:10]
	s_waitcnt vmcnt(0)
	v_fma_f64 v[1:2], v[1:2], v[11:12], -v[13:14]
	v_fma_f64 v[3:4], v[3:4], v[11:12], v[9:10]
.LBB46_12:
	v_mov_b32_e32 v9, 0
	ds_read_b128 v[9:12], v9 offset:720
	s_waitcnt lgkmcnt(0)
	v_mul_f64 v[13:14], v[3:4], v[11:12]
	v_mul_f64 v[11:12], v[1:2], v[11:12]
	v_fma_f64 v[1:2], v[1:2], v[9:10], -v[13:14]
	v_fma_f64 v[3:4], v[3:4], v[9:10], v[11:12]
	buffer_store_dword v2, off, s[0:3], 0 offset:724
	buffer_store_dword v1, off, s[0:3], 0 offset:720
	;; [unrolled: 1-line block ×4, first 2 shown]
.LBB46_13:
	s_or_b32 exec_lo, exec_lo, s5
	v_mov_b32_e32 v4, s9
	v_cmp_lt_u32_e64 s5, 44, v0
	s_clause 0x3
	buffer_load_dword v1, v4, s[0:3], 0 offen
	buffer_load_dword v2, v4, s[0:3], 0 offen offset:4
	buffer_load_dword v3, v4, s[0:3], 0 offen offset:8
	buffer_load_dword v4, v4, s[0:3], 0 offen offset:12
	s_waitcnt vmcnt(0)
	ds_write_b128 v8, v[1:4]
	s_waitcnt lgkmcnt(0)
	s_waitcnt_vscnt null, 0x0
	s_barrier
	buffer_gl0_inv
	s_and_saveexec_b32 s8, s5
	s_cbranch_execz .LBB46_19
; %bb.14:
	ds_read_b128 v[1:4], v8
	s_andn2_b32 vcc_lo, exec_lo, s54
	s_cbranch_vccnz .LBB46_16
; %bb.15:
	s_clause 0x3
	buffer_load_dword v9, v7, s[0:3], 0 offen offset:8
	buffer_load_dword v10, v7, s[0:3], 0 offen offset:12
	buffer_load_dword v11, v7, s[0:3], 0 offen
	buffer_load_dword v12, v7, s[0:3], 0 offen offset:4
	s_waitcnt vmcnt(2) lgkmcnt(0)
	v_mul_f64 v[13:14], v[3:4], v[9:10]
	v_mul_f64 v[9:10], v[1:2], v[9:10]
	s_waitcnt vmcnt(0)
	v_fma_f64 v[1:2], v[1:2], v[11:12], -v[13:14]
	v_fma_f64 v[3:4], v[3:4], v[11:12], v[9:10]
.LBB46_16:
	s_and_saveexec_b32 s55, s4
	s_cbranch_execz .LBB46_18
; %bb.17:
	s_clause 0x3
	buffer_load_dword v13, off, s[0:3], 0 offset:728
	buffer_load_dword v14, off, s[0:3], 0 offset:732
	;; [unrolled: 1-line block ×4, first 2 shown]
	v_mov_b32_e32 v9, 0
	ds_read_b128 v[9:12], v9 offset:1472
	s_waitcnt vmcnt(2) lgkmcnt(0)
	v_mul_f64 v[17:18], v[9:10], v[13:14]
	v_mul_f64 v[13:14], v[11:12], v[13:14]
	s_waitcnt vmcnt(0)
	v_fma_f64 v[11:12], v[11:12], v[15:16], v[17:18]
	v_fma_f64 v[9:10], v[9:10], v[15:16], -v[13:14]
	v_add_f64 v[3:4], v[3:4], v[11:12]
	v_add_f64 v[1:2], v[1:2], v[9:10]
.LBB46_18:
	s_or_b32 exec_lo, exec_lo, s55
	v_mov_b32_e32 v9, 0
	ds_read_b128 v[9:12], v9 offset:704
	s_waitcnt lgkmcnt(0)
	v_mul_f64 v[13:14], v[3:4], v[11:12]
	v_mul_f64 v[11:12], v[1:2], v[11:12]
	v_fma_f64 v[1:2], v[1:2], v[9:10], -v[13:14]
	v_fma_f64 v[3:4], v[3:4], v[9:10], v[11:12]
	buffer_store_dword v2, off, s[0:3], 0 offset:708
	buffer_store_dword v1, off, s[0:3], 0 offset:704
	;; [unrolled: 1-line block ×4, first 2 shown]
.LBB46_19:
	s_or_b32 exec_lo, exec_lo, s8
	v_mov_b32_e32 v4, s10
	v_cmp_lt_u32_e64 s4, 43, v0
	s_clause 0x3
	buffer_load_dword v1, v4, s[0:3], 0 offen
	buffer_load_dword v2, v4, s[0:3], 0 offen offset:4
	buffer_load_dword v3, v4, s[0:3], 0 offen offset:8
	;; [unrolled: 1-line block ×3, first 2 shown]
	s_waitcnt vmcnt(0)
	ds_write_b128 v8, v[1:4]
	s_waitcnt lgkmcnt(0)
	s_waitcnt_vscnt null, 0x0
	s_barrier
	buffer_gl0_inv
	s_and_saveexec_b32 s8, s4
	s_cbranch_execz .LBB46_27
; %bb.20:
	ds_read_b128 v[1:4], v8
	s_andn2_b32 vcc_lo, exec_lo, s54
	s_cbranch_vccnz .LBB46_22
; %bb.21:
	s_clause 0x3
	buffer_load_dword v9, v7, s[0:3], 0 offen offset:8
	buffer_load_dword v10, v7, s[0:3], 0 offen offset:12
	buffer_load_dword v11, v7, s[0:3], 0 offen
	buffer_load_dword v12, v7, s[0:3], 0 offen offset:4
	s_waitcnt vmcnt(2) lgkmcnt(0)
	v_mul_f64 v[13:14], v[3:4], v[9:10]
	v_mul_f64 v[9:10], v[1:2], v[9:10]
	s_waitcnt vmcnt(0)
	v_fma_f64 v[1:2], v[1:2], v[11:12], -v[13:14]
	v_fma_f64 v[3:4], v[3:4], v[11:12], v[9:10]
.LBB46_22:
	s_and_saveexec_b32 s55, s5
	s_cbranch_execz .LBB46_26
; %bb.23:
	v_subrev_nc_u32_e32 v9, 44, v0
	s_movk_i32 s56, 0x5b0
	s_mov_b32 s5, 0
	s_mov_b32 s57, s9
	.p2align	6
.LBB46_24:                              ; =>This Inner Loop Header: Depth=1
	v_mov_b32_e32 v10, s57
	v_add_nc_u32_e32 v9, -1, v9
	s_add_i32 s57, s57, 16
	s_clause 0x3
	buffer_load_dword v14, v10, s[0:3], 0 offen offset:8
	buffer_load_dword v15, v10, s[0:3], 0 offen offset:12
	buffer_load_dword v16, v10, s[0:3], 0 offen
	buffer_load_dword v17, v10, s[0:3], 0 offen offset:4
	v_mov_b32_e32 v10, s56
	v_cmp_eq_u32_e32 vcc_lo, 0, v9
	s_add_i32 s56, s56, 16
	ds_read_b128 v[10:13], v10
	s_or_b32 s5, vcc_lo, s5
	s_waitcnt vmcnt(2) lgkmcnt(0)
	v_mul_f64 v[18:19], v[12:13], v[14:15]
	v_mul_f64 v[14:15], v[10:11], v[14:15]
	s_waitcnt vmcnt(0)
	v_fma_f64 v[10:11], v[10:11], v[16:17], -v[18:19]
	v_fma_f64 v[12:13], v[12:13], v[16:17], v[14:15]
	v_add_f64 v[1:2], v[1:2], v[10:11]
	v_add_f64 v[3:4], v[3:4], v[12:13]
	s_andn2_b32 exec_lo, exec_lo, s5
	s_cbranch_execnz .LBB46_24
; %bb.25:
	s_or_b32 exec_lo, exec_lo, s5
.LBB46_26:
	s_or_b32 exec_lo, exec_lo, s55
	v_mov_b32_e32 v9, 0
	ds_read_b128 v[9:12], v9 offset:688
	s_waitcnt lgkmcnt(0)
	v_mul_f64 v[13:14], v[3:4], v[11:12]
	v_mul_f64 v[11:12], v[1:2], v[11:12]
	v_fma_f64 v[1:2], v[1:2], v[9:10], -v[13:14]
	v_fma_f64 v[3:4], v[3:4], v[9:10], v[11:12]
	buffer_store_dword v2, off, s[0:3], 0 offset:692
	buffer_store_dword v1, off, s[0:3], 0 offset:688
	;; [unrolled: 1-line block ×4, first 2 shown]
.LBB46_27:
	s_or_b32 exec_lo, exec_lo, s8
	v_mov_b32_e32 v4, s11
	v_cmp_lt_u32_e64 s5, 42, v0
	s_clause 0x3
	buffer_load_dword v1, v4, s[0:3], 0 offen
	buffer_load_dword v2, v4, s[0:3], 0 offen offset:4
	buffer_load_dword v3, v4, s[0:3], 0 offen offset:8
	;; [unrolled: 1-line block ×3, first 2 shown]
	s_waitcnt vmcnt(0)
	ds_write_b128 v8, v[1:4]
	s_waitcnt lgkmcnt(0)
	s_waitcnt_vscnt null, 0x0
	s_barrier
	buffer_gl0_inv
	s_and_saveexec_b32 s8, s5
	s_cbranch_execz .LBB46_35
; %bb.28:
	ds_read_b128 v[1:4], v8
	s_andn2_b32 vcc_lo, exec_lo, s54
	s_cbranch_vccnz .LBB46_30
; %bb.29:
	s_clause 0x3
	buffer_load_dword v9, v7, s[0:3], 0 offen offset:8
	buffer_load_dword v10, v7, s[0:3], 0 offen offset:12
	buffer_load_dword v11, v7, s[0:3], 0 offen
	buffer_load_dword v12, v7, s[0:3], 0 offen offset:4
	s_waitcnt vmcnt(2) lgkmcnt(0)
	v_mul_f64 v[13:14], v[3:4], v[9:10]
	v_mul_f64 v[9:10], v[1:2], v[9:10]
	s_waitcnt vmcnt(0)
	v_fma_f64 v[1:2], v[1:2], v[11:12], -v[13:14]
	v_fma_f64 v[3:4], v[3:4], v[11:12], v[9:10]
.LBB46_30:
	s_and_saveexec_b32 s55, s4
	s_cbranch_execz .LBB46_34
; %bb.31:
	v_subrev_nc_u32_e32 v9, 43, v0
	s_movk_i32 s56, 0x5a0
	s_mov_b32 s4, 0
	s_mov_b32 s57, s10
	.p2align	6
.LBB46_32:                              ; =>This Inner Loop Header: Depth=1
	v_mov_b32_e32 v10, s57
	v_add_nc_u32_e32 v9, -1, v9
	s_add_i32 s57, s57, 16
	s_clause 0x3
	buffer_load_dword v14, v10, s[0:3], 0 offen offset:8
	buffer_load_dword v15, v10, s[0:3], 0 offen offset:12
	buffer_load_dword v16, v10, s[0:3], 0 offen
	buffer_load_dword v17, v10, s[0:3], 0 offen offset:4
	v_mov_b32_e32 v10, s56
	v_cmp_eq_u32_e32 vcc_lo, 0, v9
	s_add_i32 s56, s56, 16
	ds_read_b128 v[10:13], v10
	s_or_b32 s4, vcc_lo, s4
	s_waitcnt vmcnt(2) lgkmcnt(0)
	v_mul_f64 v[18:19], v[12:13], v[14:15]
	v_mul_f64 v[14:15], v[10:11], v[14:15]
	s_waitcnt vmcnt(0)
	v_fma_f64 v[10:11], v[10:11], v[16:17], -v[18:19]
	v_fma_f64 v[12:13], v[12:13], v[16:17], v[14:15]
	v_add_f64 v[1:2], v[1:2], v[10:11]
	v_add_f64 v[3:4], v[3:4], v[12:13]
	s_andn2_b32 exec_lo, exec_lo, s4
	s_cbranch_execnz .LBB46_32
; %bb.33:
	s_or_b32 exec_lo, exec_lo, s4
.LBB46_34:
	s_or_b32 exec_lo, exec_lo, s55
	v_mov_b32_e32 v9, 0
	ds_read_b128 v[9:12], v9 offset:672
	s_waitcnt lgkmcnt(0)
	v_mul_f64 v[13:14], v[3:4], v[11:12]
	v_mul_f64 v[11:12], v[1:2], v[11:12]
	v_fma_f64 v[1:2], v[1:2], v[9:10], -v[13:14]
	v_fma_f64 v[3:4], v[3:4], v[9:10], v[11:12]
	buffer_store_dword v2, off, s[0:3], 0 offset:676
	buffer_store_dword v1, off, s[0:3], 0 offset:672
	;; [unrolled: 1-line block ×4, first 2 shown]
.LBB46_35:
	s_or_b32 exec_lo, exec_lo, s8
	v_mov_b32_e32 v4, s12
	v_cmp_lt_u32_e64 s4, 41, v0
	s_clause 0x3
	buffer_load_dword v1, v4, s[0:3], 0 offen
	buffer_load_dword v2, v4, s[0:3], 0 offen offset:4
	buffer_load_dword v3, v4, s[0:3], 0 offen offset:8
	;; [unrolled: 1-line block ×3, first 2 shown]
	s_waitcnt vmcnt(0)
	ds_write_b128 v8, v[1:4]
	s_waitcnt lgkmcnt(0)
	s_waitcnt_vscnt null, 0x0
	s_barrier
	buffer_gl0_inv
	s_and_saveexec_b32 s8, s4
	s_cbranch_execz .LBB46_43
; %bb.36:
	ds_read_b128 v[1:4], v8
	s_andn2_b32 vcc_lo, exec_lo, s54
	s_cbranch_vccnz .LBB46_38
; %bb.37:
	s_clause 0x3
	buffer_load_dword v9, v7, s[0:3], 0 offen offset:8
	buffer_load_dword v10, v7, s[0:3], 0 offen offset:12
	buffer_load_dword v11, v7, s[0:3], 0 offen
	buffer_load_dword v12, v7, s[0:3], 0 offen offset:4
	s_waitcnt vmcnt(2) lgkmcnt(0)
	v_mul_f64 v[13:14], v[3:4], v[9:10]
	v_mul_f64 v[9:10], v[1:2], v[9:10]
	s_waitcnt vmcnt(0)
	v_fma_f64 v[1:2], v[1:2], v[11:12], -v[13:14]
	v_fma_f64 v[3:4], v[3:4], v[11:12], v[9:10]
.LBB46_38:
	s_and_saveexec_b32 s55, s5
	s_cbranch_execz .LBB46_42
; %bb.39:
	v_subrev_nc_u32_e32 v9, 42, v0
	s_movk_i32 s56, 0x590
	s_mov_b32 s5, 0
	s_mov_b32 s57, s11
	.p2align	6
.LBB46_40:                              ; =>This Inner Loop Header: Depth=1
	v_mov_b32_e32 v10, s57
	v_add_nc_u32_e32 v9, -1, v9
	s_add_i32 s57, s57, 16
	s_clause 0x3
	buffer_load_dword v14, v10, s[0:3], 0 offen offset:8
	buffer_load_dword v15, v10, s[0:3], 0 offen offset:12
	buffer_load_dword v16, v10, s[0:3], 0 offen
	buffer_load_dword v17, v10, s[0:3], 0 offen offset:4
	v_mov_b32_e32 v10, s56
	v_cmp_eq_u32_e32 vcc_lo, 0, v9
	s_add_i32 s56, s56, 16
	ds_read_b128 v[10:13], v10
	s_or_b32 s5, vcc_lo, s5
	s_waitcnt vmcnt(2) lgkmcnt(0)
	v_mul_f64 v[18:19], v[12:13], v[14:15]
	v_mul_f64 v[14:15], v[10:11], v[14:15]
	s_waitcnt vmcnt(0)
	v_fma_f64 v[10:11], v[10:11], v[16:17], -v[18:19]
	v_fma_f64 v[12:13], v[12:13], v[16:17], v[14:15]
	v_add_f64 v[1:2], v[1:2], v[10:11]
	v_add_f64 v[3:4], v[3:4], v[12:13]
	s_andn2_b32 exec_lo, exec_lo, s5
	s_cbranch_execnz .LBB46_40
; %bb.41:
	s_or_b32 exec_lo, exec_lo, s5
.LBB46_42:
	s_or_b32 exec_lo, exec_lo, s55
	v_mov_b32_e32 v9, 0
	ds_read_b128 v[9:12], v9 offset:656
	s_waitcnt lgkmcnt(0)
	v_mul_f64 v[13:14], v[3:4], v[11:12]
	v_mul_f64 v[11:12], v[1:2], v[11:12]
	v_fma_f64 v[1:2], v[1:2], v[9:10], -v[13:14]
	v_fma_f64 v[3:4], v[3:4], v[9:10], v[11:12]
	buffer_store_dword v2, off, s[0:3], 0 offset:660
	buffer_store_dword v1, off, s[0:3], 0 offset:656
	;; [unrolled: 1-line block ×4, first 2 shown]
.LBB46_43:
	s_or_b32 exec_lo, exec_lo, s8
	v_mov_b32_e32 v4, s13
	v_cmp_lt_u32_e64 s5, 40, v0
	s_clause 0x3
	buffer_load_dword v1, v4, s[0:3], 0 offen
	buffer_load_dword v2, v4, s[0:3], 0 offen offset:4
	buffer_load_dword v3, v4, s[0:3], 0 offen offset:8
	;; [unrolled: 1-line block ×3, first 2 shown]
	s_waitcnt vmcnt(0)
	ds_write_b128 v8, v[1:4]
	s_waitcnt lgkmcnt(0)
	s_waitcnt_vscnt null, 0x0
	s_barrier
	buffer_gl0_inv
	s_and_saveexec_b32 s8, s5
	s_cbranch_execz .LBB46_51
; %bb.44:
	ds_read_b128 v[1:4], v8
	s_andn2_b32 vcc_lo, exec_lo, s54
	s_cbranch_vccnz .LBB46_46
; %bb.45:
	s_clause 0x3
	buffer_load_dword v9, v7, s[0:3], 0 offen offset:8
	buffer_load_dword v10, v7, s[0:3], 0 offen offset:12
	buffer_load_dword v11, v7, s[0:3], 0 offen
	buffer_load_dword v12, v7, s[0:3], 0 offen offset:4
	s_waitcnt vmcnt(2) lgkmcnt(0)
	v_mul_f64 v[13:14], v[3:4], v[9:10]
	v_mul_f64 v[9:10], v[1:2], v[9:10]
	s_waitcnt vmcnt(0)
	v_fma_f64 v[1:2], v[1:2], v[11:12], -v[13:14]
	v_fma_f64 v[3:4], v[3:4], v[11:12], v[9:10]
.LBB46_46:
	s_and_saveexec_b32 s55, s4
	s_cbranch_execz .LBB46_50
; %bb.47:
	v_subrev_nc_u32_e32 v9, 41, v0
	s_movk_i32 s56, 0x580
	s_mov_b32 s4, 0
	s_mov_b32 s57, s12
	.p2align	6
.LBB46_48:                              ; =>This Inner Loop Header: Depth=1
	v_mov_b32_e32 v10, s57
	v_add_nc_u32_e32 v9, -1, v9
	s_add_i32 s57, s57, 16
	s_clause 0x3
	buffer_load_dword v14, v10, s[0:3], 0 offen offset:8
	buffer_load_dword v15, v10, s[0:3], 0 offen offset:12
	buffer_load_dword v16, v10, s[0:3], 0 offen
	buffer_load_dword v17, v10, s[0:3], 0 offen offset:4
	v_mov_b32_e32 v10, s56
	v_cmp_eq_u32_e32 vcc_lo, 0, v9
	s_add_i32 s56, s56, 16
	ds_read_b128 v[10:13], v10
	s_or_b32 s4, vcc_lo, s4
	s_waitcnt vmcnt(2) lgkmcnt(0)
	v_mul_f64 v[18:19], v[12:13], v[14:15]
	v_mul_f64 v[14:15], v[10:11], v[14:15]
	s_waitcnt vmcnt(0)
	v_fma_f64 v[10:11], v[10:11], v[16:17], -v[18:19]
	v_fma_f64 v[12:13], v[12:13], v[16:17], v[14:15]
	v_add_f64 v[1:2], v[1:2], v[10:11]
	v_add_f64 v[3:4], v[3:4], v[12:13]
	s_andn2_b32 exec_lo, exec_lo, s4
	s_cbranch_execnz .LBB46_48
; %bb.49:
	s_or_b32 exec_lo, exec_lo, s4
.LBB46_50:
	s_or_b32 exec_lo, exec_lo, s55
	v_mov_b32_e32 v9, 0
	ds_read_b128 v[9:12], v9 offset:640
	s_waitcnt lgkmcnt(0)
	v_mul_f64 v[13:14], v[3:4], v[11:12]
	v_mul_f64 v[11:12], v[1:2], v[11:12]
	v_fma_f64 v[1:2], v[1:2], v[9:10], -v[13:14]
	v_fma_f64 v[3:4], v[3:4], v[9:10], v[11:12]
	buffer_store_dword v2, off, s[0:3], 0 offset:644
	buffer_store_dword v1, off, s[0:3], 0 offset:640
	;; [unrolled: 1-line block ×4, first 2 shown]
.LBB46_51:
	s_or_b32 exec_lo, exec_lo, s8
	v_mov_b32_e32 v4, s14
	v_cmp_lt_u32_e64 s4, 39, v0
	s_clause 0x3
	buffer_load_dword v1, v4, s[0:3], 0 offen
	buffer_load_dword v2, v4, s[0:3], 0 offen offset:4
	buffer_load_dword v3, v4, s[0:3], 0 offen offset:8
	;; [unrolled: 1-line block ×3, first 2 shown]
	s_waitcnt vmcnt(0)
	ds_write_b128 v8, v[1:4]
	s_waitcnt lgkmcnt(0)
	s_waitcnt_vscnt null, 0x0
	s_barrier
	buffer_gl0_inv
	s_and_saveexec_b32 s8, s4
	s_cbranch_execz .LBB46_59
; %bb.52:
	ds_read_b128 v[1:4], v8
	s_andn2_b32 vcc_lo, exec_lo, s54
	s_cbranch_vccnz .LBB46_54
; %bb.53:
	s_clause 0x3
	buffer_load_dword v9, v7, s[0:3], 0 offen offset:8
	buffer_load_dword v10, v7, s[0:3], 0 offen offset:12
	buffer_load_dword v11, v7, s[0:3], 0 offen
	buffer_load_dword v12, v7, s[0:3], 0 offen offset:4
	s_waitcnt vmcnt(2) lgkmcnt(0)
	v_mul_f64 v[13:14], v[3:4], v[9:10]
	v_mul_f64 v[9:10], v[1:2], v[9:10]
	s_waitcnt vmcnt(0)
	v_fma_f64 v[1:2], v[1:2], v[11:12], -v[13:14]
	v_fma_f64 v[3:4], v[3:4], v[11:12], v[9:10]
.LBB46_54:
	s_and_saveexec_b32 s55, s5
	s_cbranch_execz .LBB46_58
; %bb.55:
	v_subrev_nc_u32_e32 v9, 40, v0
	s_movk_i32 s56, 0x570
	s_mov_b32 s5, 0
	s_mov_b32 s57, s13
	.p2align	6
.LBB46_56:                              ; =>This Inner Loop Header: Depth=1
	v_mov_b32_e32 v10, s57
	v_add_nc_u32_e32 v9, -1, v9
	s_add_i32 s57, s57, 16
	s_clause 0x3
	buffer_load_dword v14, v10, s[0:3], 0 offen offset:8
	buffer_load_dword v15, v10, s[0:3], 0 offen offset:12
	buffer_load_dword v16, v10, s[0:3], 0 offen
	buffer_load_dword v17, v10, s[0:3], 0 offen offset:4
	v_mov_b32_e32 v10, s56
	v_cmp_eq_u32_e32 vcc_lo, 0, v9
	s_add_i32 s56, s56, 16
	ds_read_b128 v[10:13], v10
	s_or_b32 s5, vcc_lo, s5
	s_waitcnt vmcnt(2) lgkmcnt(0)
	v_mul_f64 v[18:19], v[12:13], v[14:15]
	v_mul_f64 v[14:15], v[10:11], v[14:15]
	s_waitcnt vmcnt(0)
	v_fma_f64 v[10:11], v[10:11], v[16:17], -v[18:19]
	v_fma_f64 v[12:13], v[12:13], v[16:17], v[14:15]
	v_add_f64 v[1:2], v[1:2], v[10:11]
	v_add_f64 v[3:4], v[3:4], v[12:13]
	s_andn2_b32 exec_lo, exec_lo, s5
	s_cbranch_execnz .LBB46_56
; %bb.57:
	s_or_b32 exec_lo, exec_lo, s5
.LBB46_58:
	s_or_b32 exec_lo, exec_lo, s55
	v_mov_b32_e32 v9, 0
	ds_read_b128 v[9:12], v9 offset:624
	s_waitcnt lgkmcnt(0)
	v_mul_f64 v[13:14], v[3:4], v[11:12]
	v_mul_f64 v[11:12], v[1:2], v[11:12]
	v_fma_f64 v[1:2], v[1:2], v[9:10], -v[13:14]
	v_fma_f64 v[3:4], v[3:4], v[9:10], v[11:12]
	buffer_store_dword v2, off, s[0:3], 0 offset:628
	buffer_store_dword v1, off, s[0:3], 0 offset:624
	;; [unrolled: 1-line block ×4, first 2 shown]
.LBB46_59:
	s_or_b32 exec_lo, exec_lo, s8
	v_mov_b32_e32 v4, s15
	v_cmp_lt_u32_e64 s5, 38, v0
	s_clause 0x3
	buffer_load_dword v1, v4, s[0:3], 0 offen
	buffer_load_dword v2, v4, s[0:3], 0 offen offset:4
	buffer_load_dword v3, v4, s[0:3], 0 offen offset:8
	;; [unrolled: 1-line block ×3, first 2 shown]
	s_waitcnt vmcnt(0)
	ds_write_b128 v8, v[1:4]
	s_waitcnt lgkmcnt(0)
	s_waitcnt_vscnt null, 0x0
	s_barrier
	buffer_gl0_inv
	s_and_saveexec_b32 s8, s5
	s_cbranch_execz .LBB46_67
; %bb.60:
	ds_read_b128 v[1:4], v8
	s_andn2_b32 vcc_lo, exec_lo, s54
	s_cbranch_vccnz .LBB46_62
; %bb.61:
	s_clause 0x3
	buffer_load_dword v9, v7, s[0:3], 0 offen offset:8
	buffer_load_dword v10, v7, s[0:3], 0 offen offset:12
	buffer_load_dword v11, v7, s[0:3], 0 offen
	buffer_load_dword v12, v7, s[0:3], 0 offen offset:4
	s_waitcnt vmcnt(2) lgkmcnt(0)
	v_mul_f64 v[13:14], v[3:4], v[9:10]
	v_mul_f64 v[9:10], v[1:2], v[9:10]
	s_waitcnt vmcnt(0)
	v_fma_f64 v[1:2], v[1:2], v[11:12], -v[13:14]
	v_fma_f64 v[3:4], v[3:4], v[11:12], v[9:10]
.LBB46_62:
	s_and_saveexec_b32 s55, s4
	s_cbranch_execz .LBB46_66
; %bb.63:
	v_subrev_nc_u32_e32 v9, 39, v0
	s_movk_i32 s56, 0x560
	s_mov_b32 s4, 0
	s_mov_b32 s57, s14
	.p2align	6
.LBB46_64:                              ; =>This Inner Loop Header: Depth=1
	v_mov_b32_e32 v10, s57
	v_add_nc_u32_e32 v9, -1, v9
	s_add_i32 s57, s57, 16
	s_clause 0x3
	buffer_load_dword v14, v10, s[0:3], 0 offen offset:8
	buffer_load_dword v15, v10, s[0:3], 0 offen offset:12
	buffer_load_dword v16, v10, s[0:3], 0 offen
	buffer_load_dword v17, v10, s[0:3], 0 offen offset:4
	v_mov_b32_e32 v10, s56
	v_cmp_eq_u32_e32 vcc_lo, 0, v9
	s_add_i32 s56, s56, 16
	ds_read_b128 v[10:13], v10
	s_or_b32 s4, vcc_lo, s4
	s_waitcnt vmcnt(2) lgkmcnt(0)
	v_mul_f64 v[18:19], v[12:13], v[14:15]
	v_mul_f64 v[14:15], v[10:11], v[14:15]
	s_waitcnt vmcnt(0)
	v_fma_f64 v[10:11], v[10:11], v[16:17], -v[18:19]
	v_fma_f64 v[12:13], v[12:13], v[16:17], v[14:15]
	v_add_f64 v[1:2], v[1:2], v[10:11]
	v_add_f64 v[3:4], v[3:4], v[12:13]
	s_andn2_b32 exec_lo, exec_lo, s4
	s_cbranch_execnz .LBB46_64
; %bb.65:
	s_or_b32 exec_lo, exec_lo, s4
.LBB46_66:
	s_or_b32 exec_lo, exec_lo, s55
	v_mov_b32_e32 v9, 0
	ds_read_b128 v[9:12], v9 offset:608
	s_waitcnt lgkmcnt(0)
	v_mul_f64 v[13:14], v[3:4], v[11:12]
	v_mul_f64 v[11:12], v[1:2], v[11:12]
	v_fma_f64 v[1:2], v[1:2], v[9:10], -v[13:14]
	v_fma_f64 v[3:4], v[3:4], v[9:10], v[11:12]
	buffer_store_dword v2, off, s[0:3], 0 offset:612
	buffer_store_dword v1, off, s[0:3], 0 offset:608
	;; [unrolled: 1-line block ×4, first 2 shown]
.LBB46_67:
	s_or_b32 exec_lo, exec_lo, s8
	v_mov_b32_e32 v4, s16
	v_cmp_lt_u32_e64 s4, 37, v0
	s_clause 0x3
	buffer_load_dword v1, v4, s[0:3], 0 offen
	buffer_load_dword v2, v4, s[0:3], 0 offen offset:4
	buffer_load_dword v3, v4, s[0:3], 0 offen offset:8
	;; [unrolled: 1-line block ×3, first 2 shown]
	s_waitcnt vmcnt(0)
	ds_write_b128 v8, v[1:4]
	s_waitcnt lgkmcnt(0)
	s_waitcnt_vscnt null, 0x0
	s_barrier
	buffer_gl0_inv
	s_and_saveexec_b32 s8, s4
	s_cbranch_execz .LBB46_75
; %bb.68:
	ds_read_b128 v[1:4], v8
	s_andn2_b32 vcc_lo, exec_lo, s54
	s_cbranch_vccnz .LBB46_70
; %bb.69:
	s_clause 0x3
	buffer_load_dword v9, v7, s[0:3], 0 offen offset:8
	buffer_load_dword v10, v7, s[0:3], 0 offen offset:12
	buffer_load_dword v11, v7, s[0:3], 0 offen
	buffer_load_dword v12, v7, s[0:3], 0 offen offset:4
	s_waitcnt vmcnt(2) lgkmcnt(0)
	v_mul_f64 v[13:14], v[3:4], v[9:10]
	v_mul_f64 v[9:10], v[1:2], v[9:10]
	s_waitcnt vmcnt(0)
	v_fma_f64 v[1:2], v[1:2], v[11:12], -v[13:14]
	v_fma_f64 v[3:4], v[3:4], v[11:12], v[9:10]
.LBB46_70:
	s_and_saveexec_b32 s55, s5
	s_cbranch_execz .LBB46_74
; %bb.71:
	v_subrev_nc_u32_e32 v9, 38, v0
	s_movk_i32 s56, 0x550
	s_mov_b32 s5, 0
	s_mov_b32 s57, s15
	.p2align	6
.LBB46_72:                              ; =>This Inner Loop Header: Depth=1
	v_mov_b32_e32 v10, s57
	v_add_nc_u32_e32 v9, -1, v9
	s_add_i32 s57, s57, 16
	s_clause 0x3
	buffer_load_dword v14, v10, s[0:3], 0 offen offset:8
	buffer_load_dword v15, v10, s[0:3], 0 offen offset:12
	buffer_load_dword v16, v10, s[0:3], 0 offen
	buffer_load_dword v17, v10, s[0:3], 0 offen offset:4
	v_mov_b32_e32 v10, s56
	v_cmp_eq_u32_e32 vcc_lo, 0, v9
	s_add_i32 s56, s56, 16
	ds_read_b128 v[10:13], v10
	s_or_b32 s5, vcc_lo, s5
	s_waitcnt vmcnt(2) lgkmcnt(0)
	v_mul_f64 v[18:19], v[12:13], v[14:15]
	v_mul_f64 v[14:15], v[10:11], v[14:15]
	s_waitcnt vmcnt(0)
	v_fma_f64 v[10:11], v[10:11], v[16:17], -v[18:19]
	v_fma_f64 v[12:13], v[12:13], v[16:17], v[14:15]
	v_add_f64 v[1:2], v[1:2], v[10:11]
	v_add_f64 v[3:4], v[3:4], v[12:13]
	s_andn2_b32 exec_lo, exec_lo, s5
	s_cbranch_execnz .LBB46_72
; %bb.73:
	s_or_b32 exec_lo, exec_lo, s5
.LBB46_74:
	s_or_b32 exec_lo, exec_lo, s55
	v_mov_b32_e32 v9, 0
	ds_read_b128 v[9:12], v9 offset:592
	s_waitcnt lgkmcnt(0)
	v_mul_f64 v[13:14], v[3:4], v[11:12]
	v_mul_f64 v[11:12], v[1:2], v[11:12]
	v_fma_f64 v[1:2], v[1:2], v[9:10], -v[13:14]
	v_fma_f64 v[3:4], v[3:4], v[9:10], v[11:12]
	buffer_store_dword v2, off, s[0:3], 0 offset:596
	buffer_store_dword v1, off, s[0:3], 0 offset:592
	;; [unrolled: 1-line block ×4, first 2 shown]
.LBB46_75:
	s_or_b32 exec_lo, exec_lo, s8
	v_mov_b32_e32 v4, s17
	v_cmp_lt_u32_e64 s5, 36, v0
	s_clause 0x3
	buffer_load_dword v1, v4, s[0:3], 0 offen
	buffer_load_dword v2, v4, s[0:3], 0 offen offset:4
	buffer_load_dword v3, v4, s[0:3], 0 offen offset:8
	buffer_load_dword v4, v4, s[0:3], 0 offen offset:12
	s_waitcnt vmcnt(0)
	ds_write_b128 v8, v[1:4]
	s_waitcnt lgkmcnt(0)
	s_waitcnt_vscnt null, 0x0
	s_barrier
	buffer_gl0_inv
	s_and_saveexec_b32 s8, s5
	s_cbranch_execz .LBB46_83
; %bb.76:
	ds_read_b128 v[1:4], v8
	s_andn2_b32 vcc_lo, exec_lo, s54
	s_cbranch_vccnz .LBB46_78
; %bb.77:
	s_clause 0x3
	buffer_load_dword v9, v7, s[0:3], 0 offen offset:8
	buffer_load_dword v10, v7, s[0:3], 0 offen offset:12
	buffer_load_dword v11, v7, s[0:3], 0 offen
	buffer_load_dword v12, v7, s[0:3], 0 offen offset:4
	s_waitcnt vmcnt(2) lgkmcnt(0)
	v_mul_f64 v[13:14], v[3:4], v[9:10]
	v_mul_f64 v[9:10], v[1:2], v[9:10]
	s_waitcnt vmcnt(0)
	v_fma_f64 v[1:2], v[1:2], v[11:12], -v[13:14]
	v_fma_f64 v[3:4], v[3:4], v[11:12], v[9:10]
.LBB46_78:
	s_and_saveexec_b32 s55, s4
	s_cbranch_execz .LBB46_82
; %bb.79:
	v_subrev_nc_u32_e32 v9, 37, v0
	s_movk_i32 s56, 0x540
	s_mov_b32 s4, 0
	s_mov_b32 s57, s16
	.p2align	6
.LBB46_80:                              ; =>This Inner Loop Header: Depth=1
	v_mov_b32_e32 v10, s57
	v_add_nc_u32_e32 v9, -1, v9
	s_add_i32 s57, s57, 16
	s_clause 0x3
	buffer_load_dword v14, v10, s[0:3], 0 offen offset:8
	buffer_load_dword v15, v10, s[0:3], 0 offen offset:12
	buffer_load_dword v16, v10, s[0:3], 0 offen
	buffer_load_dword v17, v10, s[0:3], 0 offen offset:4
	v_mov_b32_e32 v10, s56
	v_cmp_eq_u32_e32 vcc_lo, 0, v9
	s_add_i32 s56, s56, 16
	ds_read_b128 v[10:13], v10
	s_or_b32 s4, vcc_lo, s4
	s_waitcnt vmcnt(2) lgkmcnt(0)
	v_mul_f64 v[18:19], v[12:13], v[14:15]
	v_mul_f64 v[14:15], v[10:11], v[14:15]
	s_waitcnt vmcnt(0)
	v_fma_f64 v[10:11], v[10:11], v[16:17], -v[18:19]
	v_fma_f64 v[12:13], v[12:13], v[16:17], v[14:15]
	v_add_f64 v[1:2], v[1:2], v[10:11]
	v_add_f64 v[3:4], v[3:4], v[12:13]
	s_andn2_b32 exec_lo, exec_lo, s4
	s_cbranch_execnz .LBB46_80
; %bb.81:
	s_or_b32 exec_lo, exec_lo, s4
.LBB46_82:
	s_or_b32 exec_lo, exec_lo, s55
	v_mov_b32_e32 v9, 0
	ds_read_b128 v[9:12], v9 offset:576
	s_waitcnt lgkmcnt(0)
	v_mul_f64 v[13:14], v[3:4], v[11:12]
	v_mul_f64 v[11:12], v[1:2], v[11:12]
	v_fma_f64 v[1:2], v[1:2], v[9:10], -v[13:14]
	v_fma_f64 v[3:4], v[3:4], v[9:10], v[11:12]
	buffer_store_dword v2, off, s[0:3], 0 offset:580
	buffer_store_dword v1, off, s[0:3], 0 offset:576
	;; [unrolled: 1-line block ×4, first 2 shown]
.LBB46_83:
	s_or_b32 exec_lo, exec_lo, s8
	v_mov_b32_e32 v4, s18
	v_cmp_lt_u32_e64 s4, 35, v0
	s_clause 0x3
	buffer_load_dword v1, v4, s[0:3], 0 offen
	buffer_load_dword v2, v4, s[0:3], 0 offen offset:4
	buffer_load_dword v3, v4, s[0:3], 0 offen offset:8
	;; [unrolled: 1-line block ×3, first 2 shown]
	s_waitcnt vmcnt(0)
	ds_write_b128 v8, v[1:4]
	s_waitcnt lgkmcnt(0)
	s_waitcnt_vscnt null, 0x0
	s_barrier
	buffer_gl0_inv
	s_and_saveexec_b32 s8, s4
	s_cbranch_execz .LBB46_91
; %bb.84:
	ds_read_b128 v[1:4], v8
	s_andn2_b32 vcc_lo, exec_lo, s54
	s_cbranch_vccnz .LBB46_86
; %bb.85:
	s_clause 0x3
	buffer_load_dword v9, v7, s[0:3], 0 offen offset:8
	buffer_load_dword v10, v7, s[0:3], 0 offen offset:12
	buffer_load_dword v11, v7, s[0:3], 0 offen
	buffer_load_dword v12, v7, s[0:3], 0 offen offset:4
	s_waitcnt vmcnt(2) lgkmcnt(0)
	v_mul_f64 v[13:14], v[3:4], v[9:10]
	v_mul_f64 v[9:10], v[1:2], v[9:10]
	s_waitcnt vmcnt(0)
	v_fma_f64 v[1:2], v[1:2], v[11:12], -v[13:14]
	v_fma_f64 v[3:4], v[3:4], v[11:12], v[9:10]
.LBB46_86:
	s_and_saveexec_b32 s55, s5
	s_cbranch_execz .LBB46_90
; %bb.87:
	v_subrev_nc_u32_e32 v9, 36, v0
	s_movk_i32 s56, 0x530
	s_mov_b32 s5, 0
	s_mov_b32 s57, s17
	.p2align	6
.LBB46_88:                              ; =>This Inner Loop Header: Depth=1
	v_mov_b32_e32 v10, s57
	v_add_nc_u32_e32 v9, -1, v9
	s_add_i32 s57, s57, 16
	s_clause 0x3
	buffer_load_dword v14, v10, s[0:3], 0 offen offset:8
	buffer_load_dword v15, v10, s[0:3], 0 offen offset:12
	buffer_load_dword v16, v10, s[0:3], 0 offen
	buffer_load_dword v17, v10, s[0:3], 0 offen offset:4
	v_mov_b32_e32 v10, s56
	v_cmp_eq_u32_e32 vcc_lo, 0, v9
	s_add_i32 s56, s56, 16
	ds_read_b128 v[10:13], v10
	s_or_b32 s5, vcc_lo, s5
	s_waitcnt vmcnt(2) lgkmcnt(0)
	v_mul_f64 v[18:19], v[12:13], v[14:15]
	v_mul_f64 v[14:15], v[10:11], v[14:15]
	s_waitcnt vmcnt(0)
	v_fma_f64 v[10:11], v[10:11], v[16:17], -v[18:19]
	v_fma_f64 v[12:13], v[12:13], v[16:17], v[14:15]
	v_add_f64 v[1:2], v[1:2], v[10:11]
	v_add_f64 v[3:4], v[3:4], v[12:13]
	s_andn2_b32 exec_lo, exec_lo, s5
	s_cbranch_execnz .LBB46_88
; %bb.89:
	s_or_b32 exec_lo, exec_lo, s5
.LBB46_90:
	s_or_b32 exec_lo, exec_lo, s55
	v_mov_b32_e32 v9, 0
	ds_read_b128 v[9:12], v9 offset:560
	s_waitcnt lgkmcnt(0)
	v_mul_f64 v[13:14], v[3:4], v[11:12]
	v_mul_f64 v[11:12], v[1:2], v[11:12]
	v_fma_f64 v[1:2], v[1:2], v[9:10], -v[13:14]
	v_fma_f64 v[3:4], v[3:4], v[9:10], v[11:12]
	buffer_store_dword v2, off, s[0:3], 0 offset:564
	buffer_store_dword v1, off, s[0:3], 0 offset:560
	buffer_store_dword v4, off, s[0:3], 0 offset:572
	buffer_store_dword v3, off, s[0:3], 0 offset:568
.LBB46_91:
	s_or_b32 exec_lo, exec_lo, s8
	v_mov_b32_e32 v4, s19
	v_cmp_lt_u32_e64 s5, 34, v0
	s_clause 0x3
	buffer_load_dword v1, v4, s[0:3], 0 offen
	buffer_load_dword v2, v4, s[0:3], 0 offen offset:4
	buffer_load_dword v3, v4, s[0:3], 0 offen offset:8
	;; [unrolled: 1-line block ×3, first 2 shown]
	s_waitcnt vmcnt(0)
	ds_write_b128 v8, v[1:4]
	s_waitcnt lgkmcnt(0)
	s_waitcnt_vscnt null, 0x0
	s_barrier
	buffer_gl0_inv
	s_and_saveexec_b32 s8, s5
	s_cbranch_execz .LBB46_99
; %bb.92:
	ds_read_b128 v[1:4], v8
	s_andn2_b32 vcc_lo, exec_lo, s54
	s_cbranch_vccnz .LBB46_94
; %bb.93:
	s_clause 0x3
	buffer_load_dword v9, v7, s[0:3], 0 offen offset:8
	buffer_load_dword v10, v7, s[0:3], 0 offen offset:12
	buffer_load_dword v11, v7, s[0:3], 0 offen
	buffer_load_dword v12, v7, s[0:3], 0 offen offset:4
	s_waitcnt vmcnt(2) lgkmcnt(0)
	v_mul_f64 v[13:14], v[3:4], v[9:10]
	v_mul_f64 v[9:10], v[1:2], v[9:10]
	s_waitcnt vmcnt(0)
	v_fma_f64 v[1:2], v[1:2], v[11:12], -v[13:14]
	v_fma_f64 v[3:4], v[3:4], v[11:12], v[9:10]
.LBB46_94:
	s_and_saveexec_b32 s55, s4
	s_cbranch_execz .LBB46_98
; %bb.95:
	v_subrev_nc_u32_e32 v9, 35, v0
	s_movk_i32 s56, 0x520
	s_mov_b32 s4, 0
	s_mov_b32 s57, s18
	.p2align	6
.LBB46_96:                              ; =>This Inner Loop Header: Depth=1
	v_mov_b32_e32 v10, s57
	v_add_nc_u32_e32 v9, -1, v9
	s_add_i32 s57, s57, 16
	s_clause 0x3
	buffer_load_dword v14, v10, s[0:3], 0 offen offset:8
	buffer_load_dword v15, v10, s[0:3], 0 offen offset:12
	buffer_load_dword v16, v10, s[0:3], 0 offen
	buffer_load_dword v17, v10, s[0:3], 0 offen offset:4
	v_mov_b32_e32 v10, s56
	v_cmp_eq_u32_e32 vcc_lo, 0, v9
	s_add_i32 s56, s56, 16
	ds_read_b128 v[10:13], v10
	s_or_b32 s4, vcc_lo, s4
	s_waitcnt vmcnt(2) lgkmcnt(0)
	v_mul_f64 v[18:19], v[12:13], v[14:15]
	v_mul_f64 v[14:15], v[10:11], v[14:15]
	s_waitcnt vmcnt(0)
	v_fma_f64 v[10:11], v[10:11], v[16:17], -v[18:19]
	v_fma_f64 v[12:13], v[12:13], v[16:17], v[14:15]
	v_add_f64 v[1:2], v[1:2], v[10:11]
	v_add_f64 v[3:4], v[3:4], v[12:13]
	s_andn2_b32 exec_lo, exec_lo, s4
	s_cbranch_execnz .LBB46_96
; %bb.97:
	s_or_b32 exec_lo, exec_lo, s4
.LBB46_98:
	s_or_b32 exec_lo, exec_lo, s55
	v_mov_b32_e32 v9, 0
	ds_read_b128 v[9:12], v9 offset:544
	s_waitcnt lgkmcnt(0)
	v_mul_f64 v[13:14], v[3:4], v[11:12]
	v_mul_f64 v[11:12], v[1:2], v[11:12]
	v_fma_f64 v[1:2], v[1:2], v[9:10], -v[13:14]
	v_fma_f64 v[3:4], v[3:4], v[9:10], v[11:12]
	buffer_store_dword v2, off, s[0:3], 0 offset:548
	buffer_store_dword v1, off, s[0:3], 0 offset:544
	;; [unrolled: 1-line block ×4, first 2 shown]
.LBB46_99:
	s_or_b32 exec_lo, exec_lo, s8
	v_mov_b32_e32 v4, s20
	v_cmp_lt_u32_e64 s4, 33, v0
	s_clause 0x3
	buffer_load_dword v1, v4, s[0:3], 0 offen
	buffer_load_dword v2, v4, s[0:3], 0 offen offset:4
	buffer_load_dword v3, v4, s[0:3], 0 offen offset:8
	;; [unrolled: 1-line block ×3, first 2 shown]
	s_waitcnt vmcnt(0)
	ds_write_b128 v8, v[1:4]
	s_waitcnt lgkmcnt(0)
	s_waitcnt_vscnt null, 0x0
	s_barrier
	buffer_gl0_inv
	s_and_saveexec_b32 s8, s4
	s_cbranch_execz .LBB46_107
; %bb.100:
	ds_read_b128 v[1:4], v8
	s_andn2_b32 vcc_lo, exec_lo, s54
	s_cbranch_vccnz .LBB46_102
; %bb.101:
	s_clause 0x3
	buffer_load_dword v9, v7, s[0:3], 0 offen offset:8
	buffer_load_dword v10, v7, s[0:3], 0 offen offset:12
	buffer_load_dword v11, v7, s[0:3], 0 offen
	buffer_load_dword v12, v7, s[0:3], 0 offen offset:4
	s_waitcnt vmcnt(2) lgkmcnt(0)
	v_mul_f64 v[13:14], v[3:4], v[9:10]
	v_mul_f64 v[9:10], v[1:2], v[9:10]
	s_waitcnt vmcnt(0)
	v_fma_f64 v[1:2], v[1:2], v[11:12], -v[13:14]
	v_fma_f64 v[3:4], v[3:4], v[11:12], v[9:10]
.LBB46_102:
	s_and_saveexec_b32 s55, s5
	s_cbranch_execz .LBB46_106
; %bb.103:
	v_subrev_nc_u32_e32 v9, 34, v0
	s_movk_i32 s56, 0x510
	s_mov_b32 s5, 0
	s_mov_b32 s57, s19
	.p2align	6
.LBB46_104:                             ; =>This Inner Loop Header: Depth=1
	v_mov_b32_e32 v10, s57
	v_add_nc_u32_e32 v9, -1, v9
	s_add_i32 s57, s57, 16
	s_clause 0x3
	buffer_load_dword v14, v10, s[0:3], 0 offen offset:8
	buffer_load_dword v15, v10, s[0:3], 0 offen offset:12
	buffer_load_dword v16, v10, s[0:3], 0 offen
	buffer_load_dword v17, v10, s[0:3], 0 offen offset:4
	v_mov_b32_e32 v10, s56
	v_cmp_eq_u32_e32 vcc_lo, 0, v9
	s_add_i32 s56, s56, 16
	ds_read_b128 v[10:13], v10
	s_or_b32 s5, vcc_lo, s5
	s_waitcnt vmcnt(2) lgkmcnt(0)
	v_mul_f64 v[18:19], v[12:13], v[14:15]
	v_mul_f64 v[14:15], v[10:11], v[14:15]
	s_waitcnt vmcnt(0)
	v_fma_f64 v[10:11], v[10:11], v[16:17], -v[18:19]
	v_fma_f64 v[12:13], v[12:13], v[16:17], v[14:15]
	v_add_f64 v[1:2], v[1:2], v[10:11]
	v_add_f64 v[3:4], v[3:4], v[12:13]
	s_andn2_b32 exec_lo, exec_lo, s5
	s_cbranch_execnz .LBB46_104
; %bb.105:
	s_or_b32 exec_lo, exec_lo, s5
.LBB46_106:
	s_or_b32 exec_lo, exec_lo, s55
	v_mov_b32_e32 v9, 0
	ds_read_b128 v[9:12], v9 offset:528
	s_waitcnt lgkmcnt(0)
	v_mul_f64 v[13:14], v[3:4], v[11:12]
	v_mul_f64 v[11:12], v[1:2], v[11:12]
	v_fma_f64 v[1:2], v[1:2], v[9:10], -v[13:14]
	v_fma_f64 v[3:4], v[3:4], v[9:10], v[11:12]
	buffer_store_dword v2, off, s[0:3], 0 offset:532
	buffer_store_dword v1, off, s[0:3], 0 offset:528
	;; [unrolled: 1-line block ×4, first 2 shown]
.LBB46_107:
	s_or_b32 exec_lo, exec_lo, s8
	v_mov_b32_e32 v4, s21
	v_cmp_lt_u32_e64 s5, 32, v0
	s_clause 0x3
	buffer_load_dword v1, v4, s[0:3], 0 offen
	buffer_load_dword v2, v4, s[0:3], 0 offen offset:4
	buffer_load_dword v3, v4, s[0:3], 0 offen offset:8
	;; [unrolled: 1-line block ×3, first 2 shown]
	s_waitcnt vmcnt(0)
	ds_write_b128 v8, v[1:4]
	s_waitcnt lgkmcnt(0)
	s_waitcnt_vscnt null, 0x0
	s_barrier
	buffer_gl0_inv
	s_and_saveexec_b32 s8, s5
	s_cbranch_execz .LBB46_115
; %bb.108:
	ds_read_b128 v[1:4], v8
	s_andn2_b32 vcc_lo, exec_lo, s54
	s_cbranch_vccnz .LBB46_110
; %bb.109:
	s_clause 0x3
	buffer_load_dword v9, v7, s[0:3], 0 offen offset:8
	buffer_load_dword v10, v7, s[0:3], 0 offen offset:12
	buffer_load_dword v11, v7, s[0:3], 0 offen
	buffer_load_dword v12, v7, s[0:3], 0 offen offset:4
	s_waitcnt vmcnt(2) lgkmcnt(0)
	v_mul_f64 v[13:14], v[3:4], v[9:10]
	v_mul_f64 v[9:10], v[1:2], v[9:10]
	s_waitcnt vmcnt(0)
	v_fma_f64 v[1:2], v[1:2], v[11:12], -v[13:14]
	v_fma_f64 v[3:4], v[3:4], v[11:12], v[9:10]
.LBB46_110:
	s_and_saveexec_b32 s55, s4
	s_cbranch_execz .LBB46_114
; %bb.111:
	v_subrev_nc_u32_e32 v9, 33, v0
	s_movk_i32 s56, 0x500
	s_mov_b32 s4, 0
	s_mov_b32 s57, s20
	.p2align	6
.LBB46_112:                             ; =>This Inner Loop Header: Depth=1
	v_mov_b32_e32 v10, s57
	v_add_nc_u32_e32 v9, -1, v9
	s_add_i32 s57, s57, 16
	s_clause 0x3
	buffer_load_dword v14, v10, s[0:3], 0 offen offset:8
	buffer_load_dword v15, v10, s[0:3], 0 offen offset:12
	buffer_load_dword v16, v10, s[0:3], 0 offen
	buffer_load_dword v17, v10, s[0:3], 0 offen offset:4
	v_mov_b32_e32 v10, s56
	v_cmp_eq_u32_e32 vcc_lo, 0, v9
	s_add_i32 s56, s56, 16
	ds_read_b128 v[10:13], v10
	s_or_b32 s4, vcc_lo, s4
	s_waitcnt vmcnt(2) lgkmcnt(0)
	v_mul_f64 v[18:19], v[12:13], v[14:15]
	v_mul_f64 v[14:15], v[10:11], v[14:15]
	s_waitcnt vmcnt(0)
	v_fma_f64 v[10:11], v[10:11], v[16:17], -v[18:19]
	v_fma_f64 v[12:13], v[12:13], v[16:17], v[14:15]
	v_add_f64 v[1:2], v[1:2], v[10:11]
	v_add_f64 v[3:4], v[3:4], v[12:13]
	s_andn2_b32 exec_lo, exec_lo, s4
	s_cbranch_execnz .LBB46_112
; %bb.113:
	s_or_b32 exec_lo, exec_lo, s4
.LBB46_114:
	s_or_b32 exec_lo, exec_lo, s55
	v_mov_b32_e32 v9, 0
	ds_read_b128 v[9:12], v9 offset:512
	s_waitcnt lgkmcnt(0)
	v_mul_f64 v[13:14], v[3:4], v[11:12]
	v_mul_f64 v[11:12], v[1:2], v[11:12]
	v_fma_f64 v[1:2], v[1:2], v[9:10], -v[13:14]
	v_fma_f64 v[3:4], v[3:4], v[9:10], v[11:12]
	buffer_store_dword v2, off, s[0:3], 0 offset:516
	buffer_store_dword v1, off, s[0:3], 0 offset:512
	;; [unrolled: 1-line block ×4, first 2 shown]
.LBB46_115:
	s_or_b32 exec_lo, exec_lo, s8
	v_mov_b32_e32 v4, s22
	v_cmp_lt_u32_e64 s4, 31, v0
	s_clause 0x3
	buffer_load_dword v1, v4, s[0:3], 0 offen
	buffer_load_dword v2, v4, s[0:3], 0 offen offset:4
	buffer_load_dword v3, v4, s[0:3], 0 offen offset:8
	;; [unrolled: 1-line block ×3, first 2 shown]
	s_waitcnt vmcnt(0)
	ds_write_b128 v8, v[1:4]
	s_waitcnt lgkmcnt(0)
	s_waitcnt_vscnt null, 0x0
	s_barrier
	buffer_gl0_inv
	s_and_saveexec_b32 s8, s4
	s_cbranch_execz .LBB46_123
; %bb.116:
	ds_read_b128 v[1:4], v8
	s_andn2_b32 vcc_lo, exec_lo, s54
	s_cbranch_vccnz .LBB46_118
; %bb.117:
	s_clause 0x3
	buffer_load_dword v9, v7, s[0:3], 0 offen offset:8
	buffer_load_dword v10, v7, s[0:3], 0 offen offset:12
	buffer_load_dword v11, v7, s[0:3], 0 offen
	buffer_load_dword v12, v7, s[0:3], 0 offen offset:4
	s_waitcnt vmcnt(2) lgkmcnt(0)
	v_mul_f64 v[13:14], v[3:4], v[9:10]
	v_mul_f64 v[9:10], v[1:2], v[9:10]
	s_waitcnt vmcnt(0)
	v_fma_f64 v[1:2], v[1:2], v[11:12], -v[13:14]
	v_fma_f64 v[3:4], v[3:4], v[11:12], v[9:10]
.LBB46_118:
	s_and_saveexec_b32 s55, s5
	s_cbranch_execz .LBB46_122
; %bb.119:
	v_subrev_nc_u32_e32 v9, 32, v0
	s_movk_i32 s56, 0x4f0
	s_mov_b32 s5, 0
	s_mov_b32 s57, s21
	.p2align	6
.LBB46_120:                             ; =>This Inner Loop Header: Depth=1
	v_mov_b32_e32 v10, s57
	v_add_nc_u32_e32 v9, -1, v9
	s_add_i32 s57, s57, 16
	s_clause 0x3
	buffer_load_dword v14, v10, s[0:3], 0 offen offset:8
	buffer_load_dword v15, v10, s[0:3], 0 offen offset:12
	buffer_load_dword v16, v10, s[0:3], 0 offen
	buffer_load_dword v17, v10, s[0:3], 0 offen offset:4
	v_mov_b32_e32 v10, s56
	v_cmp_eq_u32_e32 vcc_lo, 0, v9
	s_add_i32 s56, s56, 16
	ds_read_b128 v[10:13], v10
	s_or_b32 s5, vcc_lo, s5
	s_waitcnt vmcnt(2) lgkmcnt(0)
	v_mul_f64 v[18:19], v[12:13], v[14:15]
	v_mul_f64 v[14:15], v[10:11], v[14:15]
	s_waitcnt vmcnt(0)
	v_fma_f64 v[10:11], v[10:11], v[16:17], -v[18:19]
	v_fma_f64 v[12:13], v[12:13], v[16:17], v[14:15]
	v_add_f64 v[1:2], v[1:2], v[10:11]
	v_add_f64 v[3:4], v[3:4], v[12:13]
	s_andn2_b32 exec_lo, exec_lo, s5
	s_cbranch_execnz .LBB46_120
; %bb.121:
	s_or_b32 exec_lo, exec_lo, s5
.LBB46_122:
	s_or_b32 exec_lo, exec_lo, s55
	v_mov_b32_e32 v9, 0
	ds_read_b128 v[9:12], v9 offset:496
	s_waitcnt lgkmcnt(0)
	v_mul_f64 v[13:14], v[3:4], v[11:12]
	v_mul_f64 v[11:12], v[1:2], v[11:12]
	v_fma_f64 v[1:2], v[1:2], v[9:10], -v[13:14]
	v_fma_f64 v[3:4], v[3:4], v[9:10], v[11:12]
	buffer_store_dword v2, off, s[0:3], 0 offset:500
	buffer_store_dword v1, off, s[0:3], 0 offset:496
	;; [unrolled: 1-line block ×4, first 2 shown]
.LBB46_123:
	s_or_b32 exec_lo, exec_lo, s8
	v_mov_b32_e32 v4, s23
	v_cmp_lt_u32_e64 s5, 30, v0
	s_clause 0x3
	buffer_load_dword v1, v4, s[0:3], 0 offen
	buffer_load_dword v2, v4, s[0:3], 0 offen offset:4
	buffer_load_dword v3, v4, s[0:3], 0 offen offset:8
	;; [unrolled: 1-line block ×3, first 2 shown]
	s_waitcnt vmcnt(0)
	ds_write_b128 v8, v[1:4]
	s_waitcnt lgkmcnt(0)
	s_waitcnt_vscnt null, 0x0
	s_barrier
	buffer_gl0_inv
	s_and_saveexec_b32 s8, s5
	s_cbranch_execz .LBB46_131
; %bb.124:
	ds_read_b128 v[1:4], v8
	s_andn2_b32 vcc_lo, exec_lo, s54
	s_cbranch_vccnz .LBB46_126
; %bb.125:
	s_clause 0x3
	buffer_load_dword v9, v7, s[0:3], 0 offen offset:8
	buffer_load_dword v10, v7, s[0:3], 0 offen offset:12
	buffer_load_dword v11, v7, s[0:3], 0 offen
	buffer_load_dword v12, v7, s[0:3], 0 offen offset:4
	s_waitcnt vmcnt(2) lgkmcnt(0)
	v_mul_f64 v[13:14], v[3:4], v[9:10]
	v_mul_f64 v[9:10], v[1:2], v[9:10]
	s_waitcnt vmcnt(0)
	v_fma_f64 v[1:2], v[1:2], v[11:12], -v[13:14]
	v_fma_f64 v[3:4], v[3:4], v[11:12], v[9:10]
.LBB46_126:
	s_and_saveexec_b32 s55, s4
	s_cbranch_execz .LBB46_130
; %bb.127:
	v_subrev_nc_u32_e32 v9, 31, v0
	s_movk_i32 s56, 0x4e0
	s_mov_b32 s4, 0
	s_mov_b32 s57, s22
	.p2align	6
.LBB46_128:                             ; =>This Inner Loop Header: Depth=1
	v_mov_b32_e32 v10, s57
	v_add_nc_u32_e32 v9, -1, v9
	s_add_i32 s57, s57, 16
	s_clause 0x3
	buffer_load_dword v14, v10, s[0:3], 0 offen offset:8
	buffer_load_dword v15, v10, s[0:3], 0 offen offset:12
	buffer_load_dword v16, v10, s[0:3], 0 offen
	buffer_load_dword v17, v10, s[0:3], 0 offen offset:4
	v_mov_b32_e32 v10, s56
	v_cmp_eq_u32_e32 vcc_lo, 0, v9
	s_add_i32 s56, s56, 16
	ds_read_b128 v[10:13], v10
	s_or_b32 s4, vcc_lo, s4
	s_waitcnt vmcnt(2) lgkmcnt(0)
	v_mul_f64 v[18:19], v[12:13], v[14:15]
	v_mul_f64 v[14:15], v[10:11], v[14:15]
	s_waitcnt vmcnt(0)
	v_fma_f64 v[10:11], v[10:11], v[16:17], -v[18:19]
	v_fma_f64 v[12:13], v[12:13], v[16:17], v[14:15]
	v_add_f64 v[1:2], v[1:2], v[10:11]
	v_add_f64 v[3:4], v[3:4], v[12:13]
	s_andn2_b32 exec_lo, exec_lo, s4
	s_cbranch_execnz .LBB46_128
; %bb.129:
	s_or_b32 exec_lo, exec_lo, s4
.LBB46_130:
	s_or_b32 exec_lo, exec_lo, s55
	v_mov_b32_e32 v9, 0
	ds_read_b128 v[9:12], v9 offset:480
	s_waitcnt lgkmcnt(0)
	v_mul_f64 v[13:14], v[3:4], v[11:12]
	v_mul_f64 v[11:12], v[1:2], v[11:12]
	v_fma_f64 v[1:2], v[1:2], v[9:10], -v[13:14]
	v_fma_f64 v[3:4], v[3:4], v[9:10], v[11:12]
	buffer_store_dword v2, off, s[0:3], 0 offset:484
	buffer_store_dword v1, off, s[0:3], 0 offset:480
	;; [unrolled: 1-line block ×4, first 2 shown]
.LBB46_131:
	s_or_b32 exec_lo, exec_lo, s8
	v_mov_b32_e32 v4, s24
	v_cmp_lt_u32_e64 s4, 29, v0
	s_clause 0x3
	buffer_load_dword v1, v4, s[0:3], 0 offen
	buffer_load_dword v2, v4, s[0:3], 0 offen offset:4
	buffer_load_dword v3, v4, s[0:3], 0 offen offset:8
	;; [unrolled: 1-line block ×3, first 2 shown]
	s_waitcnt vmcnt(0)
	ds_write_b128 v8, v[1:4]
	s_waitcnt lgkmcnt(0)
	s_waitcnt_vscnt null, 0x0
	s_barrier
	buffer_gl0_inv
	s_and_saveexec_b32 s8, s4
	s_cbranch_execz .LBB46_139
; %bb.132:
	ds_read_b128 v[1:4], v8
	s_andn2_b32 vcc_lo, exec_lo, s54
	s_cbranch_vccnz .LBB46_134
; %bb.133:
	s_clause 0x3
	buffer_load_dword v9, v7, s[0:3], 0 offen offset:8
	buffer_load_dword v10, v7, s[0:3], 0 offen offset:12
	buffer_load_dword v11, v7, s[0:3], 0 offen
	buffer_load_dword v12, v7, s[0:3], 0 offen offset:4
	s_waitcnt vmcnt(2) lgkmcnt(0)
	v_mul_f64 v[13:14], v[3:4], v[9:10]
	v_mul_f64 v[9:10], v[1:2], v[9:10]
	s_waitcnt vmcnt(0)
	v_fma_f64 v[1:2], v[1:2], v[11:12], -v[13:14]
	v_fma_f64 v[3:4], v[3:4], v[11:12], v[9:10]
.LBB46_134:
	s_and_saveexec_b32 s55, s5
	s_cbranch_execz .LBB46_138
; %bb.135:
	v_subrev_nc_u32_e32 v9, 30, v0
	s_movk_i32 s56, 0x4d0
	s_mov_b32 s5, 0
	s_mov_b32 s57, s23
	.p2align	6
.LBB46_136:                             ; =>This Inner Loop Header: Depth=1
	v_mov_b32_e32 v10, s57
	v_add_nc_u32_e32 v9, -1, v9
	s_add_i32 s57, s57, 16
	s_clause 0x3
	buffer_load_dword v14, v10, s[0:3], 0 offen offset:8
	buffer_load_dword v15, v10, s[0:3], 0 offen offset:12
	buffer_load_dword v16, v10, s[0:3], 0 offen
	buffer_load_dword v17, v10, s[0:3], 0 offen offset:4
	v_mov_b32_e32 v10, s56
	v_cmp_eq_u32_e32 vcc_lo, 0, v9
	s_add_i32 s56, s56, 16
	ds_read_b128 v[10:13], v10
	s_or_b32 s5, vcc_lo, s5
	s_waitcnt vmcnt(2) lgkmcnt(0)
	v_mul_f64 v[18:19], v[12:13], v[14:15]
	v_mul_f64 v[14:15], v[10:11], v[14:15]
	s_waitcnt vmcnt(0)
	v_fma_f64 v[10:11], v[10:11], v[16:17], -v[18:19]
	v_fma_f64 v[12:13], v[12:13], v[16:17], v[14:15]
	v_add_f64 v[1:2], v[1:2], v[10:11]
	v_add_f64 v[3:4], v[3:4], v[12:13]
	s_andn2_b32 exec_lo, exec_lo, s5
	s_cbranch_execnz .LBB46_136
; %bb.137:
	s_or_b32 exec_lo, exec_lo, s5
.LBB46_138:
	s_or_b32 exec_lo, exec_lo, s55
	v_mov_b32_e32 v9, 0
	ds_read_b128 v[9:12], v9 offset:464
	s_waitcnt lgkmcnt(0)
	v_mul_f64 v[13:14], v[3:4], v[11:12]
	v_mul_f64 v[11:12], v[1:2], v[11:12]
	v_fma_f64 v[1:2], v[1:2], v[9:10], -v[13:14]
	v_fma_f64 v[3:4], v[3:4], v[9:10], v[11:12]
	buffer_store_dword v2, off, s[0:3], 0 offset:468
	buffer_store_dword v1, off, s[0:3], 0 offset:464
	;; [unrolled: 1-line block ×4, first 2 shown]
.LBB46_139:
	s_or_b32 exec_lo, exec_lo, s8
	v_mov_b32_e32 v4, s25
	v_cmp_lt_u32_e64 s5, 28, v0
	s_clause 0x3
	buffer_load_dword v1, v4, s[0:3], 0 offen
	buffer_load_dword v2, v4, s[0:3], 0 offen offset:4
	buffer_load_dword v3, v4, s[0:3], 0 offen offset:8
	;; [unrolled: 1-line block ×3, first 2 shown]
	s_waitcnt vmcnt(0)
	ds_write_b128 v8, v[1:4]
	s_waitcnt lgkmcnt(0)
	s_waitcnt_vscnt null, 0x0
	s_barrier
	buffer_gl0_inv
	s_and_saveexec_b32 s8, s5
	s_cbranch_execz .LBB46_147
; %bb.140:
	ds_read_b128 v[1:4], v8
	s_andn2_b32 vcc_lo, exec_lo, s54
	s_cbranch_vccnz .LBB46_142
; %bb.141:
	s_clause 0x3
	buffer_load_dword v9, v7, s[0:3], 0 offen offset:8
	buffer_load_dword v10, v7, s[0:3], 0 offen offset:12
	buffer_load_dword v11, v7, s[0:3], 0 offen
	buffer_load_dword v12, v7, s[0:3], 0 offen offset:4
	s_waitcnt vmcnt(2) lgkmcnt(0)
	v_mul_f64 v[13:14], v[3:4], v[9:10]
	v_mul_f64 v[9:10], v[1:2], v[9:10]
	s_waitcnt vmcnt(0)
	v_fma_f64 v[1:2], v[1:2], v[11:12], -v[13:14]
	v_fma_f64 v[3:4], v[3:4], v[11:12], v[9:10]
.LBB46_142:
	s_and_saveexec_b32 s55, s4
	s_cbranch_execz .LBB46_146
; %bb.143:
	v_subrev_nc_u32_e32 v9, 29, v0
	s_movk_i32 s56, 0x4c0
	s_mov_b32 s4, 0
	s_mov_b32 s57, s24
	.p2align	6
.LBB46_144:                             ; =>This Inner Loop Header: Depth=1
	v_mov_b32_e32 v10, s57
	v_add_nc_u32_e32 v9, -1, v9
	s_add_i32 s57, s57, 16
	s_clause 0x3
	buffer_load_dword v14, v10, s[0:3], 0 offen offset:8
	buffer_load_dword v15, v10, s[0:3], 0 offen offset:12
	buffer_load_dword v16, v10, s[0:3], 0 offen
	buffer_load_dword v17, v10, s[0:3], 0 offen offset:4
	v_mov_b32_e32 v10, s56
	v_cmp_eq_u32_e32 vcc_lo, 0, v9
	s_add_i32 s56, s56, 16
	ds_read_b128 v[10:13], v10
	s_or_b32 s4, vcc_lo, s4
	s_waitcnt vmcnt(2) lgkmcnt(0)
	v_mul_f64 v[18:19], v[12:13], v[14:15]
	v_mul_f64 v[14:15], v[10:11], v[14:15]
	s_waitcnt vmcnt(0)
	v_fma_f64 v[10:11], v[10:11], v[16:17], -v[18:19]
	v_fma_f64 v[12:13], v[12:13], v[16:17], v[14:15]
	v_add_f64 v[1:2], v[1:2], v[10:11]
	v_add_f64 v[3:4], v[3:4], v[12:13]
	s_andn2_b32 exec_lo, exec_lo, s4
	s_cbranch_execnz .LBB46_144
; %bb.145:
	s_or_b32 exec_lo, exec_lo, s4
.LBB46_146:
	s_or_b32 exec_lo, exec_lo, s55
	v_mov_b32_e32 v9, 0
	ds_read_b128 v[9:12], v9 offset:448
	s_waitcnt lgkmcnt(0)
	v_mul_f64 v[13:14], v[3:4], v[11:12]
	v_mul_f64 v[11:12], v[1:2], v[11:12]
	v_fma_f64 v[1:2], v[1:2], v[9:10], -v[13:14]
	v_fma_f64 v[3:4], v[3:4], v[9:10], v[11:12]
	buffer_store_dword v2, off, s[0:3], 0 offset:452
	buffer_store_dword v1, off, s[0:3], 0 offset:448
	;; [unrolled: 1-line block ×4, first 2 shown]
.LBB46_147:
	s_or_b32 exec_lo, exec_lo, s8
	v_mov_b32_e32 v4, s26
	v_cmp_lt_u32_e64 s4, 27, v0
	s_clause 0x3
	buffer_load_dword v1, v4, s[0:3], 0 offen
	buffer_load_dword v2, v4, s[0:3], 0 offen offset:4
	buffer_load_dword v3, v4, s[0:3], 0 offen offset:8
	;; [unrolled: 1-line block ×3, first 2 shown]
	s_waitcnt vmcnt(0)
	ds_write_b128 v8, v[1:4]
	s_waitcnt lgkmcnt(0)
	s_waitcnt_vscnt null, 0x0
	s_barrier
	buffer_gl0_inv
	s_and_saveexec_b32 s8, s4
	s_cbranch_execz .LBB46_155
; %bb.148:
	ds_read_b128 v[1:4], v8
	s_andn2_b32 vcc_lo, exec_lo, s54
	s_cbranch_vccnz .LBB46_150
; %bb.149:
	s_clause 0x3
	buffer_load_dword v9, v7, s[0:3], 0 offen offset:8
	buffer_load_dword v10, v7, s[0:3], 0 offen offset:12
	buffer_load_dword v11, v7, s[0:3], 0 offen
	buffer_load_dword v12, v7, s[0:3], 0 offen offset:4
	s_waitcnt vmcnt(2) lgkmcnt(0)
	v_mul_f64 v[13:14], v[3:4], v[9:10]
	v_mul_f64 v[9:10], v[1:2], v[9:10]
	s_waitcnt vmcnt(0)
	v_fma_f64 v[1:2], v[1:2], v[11:12], -v[13:14]
	v_fma_f64 v[3:4], v[3:4], v[11:12], v[9:10]
.LBB46_150:
	s_and_saveexec_b32 s55, s5
	s_cbranch_execz .LBB46_154
; %bb.151:
	v_subrev_nc_u32_e32 v9, 28, v0
	s_movk_i32 s56, 0x4b0
	s_mov_b32 s5, 0
	s_mov_b32 s57, s25
	.p2align	6
.LBB46_152:                             ; =>This Inner Loop Header: Depth=1
	v_mov_b32_e32 v10, s57
	v_add_nc_u32_e32 v9, -1, v9
	s_add_i32 s57, s57, 16
	s_clause 0x3
	buffer_load_dword v14, v10, s[0:3], 0 offen offset:8
	buffer_load_dword v15, v10, s[0:3], 0 offen offset:12
	buffer_load_dword v16, v10, s[0:3], 0 offen
	buffer_load_dword v17, v10, s[0:3], 0 offen offset:4
	v_mov_b32_e32 v10, s56
	v_cmp_eq_u32_e32 vcc_lo, 0, v9
	s_add_i32 s56, s56, 16
	ds_read_b128 v[10:13], v10
	s_or_b32 s5, vcc_lo, s5
	s_waitcnt vmcnt(2) lgkmcnt(0)
	v_mul_f64 v[18:19], v[12:13], v[14:15]
	v_mul_f64 v[14:15], v[10:11], v[14:15]
	s_waitcnt vmcnt(0)
	v_fma_f64 v[10:11], v[10:11], v[16:17], -v[18:19]
	v_fma_f64 v[12:13], v[12:13], v[16:17], v[14:15]
	v_add_f64 v[1:2], v[1:2], v[10:11]
	v_add_f64 v[3:4], v[3:4], v[12:13]
	s_andn2_b32 exec_lo, exec_lo, s5
	s_cbranch_execnz .LBB46_152
; %bb.153:
	s_or_b32 exec_lo, exec_lo, s5
.LBB46_154:
	s_or_b32 exec_lo, exec_lo, s55
	v_mov_b32_e32 v9, 0
	ds_read_b128 v[9:12], v9 offset:432
	s_waitcnt lgkmcnt(0)
	v_mul_f64 v[13:14], v[3:4], v[11:12]
	v_mul_f64 v[11:12], v[1:2], v[11:12]
	v_fma_f64 v[1:2], v[1:2], v[9:10], -v[13:14]
	v_fma_f64 v[3:4], v[3:4], v[9:10], v[11:12]
	buffer_store_dword v2, off, s[0:3], 0 offset:436
	buffer_store_dword v1, off, s[0:3], 0 offset:432
	;; [unrolled: 1-line block ×4, first 2 shown]
.LBB46_155:
	s_or_b32 exec_lo, exec_lo, s8
	v_mov_b32_e32 v4, s27
	v_cmp_lt_u32_e64 s5, 26, v0
	s_clause 0x3
	buffer_load_dword v1, v4, s[0:3], 0 offen
	buffer_load_dword v2, v4, s[0:3], 0 offen offset:4
	buffer_load_dword v3, v4, s[0:3], 0 offen offset:8
	;; [unrolled: 1-line block ×3, first 2 shown]
	s_waitcnt vmcnt(0)
	ds_write_b128 v8, v[1:4]
	s_waitcnt lgkmcnt(0)
	s_waitcnt_vscnt null, 0x0
	s_barrier
	buffer_gl0_inv
	s_and_saveexec_b32 s8, s5
	s_cbranch_execz .LBB46_163
; %bb.156:
	ds_read_b128 v[1:4], v8
	s_andn2_b32 vcc_lo, exec_lo, s54
	s_cbranch_vccnz .LBB46_158
; %bb.157:
	s_clause 0x3
	buffer_load_dword v9, v7, s[0:3], 0 offen offset:8
	buffer_load_dword v10, v7, s[0:3], 0 offen offset:12
	buffer_load_dword v11, v7, s[0:3], 0 offen
	buffer_load_dword v12, v7, s[0:3], 0 offen offset:4
	s_waitcnt vmcnt(2) lgkmcnt(0)
	v_mul_f64 v[13:14], v[3:4], v[9:10]
	v_mul_f64 v[9:10], v[1:2], v[9:10]
	s_waitcnt vmcnt(0)
	v_fma_f64 v[1:2], v[1:2], v[11:12], -v[13:14]
	v_fma_f64 v[3:4], v[3:4], v[11:12], v[9:10]
.LBB46_158:
	s_and_saveexec_b32 s55, s4
	s_cbranch_execz .LBB46_162
; %bb.159:
	v_subrev_nc_u32_e32 v9, 27, v0
	s_movk_i32 s56, 0x4a0
	s_mov_b32 s4, 0
	s_mov_b32 s57, s26
	.p2align	6
.LBB46_160:                             ; =>This Inner Loop Header: Depth=1
	v_mov_b32_e32 v10, s57
	v_add_nc_u32_e32 v9, -1, v9
	s_add_i32 s57, s57, 16
	s_clause 0x3
	buffer_load_dword v14, v10, s[0:3], 0 offen offset:8
	buffer_load_dword v15, v10, s[0:3], 0 offen offset:12
	buffer_load_dword v16, v10, s[0:3], 0 offen
	buffer_load_dword v17, v10, s[0:3], 0 offen offset:4
	v_mov_b32_e32 v10, s56
	v_cmp_eq_u32_e32 vcc_lo, 0, v9
	s_add_i32 s56, s56, 16
	ds_read_b128 v[10:13], v10
	s_or_b32 s4, vcc_lo, s4
	s_waitcnt vmcnt(2) lgkmcnt(0)
	v_mul_f64 v[18:19], v[12:13], v[14:15]
	v_mul_f64 v[14:15], v[10:11], v[14:15]
	s_waitcnt vmcnt(0)
	v_fma_f64 v[10:11], v[10:11], v[16:17], -v[18:19]
	v_fma_f64 v[12:13], v[12:13], v[16:17], v[14:15]
	v_add_f64 v[1:2], v[1:2], v[10:11]
	v_add_f64 v[3:4], v[3:4], v[12:13]
	s_andn2_b32 exec_lo, exec_lo, s4
	s_cbranch_execnz .LBB46_160
; %bb.161:
	s_or_b32 exec_lo, exec_lo, s4
.LBB46_162:
	s_or_b32 exec_lo, exec_lo, s55
	v_mov_b32_e32 v9, 0
	ds_read_b128 v[9:12], v9 offset:416
	s_waitcnt lgkmcnt(0)
	v_mul_f64 v[13:14], v[3:4], v[11:12]
	v_mul_f64 v[11:12], v[1:2], v[11:12]
	v_fma_f64 v[1:2], v[1:2], v[9:10], -v[13:14]
	v_fma_f64 v[3:4], v[3:4], v[9:10], v[11:12]
	buffer_store_dword v2, off, s[0:3], 0 offset:420
	buffer_store_dword v1, off, s[0:3], 0 offset:416
	;; [unrolled: 1-line block ×4, first 2 shown]
.LBB46_163:
	s_or_b32 exec_lo, exec_lo, s8
	v_mov_b32_e32 v4, s28
	v_cmp_lt_u32_e64 s4, 25, v0
	s_clause 0x3
	buffer_load_dword v1, v4, s[0:3], 0 offen
	buffer_load_dword v2, v4, s[0:3], 0 offen offset:4
	buffer_load_dword v3, v4, s[0:3], 0 offen offset:8
	;; [unrolled: 1-line block ×3, first 2 shown]
	s_waitcnt vmcnt(0)
	ds_write_b128 v8, v[1:4]
	s_waitcnt lgkmcnt(0)
	s_waitcnt_vscnt null, 0x0
	s_barrier
	buffer_gl0_inv
	s_and_saveexec_b32 s8, s4
	s_cbranch_execz .LBB46_171
; %bb.164:
	ds_read_b128 v[1:4], v8
	s_andn2_b32 vcc_lo, exec_lo, s54
	s_cbranch_vccnz .LBB46_166
; %bb.165:
	s_clause 0x3
	buffer_load_dword v9, v7, s[0:3], 0 offen offset:8
	buffer_load_dword v10, v7, s[0:3], 0 offen offset:12
	buffer_load_dword v11, v7, s[0:3], 0 offen
	buffer_load_dword v12, v7, s[0:3], 0 offen offset:4
	s_waitcnt vmcnt(2) lgkmcnt(0)
	v_mul_f64 v[13:14], v[3:4], v[9:10]
	v_mul_f64 v[9:10], v[1:2], v[9:10]
	s_waitcnt vmcnt(0)
	v_fma_f64 v[1:2], v[1:2], v[11:12], -v[13:14]
	v_fma_f64 v[3:4], v[3:4], v[11:12], v[9:10]
.LBB46_166:
	s_and_saveexec_b32 s55, s5
	s_cbranch_execz .LBB46_170
; %bb.167:
	v_subrev_nc_u32_e32 v9, 26, v0
	s_movk_i32 s56, 0x490
	s_mov_b32 s5, 0
	s_mov_b32 s57, s27
	.p2align	6
.LBB46_168:                             ; =>This Inner Loop Header: Depth=1
	v_mov_b32_e32 v10, s57
	v_add_nc_u32_e32 v9, -1, v9
	s_add_i32 s57, s57, 16
	s_clause 0x3
	buffer_load_dword v14, v10, s[0:3], 0 offen offset:8
	buffer_load_dword v15, v10, s[0:3], 0 offen offset:12
	buffer_load_dword v16, v10, s[0:3], 0 offen
	buffer_load_dword v17, v10, s[0:3], 0 offen offset:4
	v_mov_b32_e32 v10, s56
	v_cmp_eq_u32_e32 vcc_lo, 0, v9
	s_add_i32 s56, s56, 16
	ds_read_b128 v[10:13], v10
	s_or_b32 s5, vcc_lo, s5
	s_waitcnt vmcnt(2) lgkmcnt(0)
	v_mul_f64 v[18:19], v[12:13], v[14:15]
	v_mul_f64 v[14:15], v[10:11], v[14:15]
	s_waitcnt vmcnt(0)
	v_fma_f64 v[10:11], v[10:11], v[16:17], -v[18:19]
	v_fma_f64 v[12:13], v[12:13], v[16:17], v[14:15]
	v_add_f64 v[1:2], v[1:2], v[10:11]
	v_add_f64 v[3:4], v[3:4], v[12:13]
	s_andn2_b32 exec_lo, exec_lo, s5
	s_cbranch_execnz .LBB46_168
; %bb.169:
	s_or_b32 exec_lo, exec_lo, s5
.LBB46_170:
	s_or_b32 exec_lo, exec_lo, s55
	v_mov_b32_e32 v9, 0
	ds_read_b128 v[9:12], v9 offset:400
	s_waitcnt lgkmcnt(0)
	v_mul_f64 v[13:14], v[3:4], v[11:12]
	v_mul_f64 v[11:12], v[1:2], v[11:12]
	v_fma_f64 v[1:2], v[1:2], v[9:10], -v[13:14]
	v_fma_f64 v[3:4], v[3:4], v[9:10], v[11:12]
	buffer_store_dword v2, off, s[0:3], 0 offset:404
	buffer_store_dword v1, off, s[0:3], 0 offset:400
	buffer_store_dword v4, off, s[0:3], 0 offset:412
	buffer_store_dword v3, off, s[0:3], 0 offset:408
.LBB46_171:
	s_or_b32 exec_lo, exec_lo, s8
	v_mov_b32_e32 v4, s29
	v_cmp_lt_u32_e64 s5, 24, v0
	s_clause 0x3
	buffer_load_dword v1, v4, s[0:3], 0 offen
	buffer_load_dword v2, v4, s[0:3], 0 offen offset:4
	buffer_load_dword v3, v4, s[0:3], 0 offen offset:8
	;; [unrolled: 1-line block ×3, first 2 shown]
	s_waitcnt vmcnt(0)
	ds_write_b128 v8, v[1:4]
	s_waitcnt lgkmcnt(0)
	s_waitcnt_vscnt null, 0x0
	s_barrier
	buffer_gl0_inv
	s_and_saveexec_b32 s8, s5
	s_cbranch_execz .LBB46_179
; %bb.172:
	ds_read_b128 v[1:4], v8
	s_andn2_b32 vcc_lo, exec_lo, s54
	s_cbranch_vccnz .LBB46_174
; %bb.173:
	s_clause 0x3
	buffer_load_dword v9, v7, s[0:3], 0 offen offset:8
	buffer_load_dword v10, v7, s[0:3], 0 offen offset:12
	buffer_load_dword v11, v7, s[0:3], 0 offen
	buffer_load_dword v12, v7, s[0:3], 0 offen offset:4
	s_waitcnt vmcnt(2) lgkmcnt(0)
	v_mul_f64 v[13:14], v[3:4], v[9:10]
	v_mul_f64 v[9:10], v[1:2], v[9:10]
	s_waitcnt vmcnt(0)
	v_fma_f64 v[1:2], v[1:2], v[11:12], -v[13:14]
	v_fma_f64 v[3:4], v[3:4], v[11:12], v[9:10]
.LBB46_174:
	s_and_saveexec_b32 s55, s4
	s_cbranch_execz .LBB46_178
; %bb.175:
	v_subrev_nc_u32_e32 v9, 25, v0
	s_movk_i32 s56, 0x480
	s_mov_b32 s4, 0
	s_mov_b32 s57, s28
	.p2align	6
.LBB46_176:                             ; =>This Inner Loop Header: Depth=1
	v_mov_b32_e32 v10, s57
	v_add_nc_u32_e32 v9, -1, v9
	s_add_i32 s57, s57, 16
	s_clause 0x3
	buffer_load_dword v14, v10, s[0:3], 0 offen offset:8
	buffer_load_dword v15, v10, s[0:3], 0 offen offset:12
	buffer_load_dword v16, v10, s[0:3], 0 offen
	buffer_load_dword v17, v10, s[0:3], 0 offen offset:4
	v_mov_b32_e32 v10, s56
	v_cmp_eq_u32_e32 vcc_lo, 0, v9
	s_add_i32 s56, s56, 16
	ds_read_b128 v[10:13], v10
	s_or_b32 s4, vcc_lo, s4
	s_waitcnt vmcnt(2) lgkmcnt(0)
	v_mul_f64 v[18:19], v[12:13], v[14:15]
	v_mul_f64 v[14:15], v[10:11], v[14:15]
	s_waitcnt vmcnt(0)
	v_fma_f64 v[10:11], v[10:11], v[16:17], -v[18:19]
	v_fma_f64 v[12:13], v[12:13], v[16:17], v[14:15]
	v_add_f64 v[1:2], v[1:2], v[10:11]
	v_add_f64 v[3:4], v[3:4], v[12:13]
	s_andn2_b32 exec_lo, exec_lo, s4
	s_cbranch_execnz .LBB46_176
; %bb.177:
	s_or_b32 exec_lo, exec_lo, s4
.LBB46_178:
	s_or_b32 exec_lo, exec_lo, s55
	v_mov_b32_e32 v9, 0
	ds_read_b128 v[9:12], v9 offset:384
	s_waitcnt lgkmcnt(0)
	v_mul_f64 v[13:14], v[3:4], v[11:12]
	v_mul_f64 v[11:12], v[1:2], v[11:12]
	v_fma_f64 v[1:2], v[1:2], v[9:10], -v[13:14]
	v_fma_f64 v[3:4], v[3:4], v[9:10], v[11:12]
	buffer_store_dword v2, off, s[0:3], 0 offset:388
	buffer_store_dword v1, off, s[0:3], 0 offset:384
	;; [unrolled: 1-line block ×4, first 2 shown]
.LBB46_179:
	s_or_b32 exec_lo, exec_lo, s8
	v_mov_b32_e32 v4, s30
	v_cmp_lt_u32_e64 s4, 23, v0
	s_clause 0x3
	buffer_load_dword v1, v4, s[0:3], 0 offen
	buffer_load_dword v2, v4, s[0:3], 0 offen offset:4
	buffer_load_dword v3, v4, s[0:3], 0 offen offset:8
	;; [unrolled: 1-line block ×3, first 2 shown]
	s_waitcnt vmcnt(0)
	ds_write_b128 v8, v[1:4]
	s_waitcnt lgkmcnt(0)
	s_waitcnt_vscnt null, 0x0
	s_barrier
	buffer_gl0_inv
	s_and_saveexec_b32 s8, s4
	s_cbranch_execz .LBB46_187
; %bb.180:
	ds_read_b128 v[1:4], v8
	s_andn2_b32 vcc_lo, exec_lo, s54
	s_cbranch_vccnz .LBB46_182
; %bb.181:
	s_clause 0x3
	buffer_load_dword v9, v7, s[0:3], 0 offen offset:8
	buffer_load_dword v10, v7, s[0:3], 0 offen offset:12
	buffer_load_dword v11, v7, s[0:3], 0 offen
	buffer_load_dword v12, v7, s[0:3], 0 offen offset:4
	s_waitcnt vmcnt(2) lgkmcnt(0)
	v_mul_f64 v[13:14], v[3:4], v[9:10]
	v_mul_f64 v[9:10], v[1:2], v[9:10]
	s_waitcnt vmcnt(0)
	v_fma_f64 v[1:2], v[1:2], v[11:12], -v[13:14]
	v_fma_f64 v[3:4], v[3:4], v[11:12], v[9:10]
.LBB46_182:
	s_and_saveexec_b32 s55, s5
	s_cbranch_execz .LBB46_186
; %bb.183:
	v_subrev_nc_u32_e32 v9, 24, v0
	s_movk_i32 s56, 0x470
	s_mov_b32 s5, 0
	s_mov_b32 s57, s29
	.p2align	6
.LBB46_184:                             ; =>This Inner Loop Header: Depth=1
	v_mov_b32_e32 v10, s57
	v_add_nc_u32_e32 v9, -1, v9
	s_add_i32 s57, s57, 16
	s_clause 0x3
	buffer_load_dword v14, v10, s[0:3], 0 offen offset:8
	buffer_load_dword v15, v10, s[0:3], 0 offen offset:12
	buffer_load_dword v16, v10, s[0:3], 0 offen
	buffer_load_dword v17, v10, s[0:3], 0 offen offset:4
	v_mov_b32_e32 v10, s56
	v_cmp_eq_u32_e32 vcc_lo, 0, v9
	s_add_i32 s56, s56, 16
	ds_read_b128 v[10:13], v10
	s_or_b32 s5, vcc_lo, s5
	s_waitcnt vmcnt(2) lgkmcnt(0)
	v_mul_f64 v[18:19], v[12:13], v[14:15]
	v_mul_f64 v[14:15], v[10:11], v[14:15]
	s_waitcnt vmcnt(0)
	v_fma_f64 v[10:11], v[10:11], v[16:17], -v[18:19]
	v_fma_f64 v[12:13], v[12:13], v[16:17], v[14:15]
	v_add_f64 v[1:2], v[1:2], v[10:11]
	v_add_f64 v[3:4], v[3:4], v[12:13]
	s_andn2_b32 exec_lo, exec_lo, s5
	s_cbranch_execnz .LBB46_184
; %bb.185:
	s_or_b32 exec_lo, exec_lo, s5
.LBB46_186:
	s_or_b32 exec_lo, exec_lo, s55
	v_mov_b32_e32 v9, 0
	ds_read_b128 v[9:12], v9 offset:368
	s_waitcnt lgkmcnt(0)
	v_mul_f64 v[13:14], v[3:4], v[11:12]
	v_mul_f64 v[11:12], v[1:2], v[11:12]
	v_fma_f64 v[1:2], v[1:2], v[9:10], -v[13:14]
	v_fma_f64 v[3:4], v[3:4], v[9:10], v[11:12]
	buffer_store_dword v2, off, s[0:3], 0 offset:372
	buffer_store_dword v1, off, s[0:3], 0 offset:368
	;; [unrolled: 1-line block ×4, first 2 shown]
.LBB46_187:
	s_or_b32 exec_lo, exec_lo, s8
	v_mov_b32_e32 v4, s31
	v_cmp_lt_u32_e64 s5, 22, v0
	s_clause 0x3
	buffer_load_dword v1, v4, s[0:3], 0 offen
	buffer_load_dword v2, v4, s[0:3], 0 offen offset:4
	buffer_load_dword v3, v4, s[0:3], 0 offen offset:8
	;; [unrolled: 1-line block ×3, first 2 shown]
	s_waitcnt vmcnt(0)
	ds_write_b128 v8, v[1:4]
	s_waitcnt lgkmcnt(0)
	s_waitcnt_vscnt null, 0x0
	s_barrier
	buffer_gl0_inv
	s_and_saveexec_b32 s8, s5
	s_cbranch_execz .LBB46_195
; %bb.188:
	ds_read_b128 v[1:4], v8
	s_andn2_b32 vcc_lo, exec_lo, s54
	s_cbranch_vccnz .LBB46_190
; %bb.189:
	s_clause 0x3
	buffer_load_dword v9, v7, s[0:3], 0 offen offset:8
	buffer_load_dword v10, v7, s[0:3], 0 offen offset:12
	buffer_load_dword v11, v7, s[0:3], 0 offen
	buffer_load_dword v12, v7, s[0:3], 0 offen offset:4
	s_waitcnt vmcnt(2) lgkmcnt(0)
	v_mul_f64 v[13:14], v[3:4], v[9:10]
	v_mul_f64 v[9:10], v[1:2], v[9:10]
	s_waitcnt vmcnt(0)
	v_fma_f64 v[1:2], v[1:2], v[11:12], -v[13:14]
	v_fma_f64 v[3:4], v[3:4], v[11:12], v[9:10]
.LBB46_190:
	s_and_saveexec_b32 s55, s4
	s_cbranch_execz .LBB46_194
; %bb.191:
	v_subrev_nc_u32_e32 v9, 23, v0
	s_movk_i32 s56, 0x460
	s_mov_b32 s4, 0
	s_mov_b32 s57, s30
	.p2align	6
.LBB46_192:                             ; =>This Inner Loop Header: Depth=1
	v_mov_b32_e32 v10, s57
	v_add_nc_u32_e32 v9, -1, v9
	s_add_i32 s57, s57, 16
	s_clause 0x3
	buffer_load_dword v14, v10, s[0:3], 0 offen offset:8
	buffer_load_dword v15, v10, s[0:3], 0 offen offset:12
	buffer_load_dword v16, v10, s[0:3], 0 offen
	buffer_load_dword v17, v10, s[0:3], 0 offen offset:4
	v_mov_b32_e32 v10, s56
	v_cmp_eq_u32_e32 vcc_lo, 0, v9
	s_add_i32 s56, s56, 16
	ds_read_b128 v[10:13], v10
	s_or_b32 s4, vcc_lo, s4
	s_waitcnt vmcnt(2) lgkmcnt(0)
	v_mul_f64 v[18:19], v[12:13], v[14:15]
	v_mul_f64 v[14:15], v[10:11], v[14:15]
	s_waitcnt vmcnt(0)
	v_fma_f64 v[10:11], v[10:11], v[16:17], -v[18:19]
	v_fma_f64 v[12:13], v[12:13], v[16:17], v[14:15]
	v_add_f64 v[1:2], v[1:2], v[10:11]
	v_add_f64 v[3:4], v[3:4], v[12:13]
	s_andn2_b32 exec_lo, exec_lo, s4
	s_cbranch_execnz .LBB46_192
; %bb.193:
	s_or_b32 exec_lo, exec_lo, s4
.LBB46_194:
	s_or_b32 exec_lo, exec_lo, s55
	v_mov_b32_e32 v9, 0
	ds_read_b128 v[9:12], v9 offset:352
	s_waitcnt lgkmcnt(0)
	v_mul_f64 v[13:14], v[3:4], v[11:12]
	v_mul_f64 v[11:12], v[1:2], v[11:12]
	v_fma_f64 v[1:2], v[1:2], v[9:10], -v[13:14]
	v_fma_f64 v[3:4], v[3:4], v[9:10], v[11:12]
	buffer_store_dword v2, off, s[0:3], 0 offset:356
	buffer_store_dword v1, off, s[0:3], 0 offset:352
	;; [unrolled: 1-line block ×4, first 2 shown]
.LBB46_195:
	s_or_b32 exec_lo, exec_lo, s8
	v_mov_b32_e32 v4, s33
	v_cmp_lt_u32_e64 s4, 21, v0
	s_clause 0x3
	buffer_load_dword v1, v4, s[0:3], 0 offen
	buffer_load_dword v2, v4, s[0:3], 0 offen offset:4
	buffer_load_dword v3, v4, s[0:3], 0 offen offset:8
	;; [unrolled: 1-line block ×3, first 2 shown]
	s_waitcnt vmcnt(0)
	ds_write_b128 v8, v[1:4]
	s_waitcnt lgkmcnt(0)
	s_waitcnt_vscnt null, 0x0
	s_barrier
	buffer_gl0_inv
	s_and_saveexec_b32 s8, s4
	s_cbranch_execz .LBB46_203
; %bb.196:
	ds_read_b128 v[1:4], v8
	s_andn2_b32 vcc_lo, exec_lo, s54
	s_cbranch_vccnz .LBB46_198
; %bb.197:
	s_clause 0x3
	buffer_load_dword v9, v7, s[0:3], 0 offen offset:8
	buffer_load_dword v10, v7, s[0:3], 0 offen offset:12
	buffer_load_dword v11, v7, s[0:3], 0 offen
	buffer_load_dword v12, v7, s[0:3], 0 offen offset:4
	s_waitcnt vmcnt(2) lgkmcnt(0)
	v_mul_f64 v[13:14], v[3:4], v[9:10]
	v_mul_f64 v[9:10], v[1:2], v[9:10]
	s_waitcnt vmcnt(0)
	v_fma_f64 v[1:2], v[1:2], v[11:12], -v[13:14]
	v_fma_f64 v[3:4], v[3:4], v[11:12], v[9:10]
.LBB46_198:
	s_and_saveexec_b32 s55, s5
	s_cbranch_execz .LBB46_202
; %bb.199:
	v_subrev_nc_u32_e32 v9, 22, v0
	s_movk_i32 s56, 0x450
	s_mov_b32 s5, 0
	s_mov_b32 s57, s31
	.p2align	6
.LBB46_200:                             ; =>This Inner Loop Header: Depth=1
	v_mov_b32_e32 v10, s57
	v_add_nc_u32_e32 v9, -1, v9
	s_add_i32 s57, s57, 16
	s_clause 0x3
	buffer_load_dword v14, v10, s[0:3], 0 offen offset:8
	buffer_load_dword v15, v10, s[0:3], 0 offen offset:12
	buffer_load_dword v16, v10, s[0:3], 0 offen
	buffer_load_dword v17, v10, s[0:3], 0 offen offset:4
	v_mov_b32_e32 v10, s56
	v_cmp_eq_u32_e32 vcc_lo, 0, v9
	s_add_i32 s56, s56, 16
	ds_read_b128 v[10:13], v10
	s_or_b32 s5, vcc_lo, s5
	s_waitcnt vmcnt(2) lgkmcnt(0)
	v_mul_f64 v[18:19], v[12:13], v[14:15]
	v_mul_f64 v[14:15], v[10:11], v[14:15]
	s_waitcnt vmcnt(0)
	v_fma_f64 v[10:11], v[10:11], v[16:17], -v[18:19]
	v_fma_f64 v[12:13], v[12:13], v[16:17], v[14:15]
	v_add_f64 v[1:2], v[1:2], v[10:11]
	v_add_f64 v[3:4], v[3:4], v[12:13]
	s_andn2_b32 exec_lo, exec_lo, s5
	s_cbranch_execnz .LBB46_200
; %bb.201:
	s_or_b32 exec_lo, exec_lo, s5
.LBB46_202:
	s_or_b32 exec_lo, exec_lo, s55
	v_mov_b32_e32 v9, 0
	ds_read_b128 v[9:12], v9 offset:336
	s_waitcnt lgkmcnt(0)
	v_mul_f64 v[13:14], v[3:4], v[11:12]
	v_mul_f64 v[11:12], v[1:2], v[11:12]
	v_fma_f64 v[1:2], v[1:2], v[9:10], -v[13:14]
	v_fma_f64 v[3:4], v[3:4], v[9:10], v[11:12]
	buffer_store_dword v2, off, s[0:3], 0 offset:340
	buffer_store_dword v1, off, s[0:3], 0 offset:336
	;; [unrolled: 1-line block ×4, first 2 shown]
.LBB46_203:
	s_or_b32 exec_lo, exec_lo, s8
	v_mov_b32_e32 v4, s34
	v_cmp_lt_u32_e64 s5, 20, v0
	s_clause 0x3
	buffer_load_dword v1, v4, s[0:3], 0 offen
	buffer_load_dword v2, v4, s[0:3], 0 offen offset:4
	buffer_load_dword v3, v4, s[0:3], 0 offen offset:8
	;; [unrolled: 1-line block ×3, first 2 shown]
	s_waitcnt vmcnt(0)
	ds_write_b128 v8, v[1:4]
	s_waitcnt lgkmcnt(0)
	s_waitcnt_vscnt null, 0x0
	s_barrier
	buffer_gl0_inv
	s_and_saveexec_b32 s8, s5
	s_cbranch_execz .LBB46_211
; %bb.204:
	ds_read_b128 v[1:4], v8
	s_andn2_b32 vcc_lo, exec_lo, s54
	s_cbranch_vccnz .LBB46_206
; %bb.205:
	s_clause 0x3
	buffer_load_dword v9, v7, s[0:3], 0 offen offset:8
	buffer_load_dword v10, v7, s[0:3], 0 offen offset:12
	buffer_load_dword v11, v7, s[0:3], 0 offen
	buffer_load_dword v12, v7, s[0:3], 0 offen offset:4
	s_waitcnt vmcnt(2) lgkmcnt(0)
	v_mul_f64 v[13:14], v[3:4], v[9:10]
	v_mul_f64 v[9:10], v[1:2], v[9:10]
	s_waitcnt vmcnt(0)
	v_fma_f64 v[1:2], v[1:2], v[11:12], -v[13:14]
	v_fma_f64 v[3:4], v[3:4], v[11:12], v[9:10]
.LBB46_206:
	s_and_saveexec_b32 s55, s4
	s_cbranch_execz .LBB46_210
; %bb.207:
	v_subrev_nc_u32_e32 v9, 21, v0
	s_movk_i32 s56, 0x440
	s_mov_b32 s4, 0
	s_mov_b32 s57, s33
	.p2align	6
.LBB46_208:                             ; =>This Inner Loop Header: Depth=1
	v_mov_b32_e32 v10, s57
	v_add_nc_u32_e32 v9, -1, v9
	s_add_i32 s57, s57, 16
	s_clause 0x3
	buffer_load_dword v14, v10, s[0:3], 0 offen offset:8
	buffer_load_dword v15, v10, s[0:3], 0 offen offset:12
	buffer_load_dword v16, v10, s[0:3], 0 offen
	buffer_load_dword v17, v10, s[0:3], 0 offen offset:4
	v_mov_b32_e32 v10, s56
	v_cmp_eq_u32_e32 vcc_lo, 0, v9
	s_add_i32 s56, s56, 16
	ds_read_b128 v[10:13], v10
	s_or_b32 s4, vcc_lo, s4
	s_waitcnt vmcnt(2) lgkmcnt(0)
	v_mul_f64 v[18:19], v[12:13], v[14:15]
	v_mul_f64 v[14:15], v[10:11], v[14:15]
	s_waitcnt vmcnt(0)
	v_fma_f64 v[10:11], v[10:11], v[16:17], -v[18:19]
	v_fma_f64 v[12:13], v[12:13], v[16:17], v[14:15]
	v_add_f64 v[1:2], v[1:2], v[10:11]
	v_add_f64 v[3:4], v[3:4], v[12:13]
	s_andn2_b32 exec_lo, exec_lo, s4
	s_cbranch_execnz .LBB46_208
; %bb.209:
	s_or_b32 exec_lo, exec_lo, s4
.LBB46_210:
	s_or_b32 exec_lo, exec_lo, s55
	v_mov_b32_e32 v9, 0
	ds_read_b128 v[9:12], v9 offset:320
	s_waitcnt lgkmcnt(0)
	v_mul_f64 v[13:14], v[3:4], v[11:12]
	v_mul_f64 v[11:12], v[1:2], v[11:12]
	v_fma_f64 v[1:2], v[1:2], v[9:10], -v[13:14]
	v_fma_f64 v[3:4], v[3:4], v[9:10], v[11:12]
	buffer_store_dword v2, off, s[0:3], 0 offset:324
	buffer_store_dword v1, off, s[0:3], 0 offset:320
	;; [unrolled: 1-line block ×4, first 2 shown]
.LBB46_211:
	s_or_b32 exec_lo, exec_lo, s8
	v_mov_b32_e32 v4, s35
	v_cmp_lt_u32_e64 s4, 19, v0
	s_clause 0x3
	buffer_load_dword v1, v4, s[0:3], 0 offen
	buffer_load_dword v2, v4, s[0:3], 0 offen offset:4
	buffer_load_dword v3, v4, s[0:3], 0 offen offset:8
	;; [unrolled: 1-line block ×3, first 2 shown]
	s_waitcnt vmcnt(0)
	ds_write_b128 v8, v[1:4]
	s_waitcnt lgkmcnt(0)
	s_waitcnt_vscnt null, 0x0
	s_barrier
	buffer_gl0_inv
	s_and_saveexec_b32 s8, s4
	s_cbranch_execz .LBB46_219
; %bb.212:
	ds_read_b128 v[1:4], v8
	s_andn2_b32 vcc_lo, exec_lo, s54
	s_cbranch_vccnz .LBB46_214
; %bb.213:
	s_clause 0x3
	buffer_load_dword v9, v7, s[0:3], 0 offen offset:8
	buffer_load_dword v10, v7, s[0:3], 0 offen offset:12
	buffer_load_dword v11, v7, s[0:3], 0 offen
	buffer_load_dword v12, v7, s[0:3], 0 offen offset:4
	s_waitcnt vmcnt(2) lgkmcnt(0)
	v_mul_f64 v[13:14], v[3:4], v[9:10]
	v_mul_f64 v[9:10], v[1:2], v[9:10]
	s_waitcnt vmcnt(0)
	v_fma_f64 v[1:2], v[1:2], v[11:12], -v[13:14]
	v_fma_f64 v[3:4], v[3:4], v[11:12], v[9:10]
.LBB46_214:
	s_and_saveexec_b32 s55, s5
	s_cbranch_execz .LBB46_218
; %bb.215:
	v_subrev_nc_u32_e32 v9, 20, v0
	s_movk_i32 s56, 0x430
	s_mov_b32 s5, 0
	s_mov_b32 s57, s34
	.p2align	6
.LBB46_216:                             ; =>This Inner Loop Header: Depth=1
	v_mov_b32_e32 v10, s57
	v_add_nc_u32_e32 v9, -1, v9
	s_add_i32 s57, s57, 16
	s_clause 0x3
	buffer_load_dword v14, v10, s[0:3], 0 offen offset:8
	buffer_load_dword v15, v10, s[0:3], 0 offen offset:12
	buffer_load_dword v16, v10, s[0:3], 0 offen
	buffer_load_dword v17, v10, s[0:3], 0 offen offset:4
	v_mov_b32_e32 v10, s56
	v_cmp_eq_u32_e32 vcc_lo, 0, v9
	s_add_i32 s56, s56, 16
	ds_read_b128 v[10:13], v10
	s_or_b32 s5, vcc_lo, s5
	s_waitcnt vmcnt(2) lgkmcnt(0)
	v_mul_f64 v[18:19], v[12:13], v[14:15]
	v_mul_f64 v[14:15], v[10:11], v[14:15]
	s_waitcnt vmcnt(0)
	v_fma_f64 v[10:11], v[10:11], v[16:17], -v[18:19]
	v_fma_f64 v[12:13], v[12:13], v[16:17], v[14:15]
	v_add_f64 v[1:2], v[1:2], v[10:11]
	v_add_f64 v[3:4], v[3:4], v[12:13]
	s_andn2_b32 exec_lo, exec_lo, s5
	s_cbranch_execnz .LBB46_216
; %bb.217:
	s_or_b32 exec_lo, exec_lo, s5
.LBB46_218:
	s_or_b32 exec_lo, exec_lo, s55
	v_mov_b32_e32 v9, 0
	ds_read_b128 v[9:12], v9 offset:304
	s_waitcnt lgkmcnt(0)
	v_mul_f64 v[13:14], v[3:4], v[11:12]
	v_mul_f64 v[11:12], v[1:2], v[11:12]
	v_fma_f64 v[1:2], v[1:2], v[9:10], -v[13:14]
	v_fma_f64 v[3:4], v[3:4], v[9:10], v[11:12]
	buffer_store_dword v2, off, s[0:3], 0 offset:308
	buffer_store_dword v1, off, s[0:3], 0 offset:304
	;; [unrolled: 1-line block ×4, first 2 shown]
.LBB46_219:
	s_or_b32 exec_lo, exec_lo, s8
	v_mov_b32_e32 v4, s36
	v_cmp_lt_u32_e64 s5, 18, v0
	s_clause 0x3
	buffer_load_dword v1, v4, s[0:3], 0 offen
	buffer_load_dword v2, v4, s[0:3], 0 offen offset:4
	buffer_load_dword v3, v4, s[0:3], 0 offen offset:8
	;; [unrolled: 1-line block ×3, first 2 shown]
	s_waitcnt vmcnt(0)
	ds_write_b128 v8, v[1:4]
	s_waitcnt lgkmcnt(0)
	s_waitcnt_vscnt null, 0x0
	s_barrier
	buffer_gl0_inv
	s_and_saveexec_b32 s8, s5
	s_cbranch_execz .LBB46_227
; %bb.220:
	ds_read_b128 v[1:4], v8
	s_andn2_b32 vcc_lo, exec_lo, s54
	s_cbranch_vccnz .LBB46_222
; %bb.221:
	s_clause 0x3
	buffer_load_dword v9, v7, s[0:3], 0 offen offset:8
	buffer_load_dword v10, v7, s[0:3], 0 offen offset:12
	buffer_load_dword v11, v7, s[0:3], 0 offen
	buffer_load_dword v12, v7, s[0:3], 0 offen offset:4
	s_waitcnt vmcnt(2) lgkmcnt(0)
	v_mul_f64 v[13:14], v[3:4], v[9:10]
	v_mul_f64 v[9:10], v[1:2], v[9:10]
	s_waitcnt vmcnt(0)
	v_fma_f64 v[1:2], v[1:2], v[11:12], -v[13:14]
	v_fma_f64 v[3:4], v[3:4], v[11:12], v[9:10]
.LBB46_222:
	s_and_saveexec_b32 s55, s4
	s_cbranch_execz .LBB46_226
; %bb.223:
	v_subrev_nc_u32_e32 v9, 19, v0
	s_movk_i32 s56, 0x420
	s_mov_b32 s4, 0
	s_mov_b32 s57, s35
	.p2align	6
.LBB46_224:                             ; =>This Inner Loop Header: Depth=1
	v_mov_b32_e32 v10, s57
	v_add_nc_u32_e32 v9, -1, v9
	s_add_i32 s57, s57, 16
	s_clause 0x3
	buffer_load_dword v14, v10, s[0:3], 0 offen offset:8
	buffer_load_dword v15, v10, s[0:3], 0 offen offset:12
	buffer_load_dword v16, v10, s[0:3], 0 offen
	buffer_load_dword v17, v10, s[0:3], 0 offen offset:4
	v_mov_b32_e32 v10, s56
	v_cmp_eq_u32_e32 vcc_lo, 0, v9
	s_add_i32 s56, s56, 16
	ds_read_b128 v[10:13], v10
	s_or_b32 s4, vcc_lo, s4
	s_waitcnt vmcnt(2) lgkmcnt(0)
	v_mul_f64 v[18:19], v[12:13], v[14:15]
	v_mul_f64 v[14:15], v[10:11], v[14:15]
	s_waitcnt vmcnt(0)
	v_fma_f64 v[10:11], v[10:11], v[16:17], -v[18:19]
	v_fma_f64 v[12:13], v[12:13], v[16:17], v[14:15]
	v_add_f64 v[1:2], v[1:2], v[10:11]
	v_add_f64 v[3:4], v[3:4], v[12:13]
	s_andn2_b32 exec_lo, exec_lo, s4
	s_cbranch_execnz .LBB46_224
; %bb.225:
	s_or_b32 exec_lo, exec_lo, s4
.LBB46_226:
	s_or_b32 exec_lo, exec_lo, s55
	v_mov_b32_e32 v9, 0
	ds_read_b128 v[9:12], v9 offset:288
	s_waitcnt lgkmcnt(0)
	v_mul_f64 v[13:14], v[3:4], v[11:12]
	v_mul_f64 v[11:12], v[1:2], v[11:12]
	v_fma_f64 v[1:2], v[1:2], v[9:10], -v[13:14]
	v_fma_f64 v[3:4], v[3:4], v[9:10], v[11:12]
	buffer_store_dword v2, off, s[0:3], 0 offset:292
	buffer_store_dword v1, off, s[0:3], 0 offset:288
	;; [unrolled: 1-line block ×4, first 2 shown]
.LBB46_227:
	s_or_b32 exec_lo, exec_lo, s8
	v_mov_b32_e32 v4, s37
	v_cmp_lt_u32_e64 s4, 17, v0
	s_clause 0x3
	buffer_load_dword v1, v4, s[0:3], 0 offen
	buffer_load_dword v2, v4, s[0:3], 0 offen offset:4
	buffer_load_dword v3, v4, s[0:3], 0 offen offset:8
	;; [unrolled: 1-line block ×3, first 2 shown]
	s_waitcnt vmcnt(0)
	ds_write_b128 v8, v[1:4]
	s_waitcnt lgkmcnt(0)
	s_waitcnt_vscnt null, 0x0
	s_barrier
	buffer_gl0_inv
	s_and_saveexec_b32 s8, s4
	s_cbranch_execz .LBB46_235
; %bb.228:
	ds_read_b128 v[1:4], v8
	s_andn2_b32 vcc_lo, exec_lo, s54
	s_cbranch_vccnz .LBB46_230
; %bb.229:
	s_clause 0x3
	buffer_load_dword v9, v7, s[0:3], 0 offen offset:8
	buffer_load_dword v10, v7, s[0:3], 0 offen offset:12
	buffer_load_dword v11, v7, s[0:3], 0 offen
	buffer_load_dword v12, v7, s[0:3], 0 offen offset:4
	s_waitcnt vmcnt(2) lgkmcnt(0)
	v_mul_f64 v[13:14], v[3:4], v[9:10]
	v_mul_f64 v[9:10], v[1:2], v[9:10]
	s_waitcnt vmcnt(0)
	v_fma_f64 v[1:2], v[1:2], v[11:12], -v[13:14]
	v_fma_f64 v[3:4], v[3:4], v[11:12], v[9:10]
.LBB46_230:
	s_and_saveexec_b32 s55, s5
	s_cbranch_execz .LBB46_234
; %bb.231:
	v_subrev_nc_u32_e32 v9, 18, v0
	s_movk_i32 s56, 0x410
	s_mov_b32 s5, 0
	s_mov_b32 s57, s36
	.p2align	6
.LBB46_232:                             ; =>This Inner Loop Header: Depth=1
	v_mov_b32_e32 v10, s57
	v_add_nc_u32_e32 v9, -1, v9
	s_add_i32 s57, s57, 16
	s_clause 0x3
	buffer_load_dword v14, v10, s[0:3], 0 offen offset:8
	buffer_load_dword v15, v10, s[0:3], 0 offen offset:12
	buffer_load_dword v16, v10, s[0:3], 0 offen
	buffer_load_dword v17, v10, s[0:3], 0 offen offset:4
	v_mov_b32_e32 v10, s56
	v_cmp_eq_u32_e32 vcc_lo, 0, v9
	s_add_i32 s56, s56, 16
	ds_read_b128 v[10:13], v10
	s_or_b32 s5, vcc_lo, s5
	s_waitcnt vmcnt(2) lgkmcnt(0)
	v_mul_f64 v[18:19], v[12:13], v[14:15]
	v_mul_f64 v[14:15], v[10:11], v[14:15]
	s_waitcnt vmcnt(0)
	v_fma_f64 v[10:11], v[10:11], v[16:17], -v[18:19]
	v_fma_f64 v[12:13], v[12:13], v[16:17], v[14:15]
	v_add_f64 v[1:2], v[1:2], v[10:11]
	v_add_f64 v[3:4], v[3:4], v[12:13]
	s_andn2_b32 exec_lo, exec_lo, s5
	s_cbranch_execnz .LBB46_232
; %bb.233:
	s_or_b32 exec_lo, exec_lo, s5
.LBB46_234:
	s_or_b32 exec_lo, exec_lo, s55
	v_mov_b32_e32 v9, 0
	ds_read_b128 v[9:12], v9 offset:272
	s_waitcnt lgkmcnt(0)
	v_mul_f64 v[13:14], v[3:4], v[11:12]
	v_mul_f64 v[11:12], v[1:2], v[11:12]
	v_fma_f64 v[1:2], v[1:2], v[9:10], -v[13:14]
	v_fma_f64 v[3:4], v[3:4], v[9:10], v[11:12]
	buffer_store_dword v2, off, s[0:3], 0 offset:276
	buffer_store_dword v1, off, s[0:3], 0 offset:272
	;; [unrolled: 1-line block ×4, first 2 shown]
.LBB46_235:
	s_or_b32 exec_lo, exec_lo, s8
	v_mov_b32_e32 v4, s38
	v_cmp_lt_u32_e64 s5, 16, v0
	s_clause 0x3
	buffer_load_dword v1, v4, s[0:3], 0 offen
	buffer_load_dword v2, v4, s[0:3], 0 offen offset:4
	buffer_load_dword v3, v4, s[0:3], 0 offen offset:8
	buffer_load_dword v4, v4, s[0:3], 0 offen offset:12
	s_waitcnt vmcnt(0)
	ds_write_b128 v8, v[1:4]
	s_waitcnt lgkmcnt(0)
	s_waitcnt_vscnt null, 0x0
	s_barrier
	buffer_gl0_inv
	s_and_saveexec_b32 s8, s5
	s_cbranch_execz .LBB46_243
; %bb.236:
	ds_read_b128 v[1:4], v8
	s_andn2_b32 vcc_lo, exec_lo, s54
	s_cbranch_vccnz .LBB46_238
; %bb.237:
	s_clause 0x3
	buffer_load_dword v9, v7, s[0:3], 0 offen offset:8
	buffer_load_dword v10, v7, s[0:3], 0 offen offset:12
	buffer_load_dword v11, v7, s[0:3], 0 offen
	buffer_load_dword v12, v7, s[0:3], 0 offen offset:4
	s_waitcnt vmcnt(2) lgkmcnt(0)
	v_mul_f64 v[13:14], v[3:4], v[9:10]
	v_mul_f64 v[9:10], v[1:2], v[9:10]
	s_waitcnt vmcnt(0)
	v_fma_f64 v[1:2], v[1:2], v[11:12], -v[13:14]
	v_fma_f64 v[3:4], v[3:4], v[11:12], v[9:10]
.LBB46_238:
	s_and_saveexec_b32 s55, s4
	s_cbranch_execz .LBB46_242
; %bb.239:
	v_subrev_nc_u32_e32 v9, 17, v0
	s_movk_i32 s56, 0x400
	s_mov_b32 s4, 0
	s_mov_b32 s57, s37
	.p2align	6
.LBB46_240:                             ; =>This Inner Loop Header: Depth=1
	v_mov_b32_e32 v10, s57
	v_add_nc_u32_e32 v9, -1, v9
	s_add_i32 s57, s57, 16
	s_clause 0x3
	buffer_load_dword v14, v10, s[0:3], 0 offen offset:8
	buffer_load_dword v15, v10, s[0:3], 0 offen offset:12
	buffer_load_dword v16, v10, s[0:3], 0 offen
	buffer_load_dword v17, v10, s[0:3], 0 offen offset:4
	v_mov_b32_e32 v10, s56
	v_cmp_eq_u32_e32 vcc_lo, 0, v9
	s_add_i32 s56, s56, 16
	ds_read_b128 v[10:13], v10
	s_or_b32 s4, vcc_lo, s4
	s_waitcnt vmcnt(2) lgkmcnt(0)
	v_mul_f64 v[18:19], v[12:13], v[14:15]
	v_mul_f64 v[14:15], v[10:11], v[14:15]
	s_waitcnt vmcnt(0)
	v_fma_f64 v[10:11], v[10:11], v[16:17], -v[18:19]
	v_fma_f64 v[12:13], v[12:13], v[16:17], v[14:15]
	v_add_f64 v[1:2], v[1:2], v[10:11]
	v_add_f64 v[3:4], v[3:4], v[12:13]
	s_andn2_b32 exec_lo, exec_lo, s4
	s_cbranch_execnz .LBB46_240
; %bb.241:
	s_or_b32 exec_lo, exec_lo, s4
.LBB46_242:
	s_or_b32 exec_lo, exec_lo, s55
	v_mov_b32_e32 v9, 0
	ds_read_b128 v[9:12], v9 offset:256
	s_waitcnt lgkmcnt(0)
	v_mul_f64 v[13:14], v[3:4], v[11:12]
	v_mul_f64 v[11:12], v[1:2], v[11:12]
	v_fma_f64 v[1:2], v[1:2], v[9:10], -v[13:14]
	v_fma_f64 v[3:4], v[3:4], v[9:10], v[11:12]
	buffer_store_dword v2, off, s[0:3], 0 offset:260
	buffer_store_dword v1, off, s[0:3], 0 offset:256
	;; [unrolled: 1-line block ×4, first 2 shown]
.LBB46_243:
	s_or_b32 exec_lo, exec_lo, s8
	v_mov_b32_e32 v4, s39
	v_cmp_lt_u32_e64 s4, 15, v0
	s_clause 0x3
	buffer_load_dword v1, v4, s[0:3], 0 offen
	buffer_load_dword v2, v4, s[0:3], 0 offen offset:4
	buffer_load_dword v3, v4, s[0:3], 0 offen offset:8
	;; [unrolled: 1-line block ×3, first 2 shown]
	s_waitcnt vmcnt(0)
	ds_write_b128 v8, v[1:4]
	s_waitcnt lgkmcnt(0)
	s_waitcnt_vscnt null, 0x0
	s_barrier
	buffer_gl0_inv
	s_and_saveexec_b32 s8, s4
	s_cbranch_execz .LBB46_251
; %bb.244:
	ds_read_b128 v[1:4], v8
	s_andn2_b32 vcc_lo, exec_lo, s54
	s_cbranch_vccnz .LBB46_246
; %bb.245:
	s_clause 0x3
	buffer_load_dword v9, v7, s[0:3], 0 offen offset:8
	buffer_load_dword v10, v7, s[0:3], 0 offen offset:12
	buffer_load_dword v11, v7, s[0:3], 0 offen
	buffer_load_dword v12, v7, s[0:3], 0 offen offset:4
	s_waitcnt vmcnt(2) lgkmcnt(0)
	v_mul_f64 v[13:14], v[3:4], v[9:10]
	v_mul_f64 v[9:10], v[1:2], v[9:10]
	s_waitcnt vmcnt(0)
	v_fma_f64 v[1:2], v[1:2], v[11:12], -v[13:14]
	v_fma_f64 v[3:4], v[3:4], v[11:12], v[9:10]
.LBB46_246:
	s_and_saveexec_b32 s55, s5
	s_cbranch_execz .LBB46_250
; %bb.247:
	v_add_nc_u32_e32 v9, -16, v0
	s_movk_i32 s56, 0x3f0
	s_mov_b32 s5, 0
	s_mov_b32 s57, s38
	.p2align	6
.LBB46_248:                             ; =>This Inner Loop Header: Depth=1
	v_mov_b32_e32 v10, s57
	v_add_nc_u32_e32 v9, -1, v9
	s_add_i32 s57, s57, 16
	s_clause 0x3
	buffer_load_dword v14, v10, s[0:3], 0 offen offset:8
	buffer_load_dword v15, v10, s[0:3], 0 offen offset:12
	buffer_load_dword v16, v10, s[0:3], 0 offen
	buffer_load_dword v17, v10, s[0:3], 0 offen offset:4
	v_mov_b32_e32 v10, s56
	v_cmp_eq_u32_e32 vcc_lo, 0, v9
	s_add_i32 s56, s56, 16
	ds_read_b128 v[10:13], v10
	s_or_b32 s5, vcc_lo, s5
	s_waitcnt vmcnt(2) lgkmcnt(0)
	v_mul_f64 v[18:19], v[12:13], v[14:15]
	v_mul_f64 v[14:15], v[10:11], v[14:15]
	s_waitcnt vmcnt(0)
	v_fma_f64 v[10:11], v[10:11], v[16:17], -v[18:19]
	v_fma_f64 v[12:13], v[12:13], v[16:17], v[14:15]
	v_add_f64 v[1:2], v[1:2], v[10:11]
	v_add_f64 v[3:4], v[3:4], v[12:13]
	s_andn2_b32 exec_lo, exec_lo, s5
	s_cbranch_execnz .LBB46_248
; %bb.249:
	s_or_b32 exec_lo, exec_lo, s5
.LBB46_250:
	s_or_b32 exec_lo, exec_lo, s55
	v_mov_b32_e32 v9, 0
	ds_read_b128 v[9:12], v9 offset:240
	s_waitcnt lgkmcnt(0)
	v_mul_f64 v[13:14], v[3:4], v[11:12]
	v_mul_f64 v[11:12], v[1:2], v[11:12]
	v_fma_f64 v[1:2], v[1:2], v[9:10], -v[13:14]
	v_fma_f64 v[3:4], v[3:4], v[9:10], v[11:12]
	buffer_store_dword v2, off, s[0:3], 0 offset:244
	buffer_store_dword v1, off, s[0:3], 0 offset:240
	;; [unrolled: 1-line block ×4, first 2 shown]
.LBB46_251:
	s_or_b32 exec_lo, exec_lo, s8
	v_mov_b32_e32 v4, s40
	v_cmp_lt_u32_e64 s5, 14, v0
	s_clause 0x3
	buffer_load_dword v1, v4, s[0:3], 0 offen
	buffer_load_dword v2, v4, s[0:3], 0 offen offset:4
	buffer_load_dword v3, v4, s[0:3], 0 offen offset:8
	;; [unrolled: 1-line block ×3, first 2 shown]
	s_waitcnt vmcnt(0)
	ds_write_b128 v8, v[1:4]
	s_waitcnt lgkmcnt(0)
	s_waitcnt_vscnt null, 0x0
	s_barrier
	buffer_gl0_inv
	s_and_saveexec_b32 s8, s5
	s_cbranch_execz .LBB46_259
; %bb.252:
	ds_read_b128 v[1:4], v8
	s_andn2_b32 vcc_lo, exec_lo, s54
	s_cbranch_vccnz .LBB46_254
; %bb.253:
	s_clause 0x3
	buffer_load_dword v9, v7, s[0:3], 0 offen offset:8
	buffer_load_dword v10, v7, s[0:3], 0 offen offset:12
	buffer_load_dword v11, v7, s[0:3], 0 offen
	buffer_load_dword v12, v7, s[0:3], 0 offen offset:4
	s_waitcnt vmcnt(2) lgkmcnt(0)
	v_mul_f64 v[13:14], v[3:4], v[9:10]
	v_mul_f64 v[9:10], v[1:2], v[9:10]
	s_waitcnt vmcnt(0)
	v_fma_f64 v[1:2], v[1:2], v[11:12], -v[13:14]
	v_fma_f64 v[3:4], v[3:4], v[11:12], v[9:10]
.LBB46_254:
	s_and_saveexec_b32 s55, s4
	s_cbranch_execz .LBB46_258
; %bb.255:
	v_add_nc_u32_e32 v9, -15, v0
	s_movk_i32 s56, 0x3e0
	s_mov_b32 s4, 0
	s_mov_b32 s57, s39
	.p2align	6
.LBB46_256:                             ; =>This Inner Loop Header: Depth=1
	v_mov_b32_e32 v10, s57
	v_add_nc_u32_e32 v9, -1, v9
	s_add_i32 s57, s57, 16
	s_clause 0x3
	buffer_load_dword v14, v10, s[0:3], 0 offen offset:8
	buffer_load_dword v15, v10, s[0:3], 0 offen offset:12
	buffer_load_dword v16, v10, s[0:3], 0 offen
	buffer_load_dword v17, v10, s[0:3], 0 offen offset:4
	v_mov_b32_e32 v10, s56
	v_cmp_eq_u32_e32 vcc_lo, 0, v9
	s_add_i32 s56, s56, 16
	ds_read_b128 v[10:13], v10
	s_or_b32 s4, vcc_lo, s4
	s_waitcnt vmcnt(2) lgkmcnt(0)
	v_mul_f64 v[18:19], v[12:13], v[14:15]
	v_mul_f64 v[14:15], v[10:11], v[14:15]
	s_waitcnt vmcnt(0)
	v_fma_f64 v[10:11], v[10:11], v[16:17], -v[18:19]
	v_fma_f64 v[12:13], v[12:13], v[16:17], v[14:15]
	v_add_f64 v[1:2], v[1:2], v[10:11]
	v_add_f64 v[3:4], v[3:4], v[12:13]
	s_andn2_b32 exec_lo, exec_lo, s4
	s_cbranch_execnz .LBB46_256
; %bb.257:
	s_or_b32 exec_lo, exec_lo, s4
.LBB46_258:
	s_or_b32 exec_lo, exec_lo, s55
	v_mov_b32_e32 v9, 0
	ds_read_b128 v[9:12], v9 offset:224
	s_waitcnt lgkmcnt(0)
	v_mul_f64 v[13:14], v[3:4], v[11:12]
	v_mul_f64 v[11:12], v[1:2], v[11:12]
	v_fma_f64 v[1:2], v[1:2], v[9:10], -v[13:14]
	v_fma_f64 v[3:4], v[3:4], v[9:10], v[11:12]
	buffer_store_dword v2, off, s[0:3], 0 offset:228
	buffer_store_dword v1, off, s[0:3], 0 offset:224
	;; [unrolled: 1-line block ×4, first 2 shown]
.LBB46_259:
	s_or_b32 exec_lo, exec_lo, s8
	v_mov_b32_e32 v4, s41
	v_cmp_lt_u32_e64 s4, 13, v0
	s_clause 0x3
	buffer_load_dword v1, v4, s[0:3], 0 offen
	buffer_load_dword v2, v4, s[0:3], 0 offen offset:4
	buffer_load_dword v3, v4, s[0:3], 0 offen offset:8
	;; [unrolled: 1-line block ×3, first 2 shown]
	s_waitcnt vmcnt(0)
	ds_write_b128 v8, v[1:4]
	s_waitcnt lgkmcnt(0)
	s_waitcnt_vscnt null, 0x0
	s_barrier
	buffer_gl0_inv
	s_and_saveexec_b32 s8, s4
	s_cbranch_execz .LBB46_267
; %bb.260:
	ds_read_b128 v[1:4], v8
	s_andn2_b32 vcc_lo, exec_lo, s54
	s_cbranch_vccnz .LBB46_262
; %bb.261:
	s_clause 0x3
	buffer_load_dword v9, v7, s[0:3], 0 offen offset:8
	buffer_load_dword v10, v7, s[0:3], 0 offen offset:12
	buffer_load_dword v11, v7, s[0:3], 0 offen
	buffer_load_dword v12, v7, s[0:3], 0 offen offset:4
	s_waitcnt vmcnt(2) lgkmcnt(0)
	v_mul_f64 v[13:14], v[3:4], v[9:10]
	v_mul_f64 v[9:10], v[1:2], v[9:10]
	s_waitcnt vmcnt(0)
	v_fma_f64 v[1:2], v[1:2], v[11:12], -v[13:14]
	v_fma_f64 v[3:4], v[3:4], v[11:12], v[9:10]
.LBB46_262:
	s_and_saveexec_b32 s55, s5
	s_cbranch_execz .LBB46_266
; %bb.263:
	v_add_nc_u32_e32 v9, -14, v0
	s_movk_i32 s56, 0x3d0
	s_mov_b32 s5, 0
	s_mov_b32 s57, s40
	.p2align	6
.LBB46_264:                             ; =>This Inner Loop Header: Depth=1
	v_mov_b32_e32 v10, s57
	v_add_nc_u32_e32 v9, -1, v9
	s_add_i32 s57, s57, 16
	s_clause 0x3
	buffer_load_dword v14, v10, s[0:3], 0 offen offset:8
	buffer_load_dword v15, v10, s[0:3], 0 offen offset:12
	buffer_load_dword v16, v10, s[0:3], 0 offen
	buffer_load_dword v17, v10, s[0:3], 0 offen offset:4
	v_mov_b32_e32 v10, s56
	v_cmp_eq_u32_e32 vcc_lo, 0, v9
	s_add_i32 s56, s56, 16
	ds_read_b128 v[10:13], v10
	s_or_b32 s5, vcc_lo, s5
	s_waitcnt vmcnt(2) lgkmcnt(0)
	v_mul_f64 v[18:19], v[12:13], v[14:15]
	v_mul_f64 v[14:15], v[10:11], v[14:15]
	s_waitcnt vmcnt(0)
	v_fma_f64 v[10:11], v[10:11], v[16:17], -v[18:19]
	v_fma_f64 v[12:13], v[12:13], v[16:17], v[14:15]
	v_add_f64 v[1:2], v[1:2], v[10:11]
	v_add_f64 v[3:4], v[3:4], v[12:13]
	s_andn2_b32 exec_lo, exec_lo, s5
	s_cbranch_execnz .LBB46_264
; %bb.265:
	s_or_b32 exec_lo, exec_lo, s5
.LBB46_266:
	s_or_b32 exec_lo, exec_lo, s55
	v_mov_b32_e32 v9, 0
	ds_read_b128 v[9:12], v9 offset:208
	s_waitcnt lgkmcnt(0)
	v_mul_f64 v[13:14], v[3:4], v[11:12]
	v_mul_f64 v[11:12], v[1:2], v[11:12]
	v_fma_f64 v[1:2], v[1:2], v[9:10], -v[13:14]
	v_fma_f64 v[3:4], v[3:4], v[9:10], v[11:12]
	buffer_store_dword v2, off, s[0:3], 0 offset:212
	buffer_store_dword v1, off, s[0:3], 0 offset:208
	;; [unrolled: 1-line block ×4, first 2 shown]
.LBB46_267:
	s_or_b32 exec_lo, exec_lo, s8
	v_mov_b32_e32 v4, s42
	v_cmp_lt_u32_e64 s5, 12, v0
	s_clause 0x3
	buffer_load_dword v1, v4, s[0:3], 0 offen
	buffer_load_dword v2, v4, s[0:3], 0 offen offset:4
	buffer_load_dword v3, v4, s[0:3], 0 offen offset:8
	;; [unrolled: 1-line block ×3, first 2 shown]
	s_waitcnt vmcnt(0)
	ds_write_b128 v8, v[1:4]
	s_waitcnt lgkmcnt(0)
	s_waitcnt_vscnt null, 0x0
	s_barrier
	buffer_gl0_inv
	s_and_saveexec_b32 s8, s5
	s_cbranch_execz .LBB46_275
; %bb.268:
	ds_read_b128 v[1:4], v8
	s_andn2_b32 vcc_lo, exec_lo, s54
	s_cbranch_vccnz .LBB46_270
; %bb.269:
	s_clause 0x3
	buffer_load_dword v9, v7, s[0:3], 0 offen offset:8
	buffer_load_dword v10, v7, s[0:3], 0 offen offset:12
	buffer_load_dword v11, v7, s[0:3], 0 offen
	buffer_load_dword v12, v7, s[0:3], 0 offen offset:4
	s_waitcnt vmcnt(2) lgkmcnt(0)
	v_mul_f64 v[13:14], v[3:4], v[9:10]
	v_mul_f64 v[9:10], v[1:2], v[9:10]
	s_waitcnt vmcnt(0)
	v_fma_f64 v[1:2], v[1:2], v[11:12], -v[13:14]
	v_fma_f64 v[3:4], v[3:4], v[11:12], v[9:10]
.LBB46_270:
	s_and_saveexec_b32 s55, s4
	s_cbranch_execz .LBB46_274
; %bb.271:
	v_add_nc_u32_e32 v9, -13, v0
	s_movk_i32 s56, 0x3c0
	s_mov_b32 s4, 0
	s_mov_b32 s57, s41
	.p2align	6
.LBB46_272:                             ; =>This Inner Loop Header: Depth=1
	v_mov_b32_e32 v10, s57
	v_add_nc_u32_e32 v9, -1, v9
	s_add_i32 s57, s57, 16
	s_clause 0x3
	buffer_load_dword v14, v10, s[0:3], 0 offen offset:8
	buffer_load_dword v15, v10, s[0:3], 0 offen offset:12
	buffer_load_dword v16, v10, s[0:3], 0 offen
	buffer_load_dword v17, v10, s[0:3], 0 offen offset:4
	v_mov_b32_e32 v10, s56
	v_cmp_eq_u32_e32 vcc_lo, 0, v9
	s_add_i32 s56, s56, 16
	ds_read_b128 v[10:13], v10
	s_or_b32 s4, vcc_lo, s4
	s_waitcnt vmcnt(2) lgkmcnt(0)
	v_mul_f64 v[18:19], v[12:13], v[14:15]
	v_mul_f64 v[14:15], v[10:11], v[14:15]
	s_waitcnt vmcnt(0)
	v_fma_f64 v[10:11], v[10:11], v[16:17], -v[18:19]
	v_fma_f64 v[12:13], v[12:13], v[16:17], v[14:15]
	v_add_f64 v[1:2], v[1:2], v[10:11]
	v_add_f64 v[3:4], v[3:4], v[12:13]
	s_andn2_b32 exec_lo, exec_lo, s4
	s_cbranch_execnz .LBB46_272
; %bb.273:
	s_or_b32 exec_lo, exec_lo, s4
.LBB46_274:
	s_or_b32 exec_lo, exec_lo, s55
	v_mov_b32_e32 v9, 0
	ds_read_b128 v[9:12], v9 offset:192
	s_waitcnt lgkmcnt(0)
	v_mul_f64 v[13:14], v[3:4], v[11:12]
	v_mul_f64 v[11:12], v[1:2], v[11:12]
	v_fma_f64 v[1:2], v[1:2], v[9:10], -v[13:14]
	v_fma_f64 v[3:4], v[3:4], v[9:10], v[11:12]
	buffer_store_dword v2, off, s[0:3], 0 offset:196
	buffer_store_dword v1, off, s[0:3], 0 offset:192
	;; [unrolled: 1-line block ×4, first 2 shown]
.LBB46_275:
	s_or_b32 exec_lo, exec_lo, s8
	v_mov_b32_e32 v4, s43
	v_cmp_lt_u32_e64 s4, 11, v0
	s_clause 0x3
	buffer_load_dword v1, v4, s[0:3], 0 offen
	buffer_load_dword v2, v4, s[0:3], 0 offen offset:4
	buffer_load_dword v3, v4, s[0:3], 0 offen offset:8
	buffer_load_dword v4, v4, s[0:3], 0 offen offset:12
	s_waitcnt vmcnt(0)
	ds_write_b128 v8, v[1:4]
	s_waitcnt lgkmcnt(0)
	s_waitcnt_vscnt null, 0x0
	s_barrier
	buffer_gl0_inv
	s_and_saveexec_b32 s8, s4
	s_cbranch_execz .LBB46_283
; %bb.276:
	ds_read_b128 v[1:4], v8
	s_andn2_b32 vcc_lo, exec_lo, s54
	s_cbranch_vccnz .LBB46_278
; %bb.277:
	s_clause 0x3
	buffer_load_dword v9, v7, s[0:3], 0 offen offset:8
	buffer_load_dword v10, v7, s[0:3], 0 offen offset:12
	buffer_load_dword v11, v7, s[0:3], 0 offen
	buffer_load_dword v12, v7, s[0:3], 0 offen offset:4
	s_waitcnt vmcnt(2) lgkmcnt(0)
	v_mul_f64 v[13:14], v[3:4], v[9:10]
	v_mul_f64 v[9:10], v[1:2], v[9:10]
	s_waitcnt vmcnt(0)
	v_fma_f64 v[1:2], v[1:2], v[11:12], -v[13:14]
	v_fma_f64 v[3:4], v[3:4], v[11:12], v[9:10]
.LBB46_278:
	s_and_saveexec_b32 s55, s5
	s_cbranch_execz .LBB46_282
; %bb.279:
	v_add_nc_u32_e32 v9, -12, v0
	s_movk_i32 s56, 0x3b0
	s_mov_b32 s5, 0
	s_mov_b32 s57, s42
	.p2align	6
.LBB46_280:                             ; =>This Inner Loop Header: Depth=1
	v_mov_b32_e32 v10, s57
	v_add_nc_u32_e32 v9, -1, v9
	s_add_i32 s57, s57, 16
	s_clause 0x3
	buffer_load_dword v14, v10, s[0:3], 0 offen offset:8
	buffer_load_dword v15, v10, s[0:3], 0 offen offset:12
	buffer_load_dword v16, v10, s[0:3], 0 offen
	buffer_load_dword v17, v10, s[0:3], 0 offen offset:4
	v_mov_b32_e32 v10, s56
	v_cmp_eq_u32_e32 vcc_lo, 0, v9
	s_add_i32 s56, s56, 16
	ds_read_b128 v[10:13], v10
	s_or_b32 s5, vcc_lo, s5
	s_waitcnt vmcnt(2) lgkmcnt(0)
	v_mul_f64 v[18:19], v[12:13], v[14:15]
	v_mul_f64 v[14:15], v[10:11], v[14:15]
	s_waitcnt vmcnt(0)
	v_fma_f64 v[10:11], v[10:11], v[16:17], -v[18:19]
	v_fma_f64 v[12:13], v[12:13], v[16:17], v[14:15]
	v_add_f64 v[1:2], v[1:2], v[10:11]
	v_add_f64 v[3:4], v[3:4], v[12:13]
	s_andn2_b32 exec_lo, exec_lo, s5
	s_cbranch_execnz .LBB46_280
; %bb.281:
	s_or_b32 exec_lo, exec_lo, s5
.LBB46_282:
	s_or_b32 exec_lo, exec_lo, s55
	v_mov_b32_e32 v9, 0
	ds_read_b128 v[9:12], v9 offset:176
	s_waitcnt lgkmcnt(0)
	v_mul_f64 v[13:14], v[3:4], v[11:12]
	v_mul_f64 v[11:12], v[1:2], v[11:12]
	v_fma_f64 v[1:2], v[1:2], v[9:10], -v[13:14]
	v_fma_f64 v[3:4], v[3:4], v[9:10], v[11:12]
	buffer_store_dword v2, off, s[0:3], 0 offset:180
	buffer_store_dword v1, off, s[0:3], 0 offset:176
	;; [unrolled: 1-line block ×4, first 2 shown]
.LBB46_283:
	s_or_b32 exec_lo, exec_lo, s8
	v_mov_b32_e32 v4, s44
	v_cmp_lt_u32_e64 s5, 10, v0
	s_clause 0x3
	buffer_load_dword v1, v4, s[0:3], 0 offen
	buffer_load_dword v2, v4, s[0:3], 0 offen offset:4
	buffer_load_dword v3, v4, s[0:3], 0 offen offset:8
	;; [unrolled: 1-line block ×3, first 2 shown]
	s_waitcnt vmcnt(0)
	ds_write_b128 v8, v[1:4]
	s_waitcnt lgkmcnt(0)
	s_waitcnt_vscnt null, 0x0
	s_barrier
	buffer_gl0_inv
	s_and_saveexec_b32 s8, s5
	s_cbranch_execz .LBB46_291
; %bb.284:
	ds_read_b128 v[1:4], v8
	s_andn2_b32 vcc_lo, exec_lo, s54
	s_cbranch_vccnz .LBB46_286
; %bb.285:
	s_clause 0x3
	buffer_load_dword v9, v7, s[0:3], 0 offen offset:8
	buffer_load_dword v10, v7, s[0:3], 0 offen offset:12
	buffer_load_dword v11, v7, s[0:3], 0 offen
	buffer_load_dword v12, v7, s[0:3], 0 offen offset:4
	s_waitcnt vmcnt(2) lgkmcnt(0)
	v_mul_f64 v[13:14], v[3:4], v[9:10]
	v_mul_f64 v[9:10], v[1:2], v[9:10]
	s_waitcnt vmcnt(0)
	v_fma_f64 v[1:2], v[1:2], v[11:12], -v[13:14]
	v_fma_f64 v[3:4], v[3:4], v[11:12], v[9:10]
.LBB46_286:
	s_and_saveexec_b32 s55, s4
	s_cbranch_execz .LBB46_290
; %bb.287:
	v_add_nc_u32_e32 v9, -11, v0
	s_movk_i32 s56, 0x3a0
	s_mov_b32 s4, 0
	s_mov_b32 s57, s43
	.p2align	6
.LBB46_288:                             ; =>This Inner Loop Header: Depth=1
	v_mov_b32_e32 v10, s57
	v_add_nc_u32_e32 v9, -1, v9
	s_add_i32 s57, s57, 16
	s_clause 0x3
	buffer_load_dword v14, v10, s[0:3], 0 offen offset:8
	buffer_load_dword v15, v10, s[0:3], 0 offen offset:12
	buffer_load_dword v16, v10, s[0:3], 0 offen
	buffer_load_dword v17, v10, s[0:3], 0 offen offset:4
	v_mov_b32_e32 v10, s56
	v_cmp_eq_u32_e32 vcc_lo, 0, v9
	s_add_i32 s56, s56, 16
	ds_read_b128 v[10:13], v10
	s_or_b32 s4, vcc_lo, s4
	s_waitcnt vmcnt(2) lgkmcnt(0)
	v_mul_f64 v[18:19], v[12:13], v[14:15]
	v_mul_f64 v[14:15], v[10:11], v[14:15]
	s_waitcnt vmcnt(0)
	v_fma_f64 v[10:11], v[10:11], v[16:17], -v[18:19]
	v_fma_f64 v[12:13], v[12:13], v[16:17], v[14:15]
	v_add_f64 v[1:2], v[1:2], v[10:11]
	v_add_f64 v[3:4], v[3:4], v[12:13]
	s_andn2_b32 exec_lo, exec_lo, s4
	s_cbranch_execnz .LBB46_288
; %bb.289:
	s_or_b32 exec_lo, exec_lo, s4
.LBB46_290:
	s_or_b32 exec_lo, exec_lo, s55
	v_mov_b32_e32 v9, 0
	ds_read_b128 v[9:12], v9 offset:160
	s_waitcnt lgkmcnt(0)
	v_mul_f64 v[13:14], v[3:4], v[11:12]
	v_mul_f64 v[11:12], v[1:2], v[11:12]
	v_fma_f64 v[1:2], v[1:2], v[9:10], -v[13:14]
	v_fma_f64 v[3:4], v[3:4], v[9:10], v[11:12]
	buffer_store_dword v2, off, s[0:3], 0 offset:164
	buffer_store_dword v1, off, s[0:3], 0 offset:160
	buffer_store_dword v4, off, s[0:3], 0 offset:172
	buffer_store_dword v3, off, s[0:3], 0 offset:168
.LBB46_291:
	s_or_b32 exec_lo, exec_lo, s8
	v_mov_b32_e32 v4, s45
	v_cmp_lt_u32_e64 s4, 9, v0
	s_clause 0x3
	buffer_load_dword v1, v4, s[0:3], 0 offen
	buffer_load_dword v2, v4, s[0:3], 0 offen offset:4
	buffer_load_dword v3, v4, s[0:3], 0 offen offset:8
	;; [unrolled: 1-line block ×3, first 2 shown]
	s_waitcnt vmcnt(0)
	ds_write_b128 v8, v[1:4]
	s_waitcnt lgkmcnt(0)
	s_waitcnt_vscnt null, 0x0
	s_barrier
	buffer_gl0_inv
	s_and_saveexec_b32 s8, s4
	s_cbranch_execz .LBB46_299
; %bb.292:
	ds_read_b128 v[1:4], v8
	s_andn2_b32 vcc_lo, exec_lo, s54
	s_cbranch_vccnz .LBB46_294
; %bb.293:
	s_clause 0x3
	buffer_load_dword v9, v7, s[0:3], 0 offen offset:8
	buffer_load_dword v10, v7, s[0:3], 0 offen offset:12
	buffer_load_dword v11, v7, s[0:3], 0 offen
	buffer_load_dword v12, v7, s[0:3], 0 offen offset:4
	s_waitcnt vmcnt(2) lgkmcnt(0)
	v_mul_f64 v[13:14], v[3:4], v[9:10]
	v_mul_f64 v[9:10], v[1:2], v[9:10]
	s_waitcnt vmcnt(0)
	v_fma_f64 v[1:2], v[1:2], v[11:12], -v[13:14]
	v_fma_f64 v[3:4], v[3:4], v[11:12], v[9:10]
.LBB46_294:
	s_and_saveexec_b32 s55, s5
	s_cbranch_execz .LBB46_298
; %bb.295:
	v_add_nc_u32_e32 v9, -10, v0
	s_movk_i32 s56, 0x390
	s_mov_b32 s5, 0
	s_mov_b32 s57, s44
	.p2align	6
.LBB46_296:                             ; =>This Inner Loop Header: Depth=1
	v_mov_b32_e32 v10, s57
	v_add_nc_u32_e32 v9, -1, v9
	s_add_i32 s57, s57, 16
	s_clause 0x3
	buffer_load_dword v14, v10, s[0:3], 0 offen offset:8
	buffer_load_dword v15, v10, s[0:3], 0 offen offset:12
	buffer_load_dword v16, v10, s[0:3], 0 offen
	buffer_load_dword v17, v10, s[0:3], 0 offen offset:4
	v_mov_b32_e32 v10, s56
	v_cmp_eq_u32_e32 vcc_lo, 0, v9
	s_add_i32 s56, s56, 16
	ds_read_b128 v[10:13], v10
	s_or_b32 s5, vcc_lo, s5
	s_waitcnt vmcnt(2) lgkmcnt(0)
	v_mul_f64 v[18:19], v[12:13], v[14:15]
	v_mul_f64 v[14:15], v[10:11], v[14:15]
	s_waitcnt vmcnt(0)
	v_fma_f64 v[10:11], v[10:11], v[16:17], -v[18:19]
	v_fma_f64 v[12:13], v[12:13], v[16:17], v[14:15]
	v_add_f64 v[1:2], v[1:2], v[10:11]
	v_add_f64 v[3:4], v[3:4], v[12:13]
	s_andn2_b32 exec_lo, exec_lo, s5
	s_cbranch_execnz .LBB46_296
; %bb.297:
	s_or_b32 exec_lo, exec_lo, s5
.LBB46_298:
	s_or_b32 exec_lo, exec_lo, s55
	v_mov_b32_e32 v9, 0
	ds_read_b128 v[9:12], v9 offset:144
	s_waitcnt lgkmcnt(0)
	v_mul_f64 v[13:14], v[3:4], v[11:12]
	v_mul_f64 v[11:12], v[1:2], v[11:12]
	v_fma_f64 v[1:2], v[1:2], v[9:10], -v[13:14]
	v_fma_f64 v[3:4], v[3:4], v[9:10], v[11:12]
	buffer_store_dword v2, off, s[0:3], 0 offset:148
	buffer_store_dword v1, off, s[0:3], 0 offset:144
	;; [unrolled: 1-line block ×4, first 2 shown]
.LBB46_299:
	s_or_b32 exec_lo, exec_lo, s8
	v_mov_b32_e32 v4, s46
	v_cmp_lt_u32_e64 s5, 8, v0
	s_clause 0x3
	buffer_load_dword v1, v4, s[0:3], 0 offen
	buffer_load_dword v2, v4, s[0:3], 0 offen offset:4
	buffer_load_dword v3, v4, s[0:3], 0 offen offset:8
	;; [unrolled: 1-line block ×3, first 2 shown]
	s_waitcnt vmcnt(0)
	ds_write_b128 v8, v[1:4]
	s_waitcnt lgkmcnt(0)
	s_waitcnt_vscnt null, 0x0
	s_barrier
	buffer_gl0_inv
	s_and_saveexec_b32 s8, s5
	s_cbranch_execz .LBB46_307
; %bb.300:
	ds_read_b128 v[1:4], v8
	s_andn2_b32 vcc_lo, exec_lo, s54
	s_cbranch_vccnz .LBB46_302
; %bb.301:
	s_clause 0x3
	buffer_load_dword v9, v7, s[0:3], 0 offen offset:8
	buffer_load_dword v10, v7, s[0:3], 0 offen offset:12
	buffer_load_dword v11, v7, s[0:3], 0 offen
	buffer_load_dword v12, v7, s[0:3], 0 offen offset:4
	s_waitcnt vmcnt(2) lgkmcnt(0)
	v_mul_f64 v[13:14], v[3:4], v[9:10]
	v_mul_f64 v[9:10], v[1:2], v[9:10]
	s_waitcnt vmcnt(0)
	v_fma_f64 v[1:2], v[1:2], v[11:12], -v[13:14]
	v_fma_f64 v[3:4], v[3:4], v[11:12], v[9:10]
.LBB46_302:
	s_and_saveexec_b32 s55, s4
	s_cbranch_execz .LBB46_306
; %bb.303:
	v_add_nc_u32_e32 v9, -9, v0
	s_movk_i32 s56, 0x380
	s_mov_b32 s4, 0
	s_mov_b32 s57, s45
	.p2align	6
.LBB46_304:                             ; =>This Inner Loop Header: Depth=1
	v_mov_b32_e32 v10, s57
	v_add_nc_u32_e32 v9, -1, v9
	s_add_i32 s57, s57, 16
	s_clause 0x3
	buffer_load_dword v14, v10, s[0:3], 0 offen offset:8
	buffer_load_dword v15, v10, s[0:3], 0 offen offset:12
	buffer_load_dword v16, v10, s[0:3], 0 offen
	buffer_load_dword v17, v10, s[0:3], 0 offen offset:4
	v_mov_b32_e32 v10, s56
	v_cmp_eq_u32_e32 vcc_lo, 0, v9
	s_add_i32 s56, s56, 16
	ds_read_b128 v[10:13], v10
	s_or_b32 s4, vcc_lo, s4
	s_waitcnt vmcnt(2) lgkmcnt(0)
	v_mul_f64 v[18:19], v[12:13], v[14:15]
	v_mul_f64 v[14:15], v[10:11], v[14:15]
	s_waitcnt vmcnt(0)
	v_fma_f64 v[10:11], v[10:11], v[16:17], -v[18:19]
	v_fma_f64 v[12:13], v[12:13], v[16:17], v[14:15]
	v_add_f64 v[1:2], v[1:2], v[10:11]
	v_add_f64 v[3:4], v[3:4], v[12:13]
	s_andn2_b32 exec_lo, exec_lo, s4
	s_cbranch_execnz .LBB46_304
; %bb.305:
	s_or_b32 exec_lo, exec_lo, s4
.LBB46_306:
	s_or_b32 exec_lo, exec_lo, s55
	v_mov_b32_e32 v9, 0
	ds_read_b128 v[9:12], v9 offset:128
	s_waitcnt lgkmcnt(0)
	v_mul_f64 v[13:14], v[3:4], v[11:12]
	v_mul_f64 v[11:12], v[1:2], v[11:12]
	v_fma_f64 v[1:2], v[1:2], v[9:10], -v[13:14]
	v_fma_f64 v[3:4], v[3:4], v[9:10], v[11:12]
	buffer_store_dword v2, off, s[0:3], 0 offset:132
	buffer_store_dword v1, off, s[0:3], 0 offset:128
	;; [unrolled: 1-line block ×4, first 2 shown]
.LBB46_307:
	s_or_b32 exec_lo, exec_lo, s8
	v_mov_b32_e32 v4, s47
	v_cmp_lt_u32_e64 s4, 7, v0
	s_clause 0x3
	buffer_load_dword v1, v4, s[0:3], 0 offen
	buffer_load_dword v2, v4, s[0:3], 0 offen offset:4
	buffer_load_dword v3, v4, s[0:3], 0 offen offset:8
	;; [unrolled: 1-line block ×3, first 2 shown]
	s_waitcnt vmcnt(0)
	ds_write_b128 v8, v[1:4]
	s_waitcnt lgkmcnt(0)
	s_waitcnt_vscnt null, 0x0
	s_barrier
	buffer_gl0_inv
	s_and_saveexec_b32 s8, s4
	s_cbranch_execz .LBB46_315
; %bb.308:
	ds_read_b128 v[1:4], v8
	s_andn2_b32 vcc_lo, exec_lo, s54
	s_cbranch_vccnz .LBB46_310
; %bb.309:
	s_clause 0x3
	buffer_load_dword v9, v7, s[0:3], 0 offen offset:8
	buffer_load_dword v10, v7, s[0:3], 0 offen offset:12
	buffer_load_dword v11, v7, s[0:3], 0 offen
	buffer_load_dword v12, v7, s[0:3], 0 offen offset:4
	s_waitcnt vmcnt(2) lgkmcnt(0)
	v_mul_f64 v[13:14], v[3:4], v[9:10]
	v_mul_f64 v[9:10], v[1:2], v[9:10]
	s_waitcnt vmcnt(0)
	v_fma_f64 v[1:2], v[1:2], v[11:12], -v[13:14]
	v_fma_f64 v[3:4], v[3:4], v[11:12], v[9:10]
.LBB46_310:
	s_and_saveexec_b32 s55, s5
	s_cbranch_execz .LBB46_314
; %bb.311:
	v_add_nc_u32_e32 v9, -8, v0
	s_movk_i32 s56, 0x370
	s_mov_b32 s5, 0
	s_mov_b32 s57, s46
	.p2align	6
.LBB46_312:                             ; =>This Inner Loop Header: Depth=1
	v_mov_b32_e32 v10, s57
	v_add_nc_u32_e32 v9, -1, v9
	s_add_i32 s57, s57, 16
	s_clause 0x3
	buffer_load_dword v14, v10, s[0:3], 0 offen offset:8
	buffer_load_dword v15, v10, s[0:3], 0 offen offset:12
	buffer_load_dword v16, v10, s[0:3], 0 offen
	buffer_load_dword v17, v10, s[0:3], 0 offen offset:4
	v_mov_b32_e32 v10, s56
	v_cmp_eq_u32_e32 vcc_lo, 0, v9
	s_add_i32 s56, s56, 16
	ds_read_b128 v[10:13], v10
	s_or_b32 s5, vcc_lo, s5
	s_waitcnt vmcnt(2) lgkmcnt(0)
	v_mul_f64 v[18:19], v[12:13], v[14:15]
	v_mul_f64 v[14:15], v[10:11], v[14:15]
	s_waitcnt vmcnt(0)
	v_fma_f64 v[10:11], v[10:11], v[16:17], -v[18:19]
	v_fma_f64 v[12:13], v[12:13], v[16:17], v[14:15]
	v_add_f64 v[1:2], v[1:2], v[10:11]
	v_add_f64 v[3:4], v[3:4], v[12:13]
	s_andn2_b32 exec_lo, exec_lo, s5
	s_cbranch_execnz .LBB46_312
; %bb.313:
	s_or_b32 exec_lo, exec_lo, s5
.LBB46_314:
	s_or_b32 exec_lo, exec_lo, s55
	v_mov_b32_e32 v9, 0
	ds_read_b128 v[9:12], v9 offset:112
	s_waitcnt lgkmcnt(0)
	v_mul_f64 v[13:14], v[3:4], v[11:12]
	v_mul_f64 v[11:12], v[1:2], v[11:12]
	v_fma_f64 v[1:2], v[1:2], v[9:10], -v[13:14]
	v_fma_f64 v[3:4], v[3:4], v[9:10], v[11:12]
	buffer_store_dword v2, off, s[0:3], 0 offset:116
	buffer_store_dword v1, off, s[0:3], 0 offset:112
	buffer_store_dword v4, off, s[0:3], 0 offset:124
	buffer_store_dword v3, off, s[0:3], 0 offset:120
.LBB46_315:
	s_or_b32 exec_lo, exec_lo, s8
	v_mov_b32_e32 v4, s48
	v_cmp_lt_u32_e64 s5, 6, v0
	s_clause 0x3
	buffer_load_dword v1, v4, s[0:3], 0 offen
	buffer_load_dword v2, v4, s[0:3], 0 offen offset:4
	buffer_load_dword v3, v4, s[0:3], 0 offen offset:8
	buffer_load_dword v4, v4, s[0:3], 0 offen offset:12
	s_waitcnt vmcnt(0)
	ds_write_b128 v8, v[1:4]
	s_waitcnt lgkmcnt(0)
	s_waitcnt_vscnt null, 0x0
	s_barrier
	buffer_gl0_inv
	s_and_saveexec_b32 s8, s5
	s_cbranch_execz .LBB46_323
; %bb.316:
	ds_read_b128 v[1:4], v8
	s_andn2_b32 vcc_lo, exec_lo, s54
	s_cbranch_vccnz .LBB46_318
; %bb.317:
	s_clause 0x3
	buffer_load_dword v9, v7, s[0:3], 0 offen offset:8
	buffer_load_dword v10, v7, s[0:3], 0 offen offset:12
	buffer_load_dword v11, v7, s[0:3], 0 offen
	buffer_load_dword v12, v7, s[0:3], 0 offen offset:4
	s_waitcnt vmcnt(2) lgkmcnt(0)
	v_mul_f64 v[13:14], v[3:4], v[9:10]
	v_mul_f64 v[9:10], v[1:2], v[9:10]
	s_waitcnt vmcnt(0)
	v_fma_f64 v[1:2], v[1:2], v[11:12], -v[13:14]
	v_fma_f64 v[3:4], v[3:4], v[11:12], v[9:10]
.LBB46_318:
	s_and_saveexec_b32 s55, s4
	s_cbranch_execz .LBB46_322
; %bb.319:
	v_add_nc_u32_e32 v9, -7, v0
	s_movk_i32 s56, 0x360
	s_mov_b32 s4, 0
	s_mov_b32 s57, s47
	.p2align	6
.LBB46_320:                             ; =>This Inner Loop Header: Depth=1
	v_mov_b32_e32 v10, s57
	v_add_nc_u32_e32 v9, -1, v9
	s_add_i32 s57, s57, 16
	s_clause 0x3
	buffer_load_dword v14, v10, s[0:3], 0 offen offset:8
	buffer_load_dword v15, v10, s[0:3], 0 offen offset:12
	buffer_load_dword v16, v10, s[0:3], 0 offen
	buffer_load_dword v17, v10, s[0:3], 0 offen offset:4
	v_mov_b32_e32 v10, s56
	v_cmp_eq_u32_e32 vcc_lo, 0, v9
	s_add_i32 s56, s56, 16
	ds_read_b128 v[10:13], v10
	s_or_b32 s4, vcc_lo, s4
	s_waitcnt vmcnt(2) lgkmcnt(0)
	v_mul_f64 v[18:19], v[12:13], v[14:15]
	v_mul_f64 v[14:15], v[10:11], v[14:15]
	s_waitcnt vmcnt(0)
	v_fma_f64 v[10:11], v[10:11], v[16:17], -v[18:19]
	v_fma_f64 v[12:13], v[12:13], v[16:17], v[14:15]
	v_add_f64 v[1:2], v[1:2], v[10:11]
	v_add_f64 v[3:4], v[3:4], v[12:13]
	s_andn2_b32 exec_lo, exec_lo, s4
	s_cbranch_execnz .LBB46_320
; %bb.321:
	s_or_b32 exec_lo, exec_lo, s4
.LBB46_322:
	s_or_b32 exec_lo, exec_lo, s55
	v_mov_b32_e32 v9, 0
	ds_read_b128 v[9:12], v9 offset:96
	s_waitcnt lgkmcnt(0)
	v_mul_f64 v[13:14], v[3:4], v[11:12]
	v_mul_f64 v[11:12], v[1:2], v[11:12]
	v_fma_f64 v[1:2], v[1:2], v[9:10], -v[13:14]
	v_fma_f64 v[3:4], v[3:4], v[9:10], v[11:12]
	buffer_store_dword v2, off, s[0:3], 0 offset:100
	buffer_store_dword v1, off, s[0:3], 0 offset:96
	;; [unrolled: 1-line block ×4, first 2 shown]
.LBB46_323:
	s_or_b32 exec_lo, exec_lo, s8
	v_mov_b32_e32 v4, s49
	v_cmp_lt_u32_e64 s4, 5, v0
	s_clause 0x3
	buffer_load_dword v1, v4, s[0:3], 0 offen
	buffer_load_dword v2, v4, s[0:3], 0 offen offset:4
	buffer_load_dword v3, v4, s[0:3], 0 offen offset:8
	;; [unrolled: 1-line block ×3, first 2 shown]
	s_waitcnt vmcnt(0)
	ds_write_b128 v8, v[1:4]
	s_waitcnt lgkmcnt(0)
	s_waitcnt_vscnt null, 0x0
	s_barrier
	buffer_gl0_inv
	s_and_saveexec_b32 s8, s4
	s_cbranch_execz .LBB46_331
; %bb.324:
	ds_read_b128 v[1:4], v8
	s_andn2_b32 vcc_lo, exec_lo, s54
	s_cbranch_vccnz .LBB46_326
; %bb.325:
	s_clause 0x3
	buffer_load_dword v9, v7, s[0:3], 0 offen offset:8
	buffer_load_dword v10, v7, s[0:3], 0 offen offset:12
	buffer_load_dword v11, v7, s[0:3], 0 offen
	buffer_load_dword v12, v7, s[0:3], 0 offen offset:4
	s_waitcnt vmcnt(2) lgkmcnt(0)
	v_mul_f64 v[13:14], v[3:4], v[9:10]
	v_mul_f64 v[9:10], v[1:2], v[9:10]
	s_waitcnt vmcnt(0)
	v_fma_f64 v[1:2], v[1:2], v[11:12], -v[13:14]
	v_fma_f64 v[3:4], v[3:4], v[11:12], v[9:10]
.LBB46_326:
	s_and_saveexec_b32 s55, s5
	s_cbranch_execz .LBB46_330
; %bb.327:
	v_add_nc_u32_e32 v9, -6, v0
	s_movk_i32 s56, 0x350
	s_mov_b32 s5, 0
	s_mov_b32 s57, s48
	.p2align	6
.LBB46_328:                             ; =>This Inner Loop Header: Depth=1
	v_mov_b32_e32 v10, s57
	v_add_nc_u32_e32 v9, -1, v9
	s_add_i32 s57, s57, 16
	s_clause 0x3
	buffer_load_dword v14, v10, s[0:3], 0 offen offset:8
	buffer_load_dword v15, v10, s[0:3], 0 offen offset:12
	buffer_load_dword v16, v10, s[0:3], 0 offen
	buffer_load_dword v17, v10, s[0:3], 0 offen offset:4
	v_mov_b32_e32 v10, s56
	v_cmp_eq_u32_e32 vcc_lo, 0, v9
	s_add_i32 s56, s56, 16
	ds_read_b128 v[10:13], v10
	s_or_b32 s5, vcc_lo, s5
	s_waitcnt vmcnt(2) lgkmcnt(0)
	v_mul_f64 v[18:19], v[12:13], v[14:15]
	v_mul_f64 v[14:15], v[10:11], v[14:15]
	s_waitcnt vmcnt(0)
	v_fma_f64 v[10:11], v[10:11], v[16:17], -v[18:19]
	v_fma_f64 v[12:13], v[12:13], v[16:17], v[14:15]
	v_add_f64 v[1:2], v[1:2], v[10:11]
	v_add_f64 v[3:4], v[3:4], v[12:13]
	s_andn2_b32 exec_lo, exec_lo, s5
	s_cbranch_execnz .LBB46_328
; %bb.329:
	s_or_b32 exec_lo, exec_lo, s5
.LBB46_330:
	s_or_b32 exec_lo, exec_lo, s55
	v_mov_b32_e32 v9, 0
	ds_read_b128 v[9:12], v9 offset:80
	s_waitcnt lgkmcnt(0)
	v_mul_f64 v[13:14], v[3:4], v[11:12]
	v_mul_f64 v[11:12], v[1:2], v[11:12]
	v_fma_f64 v[1:2], v[1:2], v[9:10], -v[13:14]
	v_fma_f64 v[3:4], v[3:4], v[9:10], v[11:12]
	buffer_store_dword v2, off, s[0:3], 0 offset:84
	buffer_store_dword v1, off, s[0:3], 0 offset:80
	;; [unrolled: 1-line block ×4, first 2 shown]
.LBB46_331:
	s_or_b32 exec_lo, exec_lo, s8
	v_mov_b32_e32 v4, s50
	v_cmp_lt_u32_e64 s5, 4, v0
	s_clause 0x3
	buffer_load_dword v1, v4, s[0:3], 0 offen
	buffer_load_dword v2, v4, s[0:3], 0 offen offset:4
	buffer_load_dword v3, v4, s[0:3], 0 offen offset:8
	;; [unrolled: 1-line block ×3, first 2 shown]
	s_waitcnt vmcnt(0)
	ds_write_b128 v8, v[1:4]
	s_waitcnt lgkmcnt(0)
	s_waitcnt_vscnt null, 0x0
	s_barrier
	buffer_gl0_inv
	s_and_saveexec_b32 s8, s5
	s_cbranch_execz .LBB46_339
; %bb.332:
	ds_read_b128 v[1:4], v8
	s_andn2_b32 vcc_lo, exec_lo, s54
	s_cbranch_vccnz .LBB46_334
; %bb.333:
	s_clause 0x3
	buffer_load_dword v9, v7, s[0:3], 0 offen offset:8
	buffer_load_dword v10, v7, s[0:3], 0 offen offset:12
	buffer_load_dword v11, v7, s[0:3], 0 offen
	buffer_load_dword v12, v7, s[0:3], 0 offen offset:4
	s_waitcnt vmcnt(2) lgkmcnt(0)
	v_mul_f64 v[13:14], v[3:4], v[9:10]
	v_mul_f64 v[9:10], v[1:2], v[9:10]
	s_waitcnt vmcnt(0)
	v_fma_f64 v[1:2], v[1:2], v[11:12], -v[13:14]
	v_fma_f64 v[3:4], v[3:4], v[11:12], v[9:10]
.LBB46_334:
	s_and_saveexec_b32 s55, s4
	s_cbranch_execz .LBB46_338
; %bb.335:
	v_add_nc_u32_e32 v9, -5, v0
	s_movk_i32 s56, 0x340
	s_mov_b32 s4, 0
	s_mov_b32 s57, s49
	.p2align	6
.LBB46_336:                             ; =>This Inner Loop Header: Depth=1
	v_mov_b32_e32 v10, s57
	v_add_nc_u32_e32 v9, -1, v9
	s_add_i32 s57, s57, 16
	s_clause 0x3
	buffer_load_dword v14, v10, s[0:3], 0 offen offset:8
	buffer_load_dword v15, v10, s[0:3], 0 offen offset:12
	buffer_load_dword v16, v10, s[0:3], 0 offen
	buffer_load_dword v17, v10, s[0:3], 0 offen offset:4
	v_mov_b32_e32 v10, s56
	v_cmp_eq_u32_e32 vcc_lo, 0, v9
	s_add_i32 s56, s56, 16
	ds_read_b128 v[10:13], v10
	s_or_b32 s4, vcc_lo, s4
	s_waitcnt vmcnt(2) lgkmcnt(0)
	v_mul_f64 v[18:19], v[12:13], v[14:15]
	v_mul_f64 v[14:15], v[10:11], v[14:15]
	s_waitcnt vmcnt(0)
	v_fma_f64 v[10:11], v[10:11], v[16:17], -v[18:19]
	v_fma_f64 v[12:13], v[12:13], v[16:17], v[14:15]
	v_add_f64 v[1:2], v[1:2], v[10:11]
	v_add_f64 v[3:4], v[3:4], v[12:13]
	s_andn2_b32 exec_lo, exec_lo, s4
	s_cbranch_execnz .LBB46_336
; %bb.337:
	s_or_b32 exec_lo, exec_lo, s4
.LBB46_338:
	s_or_b32 exec_lo, exec_lo, s55
	v_mov_b32_e32 v9, 0
	ds_read_b128 v[9:12], v9 offset:64
	s_waitcnt lgkmcnt(0)
	v_mul_f64 v[13:14], v[3:4], v[11:12]
	v_mul_f64 v[11:12], v[1:2], v[11:12]
	v_fma_f64 v[1:2], v[1:2], v[9:10], -v[13:14]
	v_fma_f64 v[3:4], v[3:4], v[9:10], v[11:12]
	buffer_store_dword v2, off, s[0:3], 0 offset:68
	buffer_store_dword v1, off, s[0:3], 0 offset:64
	;; [unrolled: 1-line block ×4, first 2 shown]
.LBB46_339:
	s_or_b32 exec_lo, exec_lo, s8
	v_mov_b32_e32 v4, s51
	v_cmp_lt_u32_e64 s4, 3, v0
	s_clause 0x3
	buffer_load_dword v1, v4, s[0:3], 0 offen
	buffer_load_dword v2, v4, s[0:3], 0 offen offset:4
	buffer_load_dword v3, v4, s[0:3], 0 offen offset:8
	;; [unrolled: 1-line block ×3, first 2 shown]
	s_waitcnt vmcnt(0)
	ds_write_b128 v8, v[1:4]
	s_waitcnt lgkmcnt(0)
	s_waitcnt_vscnt null, 0x0
	s_barrier
	buffer_gl0_inv
	s_and_saveexec_b32 s8, s4
	s_cbranch_execz .LBB46_347
; %bb.340:
	ds_read_b128 v[1:4], v8
	s_andn2_b32 vcc_lo, exec_lo, s54
	s_cbranch_vccnz .LBB46_342
; %bb.341:
	s_clause 0x3
	buffer_load_dword v9, v7, s[0:3], 0 offen offset:8
	buffer_load_dword v10, v7, s[0:3], 0 offen offset:12
	buffer_load_dword v11, v7, s[0:3], 0 offen
	buffer_load_dword v12, v7, s[0:3], 0 offen offset:4
	s_waitcnt vmcnt(2) lgkmcnt(0)
	v_mul_f64 v[13:14], v[3:4], v[9:10]
	v_mul_f64 v[9:10], v[1:2], v[9:10]
	s_waitcnt vmcnt(0)
	v_fma_f64 v[1:2], v[1:2], v[11:12], -v[13:14]
	v_fma_f64 v[3:4], v[3:4], v[11:12], v[9:10]
.LBB46_342:
	s_and_saveexec_b32 s55, s5
	s_cbranch_execz .LBB46_346
; %bb.343:
	v_add_nc_u32_e32 v9, -4, v0
	s_movk_i32 s56, 0x330
	s_mov_b32 s5, 0
	s_mov_b32 s57, s50
	.p2align	6
.LBB46_344:                             ; =>This Inner Loop Header: Depth=1
	v_mov_b32_e32 v10, s57
	v_add_nc_u32_e32 v9, -1, v9
	s_add_i32 s57, s57, 16
	s_clause 0x3
	buffer_load_dword v14, v10, s[0:3], 0 offen offset:8
	buffer_load_dword v15, v10, s[0:3], 0 offen offset:12
	buffer_load_dword v16, v10, s[0:3], 0 offen
	buffer_load_dword v17, v10, s[0:3], 0 offen offset:4
	v_mov_b32_e32 v10, s56
	v_cmp_eq_u32_e32 vcc_lo, 0, v9
	s_add_i32 s56, s56, 16
	ds_read_b128 v[10:13], v10
	s_or_b32 s5, vcc_lo, s5
	s_waitcnt vmcnt(2) lgkmcnt(0)
	v_mul_f64 v[18:19], v[12:13], v[14:15]
	v_mul_f64 v[14:15], v[10:11], v[14:15]
	s_waitcnt vmcnt(0)
	v_fma_f64 v[10:11], v[10:11], v[16:17], -v[18:19]
	v_fma_f64 v[12:13], v[12:13], v[16:17], v[14:15]
	v_add_f64 v[1:2], v[1:2], v[10:11]
	v_add_f64 v[3:4], v[3:4], v[12:13]
	s_andn2_b32 exec_lo, exec_lo, s5
	s_cbranch_execnz .LBB46_344
; %bb.345:
	s_or_b32 exec_lo, exec_lo, s5
.LBB46_346:
	s_or_b32 exec_lo, exec_lo, s55
	v_mov_b32_e32 v9, 0
	ds_read_b128 v[9:12], v9 offset:48
	s_waitcnt lgkmcnt(0)
	v_mul_f64 v[13:14], v[3:4], v[11:12]
	v_mul_f64 v[11:12], v[1:2], v[11:12]
	v_fma_f64 v[1:2], v[1:2], v[9:10], -v[13:14]
	v_fma_f64 v[3:4], v[3:4], v[9:10], v[11:12]
	buffer_store_dword v2, off, s[0:3], 0 offset:52
	buffer_store_dword v1, off, s[0:3], 0 offset:48
	;; [unrolled: 1-line block ×4, first 2 shown]
.LBB46_347:
	s_or_b32 exec_lo, exec_lo, s8
	v_mov_b32_e32 v4, s52
	v_cmp_lt_u32_e64 s5, 2, v0
	s_clause 0x3
	buffer_load_dword v1, v4, s[0:3], 0 offen
	buffer_load_dword v2, v4, s[0:3], 0 offen offset:4
	buffer_load_dword v3, v4, s[0:3], 0 offen offset:8
	;; [unrolled: 1-line block ×3, first 2 shown]
	s_waitcnt vmcnt(0)
	ds_write_b128 v8, v[1:4]
	s_waitcnt lgkmcnt(0)
	s_waitcnt_vscnt null, 0x0
	s_barrier
	buffer_gl0_inv
	s_and_saveexec_b32 s8, s5
	s_cbranch_execz .LBB46_355
; %bb.348:
	ds_read_b128 v[1:4], v8
	s_andn2_b32 vcc_lo, exec_lo, s54
	s_cbranch_vccnz .LBB46_350
; %bb.349:
	s_clause 0x3
	buffer_load_dword v9, v7, s[0:3], 0 offen offset:8
	buffer_load_dword v10, v7, s[0:3], 0 offen offset:12
	buffer_load_dword v11, v7, s[0:3], 0 offen
	buffer_load_dword v12, v7, s[0:3], 0 offen offset:4
	s_waitcnt vmcnt(2) lgkmcnt(0)
	v_mul_f64 v[13:14], v[3:4], v[9:10]
	v_mul_f64 v[9:10], v[1:2], v[9:10]
	s_waitcnt vmcnt(0)
	v_fma_f64 v[1:2], v[1:2], v[11:12], -v[13:14]
	v_fma_f64 v[3:4], v[3:4], v[11:12], v[9:10]
.LBB46_350:
	s_and_saveexec_b32 s55, s4
	s_cbranch_execz .LBB46_354
; %bb.351:
	v_add_nc_u32_e32 v9, -3, v0
	s_movk_i32 s56, 0x320
	s_mov_b32 s4, 0
	s_mov_b32 s57, s51
	.p2align	6
.LBB46_352:                             ; =>This Inner Loop Header: Depth=1
	v_mov_b32_e32 v10, s57
	v_add_nc_u32_e32 v9, -1, v9
	s_add_i32 s57, s57, 16
	s_clause 0x3
	buffer_load_dword v14, v10, s[0:3], 0 offen offset:8
	buffer_load_dword v15, v10, s[0:3], 0 offen offset:12
	buffer_load_dword v16, v10, s[0:3], 0 offen
	buffer_load_dword v17, v10, s[0:3], 0 offen offset:4
	v_mov_b32_e32 v10, s56
	v_cmp_eq_u32_e32 vcc_lo, 0, v9
	s_add_i32 s56, s56, 16
	ds_read_b128 v[10:13], v10
	s_or_b32 s4, vcc_lo, s4
	s_waitcnt vmcnt(2) lgkmcnt(0)
	v_mul_f64 v[18:19], v[12:13], v[14:15]
	v_mul_f64 v[14:15], v[10:11], v[14:15]
	s_waitcnt vmcnt(0)
	v_fma_f64 v[10:11], v[10:11], v[16:17], -v[18:19]
	v_fma_f64 v[12:13], v[12:13], v[16:17], v[14:15]
	v_add_f64 v[1:2], v[1:2], v[10:11]
	v_add_f64 v[3:4], v[3:4], v[12:13]
	s_andn2_b32 exec_lo, exec_lo, s4
	s_cbranch_execnz .LBB46_352
; %bb.353:
	s_or_b32 exec_lo, exec_lo, s4
.LBB46_354:
	s_or_b32 exec_lo, exec_lo, s55
	v_mov_b32_e32 v9, 0
	ds_read_b128 v[9:12], v9 offset:32
	s_waitcnt lgkmcnt(0)
	v_mul_f64 v[13:14], v[3:4], v[11:12]
	v_mul_f64 v[11:12], v[1:2], v[11:12]
	v_fma_f64 v[1:2], v[1:2], v[9:10], -v[13:14]
	v_fma_f64 v[3:4], v[3:4], v[9:10], v[11:12]
	buffer_store_dword v2, off, s[0:3], 0 offset:36
	buffer_store_dword v1, off, s[0:3], 0 offset:32
	;; [unrolled: 1-line block ×4, first 2 shown]
.LBB46_355:
	s_or_b32 exec_lo, exec_lo, s8
	v_mov_b32_e32 v4, s53
	v_cmp_lt_u32_e64 s4, 1, v0
	s_clause 0x3
	buffer_load_dword v1, v4, s[0:3], 0 offen
	buffer_load_dword v2, v4, s[0:3], 0 offen offset:4
	buffer_load_dword v3, v4, s[0:3], 0 offen offset:8
	;; [unrolled: 1-line block ×3, first 2 shown]
	s_waitcnt vmcnt(0)
	ds_write_b128 v8, v[1:4]
	s_waitcnt lgkmcnt(0)
	s_waitcnt_vscnt null, 0x0
	s_barrier
	buffer_gl0_inv
	s_and_saveexec_b32 s8, s4
	s_cbranch_execz .LBB46_363
; %bb.356:
	ds_read_b128 v[1:4], v8
	s_andn2_b32 vcc_lo, exec_lo, s54
	s_cbranch_vccnz .LBB46_358
; %bb.357:
	s_clause 0x3
	buffer_load_dword v9, v7, s[0:3], 0 offen offset:8
	buffer_load_dword v10, v7, s[0:3], 0 offen offset:12
	buffer_load_dword v11, v7, s[0:3], 0 offen
	buffer_load_dword v12, v7, s[0:3], 0 offen offset:4
	s_waitcnt vmcnt(2) lgkmcnt(0)
	v_mul_f64 v[13:14], v[3:4], v[9:10]
	v_mul_f64 v[9:10], v[1:2], v[9:10]
	s_waitcnt vmcnt(0)
	v_fma_f64 v[1:2], v[1:2], v[11:12], -v[13:14]
	v_fma_f64 v[3:4], v[3:4], v[11:12], v[9:10]
.LBB46_358:
	s_and_saveexec_b32 s55, s5
	s_cbranch_execz .LBB46_362
; %bb.359:
	v_add_nc_u32_e32 v9, -2, v0
	s_movk_i32 s56, 0x310
	s_mov_b32 s5, 0
	s_mov_b32 s57, s52
	.p2align	6
.LBB46_360:                             ; =>This Inner Loop Header: Depth=1
	v_mov_b32_e32 v10, s57
	v_add_nc_u32_e32 v9, -1, v9
	s_add_i32 s57, s57, 16
	s_clause 0x3
	buffer_load_dword v14, v10, s[0:3], 0 offen offset:8
	buffer_load_dword v15, v10, s[0:3], 0 offen offset:12
	buffer_load_dword v16, v10, s[0:3], 0 offen
	buffer_load_dword v17, v10, s[0:3], 0 offen offset:4
	v_mov_b32_e32 v10, s56
	v_cmp_eq_u32_e32 vcc_lo, 0, v9
	s_add_i32 s56, s56, 16
	ds_read_b128 v[10:13], v10
	s_or_b32 s5, vcc_lo, s5
	s_waitcnt vmcnt(2) lgkmcnt(0)
	v_mul_f64 v[18:19], v[12:13], v[14:15]
	v_mul_f64 v[14:15], v[10:11], v[14:15]
	s_waitcnt vmcnt(0)
	v_fma_f64 v[10:11], v[10:11], v[16:17], -v[18:19]
	v_fma_f64 v[12:13], v[12:13], v[16:17], v[14:15]
	v_add_f64 v[1:2], v[1:2], v[10:11]
	v_add_f64 v[3:4], v[3:4], v[12:13]
	s_andn2_b32 exec_lo, exec_lo, s5
	s_cbranch_execnz .LBB46_360
; %bb.361:
	s_or_b32 exec_lo, exec_lo, s5
.LBB46_362:
	s_or_b32 exec_lo, exec_lo, s55
	v_mov_b32_e32 v9, 0
	ds_read_b128 v[9:12], v9 offset:16
	s_waitcnt lgkmcnt(0)
	v_mul_f64 v[13:14], v[3:4], v[11:12]
	v_mul_f64 v[11:12], v[1:2], v[11:12]
	v_fma_f64 v[1:2], v[1:2], v[9:10], -v[13:14]
	v_fma_f64 v[3:4], v[3:4], v[9:10], v[11:12]
	buffer_store_dword v2, off, s[0:3], 0 offset:20
	buffer_store_dword v1, off, s[0:3], 0 offset:16
	;; [unrolled: 1-line block ×4, first 2 shown]
.LBB46_363:
	s_or_b32 exec_lo, exec_lo, s8
	s_clause 0x3
	buffer_load_dword v1, off, s[0:3], 0
	buffer_load_dword v2, off, s[0:3], 0 offset:4
	buffer_load_dword v3, off, s[0:3], 0 offset:8
	;; [unrolled: 1-line block ×3, first 2 shown]
	s_mov_b32 s8, 0
	s_mov_b32 s5, 0
	s_mov_b32 s55, exec_lo
                                        ; implicit-def: $sgpr56
	s_waitcnt vmcnt(0)
	ds_write_b128 v8, v[1:4]
	s_waitcnt lgkmcnt(0)
	s_waitcnt_vscnt null, 0x0
	s_barrier
	buffer_gl0_inv
                                        ; implicit-def: $vgpr1_vgpr2
	v_cmpx_ne_u32_e32 0, v0
	s_cbranch_execz .LBB46_371
; %bb.364:
	ds_read_b128 v[1:4], v8
	s_andn2_b32 vcc_lo, exec_lo, s54
	s_cbranch_vccnz .LBB46_366
; %bb.365:
	s_clause 0x3
	buffer_load_dword v9, v7, s[0:3], 0 offen offset:8
	buffer_load_dword v10, v7, s[0:3], 0 offen offset:12
	buffer_load_dword v11, v7, s[0:3], 0 offen
	buffer_load_dword v12, v7, s[0:3], 0 offen offset:4
	s_waitcnt vmcnt(2) lgkmcnt(0)
	v_mul_f64 v[13:14], v[3:4], v[9:10]
	v_mul_f64 v[9:10], v[1:2], v[9:10]
	s_waitcnt vmcnt(0)
	v_fma_f64 v[1:2], v[1:2], v[11:12], -v[13:14]
	v_fma_f64 v[3:4], v[3:4], v[11:12], v[9:10]
.LBB46_366:
	s_and_saveexec_b32 s5, s4
	s_cbranch_execz .LBB46_370
; %bb.367:
	v_add_nc_u32_e32 v9, -1, v0
	s_movk_i32 s56, 0x300
	s_mov_b32 s4, 0
	s_mov_b32 s57, s53
	.p2align	6
.LBB46_368:                             ; =>This Inner Loop Header: Depth=1
	v_mov_b32_e32 v10, s57
	v_add_nc_u32_e32 v9, -1, v9
	s_add_i32 s57, s57, 16
	s_clause 0x3
	buffer_load_dword v14, v10, s[0:3], 0 offen offset:8
	buffer_load_dword v15, v10, s[0:3], 0 offen offset:12
	buffer_load_dword v16, v10, s[0:3], 0 offen
	buffer_load_dword v17, v10, s[0:3], 0 offen offset:4
	v_mov_b32_e32 v10, s56
	v_cmp_eq_u32_e32 vcc_lo, 0, v9
	s_add_i32 s56, s56, 16
	ds_read_b128 v[10:13], v10
	s_or_b32 s4, vcc_lo, s4
	s_waitcnt vmcnt(2) lgkmcnt(0)
	v_mul_f64 v[18:19], v[12:13], v[14:15]
	v_mul_f64 v[14:15], v[10:11], v[14:15]
	s_waitcnt vmcnt(0)
	v_fma_f64 v[10:11], v[10:11], v[16:17], -v[18:19]
	v_fma_f64 v[12:13], v[12:13], v[16:17], v[14:15]
	v_add_f64 v[1:2], v[1:2], v[10:11]
	v_add_f64 v[3:4], v[3:4], v[12:13]
	s_andn2_b32 exec_lo, exec_lo, s4
	s_cbranch_execnz .LBB46_368
; %bb.369:
	s_or_b32 exec_lo, exec_lo, s4
.LBB46_370:
	s_or_b32 exec_lo, exec_lo, s5
	v_mov_b32_e32 v9, 0
	s_mov_b32 s5, exec_lo
	s_or_b32 s56, 0, 8
	ds_read_b128 v[9:12], v9
	s_waitcnt lgkmcnt(0)
	v_mul_f64 v[13:14], v[3:4], v[11:12]
	v_mul_f64 v[11:12], v[1:2], v[11:12]
	v_fma_f64 v[13:14], v[1:2], v[9:10], -v[13:14]
	v_fma_f64 v[1:2], v[3:4], v[9:10], v[11:12]
	buffer_store_dword v14, off, s[0:3], 0 offset:4
	buffer_store_dword v13, off, s[0:3], 0
.LBB46_371:
	s_or_b32 exec_lo, exec_lo, s55
	s_and_b32 vcc_lo, exec_lo, s8
	s_cbranch_vccnz .LBB46_373
	s_branch .LBB46_736
.LBB46_372:
	s_mov_b32 s5, 0
                                        ; implicit-def: $vgpr1_vgpr2
                                        ; implicit-def: $sgpr56
	s_cbranch_execz .LBB46_736
.LBB46_373:
	v_mov_b32_e32 v4, s53
	v_cmp_eq_u32_e64 s4, 0, v0
	v_cndmask_b32_e64 v9, 0, 1, s54
	s_clause 0x3
	buffer_load_dword v1, v4, s[0:3], 0 offen
	buffer_load_dword v2, v4, s[0:3], 0 offen offset:4
	buffer_load_dword v3, v4, s[0:3], 0 offen offset:8
	;; [unrolled: 1-line block ×3, first 2 shown]
	s_waitcnt vmcnt(0)
	ds_write_b128 v8, v[1:4]
	s_waitcnt lgkmcnt(0)
	s_waitcnt_vscnt null, 0x0
	s_barrier
	buffer_gl0_inv
	s_and_saveexec_b32 s8, s4
	s_cbranch_execz .LBB46_377
; %bb.374:
	ds_read_b128 v[1:4], v8
	s_andn2_b32 vcc_lo, exec_lo, s54
	s_cbranch_vccnz .LBB46_376
; %bb.375:
	s_clause 0x3
	buffer_load_dword v10, v7, s[0:3], 0 offen offset:8
	buffer_load_dword v11, v7, s[0:3], 0 offen offset:12
	buffer_load_dword v12, v7, s[0:3], 0 offen
	buffer_load_dword v13, v7, s[0:3], 0 offen offset:4
	s_waitcnt vmcnt(2) lgkmcnt(0)
	v_mul_f64 v[14:15], v[3:4], v[10:11]
	v_mul_f64 v[10:11], v[1:2], v[10:11]
	s_waitcnt vmcnt(0)
	v_fma_f64 v[1:2], v[1:2], v[12:13], -v[14:15]
	v_fma_f64 v[3:4], v[3:4], v[12:13], v[10:11]
.LBB46_376:
	v_mov_b32_e32 v10, 0
	ds_read_b128 v[10:13], v10 offset:16
	s_waitcnt lgkmcnt(0)
	v_mul_f64 v[14:15], v[3:4], v[12:13]
	v_mul_f64 v[12:13], v[1:2], v[12:13]
	v_fma_f64 v[1:2], v[1:2], v[10:11], -v[14:15]
	v_fma_f64 v[3:4], v[3:4], v[10:11], v[12:13]
	buffer_store_dword v2, off, s[0:3], 0 offset:20
	buffer_store_dword v1, off, s[0:3], 0 offset:16
	;; [unrolled: 1-line block ×4, first 2 shown]
.LBB46_377:
	s_or_b32 exec_lo, exec_lo, s8
	v_mov_b32_e32 v4, s52
	s_mov_b32 s8, exec_lo
	s_clause 0x3
	buffer_load_dword v1, v4, s[0:3], 0 offen
	buffer_load_dword v2, v4, s[0:3], 0 offen offset:4
	buffer_load_dword v3, v4, s[0:3], 0 offen offset:8
	;; [unrolled: 1-line block ×3, first 2 shown]
	s_waitcnt vmcnt(0)
	ds_write_b128 v8, v[1:4]
	s_waitcnt lgkmcnt(0)
	s_waitcnt_vscnt null, 0x0
	s_barrier
	buffer_gl0_inv
	v_cmpx_gt_u32_e32 2, v0
	s_cbranch_execz .LBB46_383
; %bb.378:
	ds_read_b128 v[1:4], v8
	v_cmp_ne_u32_e32 vcc_lo, 1, v9
	s_cbranch_vccnz .LBB46_380
; %bb.379:
	s_clause 0x3
	buffer_load_dword v10, v7, s[0:3], 0 offen offset:8
	buffer_load_dword v11, v7, s[0:3], 0 offen offset:12
	buffer_load_dword v12, v7, s[0:3], 0 offen
	buffer_load_dword v13, v7, s[0:3], 0 offen offset:4
	s_waitcnt vmcnt(2) lgkmcnt(0)
	v_mul_f64 v[14:15], v[3:4], v[10:11]
	v_mul_f64 v[10:11], v[1:2], v[10:11]
	s_waitcnt vmcnt(0)
	v_fma_f64 v[1:2], v[1:2], v[12:13], -v[14:15]
	v_fma_f64 v[3:4], v[3:4], v[12:13], v[10:11]
.LBB46_380:
	s_and_saveexec_b32 s54, s4
	s_cbranch_execz .LBB46_382
; %bb.381:
	s_clause 0x3
	buffer_load_dword v14, off, s[0:3], 0 offset:24
	buffer_load_dword v15, off, s[0:3], 0 offset:28
	;; [unrolled: 1-line block ×4, first 2 shown]
	v_mov_b32_e32 v10, 0
	ds_read_b128 v[10:13], v10 offset:768
	s_waitcnt vmcnt(2) lgkmcnt(0)
	v_mul_f64 v[18:19], v[12:13], v[14:15]
	v_mul_f64 v[14:15], v[10:11], v[14:15]
	s_waitcnt vmcnt(0)
	v_fma_f64 v[10:11], v[10:11], v[16:17], -v[18:19]
	v_fma_f64 v[12:13], v[12:13], v[16:17], v[14:15]
	v_add_f64 v[1:2], v[1:2], v[10:11]
	v_add_f64 v[3:4], v[3:4], v[12:13]
.LBB46_382:
	s_or_b32 exec_lo, exec_lo, s54
	v_mov_b32_e32 v10, 0
	ds_read_b128 v[10:13], v10 offset:32
	s_waitcnt lgkmcnt(0)
	v_mul_f64 v[14:15], v[3:4], v[12:13]
	v_mul_f64 v[12:13], v[1:2], v[12:13]
	v_fma_f64 v[1:2], v[1:2], v[10:11], -v[14:15]
	v_fma_f64 v[3:4], v[3:4], v[10:11], v[12:13]
	buffer_store_dword v2, off, s[0:3], 0 offset:36
	buffer_store_dword v1, off, s[0:3], 0 offset:32
	;; [unrolled: 1-line block ×4, first 2 shown]
.LBB46_383:
	s_or_b32 exec_lo, exec_lo, s8
	v_mov_b32_e32 v4, s51
	s_mov_b32 s8, exec_lo
	s_clause 0x3
	buffer_load_dword v1, v4, s[0:3], 0 offen
	buffer_load_dword v2, v4, s[0:3], 0 offen offset:4
	buffer_load_dword v3, v4, s[0:3], 0 offen offset:8
	;; [unrolled: 1-line block ×3, first 2 shown]
	s_waitcnt vmcnt(0)
	ds_write_b128 v8, v[1:4]
	s_waitcnt lgkmcnt(0)
	s_waitcnt_vscnt null, 0x0
	s_barrier
	buffer_gl0_inv
	v_cmpx_gt_u32_e32 3, v0
	s_cbranch_execz .LBB46_391
; %bb.384:
	ds_read_b128 v[1:4], v8
	v_cmp_ne_u32_e32 vcc_lo, 1, v9
	s_cbranch_vccnz .LBB46_386
; %bb.385:
	s_clause 0x3
	buffer_load_dword v10, v7, s[0:3], 0 offen offset:8
	buffer_load_dword v11, v7, s[0:3], 0 offen offset:12
	buffer_load_dword v12, v7, s[0:3], 0 offen
	buffer_load_dword v13, v7, s[0:3], 0 offen offset:4
	s_waitcnt vmcnt(2) lgkmcnt(0)
	v_mul_f64 v[14:15], v[3:4], v[10:11]
	v_mul_f64 v[10:11], v[1:2], v[10:11]
	s_waitcnt vmcnt(0)
	v_fma_f64 v[1:2], v[1:2], v[12:13], -v[14:15]
	v_fma_f64 v[3:4], v[3:4], v[12:13], v[10:11]
.LBB46_386:
	s_mov_b32 s54, exec_lo
	v_cmpx_ne_u32_e32 2, v0
	s_cbranch_execz .LBB46_390
; %bb.387:
	s_clause 0x3
	buffer_load_dword v14, v7, s[0:3], 0 offen offset:24
	buffer_load_dword v15, v7, s[0:3], 0 offen offset:28
	;; [unrolled: 1-line block ×4, first 2 shown]
	ds_read_b128 v[10:13], v8 offset:16
	s_waitcnt vmcnt(2) lgkmcnt(0)
	v_mul_f64 v[18:19], v[12:13], v[14:15]
	v_mul_f64 v[14:15], v[10:11], v[14:15]
	s_waitcnt vmcnt(0)
	v_fma_f64 v[10:11], v[10:11], v[16:17], -v[18:19]
	v_fma_f64 v[12:13], v[12:13], v[16:17], v[14:15]
	v_add_f64 v[1:2], v[1:2], v[10:11]
	v_add_f64 v[3:4], v[3:4], v[12:13]
	s_and_saveexec_b32 s55, s4
	s_cbranch_execz .LBB46_389
; %bb.388:
	s_clause 0x3
	buffer_load_dword v14, off, s[0:3], 0 offset:40
	buffer_load_dword v15, off, s[0:3], 0 offset:44
	;; [unrolled: 1-line block ×4, first 2 shown]
	v_mov_b32_e32 v10, 0
	ds_read_b128 v[10:13], v10 offset:784
	s_waitcnt vmcnt(2) lgkmcnt(0)
	v_mul_f64 v[18:19], v[10:11], v[14:15]
	v_mul_f64 v[14:15], v[12:13], v[14:15]
	s_waitcnt vmcnt(0)
	v_fma_f64 v[12:13], v[12:13], v[16:17], v[18:19]
	v_fma_f64 v[10:11], v[10:11], v[16:17], -v[14:15]
	v_add_f64 v[3:4], v[3:4], v[12:13]
	v_add_f64 v[1:2], v[1:2], v[10:11]
.LBB46_389:
	s_or_b32 exec_lo, exec_lo, s55
.LBB46_390:
	s_or_b32 exec_lo, exec_lo, s54
	v_mov_b32_e32 v10, 0
	ds_read_b128 v[10:13], v10 offset:48
	s_waitcnt lgkmcnt(0)
	v_mul_f64 v[14:15], v[3:4], v[12:13]
	v_mul_f64 v[12:13], v[1:2], v[12:13]
	v_fma_f64 v[1:2], v[1:2], v[10:11], -v[14:15]
	v_fma_f64 v[3:4], v[3:4], v[10:11], v[12:13]
	buffer_store_dword v2, off, s[0:3], 0 offset:52
	buffer_store_dword v1, off, s[0:3], 0 offset:48
	;; [unrolled: 1-line block ×4, first 2 shown]
.LBB46_391:
	s_or_b32 exec_lo, exec_lo, s8
	v_mov_b32_e32 v4, s50
	s_mov_b32 s4, exec_lo
	s_clause 0x3
	buffer_load_dword v1, v4, s[0:3], 0 offen
	buffer_load_dword v2, v4, s[0:3], 0 offen offset:4
	buffer_load_dword v3, v4, s[0:3], 0 offen offset:8
	;; [unrolled: 1-line block ×3, first 2 shown]
	s_waitcnt vmcnt(0)
	ds_write_b128 v8, v[1:4]
	s_waitcnt lgkmcnt(0)
	s_waitcnt_vscnt null, 0x0
	s_barrier
	buffer_gl0_inv
	v_cmpx_gt_u32_e32 4, v0
	s_cbranch_execz .LBB46_399
; %bb.392:
	ds_read_b128 v[1:4], v8
	v_cmp_ne_u32_e32 vcc_lo, 1, v9
	s_cbranch_vccnz .LBB46_394
; %bb.393:
	s_clause 0x3
	buffer_load_dword v10, v7, s[0:3], 0 offen offset:8
	buffer_load_dword v11, v7, s[0:3], 0 offen offset:12
	buffer_load_dword v12, v7, s[0:3], 0 offen
	buffer_load_dword v13, v7, s[0:3], 0 offen offset:4
	s_waitcnt vmcnt(2) lgkmcnt(0)
	v_mul_f64 v[14:15], v[3:4], v[10:11]
	v_mul_f64 v[10:11], v[1:2], v[10:11]
	s_waitcnt vmcnt(0)
	v_fma_f64 v[1:2], v[1:2], v[12:13], -v[14:15]
	v_fma_f64 v[3:4], v[3:4], v[12:13], v[10:11]
.LBB46_394:
	s_mov_b32 s8, exec_lo
	v_cmpx_ne_u32_e32 3, v0
	s_cbranch_execz .LBB46_398
; %bb.395:
	v_add_nc_u32_e32 v10, 0x300, v117
	v_add3_u32 v11, 0, v117, 16
	v_mov_b32_e32 v12, v0
	s_mov_b32 s54, 0
	.p2align	6
.LBB46_396:                             ; =>This Inner Loop Header: Depth=1
	s_clause 0x3
	buffer_load_dword v17, v11, s[0:3], 0 offen offset:8
	buffer_load_dword v18, v11, s[0:3], 0 offen offset:12
	buffer_load_dword v19, v11, s[0:3], 0 offen
	buffer_load_dword v20, v11, s[0:3], 0 offen offset:4
	ds_read_b128 v[13:16], v10
	v_add_nc_u32_e32 v12, 1, v12
	v_add_nc_u32_e32 v10, 16, v10
	;; [unrolled: 1-line block ×3, first 2 shown]
	v_cmp_lt_u32_e32 vcc_lo, 2, v12
	s_or_b32 s54, vcc_lo, s54
	s_waitcnt vmcnt(2) lgkmcnt(0)
	v_mul_f64 v[21:22], v[15:16], v[17:18]
	v_mul_f64 v[17:18], v[13:14], v[17:18]
	s_waitcnt vmcnt(0)
	v_fma_f64 v[13:14], v[13:14], v[19:20], -v[21:22]
	v_fma_f64 v[15:16], v[15:16], v[19:20], v[17:18]
	v_add_f64 v[1:2], v[1:2], v[13:14]
	v_add_f64 v[3:4], v[3:4], v[15:16]
	s_andn2_b32 exec_lo, exec_lo, s54
	s_cbranch_execnz .LBB46_396
; %bb.397:
	s_or_b32 exec_lo, exec_lo, s54
.LBB46_398:
	s_or_b32 exec_lo, exec_lo, s8
	v_mov_b32_e32 v10, 0
	ds_read_b128 v[10:13], v10 offset:64
	s_waitcnt lgkmcnt(0)
	v_mul_f64 v[14:15], v[3:4], v[12:13]
	v_mul_f64 v[12:13], v[1:2], v[12:13]
	v_fma_f64 v[1:2], v[1:2], v[10:11], -v[14:15]
	v_fma_f64 v[3:4], v[3:4], v[10:11], v[12:13]
	buffer_store_dword v2, off, s[0:3], 0 offset:68
	buffer_store_dword v1, off, s[0:3], 0 offset:64
	;; [unrolled: 1-line block ×4, first 2 shown]
.LBB46_399:
	s_or_b32 exec_lo, exec_lo, s4
	v_mov_b32_e32 v4, s49
	s_mov_b32 s4, exec_lo
	s_clause 0x3
	buffer_load_dword v1, v4, s[0:3], 0 offen
	buffer_load_dword v2, v4, s[0:3], 0 offen offset:4
	buffer_load_dword v3, v4, s[0:3], 0 offen offset:8
	;; [unrolled: 1-line block ×3, first 2 shown]
	s_waitcnt vmcnt(0)
	ds_write_b128 v8, v[1:4]
	s_waitcnt lgkmcnt(0)
	s_waitcnt_vscnt null, 0x0
	s_barrier
	buffer_gl0_inv
	v_cmpx_gt_u32_e32 5, v0
	s_cbranch_execz .LBB46_407
; %bb.400:
	ds_read_b128 v[1:4], v8
	v_cmp_ne_u32_e32 vcc_lo, 1, v9
	s_cbranch_vccnz .LBB46_402
; %bb.401:
	s_clause 0x3
	buffer_load_dword v10, v7, s[0:3], 0 offen offset:8
	buffer_load_dword v11, v7, s[0:3], 0 offen offset:12
	buffer_load_dword v12, v7, s[0:3], 0 offen
	buffer_load_dword v13, v7, s[0:3], 0 offen offset:4
	s_waitcnt vmcnt(2) lgkmcnt(0)
	v_mul_f64 v[14:15], v[3:4], v[10:11]
	v_mul_f64 v[10:11], v[1:2], v[10:11]
	s_waitcnt vmcnt(0)
	v_fma_f64 v[1:2], v[1:2], v[12:13], -v[14:15]
	v_fma_f64 v[3:4], v[3:4], v[12:13], v[10:11]
.LBB46_402:
	s_mov_b32 s8, exec_lo
	v_cmpx_ne_u32_e32 4, v0
	s_cbranch_execz .LBB46_406
; %bb.403:
	v_add_nc_u32_e32 v10, 0x300, v117
	v_add3_u32 v11, 0, v117, 16
	v_mov_b32_e32 v12, v0
	s_mov_b32 s54, 0
	.p2align	6
.LBB46_404:                             ; =>This Inner Loop Header: Depth=1
	s_clause 0x3
	buffer_load_dword v17, v11, s[0:3], 0 offen offset:8
	buffer_load_dword v18, v11, s[0:3], 0 offen offset:12
	buffer_load_dword v19, v11, s[0:3], 0 offen
	buffer_load_dword v20, v11, s[0:3], 0 offen offset:4
	ds_read_b128 v[13:16], v10
	v_add_nc_u32_e32 v12, 1, v12
	v_add_nc_u32_e32 v10, 16, v10
	;; [unrolled: 1-line block ×3, first 2 shown]
	v_cmp_lt_u32_e32 vcc_lo, 3, v12
	s_or_b32 s54, vcc_lo, s54
	s_waitcnt vmcnt(2) lgkmcnt(0)
	v_mul_f64 v[21:22], v[15:16], v[17:18]
	v_mul_f64 v[17:18], v[13:14], v[17:18]
	s_waitcnt vmcnt(0)
	v_fma_f64 v[13:14], v[13:14], v[19:20], -v[21:22]
	v_fma_f64 v[15:16], v[15:16], v[19:20], v[17:18]
	v_add_f64 v[1:2], v[1:2], v[13:14]
	v_add_f64 v[3:4], v[3:4], v[15:16]
	s_andn2_b32 exec_lo, exec_lo, s54
	s_cbranch_execnz .LBB46_404
; %bb.405:
	s_or_b32 exec_lo, exec_lo, s54
.LBB46_406:
	s_or_b32 exec_lo, exec_lo, s8
	v_mov_b32_e32 v10, 0
	ds_read_b128 v[10:13], v10 offset:80
	s_waitcnt lgkmcnt(0)
	v_mul_f64 v[14:15], v[3:4], v[12:13]
	v_mul_f64 v[12:13], v[1:2], v[12:13]
	v_fma_f64 v[1:2], v[1:2], v[10:11], -v[14:15]
	v_fma_f64 v[3:4], v[3:4], v[10:11], v[12:13]
	buffer_store_dword v2, off, s[0:3], 0 offset:84
	buffer_store_dword v1, off, s[0:3], 0 offset:80
	buffer_store_dword v4, off, s[0:3], 0 offset:92
	buffer_store_dword v3, off, s[0:3], 0 offset:88
.LBB46_407:
	s_or_b32 exec_lo, exec_lo, s4
	v_mov_b32_e32 v4, s48
	s_mov_b32 s4, exec_lo
	s_clause 0x3
	buffer_load_dword v1, v4, s[0:3], 0 offen
	buffer_load_dword v2, v4, s[0:3], 0 offen offset:4
	buffer_load_dword v3, v4, s[0:3], 0 offen offset:8
	;; [unrolled: 1-line block ×3, first 2 shown]
	s_waitcnt vmcnt(0)
	ds_write_b128 v8, v[1:4]
	s_waitcnt lgkmcnt(0)
	s_waitcnt_vscnt null, 0x0
	s_barrier
	buffer_gl0_inv
	v_cmpx_gt_u32_e32 6, v0
	s_cbranch_execz .LBB46_415
; %bb.408:
	ds_read_b128 v[1:4], v8
	v_cmp_ne_u32_e32 vcc_lo, 1, v9
	s_cbranch_vccnz .LBB46_410
; %bb.409:
	s_clause 0x3
	buffer_load_dword v10, v7, s[0:3], 0 offen offset:8
	buffer_load_dword v11, v7, s[0:3], 0 offen offset:12
	buffer_load_dword v12, v7, s[0:3], 0 offen
	buffer_load_dword v13, v7, s[0:3], 0 offen offset:4
	s_waitcnt vmcnt(2) lgkmcnt(0)
	v_mul_f64 v[14:15], v[3:4], v[10:11]
	v_mul_f64 v[10:11], v[1:2], v[10:11]
	s_waitcnt vmcnt(0)
	v_fma_f64 v[1:2], v[1:2], v[12:13], -v[14:15]
	v_fma_f64 v[3:4], v[3:4], v[12:13], v[10:11]
.LBB46_410:
	s_mov_b32 s8, exec_lo
	v_cmpx_ne_u32_e32 5, v0
	s_cbranch_execz .LBB46_414
; %bb.411:
	v_add_nc_u32_e32 v10, 0x300, v117
	v_add3_u32 v11, 0, v117, 16
	v_mov_b32_e32 v12, v0
	s_mov_b32 s54, 0
	.p2align	6
.LBB46_412:                             ; =>This Inner Loop Header: Depth=1
	s_clause 0x3
	buffer_load_dword v17, v11, s[0:3], 0 offen offset:8
	buffer_load_dword v18, v11, s[0:3], 0 offen offset:12
	buffer_load_dword v19, v11, s[0:3], 0 offen
	buffer_load_dword v20, v11, s[0:3], 0 offen offset:4
	ds_read_b128 v[13:16], v10
	v_add_nc_u32_e32 v12, 1, v12
	v_add_nc_u32_e32 v10, 16, v10
	v_add_nc_u32_e32 v11, 16, v11
	v_cmp_lt_u32_e32 vcc_lo, 4, v12
	s_or_b32 s54, vcc_lo, s54
	s_waitcnt vmcnt(2) lgkmcnt(0)
	v_mul_f64 v[21:22], v[15:16], v[17:18]
	v_mul_f64 v[17:18], v[13:14], v[17:18]
	s_waitcnt vmcnt(0)
	v_fma_f64 v[13:14], v[13:14], v[19:20], -v[21:22]
	v_fma_f64 v[15:16], v[15:16], v[19:20], v[17:18]
	v_add_f64 v[1:2], v[1:2], v[13:14]
	v_add_f64 v[3:4], v[3:4], v[15:16]
	s_andn2_b32 exec_lo, exec_lo, s54
	s_cbranch_execnz .LBB46_412
; %bb.413:
	s_or_b32 exec_lo, exec_lo, s54
.LBB46_414:
	s_or_b32 exec_lo, exec_lo, s8
	v_mov_b32_e32 v10, 0
	ds_read_b128 v[10:13], v10 offset:96
	s_waitcnt lgkmcnt(0)
	v_mul_f64 v[14:15], v[3:4], v[12:13]
	v_mul_f64 v[12:13], v[1:2], v[12:13]
	v_fma_f64 v[1:2], v[1:2], v[10:11], -v[14:15]
	v_fma_f64 v[3:4], v[3:4], v[10:11], v[12:13]
	buffer_store_dword v2, off, s[0:3], 0 offset:100
	buffer_store_dword v1, off, s[0:3], 0 offset:96
	;; [unrolled: 1-line block ×4, first 2 shown]
.LBB46_415:
	s_or_b32 exec_lo, exec_lo, s4
	v_mov_b32_e32 v4, s47
	s_mov_b32 s4, exec_lo
	s_clause 0x3
	buffer_load_dword v1, v4, s[0:3], 0 offen
	buffer_load_dword v2, v4, s[0:3], 0 offen offset:4
	buffer_load_dword v3, v4, s[0:3], 0 offen offset:8
	;; [unrolled: 1-line block ×3, first 2 shown]
	s_waitcnt vmcnt(0)
	ds_write_b128 v8, v[1:4]
	s_waitcnt lgkmcnt(0)
	s_waitcnt_vscnt null, 0x0
	s_barrier
	buffer_gl0_inv
	v_cmpx_gt_u32_e32 7, v0
	s_cbranch_execz .LBB46_423
; %bb.416:
	ds_read_b128 v[1:4], v8
	v_cmp_ne_u32_e32 vcc_lo, 1, v9
	s_cbranch_vccnz .LBB46_418
; %bb.417:
	s_clause 0x3
	buffer_load_dword v10, v7, s[0:3], 0 offen offset:8
	buffer_load_dword v11, v7, s[0:3], 0 offen offset:12
	buffer_load_dword v12, v7, s[0:3], 0 offen
	buffer_load_dword v13, v7, s[0:3], 0 offen offset:4
	s_waitcnt vmcnt(2) lgkmcnt(0)
	v_mul_f64 v[14:15], v[3:4], v[10:11]
	v_mul_f64 v[10:11], v[1:2], v[10:11]
	s_waitcnt vmcnt(0)
	v_fma_f64 v[1:2], v[1:2], v[12:13], -v[14:15]
	v_fma_f64 v[3:4], v[3:4], v[12:13], v[10:11]
.LBB46_418:
	s_mov_b32 s8, exec_lo
	v_cmpx_ne_u32_e32 6, v0
	s_cbranch_execz .LBB46_422
; %bb.419:
	v_add_nc_u32_e32 v10, 0x300, v117
	v_add3_u32 v11, 0, v117, 16
	v_mov_b32_e32 v12, v0
	s_mov_b32 s54, 0
	.p2align	6
.LBB46_420:                             ; =>This Inner Loop Header: Depth=1
	s_clause 0x3
	buffer_load_dword v17, v11, s[0:3], 0 offen offset:8
	buffer_load_dword v18, v11, s[0:3], 0 offen offset:12
	buffer_load_dword v19, v11, s[0:3], 0 offen
	buffer_load_dword v20, v11, s[0:3], 0 offen offset:4
	ds_read_b128 v[13:16], v10
	v_add_nc_u32_e32 v12, 1, v12
	v_add_nc_u32_e32 v10, 16, v10
	;; [unrolled: 1-line block ×3, first 2 shown]
	v_cmp_lt_u32_e32 vcc_lo, 5, v12
	s_or_b32 s54, vcc_lo, s54
	s_waitcnt vmcnt(2) lgkmcnt(0)
	v_mul_f64 v[21:22], v[15:16], v[17:18]
	v_mul_f64 v[17:18], v[13:14], v[17:18]
	s_waitcnt vmcnt(0)
	v_fma_f64 v[13:14], v[13:14], v[19:20], -v[21:22]
	v_fma_f64 v[15:16], v[15:16], v[19:20], v[17:18]
	v_add_f64 v[1:2], v[1:2], v[13:14]
	v_add_f64 v[3:4], v[3:4], v[15:16]
	s_andn2_b32 exec_lo, exec_lo, s54
	s_cbranch_execnz .LBB46_420
; %bb.421:
	s_or_b32 exec_lo, exec_lo, s54
.LBB46_422:
	s_or_b32 exec_lo, exec_lo, s8
	v_mov_b32_e32 v10, 0
	ds_read_b128 v[10:13], v10 offset:112
	s_waitcnt lgkmcnt(0)
	v_mul_f64 v[14:15], v[3:4], v[12:13]
	v_mul_f64 v[12:13], v[1:2], v[12:13]
	v_fma_f64 v[1:2], v[1:2], v[10:11], -v[14:15]
	v_fma_f64 v[3:4], v[3:4], v[10:11], v[12:13]
	buffer_store_dword v2, off, s[0:3], 0 offset:116
	buffer_store_dword v1, off, s[0:3], 0 offset:112
	;; [unrolled: 1-line block ×4, first 2 shown]
.LBB46_423:
	s_or_b32 exec_lo, exec_lo, s4
	v_mov_b32_e32 v4, s46
	s_mov_b32 s4, exec_lo
	s_clause 0x3
	buffer_load_dword v1, v4, s[0:3], 0 offen
	buffer_load_dword v2, v4, s[0:3], 0 offen offset:4
	buffer_load_dword v3, v4, s[0:3], 0 offen offset:8
	;; [unrolled: 1-line block ×3, first 2 shown]
	s_waitcnt vmcnt(0)
	ds_write_b128 v8, v[1:4]
	s_waitcnt lgkmcnt(0)
	s_waitcnt_vscnt null, 0x0
	s_barrier
	buffer_gl0_inv
	v_cmpx_gt_u32_e32 8, v0
	s_cbranch_execz .LBB46_431
; %bb.424:
	ds_read_b128 v[1:4], v8
	v_cmp_ne_u32_e32 vcc_lo, 1, v9
	s_cbranch_vccnz .LBB46_426
; %bb.425:
	s_clause 0x3
	buffer_load_dword v10, v7, s[0:3], 0 offen offset:8
	buffer_load_dword v11, v7, s[0:3], 0 offen offset:12
	buffer_load_dword v12, v7, s[0:3], 0 offen
	buffer_load_dword v13, v7, s[0:3], 0 offen offset:4
	s_waitcnt vmcnt(2) lgkmcnt(0)
	v_mul_f64 v[14:15], v[3:4], v[10:11]
	v_mul_f64 v[10:11], v[1:2], v[10:11]
	s_waitcnt vmcnt(0)
	v_fma_f64 v[1:2], v[1:2], v[12:13], -v[14:15]
	v_fma_f64 v[3:4], v[3:4], v[12:13], v[10:11]
.LBB46_426:
	s_mov_b32 s8, exec_lo
	v_cmpx_ne_u32_e32 7, v0
	s_cbranch_execz .LBB46_430
; %bb.427:
	v_add_nc_u32_e32 v10, 0x300, v117
	v_add3_u32 v11, 0, v117, 16
	v_mov_b32_e32 v12, v0
	s_mov_b32 s54, 0
	.p2align	6
.LBB46_428:                             ; =>This Inner Loop Header: Depth=1
	s_clause 0x3
	buffer_load_dword v17, v11, s[0:3], 0 offen offset:8
	buffer_load_dword v18, v11, s[0:3], 0 offen offset:12
	buffer_load_dword v19, v11, s[0:3], 0 offen
	buffer_load_dword v20, v11, s[0:3], 0 offen offset:4
	ds_read_b128 v[13:16], v10
	v_add_nc_u32_e32 v12, 1, v12
	v_add_nc_u32_e32 v10, 16, v10
	;; [unrolled: 1-line block ×3, first 2 shown]
	v_cmp_lt_u32_e32 vcc_lo, 6, v12
	s_or_b32 s54, vcc_lo, s54
	s_waitcnt vmcnt(2) lgkmcnt(0)
	v_mul_f64 v[21:22], v[15:16], v[17:18]
	v_mul_f64 v[17:18], v[13:14], v[17:18]
	s_waitcnt vmcnt(0)
	v_fma_f64 v[13:14], v[13:14], v[19:20], -v[21:22]
	v_fma_f64 v[15:16], v[15:16], v[19:20], v[17:18]
	v_add_f64 v[1:2], v[1:2], v[13:14]
	v_add_f64 v[3:4], v[3:4], v[15:16]
	s_andn2_b32 exec_lo, exec_lo, s54
	s_cbranch_execnz .LBB46_428
; %bb.429:
	s_or_b32 exec_lo, exec_lo, s54
.LBB46_430:
	s_or_b32 exec_lo, exec_lo, s8
	v_mov_b32_e32 v10, 0
	ds_read_b128 v[10:13], v10 offset:128
	s_waitcnt lgkmcnt(0)
	v_mul_f64 v[14:15], v[3:4], v[12:13]
	v_mul_f64 v[12:13], v[1:2], v[12:13]
	v_fma_f64 v[1:2], v[1:2], v[10:11], -v[14:15]
	v_fma_f64 v[3:4], v[3:4], v[10:11], v[12:13]
	buffer_store_dword v2, off, s[0:3], 0 offset:132
	buffer_store_dword v1, off, s[0:3], 0 offset:128
	;; [unrolled: 1-line block ×4, first 2 shown]
.LBB46_431:
	s_or_b32 exec_lo, exec_lo, s4
	v_mov_b32_e32 v4, s45
	s_mov_b32 s4, exec_lo
	s_clause 0x3
	buffer_load_dword v1, v4, s[0:3], 0 offen
	buffer_load_dword v2, v4, s[0:3], 0 offen offset:4
	buffer_load_dword v3, v4, s[0:3], 0 offen offset:8
	;; [unrolled: 1-line block ×3, first 2 shown]
	s_waitcnt vmcnt(0)
	ds_write_b128 v8, v[1:4]
	s_waitcnt lgkmcnt(0)
	s_waitcnt_vscnt null, 0x0
	s_barrier
	buffer_gl0_inv
	v_cmpx_gt_u32_e32 9, v0
	s_cbranch_execz .LBB46_439
; %bb.432:
	ds_read_b128 v[1:4], v8
	v_cmp_ne_u32_e32 vcc_lo, 1, v9
	s_cbranch_vccnz .LBB46_434
; %bb.433:
	s_clause 0x3
	buffer_load_dword v10, v7, s[0:3], 0 offen offset:8
	buffer_load_dword v11, v7, s[0:3], 0 offen offset:12
	buffer_load_dword v12, v7, s[0:3], 0 offen
	buffer_load_dword v13, v7, s[0:3], 0 offen offset:4
	s_waitcnt vmcnt(2) lgkmcnt(0)
	v_mul_f64 v[14:15], v[3:4], v[10:11]
	v_mul_f64 v[10:11], v[1:2], v[10:11]
	s_waitcnt vmcnt(0)
	v_fma_f64 v[1:2], v[1:2], v[12:13], -v[14:15]
	v_fma_f64 v[3:4], v[3:4], v[12:13], v[10:11]
.LBB46_434:
	s_mov_b32 s8, exec_lo
	v_cmpx_ne_u32_e32 8, v0
	s_cbranch_execz .LBB46_438
; %bb.435:
	v_add_nc_u32_e32 v10, 0x300, v117
	v_add3_u32 v11, 0, v117, 16
	v_mov_b32_e32 v12, v0
	s_mov_b32 s54, 0
	.p2align	6
.LBB46_436:                             ; =>This Inner Loop Header: Depth=1
	s_clause 0x3
	buffer_load_dword v17, v11, s[0:3], 0 offen offset:8
	buffer_load_dword v18, v11, s[0:3], 0 offen offset:12
	buffer_load_dword v19, v11, s[0:3], 0 offen
	buffer_load_dword v20, v11, s[0:3], 0 offen offset:4
	ds_read_b128 v[13:16], v10
	v_add_nc_u32_e32 v12, 1, v12
	v_add_nc_u32_e32 v10, 16, v10
	;; [unrolled: 1-line block ×3, first 2 shown]
	v_cmp_lt_u32_e32 vcc_lo, 7, v12
	s_or_b32 s54, vcc_lo, s54
	s_waitcnt vmcnt(2) lgkmcnt(0)
	v_mul_f64 v[21:22], v[15:16], v[17:18]
	v_mul_f64 v[17:18], v[13:14], v[17:18]
	s_waitcnt vmcnt(0)
	v_fma_f64 v[13:14], v[13:14], v[19:20], -v[21:22]
	v_fma_f64 v[15:16], v[15:16], v[19:20], v[17:18]
	v_add_f64 v[1:2], v[1:2], v[13:14]
	v_add_f64 v[3:4], v[3:4], v[15:16]
	s_andn2_b32 exec_lo, exec_lo, s54
	s_cbranch_execnz .LBB46_436
; %bb.437:
	s_or_b32 exec_lo, exec_lo, s54
.LBB46_438:
	s_or_b32 exec_lo, exec_lo, s8
	v_mov_b32_e32 v10, 0
	ds_read_b128 v[10:13], v10 offset:144
	s_waitcnt lgkmcnt(0)
	v_mul_f64 v[14:15], v[3:4], v[12:13]
	v_mul_f64 v[12:13], v[1:2], v[12:13]
	v_fma_f64 v[1:2], v[1:2], v[10:11], -v[14:15]
	v_fma_f64 v[3:4], v[3:4], v[10:11], v[12:13]
	buffer_store_dword v2, off, s[0:3], 0 offset:148
	buffer_store_dword v1, off, s[0:3], 0 offset:144
	;; [unrolled: 1-line block ×4, first 2 shown]
.LBB46_439:
	s_or_b32 exec_lo, exec_lo, s4
	v_mov_b32_e32 v4, s44
	s_mov_b32 s4, exec_lo
	s_clause 0x3
	buffer_load_dword v1, v4, s[0:3], 0 offen
	buffer_load_dword v2, v4, s[0:3], 0 offen offset:4
	buffer_load_dword v3, v4, s[0:3], 0 offen offset:8
	;; [unrolled: 1-line block ×3, first 2 shown]
	s_waitcnt vmcnt(0)
	ds_write_b128 v8, v[1:4]
	s_waitcnt lgkmcnt(0)
	s_waitcnt_vscnt null, 0x0
	s_barrier
	buffer_gl0_inv
	v_cmpx_gt_u32_e32 10, v0
	s_cbranch_execz .LBB46_447
; %bb.440:
	ds_read_b128 v[1:4], v8
	v_cmp_ne_u32_e32 vcc_lo, 1, v9
	s_cbranch_vccnz .LBB46_442
; %bb.441:
	s_clause 0x3
	buffer_load_dword v10, v7, s[0:3], 0 offen offset:8
	buffer_load_dword v11, v7, s[0:3], 0 offen offset:12
	buffer_load_dword v12, v7, s[0:3], 0 offen
	buffer_load_dword v13, v7, s[0:3], 0 offen offset:4
	s_waitcnt vmcnt(2) lgkmcnt(0)
	v_mul_f64 v[14:15], v[3:4], v[10:11]
	v_mul_f64 v[10:11], v[1:2], v[10:11]
	s_waitcnt vmcnt(0)
	v_fma_f64 v[1:2], v[1:2], v[12:13], -v[14:15]
	v_fma_f64 v[3:4], v[3:4], v[12:13], v[10:11]
.LBB46_442:
	s_mov_b32 s8, exec_lo
	v_cmpx_ne_u32_e32 9, v0
	s_cbranch_execz .LBB46_446
; %bb.443:
	v_add_nc_u32_e32 v10, 0x300, v117
	v_add3_u32 v11, 0, v117, 16
	v_mov_b32_e32 v12, v0
	s_mov_b32 s54, 0
	.p2align	6
.LBB46_444:                             ; =>This Inner Loop Header: Depth=1
	s_clause 0x3
	buffer_load_dword v17, v11, s[0:3], 0 offen offset:8
	buffer_load_dword v18, v11, s[0:3], 0 offen offset:12
	buffer_load_dword v19, v11, s[0:3], 0 offen
	buffer_load_dword v20, v11, s[0:3], 0 offen offset:4
	ds_read_b128 v[13:16], v10
	v_add_nc_u32_e32 v12, 1, v12
	v_add_nc_u32_e32 v10, 16, v10
	;; [unrolled: 1-line block ×3, first 2 shown]
	v_cmp_lt_u32_e32 vcc_lo, 8, v12
	s_or_b32 s54, vcc_lo, s54
	s_waitcnt vmcnt(2) lgkmcnt(0)
	v_mul_f64 v[21:22], v[15:16], v[17:18]
	v_mul_f64 v[17:18], v[13:14], v[17:18]
	s_waitcnt vmcnt(0)
	v_fma_f64 v[13:14], v[13:14], v[19:20], -v[21:22]
	v_fma_f64 v[15:16], v[15:16], v[19:20], v[17:18]
	v_add_f64 v[1:2], v[1:2], v[13:14]
	v_add_f64 v[3:4], v[3:4], v[15:16]
	s_andn2_b32 exec_lo, exec_lo, s54
	s_cbranch_execnz .LBB46_444
; %bb.445:
	s_or_b32 exec_lo, exec_lo, s54
.LBB46_446:
	s_or_b32 exec_lo, exec_lo, s8
	v_mov_b32_e32 v10, 0
	ds_read_b128 v[10:13], v10 offset:160
	s_waitcnt lgkmcnt(0)
	v_mul_f64 v[14:15], v[3:4], v[12:13]
	v_mul_f64 v[12:13], v[1:2], v[12:13]
	v_fma_f64 v[1:2], v[1:2], v[10:11], -v[14:15]
	v_fma_f64 v[3:4], v[3:4], v[10:11], v[12:13]
	buffer_store_dword v2, off, s[0:3], 0 offset:164
	buffer_store_dword v1, off, s[0:3], 0 offset:160
	;; [unrolled: 1-line block ×4, first 2 shown]
.LBB46_447:
	s_or_b32 exec_lo, exec_lo, s4
	v_mov_b32_e32 v4, s43
	s_mov_b32 s4, exec_lo
	s_clause 0x3
	buffer_load_dword v1, v4, s[0:3], 0 offen
	buffer_load_dword v2, v4, s[0:3], 0 offen offset:4
	buffer_load_dword v3, v4, s[0:3], 0 offen offset:8
	;; [unrolled: 1-line block ×3, first 2 shown]
	s_waitcnt vmcnt(0)
	ds_write_b128 v8, v[1:4]
	s_waitcnt lgkmcnt(0)
	s_waitcnt_vscnt null, 0x0
	s_barrier
	buffer_gl0_inv
	v_cmpx_gt_u32_e32 11, v0
	s_cbranch_execz .LBB46_455
; %bb.448:
	ds_read_b128 v[1:4], v8
	v_cmp_ne_u32_e32 vcc_lo, 1, v9
	s_cbranch_vccnz .LBB46_450
; %bb.449:
	s_clause 0x3
	buffer_load_dword v10, v7, s[0:3], 0 offen offset:8
	buffer_load_dword v11, v7, s[0:3], 0 offen offset:12
	buffer_load_dword v12, v7, s[0:3], 0 offen
	buffer_load_dword v13, v7, s[0:3], 0 offen offset:4
	s_waitcnt vmcnt(2) lgkmcnt(0)
	v_mul_f64 v[14:15], v[3:4], v[10:11]
	v_mul_f64 v[10:11], v[1:2], v[10:11]
	s_waitcnt vmcnt(0)
	v_fma_f64 v[1:2], v[1:2], v[12:13], -v[14:15]
	v_fma_f64 v[3:4], v[3:4], v[12:13], v[10:11]
.LBB46_450:
	s_mov_b32 s8, exec_lo
	v_cmpx_ne_u32_e32 10, v0
	s_cbranch_execz .LBB46_454
; %bb.451:
	v_add_nc_u32_e32 v10, 0x300, v117
	v_add3_u32 v11, 0, v117, 16
	v_mov_b32_e32 v12, v0
	s_mov_b32 s54, 0
	.p2align	6
.LBB46_452:                             ; =>This Inner Loop Header: Depth=1
	s_clause 0x3
	buffer_load_dword v17, v11, s[0:3], 0 offen offset:8
	buffer_load_dword v18, v11, s[0:3], 0 offen offset:12
	buffer_load_dword v19, v11, s[0:3], 0 offen
	buffer_load_dword v20, v11, s[0:3], 0 offen offset:4
	ds_read_b128 v[13:16], v10
	v_add_nc_u32_e32 v12, 1, v12
	v_add_nc_u32_e32 v10, 16, v10
	v_add_nc_u32_e32 v11, 16, v11
	v_cmp_lt_u32_e32 vcc_lo, 9, v12
	s_or_b32 s54, vcc_lo, s54
	s_waitcnt vmcnt(2) lgkmcnt(0)
	v_mul_f64 v[21:22], v[15:16], v[17:18]
	v_mul_f64 v[17:18], v[13:14], v[17:18]
	s_waitcnt vmcnt(0)
	v_fma_f64 v[13:14], v[13:14], v[19:20], -v[21:22]
	v_fma_f64 v[15:16], v[15:16], v[19:20], v[17:18]
	v_add_f64 v[1:2], v[1:2], v[13:14]
	v_add_f64 v[3:4], v[3:4], v[15:16]
	s_andn2_b32 exec_lo, exec_lo, s54
	s_cbranch_execnz .LBB46_452
; %bb.453:
	s_or_b32 exec_lo, exec_lo, s54
.LBB46_454:
	s_or_b32 exec_lo, exec_lo, s8
	v_mov_b32_e32 v10, 0
	ds_read_b128 v[10:13], v10 offset:176
	s_waitcnt lgkmcnt(0)
	v_mul_f64 v[14:15], v[3:4], v[12:13]
	v_mul_f64 v[12:13], v[1:2], v[12:13]
	v_fma_f64 v[1:2], v[1:2], v[10:11], -v[14:15]
	v_fma_f64 v[3:4], v[3:4], v[10:11], v[12:13]
	buffer_store_dword v2, off, s[0:3], 0 offset:180
	buffer_store_dword v1, off, s[0:3], 0 offset:176
	;; [unrolled: 1-line block ×4, first 2 shown]
.LBB46_455:
	s_or_b32 exec_lo, exec_lo, s4
	v_mov_b32_e32 v4, s42
	s_mov_b32 s4, exec_lo
	s_clause 0x3
	buffer_load_dword v1, v4, s[0:3], 0 offen
	buffer_load_dword v2, v4, s[0:3], 0 offen offset:4
	buffer_load_dword v3, v4, s[0:3], 0 offen offset:8
	;; [unrolled: 1-line block ×3, first 2 shown]
	s_waitcnt vmcnt(0)
	ds_write_b128 v8, v[1:4]
	s_waitcnt lgkmcnt(0)
	s_waitcnt_vscnt null, 0x0
	s_barrier
	buffer_gl0_inv
	v_cmpx_gt_u32_e32 12, v0
	s_cbranch_execz .LBB46_463
; %bb.456:
	ds_read_b128 v[1:4], v8
	v_cmp_ne_u32_e32 vcc_lo, 1, v9
	s_cbranch_vccnz .LBB46_458
; %bb.457:
	s_clause 0x3
	buffer_load_dword v10, v7, s[0:3], 0 offen offset:8
	buffer_load_dword v11, v7, s[0:3], 0 offen offset:12
	buffer_load_dword v12, v7, s[0:3], 0 offen
	buffer_load_dword v13, v7, s[0:3], 0 offen offset:4
	s_waitcnt vmcnt(2) lgkmcnt(0)
	v_mul_f64 v[14:15], v[3:4], v[10:11]
	v_mul_f64 v[10:11], v[1:2], v[10:11]
	s_waitcnt vmcnt(0)
	v_fma_f64 v[1:2], v[1:2], v[12:13], -v[14:15]
	v_fma_f64 v[3:4], v[3:4], v[12:13], v[10:11]
.LBB46_458:
	s_mov_b32 s8, exec_lo
	v_cmpx_ne_u32_e32 11, v0
	s_cbranch_execz .LBB46_462
; %bb.459:
	v_add_nc_u32_e32 v10, 0x300, v117
	v_add3_u32 v11, 0, v117, 16
	v_mov_b32_e32 v12, v0
	s_mov_b32 s54, 0
	.p2align	6
.LBB46_460:                             ; =>This Inner Loop Header: Depth=1
	s_clause 0x3
	buffer_load_dword v17, v11, s[0:3], 0 offen offset:8
	buffer_load_dword v18, v11, s[0:3], 0 offen offset:12
	buffer_load_dword v19, v11, s[0:3], 0 offen
	buffer_load_dword v20, v11, s[0:3], 0 offen offset:4
	ds_read_b128 v[13:16], v10
	v_add_nc_u32_e32 v12, 1, v12
	v_add_nc_u32_e32 v10, 16, v10
	;; [unrolled: 1-line block ×3, first 2 shown]
	v_cmp_lt_u32_e32 vcc_lo, 10, v12
	s_or_b32 s54, vcc_lo, s54
	s_waitcnt vmcnt(2) lgkmcnt(0)
	v_mul_f64 v[21:22], v[15:16], v[17:18]
	v_mul_f64 v[17:18], v[13:14], v[17:18]
	s_waitcnt vmcnt(0)
	v_fma_f64 v[13:14], v[13:14], v[19:20], -v[21:22]
	v_fma_f64 v[15:16], v[15:16], v[19:20], v[17:18]
	v_add_f64 v[1:2], v[1:2], v[13:14]
	v_add_f64 v[3:4], v[3:4], v[15:16]
	s_andn2_b32 exec_lo, exec_lo, s54
	s_cbranch_execnz .LBB46_460
; %bb.461:
	s_or_b32 exec_lo, exec_lo, s54
.LBB46_462:
	s_or_b32 exec_lo, exec_lo, s8
	v_mov_b32_e32 v10, 0
	ds_read_b128 v[10:13], v10 offset:192
	s_waitcnt lgkmcnt(0)
	v_mul_f64 v[14:15], v[3:4], v[12:13]
	v_mul_f64 v[12:13], v[1:2], v[12:13]
	v_fma_f64 v[1:2], v[1:2], v[10:11], -v[14:15]
	v_fma_f64 v[3:4], v[3:4], v[10:11], v[12:13]
	buffer_store_dword v2, off, s[0:3], 0 offset:196
	buffer_store_dword v1, off, s[0:3], 0 offset:192
	;; [unrolled: 1-line block ×4, first 2 shown]
.LBB46_463:
	s_or_b32 exec_lo, exec_lo, s4
	v_mov_b32_e32 v4, s41
	s_mov_b32 s4, exec_lo
	s_clause 0x3
	buffer_load_dword v1, v4, s[0:3], 0 offen
	buffer_load_dword v2, v4, s[0:3], 0 offen offset:4
	buffer_load_dword v3, v4, s[0:3], 0 offen offset:8
	;; [unrolled: 1-line block ×3, first 2 shown]
	s_waitcnt vmcnt(0)
	ds_write_b128 v8, v[1:4]
	s_waitcnt lgkmcnt(0)
	s_waitcnt_vscnt null, 0x0
	s_barrier
	buffer_gl0_inv
	v_cmpx_gt_u32_e32 13, v0
	s_cbranch_execz .LBB46_471
; %bb.464:
	ds_read_b128 v[1:4], v8
	v_cmp_ne_u32_e32 vcc_lo, 1, v9
	s_cbranch_vccnz .LBB46_466
; %bb.465:
	s_clause 0x3
	buffer_load_dword v10, v7, s[0:3], 0 offen offset:8
	buffer_load_dword v11, v7, s[0:3], 0 offen offset:12
	buffer_load_dword v12, v7, s[0:3], 0 offen
	buffer_load_dword v13, v7, s[0:3], 0 offen offset:4
	s_waitcnt vmcnt(2) lgkmcnt(0)
	v_mul_f64 v[14:15], v[3:4], v[10:11]
	v_mul_f64 v[10:11], v[1:2], v[10:11]
	s_waitcnt vmcnt(0)
	v_fma_f64 v[1:2], v[1:2], v[12:13], -v[14:15]
	v_fma_f64 v[3:4], v[3:4], v[12:13], v[10:11]
.LBB46_466:
	s_mov_b32 s8, exec_lo
	v_cmpx_ne_u32_e32 12, v0
	s_cbranch_execz .LBB46_470
; %bb.467:
	v_add_nc_u32_e32 v10, 0x300, v117
	v_add3_u32 v11, 0, v117, 16
	v_mov_b32_e32 v12, v0
	s_mov_b32 s54, 0
	.p2align	6
.LBB46_468:                             ; =>This Inner Loop Header: Depth=1
	s_clause 0x3
	buffer_load_dword v17, v11, s[0:3], 0 offen offset:8
	buffer_load_dword v18, v11, s[0:3], 0 offen offset:12
	buffer_load_dword v19, v11, s[0:3], 0 offen
	buffer_load_dword v20, v11, s[0:3], 0 offen offset:4
	ds_read_b128 v[13:16], v10
	v_add_nc_u32_e32 v12, 1, v12
	v_add_nc_u32_e32 v10, 16, v10
	;; [unrolled: 1-line block ×3, first 2 shown]
	v_cmp_lt_u32_e32 vcc_lo, 11, v12
	s_or_b32 s54, vcc_lo, s54
	s_waitcnt vmcnt(2) lgkmcnt(0)
	v_mul_f64 v[21:22], v[15:16], v[17:18]
	v_mul_f64 v[17:18], v[13:14], v[17:18]
	s_waitcnt vmcnt(0)
	v_fma_f64 v[13:14], v[13:14], v[19:20], -v[21:22]
	v_fma_f64 v[15:16], v[15:16], v[19:20], v[17:18]
	v_add_f64 v[1:2], v[1:2], v[13:14]
	v_add_f64 v[3:4], v[3:4], v[15:16]
	s_andn2_b32 exec_lo, exec_lo, s54
	s_cbranch_execnz .LBB46_468
; %bb.469:
	s_or_b32 exec_lo, exec_lo, s54
.LBB46_470:
	s_or_b32 exec_lo, exec_lo, s8
	v_mov_b32_e32 v10, 0
	ds_read_b128 v[10:13], v10 offset:208
	s_waitcnt lgkmcnt(0)
	v_mul_f64 v[14:15], v[3:4], v[12:13]
	v_mul_f64 v[12:13], v[1:2], v[12:13]
	v_fma_f64 v[1:2], v[1:2], v[10:11], -v[14:15]
	v_fma_f64 v[3:4], v[3:4], v[10:11], v[12:13]
	buffer_store_dword v2, off, s[0:3], 0 offset:212
	buffer_store_dword v1, off, s[0:3], 0 offset:208
	;; [unrolled: 1-line block ×4, first 2 shown]
.LBB46_471:
	s_or_b32 exec_lo, exec_lo, s4
	v_mov_b32_e32 v4, s40
	s_mov_b32 s4, exec_lo
	s_clause 0x3
	buffer_load_dword v1, v4, s[0:3], 0 offen
	buffer_load_dword v2, v4, s[0:3], 0 offen offset:4
	buffer_load_dword v3, v4, s[0:3], 0 offen offset:8
	;; [unrolled: 1-line block ×3, first 2 shown]
	s_waitcnt vmcnt(0)
	ds_write_b128 v8, v[1:4]
	s_waitcnt lgkmcnt(0)
	s_waitcnt_vscnt null, 0x0
	s_barrier
	buffer_gl0_inv
	v_cmpx_gt_u32_e32 14, v0
	s_cbranch_execz .LBB46_479
; %bb.472:
	ds_read_b128 v[1:4], v8
	v_cmp_ne_u32_e32 vcc_lo, 1, v9
	s_cbranch_vccnz .LBB46_474
; %bb.473:
	s_clause 0x3
	buffer_load_dword v10, v7, s[0:3], 0 offen offset:8
	buffer_load_dword v11, v7, s[0:3], 0 offen offset:12
	buffer_load_dword v12, v7, s[0:3], 0 offen
	buffer_load_dword v13, v7, s[0:3], 0 offen offset:4
	s_waitcnt vmcnt(2) lgkmcnt(0)
	v_mul_f64 v[14:15], v[3:4], v[10:11]
	v_mul_f64 v[10:11], v[1:2], v[10:11]
	s_waitcnt vmcnt(0)
	v_fma_f64 v[1:2], v[1:2], v[12:13], -v[14:15]
	v_fma_f64 v[3:4], v[3:4], v[12:13], v[10:11]
.LBB46_474:
	s_mov_b32 s8, exec_lo
	v_cmpx_ne_u32_e32 13, v0
	s_cbranch_execz .LBB46_478
; %bb.475:
	v_add_nc_u32_e32 v10, 0x300, v117
	v_add3_u32 v11, 0, v117, 16
	v_mov_b32_e32 v12, v0
	s_mov_b32 s54, 0
	.p2align	6
.LBB46_476:                             ; =>This Inner Loop Header: Depth=1
	s_clause 0x3
	buffer_load_dword v17, v11, s[0:3], 0 offen offset:8
	buffer_load_dword v18, v11, s[0:3], 0 offen offset:12
	buffer_load_dword v19, v11, s[0:3], 0 offen
	buffer_load_dword v20, v11, s[0:3], 0 offen offset:4
	ds_read_b128 v[13:16], v10
	v_add_nc_u32_e32 v12, 1, v12
	v_add_nc_u32_e32 v10, 16, v10
	;; [unrolled: 1-line block ×3, first 2 shown]
	v_cmp_lt_u32_e32 vcc_lo, 12, v12
	s_or_b32 s54, vcc_lo, s54
	s_waitcnt vmcnt(2) lgkmcnt(0)
	v_mul_f64 v[21:22], v[15:16], v[17:18]
	v_mul_f64 v[17:18], v[13:14], v[17:18]
	s_waitcnt vmcnt(0)
	v_fma_f64 v[13:14], v[13:14], v[19:20], -v[21:22]
	v_fma_f64 v[15:16], v[15:16], v[19:20], v[17:18]
	v_add_f64 v[1:2], v[1:2], v[13:14]
	v_add_f64 v[3:4], v[3:4], v[15:16]
	s_andn2_b32 exec_lo, exec_lo, s54
	s_cbranch_execnz .LBB46_476
; %bb.477:
	s_or_b32 exec_lo, exec_lo, s54
.LBB46_478:
	s_or_b32 exec_lo, exec_lo, s8
	v_mov_b32_e32 v10, 0
	ds_read_b128 v[10:13], v10 offset:224
	s_waitcnt lgkmcnt(0)
	v_mul_f64 v[14:15], v[3:4], v[12:13]
	v_mul_f64 v[12:13], v[1:2], v[12:13]
	v_fma_f64 v[1:2], v[1:2], v[10:11], -v[14:15]
	v_fma_f64 v[3:4], v[3:4], v[10:11], v[12:13]
	buffer_store_dword v2, off, s[0:3], 0 offset:228
	buffer_store_dword v1, off, s[0:3], 0 offset:224
	;; [unrolled: 1-line block ×4, first 2 shown]
.LBB46_479:
	s_or_b32 exec_lo, exec_lo, s4
	v_mov_b32_e32 v4, s39
	s_mov_b32 s4, exec_lo
	s_clause 0x3
	buffer_load_dword v1, v4, s[0:3], 0 offen
	buffer_load_dword v2, v4, s[0:3], 0 offen offset:4
	buffer_load_dword v3, v4, s[0:3], 0 offen offset:8
	;; [unrolled: 1-line block ×3, first 2 shown]
	s_waitcnt vmcnt(0)
	ds_write_b128 v8, v[1:4]
	s_waitcnt lgkmcnt(0)
	s_waitcnt_vscnt null, 0x0
	s_barrier
	buffer_gl0_inv
	v_cmpx_gt_u32_e32 15, v0
	s_cbranch_execz .LBB46_487
; %bb.480:
	ds_read_b128 v[1:4], v8
	v_cmp_ne_u32_e32 vcc_lo, 1, v9
	s_cbranch_vccnz .LBB46_482
; %bb.481:
	s_clause 0x3
	buffer_load_dword v10, v7, s[0:3], 0 offen offset:8
	buffer_load_dword v11, v7, s[0:3], 0 offen offset:12
	buffer_load_dword v12, v7, s[0:3], 0 offen
	buffer_load_dword v13, v7, s[0:3], 0 offen offset:4
	s_waitcnt vmcnt(2) lgkmcnt(0)
	v_mul_f64 v[14:15], v[3:4], v[10:11]
	v_mul_f64 v[10:11], v[1:2], v[10:11]
	s_waitcnt vmcnt(0)
	v_fma_f64 v[1:2], v[1:2], v[12:13], -v[14:15]
	v_fma_f64 v[3:4], v[3:4], v[12:13], v[10:11]
.LBB46_482:
	s_mov_b32 s8, exec_lo
	v_cmpx_ne_u32_e32 14, v0
	s_cbranch_execz .LBB46_486
; %bb.483:
	v_add_nc_u32_e32 v10, 0x300, v117
	v_add3_u32 v11, 0, v117, 16
	v_mov_b32_e32 v12, v0
	s_mov_b32 s54, 0
	.p2align	6
.LBB46_484:                             ; =>This Inner Loop Header: Depth=1
	s_clause 0x3
	buffer_load_dword v17, v11, s[0:3], 0 offen offset:8
	buffer_load_dword v18, v11, s[0:3], 0 offen offset:12
	buffer_load_dword v19, v11, s[0:3], 0 offen
	buffer_load_dword v20, v11, s[0:3], 0 offen offset:4
	ds_read_b128 v[13:16], v10
	v_add_nc_u32_e32 v12, 1, v12
	v_add_nc_u32_e32 v10, 16, v10
	;; [unrolled: 1-line block ×3, first 2 shown]
	v_cmp_lt_u32_e32 vcc_lo, 13, v12
	s_or_b32 s54, vcc_lo, s54
	s_waitcnt vmcnt(2) lgkmcnt(0)
	v_mul_f64 v[21:22], v[15:16], v[17:18]
	v_mul_f64 v[17:18], v[13:14], v[17:18]
	s_waitcnt vmcnt(0)
	v_fma_f64 v[13:14], v[13:14], v[19:20], -v[21:22]
	v_fma_f64 v[15:16], v[15:16], v[19:20], v[17:18]
	v_add_f64 v[1:2], v[1:2], v[13:14]
	v_add_f64 v[3:4], v[3:4], v[15:16]
	s_andn2_b32 exec_lo, exec_lo, s54
	s_cbranch_execnz .LBB46_484
; %bb.485:
	s_or_b32 exec_lo, exec_lo, s54
.LBB46_486:
	s_or_b32 exec_lo, exec_lo, s8
	v_mov_b32_e32 v10, 0
	ds_read_b128 v[10:13], v10 offset:240
	s_waitcnt lgkmcnt(0)
	v_mul_f64 v[14:15], v[3:4], v[12:13]
	v_mul_f64 v[12:13], v[1:2], v[12:13]
	v_fma_f64 v[1:2], v[1:2], v[10:11], -v[14:15]
	v_fma_f64 v[3:4], v[3:4], v[10:11], v[12:13]
	buffer_store_dword v2, off, s[0:3], 0 offset:244
	buffer_store_dword v1, off, s[0:3], 0 offset:240
	;; [unrolled: 1-line block ×4, first 2 shown]
.LBB46_487:
	s_or_b32 exec_lo, exec_lo, s4
	v_mov_b32_e32 v4, s38
	s_mov_b32 s4, exec_lo
	s_clause 0x3
	buffer_load_dword v1, v4, s[0:3], 0 offen
	buffer_load_dword v2, v4, s[0:3], 0 offen offset:4
	buffer_load_dword v3, v4, s[0:3], 0 offen offset:8
	;; [unrolled: 1-line block ×3, first 2 shown]
	s_waitcnt vmcnt(0)
	ds_write_b128 v8, v[1:4]
	s_waitcnt lgkmcnt(0)
	s_waitcnt_vscnt null, 0x0
	s_barrier
	buffer_gl0_inv
	v_cmpx_gt_u32_e32 16, v0
	s_cbranch_execz .LBB46_495
; %bb.488:
	ds_read_b128 v[1:4], v8
	v_cmp_ne_u32_e32 vcc_lo, 1, v9
	s_cbranch_vccnz .LBB46_490
; %bb.489:
	s_clause 0x3
	buffer_load_dword v10, v7, s[0:3], 0 offen offset:8
	buffer_load_dword v11, v7, s[0:3], 0 offen offset:12
	buffer_load_dword v12, v7, s[0:3], 0 offen
	buffer_load_dword v13, v7, s[0:3], 0 offen offset:4
	s_waitcnt vmcnt(2) lgkmcnt(0)
	v_mul_f64 v[14:15], v[3:4], v[10:11]
	v_mul_f64 v[10:11], v[1:2], v[10:11]
	s_waitcnt vmcnt(0)
	v_fma_f64 v[1:2], v[1:2], v[12:13], -v[14:15]
	v_fma_f64 v[3:4], v[3:4], v[12:13], v[10:11]
.LBB46_490:
	s_mov_b32 s8, exec_lo
	v_cmpx_ne_u32_e32 15, v0
	s_cbranch_execz .LBB46_494
; %bb.491:
	v_add_nc_u32_e32 v10, 0x300, v117
	v_add3_u32 v11, 0, v117, 16
	v_mov_b32_e32 v12, v0
	s_mov_b32 s54, 0
	.p2align	6
.LBB46_492:                             ; =>This Inner Loop Header: Depth=1
	s_clause 0x3
	buffer_load_dword v17, v11, s[0:3], 0 offen offset:8
	buffer_load_dword v18, v11, s[0:3], 0 offen offset:12
	buffer_load_dword v19, v11, s[0:3], 0 offen
	buffer_load_dword v20, v11, s[0:3], 0 offen offset:4
	ds_read_b128 v[13:16], v10
	v_add_nc_u32_e32 v12, 1, v12
	v_add_nc_u32_e32 v10, 16, v10
	;; [unrolled: 1-line block ×3, first 2 shown]
	v_cmp_lt_u32_e32 vcc_lo, 14, v12
	s_or_b32 s54, vcc_lo, s54
	s_waitcnt vmcnt(2) lgkmcnt(0)
	v_mul_f64 v[21:22], v[15:16], v[17:18]
	v_mul_f64 v[17:18], v[13:14], v[17:18]
	s_waitcnt vmcnt(0)
	v_fma_f64 v[13:14], v[13:14], v[19:20], -v[21:22]
	v_fma_f64 v[15:16], v[15:16], v[19:20], v[17:18]
	v_add_f64 v[1:2], v[1:2], v[13:14]
	v_add_f64 v[3:4], v[3:4], v[15:16]
	s_andn2_b32 exec_lo, exec_lo, s54
	s_cbranch_execnz .LBB46_492
; %bb.493:
	s_or_b32 exec_lo, exec_lo, s54
.LBB46_494:
	s_or_b32 exec_lo, exec_lo, s8
	v_mov_b32_e32 v10, 0
	ds_read_b128 v[10:13], v10 offset:256
	s_waitcnt lgkmcnt(0)
	v_mul_f64 v[14:15], v[3:4], v[12:13]
	v_mul_f64 v[12:13], v[1:2], v[12:13]
	v_fma_f64 v[1:2], v[1:2], v[10:11], -v[14:15]
	v_fma_f64 v[3:4], v[3:4], v[10:11], v[12:13]
	buffer_store_dword v2, off, s[0:3], 0 offset:260
	buffer_store_dword v1, off, s[0:3], 0 offset:256
	;; [unrolled: 1-line block ×4, first 2 shown]
.LBB46_495:
	s_or_b32 exec_lo, exec_lo, s4
	v_mov_b32_e32 v4, s37
	s_mov_b32 s4, exec_lo
	s_clause 0x3
	buffer_load_dword v1, v4, s[0:3], 0 offen
	buffer_load_dword v2, v4, s[0:3], 0 offen offset:4
	buffer_load_dword v3, v4, s[0:3], 0 offen offset:8
	;; [unrolled: 1-line block ×3, first 2 shown]
	s_waitcnt vmcnt(0)
	ds_write_b128 v8, v[1:4]
	s_waitcnt lgkmcnt(0)
	s_waitcnt_vscnt null, 0x0
	s_barrier
	buffer_gl0_inv
	v_cmpx_gt_u32_e32 17, v0
	s_cbranch_execz .LBB46_503
; %bb.496:
	ds_read_b128 v[1:4], v8
	v_cmp_ne_u32_e32 vcc_lo, 1, v9
	s_cbranch_vccnz .LBB46_498
; %bb.497:
	s_clause 0x3
	buffer_load_dword v10, v7, s[0:3], 0 offen offset:8
	buffer_load_dword v11, v7, s[0:3], 0 offen offset:12
	buffer_load_dword v12, v7, s[0:3], 0 offen
	buffer_load_dword v13, v7, s[0:3], 0 offen offset:4
	s_waitcnt vmcnt(2) lgkmcnt(0)
	v_mul_f64 v[14:15], v[3:4], v[10:11]
	v_mul_f64 v[10:11], v[1:2], v[10:11]
	s_waitcnt vmcnt(0)
	v_fma_f64 v[1:2], v[1:2], v[12:13], -v[14:15]
	v_fma_f64 v[3:4], v[3:4], v[12:13], v[10:11]
.LBB46_498:
	s_mov_b32 s8, exec_lo
	v_cmpx_ne_u32_e32 16, v0
	s_cbranch_execz .LBB46_502
; %bb.499:
	v_add_nc_u32_e32 v10, 0x300, v117
	v_add3_u32 v11, 0, v117, 16
	v_mov_b32_e32 v12, v0
	s_mov_b32 s54, 0
	.p2align	6
.LBB46_500:                             ; =>This Inner Loop Header: Depth=1
	s_clause 0x3
	buffer_load_dword v17, v11, s[0:3], 0 offen offset:8
	buffer_load_dword v18, v11, s[0:3], 0 offen offset:12
	buffer_load_dword v19, v11, s[0:3], 0 offen
	buffer_load_dword v20, v11, s[0:3], 0 offen offset:4
	ds_read_b128 v[13:16], v10
	v_add_nc_u32_e32 v12, 1, v12
	v_add_nc_u32_e32 v10, 16, v10
	;; [unrolled: 1-line block ×3, first 2 shown]
	v_cmp_lt_u32_e32 vcc_lo, 15, v12
	s_or_b32 s54, vcc_lo, s54
	s_waitcnt vmcnt(2) lgkmcnt(0)
	v_mul_f64 v[21:22], v[15:16], v[17:18]
	v_mul_f64 v[17:18], v[13:14], v[17:18]
	s_waitcnt vmcnt(0)
	v_fma_f64 v[13:14], v[13:14], v[19:20], -v[21:22]
	v_fma_f64 v[15:16], v[15:16], v[19:20], v[17:18]
	v_add_f64 v[1:2], v[1:2], v[13:14]
	v_add_f64 v[3:4], v[3:4], v[15:16]
	s_andn2_b32 exec_lo, exec_lo, s54
	s_cbranch_execnz .LBB46_500
; %bb.501:
	s_or_b32 exec_lo, exec_lo, s54
.LBB46_502:
	s_or_b32 exec_lo, exec_lo, s8
	v_mov_b32_e32 v10, 0
	ds_read_b128 v[10:13], v10 offset:272
	s_waitcnt lgkmcnt(0)
	v_mul_f64 v[14:15], v[3:4], v[12:13]
	v_mul_f64 v[12:13], v[1:2], v[12:13]
	v_fma_f64 v[1:2], v[1:2], v[10:11], -v[14:15]
	v_fma_f64 v[3:4], v[3:4], v[10:11], v[12:13]
	buffer_store_dword v2, off, s[0:3], 0 offset:276
	buffer_store_dword v1, off, s[0:3], 0 offset:272
	;; [unrolled: 1-line block ×4, first 2 shown]
.LBB46_503:
	s_or_b32 exec_lo, exec_lo, s4
	v_mov_b32_e32 v4, s36
	s_mov_b32 s4, exec_lo
	s_clause 0x3
	buffer_load_dword v1, v4, s[0:3], 0 offen
	buffer_load_dword v2, v4, s[0:3], 0 offen offset:4
	buffer_load_dword v3, v4, s[0:3], 0 offen offset:8
	;; [unrolled: 1-line block ×3, first 2 shown]
	s_waitcnt vmcnt(0)
	ds_write_b128 v8, v[1:4]
	s_waitcnt lgkmcnt(0)
	s_waitcnt_vscnt null, 0x0
	s_barrier
	buffer_gl0_inv
	v_cmpx_gt_u32_e32 18, v0
	s_cbranch_execz .LBB46_511
; %bb.504:
	ds_read_b128 v[1:4], v8
	v_cmp_ne_u32_e32 vcc_lo, 1, v9
	s_cbranch_vccnz .LBB46_506
; %bb.505:
	s_clause 0x3
	buffer_load_dword v10, v7, s[0:3], 0 offen offset:8
	buffer_load_dword v11, v7, s[0:3], 0 offen offset:12
	buffer_load_dword v12, v7, s[0:3], 0 offen
	buffer_load_dword v13, v7, s[0:3], 0 offen offset:4
	s_waitcnt vmcnt(2) lgkmcnt(0)
	v_mul_f64 v[14:15], v[3:4], v[10:11]
	v_mul_f64 v[10:11], v[1:2], v[10:11]
	s_waitcnt vmcnt(0)
	v_fma_f64 v[1:2], v[1:2], v[12:13], -v[14:15]
	v_fma_f64 v[3:4], v[3:4], v[12:13], v[10:11]
.LBB46_506:
	s_mov_b32 s8, exec_lo
	v_cmpx_ne_u32_e32 17, v0
	s_cbranch_execz .LBB46_510
; %bb.507:
	v_add_nc_u32_e32 v10, 0x300, v117
	v_add3_u32 v11, 0, v117, 16
	v_mov_b32_e32 v12, v0
	s_mov_b32 s54, 0
	.p2align	6
.LBB46_508:                             ; =>This Inner Loop Header: Depth=1
	s_clause 0x3
	buffer_load_dword v17, v11, s[0:3], 0 offen offset:8
	buffer_load_dword v18, v11, s[0:3], 0 offen offset:12
	buffer_load_dword v19, v11, s[0:3], 0 offen
	buffer_load_dword v20, v11, s[0:3], 0 offen offset:4
	ds_read_b128 v[13:16], v10
	v_add_nc_u32_e32 v12, 1, v12
	v_add_nc_u32_e32 v10, 16, v10
	;; [unrolled: 1-line block ×3, first 2 shown]
	v_cmp_lt_u32_e32 vcc_lo, 16, v12
	s_or_b32 s54, vcc_lo, s54
	s_waitcnt vmcnt(2) lgkmcnt(0)
	v_mul_f64 v[21:22], v[15:16], v[17:18]
	v_mul_f64 v[17:18], v[13:14], v[17:18]
	s_waitcnt vmcnt(0)
	v_fma_f64 v[13:14], v[13:14], v[19:20], -v[21:22]
	v_fma_f64 v[15:16], v[15:16], v[19:20], v[17:18]
	v_add_f64 v[1:2], v[1:2], v[13:14]
	v_add_f64 v[3:4], v[3:4], v[15:16]
	s_andn2_b32 exec_lo, exec_lo, s54
	s_cbranch_execnz .LBB46_508
; %bb.509:
	s_or_b32 exec_lo, exec_lo, s54
.LBB46_510:
	s_or_b32 exec_lo, exec_lo, s8
	v_mov_b32_e32 v10, 0
	ds_read_b128 v[10:13], v10 offset:288
	s_waitcnt lgkmcnt(0)
	v_mul_f64 v[14:15], v[3:4], v[12:13]
	v_mul_f64 v[12:13], v[1:2], v[12:13]
	v_fma_f64 v[1:2], v[1:2], v[10:11], -v[14:15]
	v_fma_f64 v[3:4], v[3:4], v[10:11], v[12:13]
	buffer_store_dword v2, off, s[0:3], 0 offset:292
	buffer_store_dword v1, off, s[0:3], 0 offset:288
	;; [unrolled: 1-line block ×4, first 2 shown]
.LBB46_511:
	s_or_b32 exec_lo, exec_lo, s4
	v_mov_b32_e32 v4, s35
	s_mov_b32 s4, exec_lo
	s_clause 0x3
	buffer_load_dword v1, v4, s[0:3], 0 offen
	buffer_load_dword v2, v4, s[0:3], 0 offen offset:4
	buffer_load_dword v3, v4, s[0:3], 0 offen offset:8
	;; [unrolled: 1-line block ×3, first 2 shown]
	s_waitcnt vmcnt(0)
	ds_write_b128 v8, v[1:4]
	s_waitcnt lgkmcnt(0)
	s_waitcnt_vscnt null, 0x0
	s_barrier
	buffer_gl0_inv
	v_cmpx_gt_u32_e32 19, v0
	s_cbranch_execz .LBB46_519
; %bb.512:
	ds_read_b128 v[1:4], v8
	v_cmp_ne_u32_e32 vcc_lo, 1, v9
	s_cbranch_vccnz .LBB46_514
; %bb.513:
	s_clause 0x3
	buffer_load_dword v10, v7, s[0:3], 0 offen offset:8
	buffer_load_dword v11, v7, s[0:3], 0 offen offset:12
	buffer_load_dword v12, v7, s[0:3], 0 offen
	buffer_load_dword v13, v7, s[0:3], 0 offen offset:4
	s_waitcnt vmcnt(2) lgkmcnt(0)
	v_mul_f64 v[14:15], v[3:4], v[10:11]
	v_mul_f64 v[10:11], v[1:2], v[10:11]
	s_waitcnt vmcnt(0)
	v_fma_f64 v[1:2], v[1:2], v[12:13], -v[14:15]
	v_fma_f64 v[3:4], v[3:4], v[12:13], v[10:11]
.LBB46_514:
	s_mov_b32 s8, exec_lo
	v_cmpx_ne_u32_e32 18, v0
	s_cbranch_execz .LBB46_518
; %bb.515:
	v_add_nc_u32_e32 v10, 0x300, v117
	v_add3_u32 v11, 0, v117, 16
	v_mov_b32_e32 v12, v0
	s_mov_b32 s54, 0
	.p2align	6
.LBB46_516:                             ; =>This Inner Loop Header: Depth=1
	s_clause 0x3
	buffer_load_dword v17, v11, s[0:3], 0 offen offset:8
	buffer_load_dword v18, v11, s[0:3], 0 offen offset:12
	buffer_load_dword v19, v11, s[0:3], 0 offen
	buffer_load_dword v20, v11, s[0:3], 0 offen offset:4
	ds_read_b128 v[13:16], v10
	v_add_nc_u32_e32 v12, 1, v12
	v_add_nc_u32_e32 v10, 16, v10
	;; [unrolled: 1-line block ×3, first 2 shown]
	v_cmp_lt_u32_e32 vcc_lo, 17, v12
	s_or_b32 s54, vcc_lo, s54
	s_waitcnt vmcnt(2) lgkmcnt(0)
	v_mul_f64 v[21:22], v[15:16], v[17:18]
	v_mul_f64 v[17:18], v[13:14], v[17:18]
	s_waitcnt vmcnt(0)
	v_fma_f64 v[13:14], v[13:14], v[19:20], -v[21:22]
	v_fma_f64 v[15:16], v[15:16], v[19:20], v[17:18]
	v_add_f64 v[1:2], v[1:2], v[13:14]
	v_add_f64 v[3:4], v[3:4], v[15:16]
	s_andn2_b32 exec_lo, exec_lo, s54
	s_cbranch_execnz .LBB46_516
; %bb.517:
	s_or_b32 exec_lo, exec_lo, s54
.LBB46_518:
	s_or_b32 exec_lo, exec_lo, s8
	v_mov_b32_e32 v10, 0
	ds_read_b128 v[10:13], v10 offset:304
	s_waitcnt lgkmcnt(0)
	v_mul_f64 v[14:15], v[3:4], v[12:13]
	v_mul_f64 v[12:13], v[1:2], v[12:13]
	v_fma_f64 v[1:2], v[1:2], v[10:11], -v[14:15]
	v_fma_f64 v[3:4], v[3:4], v[10:11], v[12:13]
	buffer_store_dword v2, off, s[0:3], 0 offset:308
	buffer_store_dword v1, off, s[0:3], 0 offset:304
	;; [unrolled: 1-line block ×4, first 2 shown]
.LBB46_519:
	s_or_b32 exec_lo, exec_lo, s4
	v_mov_b32_e32 v4, s34
	s_mov_b32 s4, exec_lo
	s_clause 0x3
	buffer_load_dword v1, v4, s[0:3], 0 offen
	buffer_load_dword v2, v4, s[0:3], 0 offen offset:4
	buffer_load_dword v3, v4, s[0:3], 0 offen offset:8
	;; [unrolled: 1-line block ×3, first 2 shown]
	s_waitcnt vmcnt(0)
	ds_write_b128 v8, v[1:4]
	s_waitcnt lgkmcnt(0)
	s_waitcnt_vscnt null, 0x0
	s_barrier
	buffer_gl0_inv
	v_cmpx_gt_u32_e32 20, v0
	s_cbranch_execz .LBB46_527
; %bb.520:
	ds_read_b128 v[1:4], v8
	v_cmp_ne_u32_e32 vcc_lo, 1, v9
	s_cbranch_vccnz .LBB46_522
; %bb.521:
	s_clause 0x3
	buffer_load_dword v10, v7, s[0:3], 0 offen offset:8
	buffer_load_dword v11, v7, s[0:3], 0 offen offset:12
	buffer_load_dword v12, v7, s[0:3], 0 offen
	buffer_load_dword v13, v7, s[0:3], 0 offen offset:4
	s_waitcnt vmcnt(2) lgkmcnt(0)
	v_mul_f64 v[14:15], v[3:4], v[10:11]
	v_mul_f64 v[10:11], v[1:2], v[10:11]
	s_waitcnt vmcnt(0)
	v_fma_f64 v[1:2], v[1:2], v[12:13], -v[14:15]
	v_fma_f64 v[3:4], v[3:4], v[12:13], v[10:11]
.LBB46_522:
	s_mov_b32 s8, exec_lo
	v_cmpx_ne_u32_e32 19, v0
	s_cbranch_execz .LBB46_526
; %bb.523:
	v_add_nc_u32_e32 v10, 0x300, v117
	v_add3_u32 v11, 0, v117, 16
	v_mov_b32_e32 v12, v0
	s_mov_b32 s54, 0
	.p2align	6
.LBB46_524:                             ; =>This Inner Loop Header: Depth=1
	s_clause 0x3
	buffer_load_dword v17, v11, s[0:3], 0 offen offset:8
	buffer_load_dword v18, v11, s[0:3], 0 offen offset:12
	buffer_load_dword v19, v11, s[0:3], 0 offen
	buffer_load_dword v20, v11, s[0:3], 0 offen offset:4
	ds_read_b128 v[13:16], v10
	v_add_nc_u32_e32 v12, 1, v12
	v_add_nc_u32_e32 v10, 16, v10
	;; [unrolled: 1-line block ×3, first 2 shown]
	v_cmp_lt_u32_e32 vcc_lo, 18, v12
	s_or_b32 s54, vcc_lo, s54
	s_waitcnt vmcnt(2) lgkmcnt(0)
	v_mul_f64 v[21:22], v[15:16], v[17:18]
	v_mul_f64 v[17:18], v[13:14], v[17:18]
	s_waitcnt vmcnt(0)
	v_fma_f64 v[13:14], v[13:14], v[19:20], -v[21:22]
	v_fma_f64 v[15:16], v[15:16], v[19:20], v[17:18]
	v_add_f64 v[1:2], v[1:2], v[13:14]
	v_add_f64 v[3:4], v[3:4], v[15:16]
	s_andn2_b32 exec_lo, exec_lo, s54
	s_cbranch_execnz .LBB46_524
; %bb.525:
	s_or_b32 exec_lo, exec_lo, s54
.LBB46_526:
	s_or_b32 exec_lo, exec_lo, s8
	v_mov_b32_e32 v10, 0
	ds_read_b128 v[10:13], v10 offset:320
	s_waitcnt lgkmcnt(0)
	v_mul_f64 v[14:15], v[3:4], v[12:13]
	v_mul_f64 v[12:13], v[1:2], v[12:13]
	v_fma_f64 v[1:2], v[1:2], v[10:11], -v[14:15]
	v_fma_f64 v[3:4], v[3:4], v[10:11], v[12:13]
	buffer_store_dword v2, off, s[0:3], 0 offset:324
	buffer_store_dword v1, off, s[0:3], 0 offset:320
	;; [unrolled: 1-line block ×4, first 2 shown]
.LBB46_527:
	s_or_b32 exec_lo, exec_lo, s4
	v_mov_b32_e32 v4, s33
	s_mov_b32 s4, exec_lo
	s_clause 0x3
	buffer_load_dword v1, v4, s[0:3], 0 offen
	buffer_load_dword v2, v4, s[0:3], 0 offen offset:4
	buffer_load_dword v3, v4, s[0:3], 0 offen offset:8
	;; [unrolled: 1-line block ×3, first 2 shown]
	s_waitcnt vmcnt(0)
	ds_write_b128 v8, v[1:4]
	s_waitcnt lgkmcnt(0)
	s_waitcnt_vscnt null, 0x0
	s_barrier
	buffer_gl0_inv
	v_cmpx_gt_u32_e32 21, v0
	s_cbranch_execz .LBB46_535
; %bb.528:
	ds_read_b128 v[1:4], v8
	v_cmp_ne_u32_e32 vcc_lo, 1, v9
	s_cbranch_vccnz .LBB46_530
; %bb.529:
	s_clause 0x3
	buffer_load_dword v10, v7, s[0:3], 0 offen offset:8
	buffer_load_dword v11, v7, s[0:3], 0 offen offset:12
	buffer_load_dword v12, v7, s[0:3], 0 offen
	buffer_load_dword v13, v7, s[0:3], 0 offen offset:4
	s_waitcnt vmcnt(2) lgkmcnt(0)
	v_mul_f64 v[14:15], v[3:4], v[10:11]
	v_mul_f64 v[10:11], v[1:2], v[10:11]
	s_waitcnt vmcnt(0)
	v_fma_f64 v[1:2], v[1:2], v[12:13], -v[14:15]
	v_fma_f64 v[3:4], v[3:4], v[12:13], v[10:11]
.LBB46_530:
	s_mov_b32 s8, exec_lo
	v_cmpx_ne_u32_e32 20, v0
	s_cbranch_execz .LBB46_534
; %bb.531:
	v_add_nc_u32_e32 v10, 0x300, v117
	v_add3_u32 v11, 0, v117, 16
	v_mov_b32_e32 v12, v0
	s_mov_b32 s54, 0
	.p2align	6
.LBB46_532:                             ; =>This Inner Loop Header: Depth=1
	s_clause 0x3
	buffer_load_dword v17, v11, s[0:3], 0 offen offset:8
	buffer_load_dword v18, v11, s[0:3], 0 offen offset:12
	buffer_load_dword v19, v11, s[0:3], 0 offen
	buffer_load_dword v20, v11, s[0:3], 0 offen offset:4
	ds_read_b128 v[13:16], v10
	v_add_nc_u32_e32 v12, 1, v12
	v_add_nc_u32_e32 v10, 16, v10
	;; [unrolled: 1-line block ×3, first 2 shown]
	v_cmp_lt_u32_e32 vcc_lo, 19, v12
	s_or_b32 s54, vcc_lo, s54
	s_waitcnt vmcnt(2) lgkmcnt(0)
	v_mul_f64 v[21:22], v[15:16], v[17:18]
	v_mul_f64 v[17:18], v[13:14], v[17:18]
	s_waitcnt vmcnt(0)
	v_fma_f64 v[13:14], v[13:14], v[19:20], -v[21:22]
	v_fma_f64 v[15:16], v[15:16], v[19:20], v[17:18]
	v_add_f64 v[1:2], v[1:2], v[13:14]
	v_add_f64 v[3:4], v[3:4], v[15:16]
	s_andn2_b32 exec_lo, exec_lo, s54
	s_cbranch_execnz .LBB46_532
; %bb.533:
	s_or_b32 exec_lo, exec_lo, s54
.LBB46_534:
	s_or_b32 exec_lo, exec_lo, s8
	v_mov_b32_e32 v10, 0
	ds_read_b128 v[10:13], v10 offset:336
	s_waitcnt lgkmcnt(0)
	v_mul_f64 v[14:15], v[3:4], v[12:13]
	v_mul_f64 v[12:13], v[1:2], v[12:13]
	v_fma_f64 v[1:2], v[1:2], v[10:11], -v[14:15]
	v_fma_f64 v[3:4], v[3:4], v[10:11], v[12:13]
	buffer_store_dword v2, off, s[0:3], 0 offset:340
	buffer_store_dword v1, off, s[0:3], 0 offset:336
	;; [unrolled: 1-line block ×4, first 2 shown]
.LBB46_535:
	s_or_b32 exec_lo, exec_lo, s4
	v_mov_b32_e32 v4, s31
	s_mov_b32 s4, exec_lo
	s_clause 0x3
	buffer_load_dword v1, v4, s[0:3], 0 offen
	buffer_load_dword v2, v4, s[0:3], 0 offen offset:4
	buffer_load_dword v3, v4, s[0:3], 0 offen offset:8
	;; [unrolled: 1-line block ×3, first 2 shown]
	s_waitcnt vmcnt(0)
	ds_write_b128 v8, v[1:4]
	s_waitcnt lgkmcnt(0)
	s_waitcnt_vscnt null, 0x0
	s_barrier
	buffer_gl0_inv
	v_cmpx_gt_u32_e32 22, v0
	s_cbranch_execz .LBB46_543
; %bb.536:
	ds_read_b128 v[1:4], v8
	v_cmp_ne_u32_e32 vcc_lo, 1, v9
	s_cbranch_vccnz .LBB46_538
; %bb.537:
	s_clause 0x3
	buffer_load_dword v10, v7, s[0:3], 0 offen offset:8
	buffer_load_dword v11, v7, s[0:3], 0 offen offset:12
	buffer_load_dword v12, v7, s[0:3], 0 offen
	buffer_load_dword v13, v7, s[0:3], 0 offen offset:4
	s_waitcnt vmcnt(2) lgkmcnt(0)
	v_mul_f64 v[14:15], v[3:4], v[10:11]
	v_mul_f64 v[10:11], v[1:2], v[10:11]
	s_waitcnt vmcnt(0)
	v_fma_f64 v[1:2], v[1:2], v[12:13], -v[14:15]
	v_fma_f64 v[3:4], v[3:4], v[12:13], v[10:11]
.LBB46_538:
	s_mov_b32 s8, exec_lo
	v_cmpx_ne_u32_e32 21, v0
	s_cbranch_execz .LBB46_542
; %bb.539:
	v_add_nc_u32_e32 v10, 0x300, v117
	v_add3_u32 v11, 0, v117, 16
	v_mov_b32_e32 v12, v0
	s_mov_b32 s54, 0
	.p2align	6
.LBB46_540:                             ; =>This Inner Loop Header: Depth=1
	s_clause 0x3
	buffer_load_dword v17, v11, s[0:3], 0 offen offset:8
	buffer_load_dword v18, v11, s[0:3], 0 offen offset:12
	buffer_load_dword v19, v11, s[0:3], 0 offen
	buffer_load_dword v20, v11, s[0:3], 0 offen offset:4
	ds_read_b128 v[13:16], v10
	v_add_nc_u32_e32 v12, 1, v12
	v_add_nc_u32_e32 v10, 16, v10
	;; [unrolled: 1-line block ×3, first 2 shown]
	v_cmp_lt_u32_e32 vcc_lo, 20, v12
	s_or_b32 s54, vcc_lo, s54
	s_waitcnt vmcnt(2) lgkmcnt(0)
	v_mul_f64 v[21:22], v[15:16], v[17:18]
	v_mul_f64 v[17:18], v[13:14], v[17:18]
	s_waitcnt vmcnt(0)
	v_fma_f64 v[13:14], v[13:14], v[19:20], -v[21:22]
	v_fma_f64 v[15:16], v[15:16], v[19:20], v[17:18]
	v_add_f64 v[1:2], v[1:2], v[13:14]
	v_add_f64 v[3:4], v[3:4], v[15:16]
	s_andn2_b32 exec_lo, exec_lo, s54
	s_cbranch_execnz .LBB46_540
; %bb.541:
	s_or_b32 exec_lo, exec_lo, s54
.LBB46_542:
	s_or_b32 exec_lo, exec_lo, s8
	v_mov_b32_e32 v10, 0
	ds_read_b128 v[10:13], v10 offset:352
	s_waitcnt lgkmcnt(0)
	v_mul_f64 v[14:15], v[3:4], v[12:13]
	v_mul_f64 v[12:13], v[1:2], v[12:13]
	v_fma_f64 v[1:2], v[1:2], v[10:11], -v[14:15]
	v_fma_f64 v[3:4], v[3:4], v[10:11], v[12:13]
	buffer_store_dword v2, off, s[0:3], 0 offset:356
	buffer_store_dword v1, off, s[0:3], 0 offset:352
	;; [unrolled: 1-line block ×4, first 2 shown]
.LBB46_543:
	s_or_b32 exec_lo, exec_lo, s4
	v_mov_b32_e32 v4, s30
	s_mov_b32 s4, exec_lo
	s_clause 0x3
	buffer_load_dword v1, v4, s[0:3], 0 offen
	buffer_load_dword v2, v4, s[0:3], 0 offen offset:4
	buffer_load_dword v3, v4, s[0:3], 0 offen offset:8
	;; [unrolled: 1-line block ×3, first 2 shown]
	s_waitcnt vmcnt(0)
	ds_write_b128 v8, v[1:4]
	s_waitcnt lgkmcnt(0)
	s_waitcnt_vscnt null, 0x0
	s_barrier
	buffer_gl0_inv
	v_cmpx_gt_u32_e32 23, v0
	s_cbranch_execz .LBB46_551
; %bb.544:
	ds_read_b128 v[1:4], v8
	v_cmp_ne_u32_e32 vcc_lo, 1, v9
	s_cbranch_vccnz .LBB46_546
; %bb.545:
	s_clause 0x3
	buffer_load_dword v10, v7, s[0:3], 0 offen offset:8
	buffer_load_dword v11, v7, s[0:3], 0 offen offset:12
	buffer_load_dword v12, v7, s[0:3], 0 offen
	buffer_load_dword v13, v7, s[0:3], 0 offen offset:4
	s_waitcnt vmcnt(2) lgkmcnt(0)
	v_mul_f64 v[14:15], v[3:4], v[10:11]
	v_mul_f64 v[10:11], v[1:2], v[10:11]
	s_waitcnt vmcnt(0)
	v_fma_f64 v[1:2], v[1:2], v[12:13], -v[14:15]
	v_fma_f64 v[3:4], v[3:4], v[12:13], v[10:11]
.LBB46_546:
	s_mov_b32 s8, exec_lo
	v_cmpx_ne_u32_e32 22, v0
	s_cbranch_execz .LBB46_550
; %bb.547:
	v_add_nc_u32_e32 v10, 0x300, v117
	v_add3_u32 v11, 0, v117, 16
	v_mov_b32_e32 v12, v0
	s_mov_b32 s54, 0
	.p2align	6
.LBB46_548:                             ; =>This Inner Loop Header: Depth=1
	s_clause 0x3
	buffer_load_dword v17, v11, s[0:3], 0 offen offset:8
	buffer_load_dword v18, v11, s[0:3], 0 offen offset:12
	buffer_load_dword v19, v11, s[0:3], 0 offen
	buffer_load_dword v20, v11, s[0:3], 0 offen offset:4
	ds_read_b128 v[13:16], v10
	v_add_nc_u32_e32 v12, 1, v12
	v_add_nc_u32_e32 v10, 16, v10
	;; [unrolled: 1-line block ×3, first 2 shown]
	v_cmp_lt_u32_e32 vcc_lo, 21, v12
	s_or_b32 s54, vcc_lo, s54
	s_waitcnt vmcnt(2) lgkmcnt(0)
	v_mul_f64 v[21:22], v[15:16], v[17:18]
	v_mul_f64 v[17:18], v[13:14], v[17:18]
	s_waitcnt vmcnt(0)
	v_fma_f64 v[13:14], v[13:14], v[19:20], -v[21:22]
	v_fma_f64 v[15:16], v[15:16], v[19:20], v[17:18]
	v_add_f64 v[1:2], v[1:2], v[13:14]
	v_add_f64 v[3:4], v[3:4], v[15:16]
	s_andn2_b32 exec_lo, exec_lo, s54
	s_cbranch_execnz .LBB46_548
; %bb.549:
	s_or_b32 exec_lo, exec_lo, s54
.LBB46_550:
	s_or_b32 exec_lo, exec_lo, s8
	v_mov_b32_e32 v10, 0
	ds_read_b128 v[10:13], v10 offset:368
	s_waitcnt lgkmcnt(0)
	v_mul_f64 v[14:15], v[3:4], v[12:13]
	v_mul_f64 v[12:13], v[1:2], v[12:13]
	v_fma_f64 v[1:2], v[1:2], v[10:11], -v[14:15]
	v_fma_f64 v[3:4], v[3:4], v[10:11], v[12:13]
	buffer_store_dword v2, off, s[0:3], 0 offset:372
	buffer_store_dword v1, off, s[0:3], 0 offset:368
	;; [unrolled: 1-line block ×4, first 2 shown]
.LBB46_551:
	s_or_b32 exec_lo, exec_lo, s4
	v_mov_b32_e32 v4, s29
	s_mov_b32 s4, exec_lo
	s_clause 0x3
	buffer_load_dword v1, v4, s[0:3], 0 offen
	buffer_load_dword v2, v4, s[0:3], 0 offen offset:4
	buffer_load_dword v3, v4, s[0:3], 0 offen offset:8
	;; [unrolled: 1-line block ×3, first 2 shown]
	s_waitcnt vmcnt(0)
	ds_write_b128 v8, v[1:4]
	s_waitcnt lgkmcnt(0)
	s_waitcnt_vscnt null, 0x0
	s_barrier
	buffer_gl0_inv
	v_cmpx_gt_u32_e32 24, v0
	s_cbranch_execz .LBB46_559
; %bb.552:
	ds_read_b128 v[1:4], v8
	v_cmp_ne_u32_e32 vcc_lo, 1, v9
	s_cbranch_vccnz .LBB46_554
; %bb.553:
	s_clause 0x3
	buffer_load_dword v10, v7, s[0:3], 0 offen offset:8
	buffer_load_dword v11, v7, s[0:3], 0 offen offset:12
	buffer_load_dword v12, v7, s[0:3], 0 offen
	buffer_load_dword v13, v7, s[0:3], 0 offen offset:4
	s_waitcnt vmcnt(2) lgkmcnt(0)
	v_mul_f64 v[14:15], v[3:4], v[10:11]
	v_mul_f64 v[10:11], v[1:2], v[10:11]
	s_waitcnt vmcnt(0)
	v_fma_f64 v[1:2], v[1:2], v[12:13], -v[14:15]
	v_fma_f64 v[3:4], v[3:4], v[12:13], v[10:11]
.LBB46_554:
	s_mov_b32 s8, exec_lo
	v_cmpx_ne_u32_e32 23, v0
	s_cbranch_execz .LBB46_558
; %bb.555:
	v_add_nc_u32_e32 v10, 0x300, v117
	v_add3_u32 v11, 0, v117, 16
	v_mov_b32_e32 v12, v0
	s_mov_b32 s54, 0
	.p2align	6
.LBB46_556:                             ; =>This Inner Loop Header: Depth=1
	s_clause 0x3
	buffer_load_dword v17, v11, s[0:3], 0 offen offset:8
	buffer_load_dword v18, v11, s[0:3], 0 offen offset:12
	buffer_load_dword v19, v11, s[0:3], 0 offen
	buffer_load_dword v20, v11, s[0:3], 0 offen offset:4
	ds_read_b128 v[13:16], v10
	v_add_nc_u32_e32 v12, 1, v12
	v_add_nc_u32_e32 v10, 16, v10
	;; [unrolled: 1-line block ×3, first 2 shown]
	v_cmp_lt_u32_e32 vcc_lo, 22, v12
	s_or_b32 s54, vcc_lo, s54
	s_waitcnt vmcnt(2) lgkmcnt(0)
	v_mul_f64 v[21:22], v[15:16], v[17:18]
	v_mul_f64 v[17:18], v[13:14], v[17:18]
	s_waitcnt vmcnt(0)
	v_fma_f64 v[13:14], v[13:14], v[19:20], -v[21:22]
	v_fma_f64 v[15:16], v[15:16], v[19:20], v[17:18]
	v_add_f64 v[1:2], v[1:2], v[13:14]
	v_add_f64 v[3:4], v[3:4], v[15:16]
	s_andn2_b32 exec_lo, exec_lo, s54
	s_cbranch_execnz .LBB46_556
; %bb.557:
	s_or_b32 exec_lo, exec_lo, s54
.LBB46_558:
	s_or_b32 exec_lo, exec_lo, s8
	v_mov_b32_e32 v10, 0
	ds_read_b128 v[10:13], v10 offset:384
	s_waitcnt lgkmcnt(0)
	v_mul_f64 v[14:15], v[3:4], v[12:13]
	v_mul_f64 v[12:13], v[1:2], v[12:13]
	v_fma_f64 v[1:2], v[1:2], v[10:11], -v[14:15]
	v_fma_f64 v[3:4], v[3:4], v[10:11], v[12:13]
	buffer_store_dword v2, off, s[0:3], 0 offset:388
	buffer_store_dword v1, off, s[0:3], 0 offset:384
	;; [unrolled: 1-line block ×4, first 2 shown]
.LBB46_559:
	s_or_b32 exec_lo, exec_lo, s4
	v_mov_b32_e32 v4, s28
	s_mov_b32 s4, exec_lo
	s_clause 0x3
	buffer_load_dword v1, v4, s[0:3], 0 offen
	buffer_load_dword v2, v4, s[0:3], 0 offen offset:4
	buffer_load_dword v3, v4, s[0:3], 0 offen offset:8
	;; [unrolled: 1-line block ×3, first 2 shown]
	s_waitcnt vmcnt(0)
	ds_write_b128 v8, v[1:4]
	s_waitcnt lgkmcnt(0)
	s_waitcnt_vscnt null, 0x0
	s_barrier
	buffer_gl0_inv
	v_cmpx_gt_u32_e32 25, v0
	s_cbranch_execz .LBB46_567
; %bb.560:
	ds_read_b128 v[1:4], v8
	v_cmp_ne_u32_e32 vcc_lo, 1, v9
	s_cbranch_vccnz .LBB46_562
; %bb.561:
	s_clause 0x3
	buffer_load_dword v10, v7, s[0:3], 0 offen offset:8
	buffer_load_dword v11, v7, s[0:3], 0 offen offset:12
	buffer_load_dword v12, v7, s[0:3], 0 offen
	buffer_load_dword v13, v7, s[0:3], 0 offen offset:4
	s_waitcnt vmcnt(2) lgkmcnt(0)
	v_mul_f64 v[14:15], v[3:4], v[10:11]
	v_mul_f64 v[10:11], v[1:2], v[10:11]
	s_waitcnt vmcnt(0)
	v_fma_f64 v[1:2], v[1:2], v[12:13], -v[14:15]
	v_fma_f64 v[3:4], v[3:4], v[12:13], v[10:11]
.LBB46_562:
	s_mov_b32 s8, exec_lo
	v_cmpx_ne_u32_e32 24, v0
	s_cbranch_execz .LBB46_566
; %bb.563:
	v_add_nc_u32_e32 v10, 0x300, v117
	v_add3_u32 v11, 0, v117, 16
	v_mov_b32_e32 v12, v0
	s_mov_b32 s54, 0
	.p2align	6
.LBB46_564:                             ; =>This Inner Loop Header: Depth=1
	s_clause 0x3
	buffer_load_dword v17, v11, s[0:3], 0 offen offset:8
	buffer_load_dword v18, v11, s[0:3], 0 offen offset:12
	buffer_load_dword v19, v11, s[0:3], 0 offen
	buffer_load_dword v20, v11, s[0:3], 0 offen offset:4
	ds_read_b128 v[13:16], v10
	v_add_nc_u32_e32 v12, 1, v12
	v_add_nc_u32_e32 v10, 16, v10
	;; [unrolled: 1-line block ×3, first 2 shown]
	v_cmp_lt_u32_e32 vcc_lo, 23, v12
	s_or_b32 s54, vcc_lo, s54
	s_waitcnt vmcnt(2) lgkmcnt(0)
	v_mul_f64 v[21:22], v[15:16], v[17:18]
	v_mul_f64 v[17:18], v[13:14], v[17:18]
	s_waitcnt vmcnt(0)
	v_fma_f64 v[13:14], v[13:14], v[19:20], -v[21:22]
	v_fma_f64 v[15:16], v[15:16], v[19:20], v[17:18]
	v_add_f64 v[1:2], v[1:2], v[13:14]
	v_add_f64 v[3:4], v[3:4], v[15:16]
	s_andn2_b32 exec_lo, exec_lo, s54
	s_cbranch_execnz .LBB46_564
; %bb.565:
	s_or_b32 exec_lo, exec_lo, s54
.LBB46_566:
	s_or_b32 exec_lo, exec_lo, s8
	v_mov_b32_e32 v10, 0
	ds_read_b128 v[10:13], v10 offset:400
	s_waitcnt lgkmcnt(0)
	v_mul_f64 v[14:15], v[3:4], v[12:13]
	v_mul_f64 v[12:13], v[1:2], v[12:13]
	v_fma_f64 v[1:2], v[1:2], v[10:11], -v[14:15]
	v_fma_f64 v[3:4], v[3:4], v[10:11], v[12:13]
	buffer_store_dword v2, off, s[0:3], 0 offset:404
	buffer_store_dword v1, off, s[0:3], 0 offset:400
	;; [unrolled: 1-line block ×4, first 2 shown]
.LBB46_567:
	s_or_b32 exec_lo, exec_lo, s4
	v_mov_b32_e32 v4, s27
	s_mov_b32 s4, exec_lo
	s_clause 0x3
	buffer_load_dword v1, v4, s[0:3], 0 offen
	buffer_load_dword v2, v4, s[0:3], 0 offen offset:4
	buffer_load_dword v3, v4, s[0:3], 0 offen offset:8
	;; [unrolled: 1-line block ×3, first 2 shown]
	s_waitcnt vmcnt(0)
	ds_write_b128 v8, v[1:4]
	s_waitcnt lgkmcnt(0)
	s_waitcnt_vscnt null, 0x0
	s_barrier
	buffer_gl0_inv
	v_cmpx_gt_u32_e32 26, v0
	s_cbranch_execz .LBB46_575
; %bb.568:
	ds_read_b128 v[1:4], v8
	v_cmp_ne_u32_e32 vcc_lo, 1, v9
	s_cbranch_vccnz .LBB46_570
; %bb.569:
	s_clause 0x3
	buffer_load_dword v10, v7, s[0:3], 0 offen offset:8
	buffer_load_dword v11, v7, s[0:3], 0 offen offset:12
	buffer_load_dword v12, v7, s[0:3], 0 offen
	buffer_load_dword v13, v7, s[0:3], 0 offen offset:4
	s_waitcnt vmcnt(2) lgkmcnt(0)
	v_mul_f64 v[14:15], v[3:4], v[10:11]
	v_mul_f64 v[10:11], v[1:2], v[10:11]
	s_waitcnt vmcnt(0)
	v_fma_f64 v[1:2], v[1:2], v[12:13], -v[14:15]
	v_fma_f64 v[3:4], v[3:4], v[12:13], v[10:11]
.LBB46_570:
	s_mov_b32 s8, exec_lo
	v_cmpx_ne_u32_e32 25, v0
	s_cbranch_execz .LBB46_574
; %bb.571:
	v_add_nc_u32_e32 v10, 0x300, v117
	v_add3_u32 v11, 0, v117, 16
	v_mov_b32_e32 v12, v0
	s_mov_b32 s54, 0
	.p2align	6
.LBB46_572:                             ; =>This Inner Loop Header: Depth=1
	s_clause 0x3
	buffer_load_dword v17, v11, s[0:3], 0 offen offset:8
	buffer_load_dword v18, v11, s[0:3], 0 offen offset:12
	buffer_load_dword v19, v11, s[0:3], 0 offen
	buffer_load_dword v20, v11, s[0:3], 0 offen offset:4
	ds_read_b128 v[13:16], v10
	v_add_nc_u32_e32 v12, 1, v12
	v_add_nc_u32_e32 v10, 16, v10
	;; [unrolled: 1-line block ×3, first 2 shown]
	v_cmp_lt_u32_e32 vcc_lo, 24, v12
	s_or_b32 s54, vcc_lo, s54
	s_waitcnt vmcnt(2) lgkmcnt(0)
	v_mul_f64 v[21:22], v[15:16], v[17:18]
	v_mul_f64 v[17:18], v[13:14], v[17:18]
	s_waitcnt vmcnt(0)
	v_fma_f64 v[13:14], v[13:14], v[19:20], -v[21:22]
	v_fma_f64 v[15:16], v[15:16], v[19:20], v[17:18]
	v_add_f64 v[1:2], v[1:2], v[13:14]
	v_add_f64 v[3:4], v[3:4], v[15:16]
	s_andn2_b32 exec_lo, exec_lo, s54
	s_cbranch_execnz .LBB46_572
; %bb.573:
	s_or_b32 exec_lo, exec_lo, s54
.LBB46_574:
	s_or_b32 exec_lo, exec_lo, s8
	v_mov_b32_e32 v10, 0
	ds_read_b128 v[10:13], v10 offset:416
	s_waitcnt lgkmcnt(0)
	v_mul_f64 v[14:15], v[3:4], v[12:13]
	v_mul_f64 v[12:13], v[1:2], v[12:13]
	v_fma_f64 v[1:2], v[1:2], v[10:11], -v[14:15]
	v_fma_f64 v[3:4], v[3:4], v[10:11], v[12:13]
	buffer_store_dword v2, off, s[0:3], 0 offset:420
	buffer_store_dword v1, off, s[0:3], 0 offset:416
	;; [unrolled: 1-line block ×4, first 2 shown]
.LBB46_575:
	s_or_b32 exec_lo, exec_lo, s4
	v_mov_b32_e32 v4, s26
	s_mov_b32 s4, exec_lo
	s_clause 0x3
	buffer_load_dword v1, v4, s[0:3], 0 offen
	buffer_load_dword v2, v4, s[0:3], 0 offen offset:4
	buffer_load_dword v3, v4, s[0:3], 0 offen offset:8
	;; [unrolled: 1-line block ×3, first 2 shown]
	s_waitcnt vmcnt(0)
	ds_write_b128 v8, v[1:4]
	s_waitcnt lgkmcnt(0)
	s_waitcnt_vscnt null, 0x0
	s_barrier
	buffer_gl0_inv
	v_cmpx_gt_u32_e32 27, v0
	s_cbranch_execz .LBB46_583
; %bb.576:
	ds_read_b128 v[1:4], v8
	v_cmp_ne_u32_e32 vcc_lo, 1, v9
	s_cbranch_vccnz .LBB46_578
; %bb.577:
	s_clause 0x3
	buffer_load_dword v10, v7, s[0:3], 0 offen offset:8
	buffer_load_dword v11, v7, s[0:3], 0 offen offset:12
	buffer_load_dword v12, v7, s[0:3], 0 offen
	buffer_load_dword v13, v7, s[0:3], 0 offen offset:4
	s_waitcnt vmcnt(2) lgkmcnt(0)
	v_mul_f64 v[14:15], v[3:4], v[10:11]
	v_mul_f64 v[10:11], v[1:2], v[10:11]
	s_waitcnt vmcnt(0)
	v_fma_f64 v[1:2], v[1:2], v[12:13], -v[14:15]
	v_fma_f64 v[3:4], v[3:4], v[12:13], v[10:11]
.LBB46_578:
	s_mov_b32 s8, exec_lo
	v_cmpx_ne_u32_e32 26, v0
	s_cbranch_execz .LBB46_582
; %bb.579:
	v_add_nc_u32_e32 v10, 0x300, v117
	v_add3_u32 v11, 0, v117, 16
	v_mov_b32_e32 v12, v0
	s_mov_b32 s54, 0
	.p2align	6
.LBB46_580:                             ; =>This Inner Loop Header: Depth=1
	s_clause 0x3
	buffer_load_dword v17, v11, s[0:3], 0 offen offset:8
	buffer_load_dword v18, v11, s[0:3], 0 offen offset:12
	buffer_load_dword v19, v11, s[0:3], 0 offen
	buffer_load_dword v20, v11, s[0:3], 0 offen offset:4
	ds_read_b128 v[13:16], v10
	v_add_nc_u32_e32 v12, 1, v12
	v_add_nc_u32_e32 v10, 16, v10
	;; [unrolled: 1-line block ×3, first 2 shown]
	v_cmp_lt_u32_e32 vcc_lo, 25, v12
	s_or_b32 s54, vcc_lo, s54
	s_waitcnt vmcnt(2) lgkmcnt(0)
	v_mul_f64 v[21:22], v[15:16], v[17:18]
	v_mul_f64 v[17:18], v[13:14], v[17:18]
	s_waitcnt vmcnt(0)
	v_fma_f64 v[13:14], v[13:14], v[19:20], -v[21:22]
	v_fma_f64 v[15:16], v[15:16], v[19:20], v[17:18]
	v_add_f64 v[1:2], v[1:2], v[13:14]
	v_add_f64 v[3:4], v[3:4], v[15:16]
	s_andn2_b32 exec_lo, exec_lo, s54
	s_cbranch_execnz .LBB46_580
; %bb.581:
	s_or_b32 exec_lo, exec_lo, s54
.LBB46_582:
	s_or_b32 exec_lo, exec_lo, s8
	v_mov_b32_e32 v10, 0
	ds_read_b128 v[10:13], v10 offset:432
	s_waitcnt lgkmcnt(0)
	v_mul_f64 v[14:15], v[3:4], v[12:13]
	v_mul_f64 v[12:13], v[1:2], v[12:13]
	v_fma_f64 v[1:2], v[1:2], v[10:11], -v[14:15]
	v_fma_f64 v[3:4], v[3:4], v[10:11], v[12:13]
	buffer_store_dword v2, off, s[0:3], 0 offset:436
	buffer_store_dword v1, off, s[0:3], 0 offset:432
	;; [unrolled: 1-line block ×4, first 2 shown]
.LBB46_583:
	s_or_b32 exec_lo, exec_lo, s4
	v_mov_b32_e32 v4, s25
	s_mov_b32 s4, exec_lo
	s_clause 0x3
	buffer_load_dword v1, v4, s[0:3], 0 offen
	buffer_load_dword v2, v4, s[0:3], 0 offen offset:4
	buffer_load_dword v3, v4, s[0:3], 0 offen offset:8
	;; [unrolled: 1-line block ×3, first 2 shown]
	s_waitcnt vmcnt(0)
	ds_write_b128 v8, v[1:4]
	s_waitcnt lgkmcnt(0)
	s_waitcnt_vscnt null, 0x0
	s_barrier
	buffer_gl0_inv
	v_cmpx_gt_u32_e32 28, v0
	s_cbranch_execz .LBB46_591
; %bb.584:
	ds_read_b128 v[1:4], v8
	v_cmp_ne_u32_e32 vcc_lo, 1, v9
	s_cbranch_vccnz .LBB46_586
; %bb.585:
	s_clause 0x3
	buffer_load_dword v10, v7, s[0:3], 0 offen offset:8
	buffer_load_dword v11, v7, s[0:3], 0 offen offset:12
	buffer_load_dword v12, v7, s[0:3], 0 offen
	buffer_load_dword v13, v7, s[0:3], 0 offen offset:4
	s_waitcnt vmcnt(2) lgkmcnt(0)
	v_mul_f64 v[14:15], v[3:4], v[10:11]
	v_mul_f64 v[10:11], v[1:2], v[10:11]
	s_waitcnt vmcnt(0)
	v_fma_f64 v[1:2], v[1:2], v[12:13], -v[14:15]
	v_fma_f64 v[3:4], v[3:4], v[12:13], v[10:11]
.LBB46_586:
	s_mov_b32 s8, exec_lo
	v_cmpx_ne_u32_e32 27, v0
	s_cbranch_execz .LBB46_590
; %bb.587:
	v_add_nc_u32_e32 v10, 0x300, v117
	v_add3_u32 v11, 0, v117, 16
	v_mov_b32_e32 v12, v0
	s_mov_b32 s54, 0
	.p2align	6
.LBB46_588:                             ; =>This Inner Loop Header: Depth=1
	s_clause 0x3
	buffer_load_dword v17, v11, s[0:3], 0 offen offset:8
	buffer_load_dword v18, v11, s[0:3], 0 offen offset:12
	buffer_load_dword v19, v11, s[0:3], 0 offen
	buffer_load_dword v20, v11, s[0:3], 0 offen offset:4
	ds_read_b128 v[13:16], v10
	v_add_nc_u32_e32 v12, 1, v12
	v_add_nc_u32_e32 v10, 16, v10
	;; [unrolled: 1-line block ×3, first 2 shown]
	v_cmp_lt_u32_e32 vcc_lo, 26, v12
	s_or_b32 s54, vcc_lo, s54
	s_waitcnt vmcnt(2) lgkmcnt(0)
	v_mul_f64 v[21:22], v[15:16], v[17:18]
	v_mul_f64 v[17:18], v[13:14], v[17:18]
	s_waitcnt vmcnt(0)
	v_fma_f64 v[13:14], v[13:14], v[19:20], -v[21:22]
	v_fma_f64 v[15:16], v[15:16], v[19:20], v[17:18]
	v_add_f64 v[1:2], v[1:2], v[13:14]
	v_add_f64 v[3:4], v[3:4], v[15:16]
	s_andn2_b32 exec_lo, exec_lo, s54
	s_cbranch_execnz .LBB46_588
; %bb.589:
	s_or_b32 exec_lo, exec_lo, s54
.LBB46_590:
	s_or_b32 exec_lo, exec_lo, s8
	v_mov_b32_e32 v10, 0
	ds_read_b128 v[10:13], v10 offset:448
	s_waitcnt lgkmcnt(0)
	v_mul_f64 v[14:15], v[3:4], v[12:13]
	v_mul_f64 v[12:13], v[1:2], v[12:13]
	v_fma_f64 v[1:2], v[1:2], v[10:11], -v[14:15]
	v_fma_f64 v[3:4], v[3:4], v[10:11], v[12:13]
	buffer_store_dword v2, off, s[0:3], 0 offset:452
	buffer_store_dword v1, off, s[0:3], 0 offset:448
	buffer_store_dword v4, off, s[0:3], 0 offset:460
	buffer_store_dword v3, off, s[0:3], 0 offset:456
.LBB46_591:
	s_or_b32 exec_lo, exec_lo, s4
	v_mov_b32_e32 v4, s24
	s_mov_b32 s4, exec_lo
	s_clause 0x3
	buffer_load_dword v1, v4, s[0:3], 0 offen
	buffer_load_dword v2, v4, s[0:3], 0 offen offset:4
	buffer_load_dword v3, v4, s[0:3], 0 offen offset:8
	;; [unrolled: 1-line block ×3, first 2 shown]
	s_waitcnt vmcnt(0)
	ds_write_b128 v8, v[1:4]
	s_waitcnt lgkmcnt(0)
	s_waitcnt_vscnt null, 0x0
	s_barrier
	buffer_gl0_inv
	v_cmpx_gt_u32_e32 29, v0
	s_cbranch_execz .LBB46_599
; %bb.592:
	ds_read_b128 v[1:4], v8
	v_cmp_ne_u32_e32 vcc_lo, 1, v9
	s_cbranch_vccnz .LBB46_594
; %bb.593:
	s_clause 0x3
	buffer_load_dword v10, v7, s[0:3], 0 offen offset:8
	buffer_load_dword v11, v7, s[0:3], 0 offen offset:12
	buffer_load_dword v12, v7, s[0:3], 0 offen
	buffer_load_dword v13, v7, s[0:3], 0 offen offset:4
	s_waitcnt vmcnt(2) lgkmcnt(0)
	v_mul_f64 v[14:15], v[3:4], v[10:11]
	v_mul_f64 v[10:11], v[1:2], v[10:11]
	s_waitcnt vmcnt(0)
	v_fma_f64 v[1:2], v[1:2], v[12:13], -v[14:15]
	v_fma_f64 v[3:4], v[3:4], v[12:13], v[10:11]
.LBB46_594:
	s_mov_b32 s8, exec_lo
	v_cmpx_ne_u32_e32 28, v0
	s_cbranch_execz .LBB46_598
; %bb.595:
	v_add_nc_u32_e32 v10, 0x300, v117
	v_add3_u32 v11, 0, v117, 16
	v_mov_b32_e32 v12, v0
	s_mov_b32 s54, 0
	.p2align	6
.LBB46_596:                             ; =>This Inner Loop Header: Depth=1
	s_clause 0x3
	buffer_load_dword v17, v11, s[0:3], 0 offen offset:8
	buffer_load_dword v18, v11, s[0:3], 0 offen offset:12
	buffer_load_dword v19, v11, s[0:3], 0 offen
	buffer_load_dword v20, v11, s[0:3], 0 offen offset:4
	ds_read_b128 v[13:16], v10
	v_add_nc_u32_e32 v12, 1, v12
	v_add_nc_u32_e32 v10, 16, v10
	;; [unrolled: 1-line block ×3, first 2 shown]
	v_cmp_lt_u32_e32 vcc_lo, 27, v12
	s_or_b32 s54, vcc_lo, s54
	s_waitcnt vmcnt(2) lgkmcnt(0)
	v_mul_f64 v[21:22], v[15:16], v[17:18]
	v_mul_f64 v[17:18], v[13:14], v[17:18]
	s_waitcnt vmcnt(0)
	v_fma_f64 v[13:14], v[13:14], v[19:20], -v[21:22]
	v_fma_f64 v[15:16], v[15:16], v[19:20], v[17:18]
	v_add_f64 v[1:2], v[1:2], v[13:14]
	v_add_f64 v[3:4], v[3:4], v[15:16]
	s_andn2_b32 exec_lo, exec_lo, s54
	s_cbranch_execnz .LBB46_596
; %bb.597:
	s_or_b32 exec_lo, exec_lo, s54
.LBB46_598:
	s_or_b32 exec_lo, exec_lo, s8
	v_mov_b32_e32 v10, 0
	ds_read_b128 v[10:13], v10 offset:464
	s_waitcnt lgkmcnt(0)
	v_mul_f64 v[14:15], v[3:4], v[12:13]
	v_mul_f64 v[12:13], v[1:2], v[12:13]
	v_fma_f64 v[1:2], v[1:2], v[10:11], -v[14:15]
	v_fma_f64 v[3:4], v[3:4], v[10:11], v[12:13]
	buffer_store_dword v2, off, s[0:3], 0 offset:468
	buffer_store_dword v1, off, s[0:3], 0 offset:464
	;; [unrolled: 1-line block ×4, first 2 shown]
.LBB46_599:
	s_or_b32 exec_lo, exec_lo, s4
	v_mov_b32_e32 v4, s23
	s_mov_b32 s4, exec_lo
	s_clause 0x3
	buffer_load_dword v1, v4, s[0:3], 0 offen
	buffer_load_dword v2, v4, s[0:3], 0 offen offset:4
	buffer_load_dword v3, v4, s[0:3], 0 offen offset:8
	;; [unrolled: 1-line block ×3, first 2 shown]
	s_waitcnt vmcnt(0)
	ds_write_b128 v8, v[1:4]
	s_waitcnt lgkmcnt(0)
	s_waitcnt_vscnt null, 0x0
	s_barrier
	buffer_gl0_inv
	v_cmpx_gt_u32_e32 30, v0
	s_cbranch_execz .LBB46_607
; %bb.600:
	ds_read_b128 v[1:4], v8
	v_cmp_ne_u32_e32 vcc_lo, 1, v9
	s_cbranch_vccnz .LBB46_602
; %bb.601:
	s_clause 0x3
	buffer_load_dword v10, v7, s[0:3], 0 offen offset:8
	buffer_load_dword v11, v7, s[0:3], 0 offen offset:12
	buffer_load_dword v12, v7, s[0:3], 0 offen
	buffer_load_dword v13, v7, s[0:3], 0 offen offset:4
	s_waitcnt vmcnt(2) lgkmcnt(0)
	v_mul_f64 v[14:15], v[3:4], v[10:11]
	v_mul_f64 v[10:11], v[1:2], v[10:11]
	s_waitcnt vmcnt(0)
	v_fma_f64 v[1:2], v[1:2], v[12:13], -v[14:15]
	v_fma_f64 v[3:4], v[3:4], v[12:13], v[10:11]
.LBB46_602:
	s_mov_b32 s8, exec_lo
	v_cmpx_ne_u32_e32 29, v0
	s_cbranch_execz .LBB46_606
; %bb.603:
	v_add_nc_u32_e32 v10, 0x300, v117
	v_add3_u32 v11, 0, v117, 16
	v_mov_b32_e32 v12, v0
	s_mov_b32 s54, 0
	.p2align	6
.LBB46_604:                             ; =>This Inner Loop Header: Depth=1
	s_clause 0x3
	buffer_load_dword v17, v11, s[0:3], 0 offen offset:8
	buffer_load_dword v18, v11, s[0:3], 0 offen offset:12
	buffer_load_dword v19, v11, s[0:3], 0 offen
	buffer_load_dword v20, v11, s[0:3], 0 offen offset:4
	ds_read_b128 v[13:16], v10
	v_add_nc_u32_e32 v12, 1, v12
	v_add_nc_u32_e32 v10, 16, v10
	;; [unrolled: 1-line block ×3, first 2 shown]
	v_cmp_lt_u32_e32 vcc_lo, 28, v12
	s_or_b32 s54, vcc_lo, s54
	s_waitcnt vmcnt(2) lgkmcnt(0)
	v_mul_f64 v[21:22], v[15:16], v[17:18]
	v_mul_f64 v[17:18], v[13:14], v[17:18]
	s_waitcnt vmcnt(0)
	v_fma_f64 v[13:14], v[13:14], v[19:20], -v[21:22]
	v_fma_f64 v[15:16], v[15:16], v[19:20], v[17:18]
	v_add_f64 v[1:2], v[1:2], v[13:14]
	v_add_f64 v[3:4], v[3:4], v[15:16]
	s_andn2_b32 exec_lo, exec_lo, s54
	s_cbranch_execnz .LBB46_604
; %bb.605:
	s_or_b32 exec_lo, exec_lo, s54
.LBB46_606:
	s_or_b32 exec_lo, exec_lo, s8
	v_mov_b32_e32 v10, 0
	ds_read_b128 v[10:13], v10 offset:480
	s_waitcnt lgkmcnt(0)
	v_mul_f64 v[14:15], v[3:4], v[12:13]
	v_mul_f64 v[12:13], v[1:2], v[12:13]
	v_fma_f64 v[1:2], v[1:2], v[10:11], -v[14:15]
	v_fma_f64 v[3:4], v[3:4], v[10:11], v[12:13]
	buffer_store_dword v2, off, s[0:3], 0 offset:484
	buffer_store_dword v1, off, s[0:3], 0 offset:480
	;; [unrolled: 1-line block ×4, first 2 shown]
.LBB46_607:
	s_or_b32 exec_lo, exec_lo, s4
	v_mov_b32_e32 v4, s22
	s_mov_b32 s4, exec_lo
	s_clause 0x3
	buffer_load_dword v1, v4, s[0:3], 0 offen
	buffer_load_dword v2, v4, s[0:3], 0 offen offset:4
	buffer_load_dword v3, v4, s[0:3], 0 offen offset:8
	;; [unrolled: 1-line block ×3, first 2 shown]
	s_waitcnt vmcnt(0)
	ds_write_b128 v8, v[1:4]
	s_waitcnt lgkmcnt(0)
	s_waitcnt_vscnt null, 0x0
	s_barrier
	buffer_gl0_inv
	v_cmpx_gt_u32_e32 31, v0
	s_cbranch_execz .LBB46_615
; %bb.608:
	ds_read_b128 v[1:4], v8
	v_cmp_ne_u32_e32 vcc_lo, 1, v9
	s_cbranch_vccnz .LBB46_610
; %bb.609:
	s_clause 0x3
	buffer_load_dword v10, v7, s[0:3], 0 offen offset:8
	buffer_load_dword v11, v7, s[0:3], 0 offen offset:12
	buffer_load_dword v12, v7, s[0:3], 0 offen
	buffer_load_dword v13, v7, s[0:3], 0 offen offset:4
	s_waitcnt vmcnt(2) lgkmcnt(0)
	v_mul_f64 v[14:15], v[3:4], v[10:11]
	v_mul_f64 v[10:11], v[1:2], v[10:11]
	s_waitcnt vmcnt(0)
	v_fma_f64 v[1:2], v[1:2], v[12:13], -v[14:15]
	v_fma_f64 v[3:4], v[3:4], v[12:13], v[10:11]
.LBB46_610:
	s_mov_b32 s8, exec_lo
	v_cmpx_ne_u32_e32 30, v0
	s_cbranch_execz .LBB46_614
; %bb.611:
	v_add_nc_u32_e32 v10, 0x300, v117
	v_add3_u32 v11, 0, v117, 16
	v_mov_b32_e32 v12, v0
	s_mov_b32 s54, 0
	.p2align	6
.LBB46_612:                             ; =>This Inner Loop Header: Depth=1
	s_clause 0x3
	buffer_load_dword v17, v11, s[0:3], 0 offen offset:8
	buffer_load_dword v18, v11, s[0:3], 0 offen offset:12
	buffer_load_dword v19, v11, s[0:3], 0 offen
	buffer_load_dword v20, v11, s[0:3], 0 offen offset:4
	ds_read_b128 v[13:16], v10
	v_add_nc_u32_e32 v12, 1, v12
	v_add_nc_u32_e32 v10, 16, v10
	;; [unrolled: 1-line block ×3, first 2 shown]
	v_cmp_lt_u32_e32 vcc_lo, 29, v12
	s_or_b32 s54, vcc_lo, s54
	s_waitcnt vmcnt(2) lgkmcnt(0)
	v_mul_f64 v[21:22], v[15:16], v[17:18]
	v_mul_f64 v[17:18], v[13:14], v[17:18]
	s_waitcnt vmcnt(0)
	v_fma_f64 v[13:14], v[13:14], v[19:20], -v[21:22]
	v_fma_f64 v[15:16], v[15:16], v[19:20], v[17:18]
	v_add_f64 v[1:2], v[1:2], v[13:14]
	v_add_f64 v[3:4], v[3:4], v[15:16]
	s_andn2_b32 exec_lo, exec_lo, s54
	s_cbranch_execnz .LBB46_612
; %bb.613:
	s_or_b32 exec_lo, exec_lo, s54
.LBB46_614:
	s_or_b32 exec_lo, exec_lo, s8
	v_mov_b32_e32 v10, 0
	ds_read_b128 v[10:13], v10 offset:496
	s_waitcnt lgkmcnt(0)
	v_mul_f64 v[14:15], v[3:4], v[12:13]
	v_mul_f64 v[12:13], v[1:2], v[12:13]
	v_fma_f64 v[1:2], v[1:2], v[10:11], -v[14:15]
	v_fma_f64 v[3:4], v[3:4], v[10:11], v[12:13]
	buffer_store_dword v2, off, s[0:3], 0 offset:500
	buffer_store_dword v1, off, s[0:3], 0 offset:496
	;; [unrolled: 1-line block ×4, first 2 shown]
.LBB46_615:
	s_or_b32 exec_lo, exec_lo, s4
	v_mov_b32_e32 v4, s21
	s_mov_b32 s4, exec_lo
	s_clause 0x3
	buffer_load_dword v1, v4, s[0:3], 0 offen
	buffer_load_dword v2, v4, s[0:3], 0 offen offset:4
	buffer_load_dword v3, v4, s[0:3], 0 offen offset:8
	;; [unrolled: 1-line block ×3, first 2 shown]
	s_waitcnt vmcnt(0)
	ds_write_b128 v8, v[1:4]
	s_waitcnt lgkmcnt(0)
	s_waitcnt_vscnt null, 0x0
	s_barrier
	buffer_gl0_inv
	v_cmpx_gt_u32_e32 32, v0
	s_cbranch_execz .LBB46_623
; %bb.616:
	ds_read_b128 v[1:4], v8
	v_cmp_ne_u32_e32 vcc_lo, 1, v9
	s_cbranch_vccnz .LBB46_618
; %bb.617:
	s_clause 0x3
	buffer_load_dword v10, v7, s[0:3], 0 offen offset:8
	buffer_load_dword v11, v7, s[0:3], 0 offen offset:12
	buffer_load_dword v12, v7, s[0:3], 0 offen
	buffer_load_dword v13, v7, s[0:3], 0 offen offset:4
	s_waitcnt vmcnt(2) lgkmcnt(0)
	v_mul_f64 v[14:15], v[3:4], v[10:11]
	v_mul_f64 v[10:11], v[1:2], v[10:11]
	s_waitcnt vmcnt(0)
	v_fma_f64 v[1:2], v[1:2], v[12:13], -v[14:15]
	v_fma_f64 v[3:4], v[3:4], v[12:13], v[10:11]
.LBB46_618:
	s_mov_b32 s8, exec_lo
	v_cmpx_ne_u32_e32 31, v0
	s_cbranch_execz .LBB46_622
; %bb.619:
	v_add_nc_u32_e32 v10, 0x300, v117
	v_add3_u32 v11, 0, v117, 16
	v_mov_b32_e32 v12, v0
	s_mov_b32 s54, 0
	.p2align	6
.LBB46_620:                             ; =>This Inner Loop Header: Depth=1
	s_clause 0x3
	buffer_load_dword v17, v11, s[0:3], 0 offen offset:8
	buffer_load_dword v18, v11, s[0:3], 0 offen offset:12
	buffer_load_dword v19, v11, s[0:3], 0 offen
	buffer_load_dword v20, v11, s[0:3], 0 offen offset:4
	ds_read_b128 v[13:16], v10
	v_add_nc_u32_e32 v12, 1, v12
	v_add_nc_u32_e32 v10, 16, v10
	;; [unrolled: 1-line block ×3, first 2 shown]
	v_cmp_lt_u32_e32 vcc_lo, 30, v12
	s_or_b32 s54, vcc_lo, s54
	s_waitcnt vmcnt(2) lgkmcnt(0)
	v_mul_f64 v[21:22], v[15:16], v[17:18]
	v_mul_f64 v[17:18], v[13:14], v[17:18]
	s_waitcnt vmcnt(0)
	v_fma_f64 v[13:14], v[13:14], v[19:20], -v[21:22]
	v_fma_f64 v[15:16], v[15:16], v[19:20], v[17:18]
	v_add_f64 v[1:2], v[1:2], v[13:14]
	v_add_f64 v[3:4], v[3:4], v[15:16]
	s_andn2_b32 exec_lo, exec_lo, s54
	s_cbranch_execnz .LBB46_620
; %bb.621:
	s_or_b32 exec_lo, exec_lo, s54
.LBB46_622:
	s_or_b32 exec_lo, exec_lo, s8
	v_mov_b32_e32 v10, 0
	ds_read_b128 v[10:13], v10 offset:512
	s_waitcnt lgkmcnt(0)
	v_mul_f64 v[14:15], v[3:4], v[12:13]
	v_mul_f64 v[12:13], v[1:2], v[12:13]
	v_fma_f64 v[1:2], v[1:2], v[10:11], -v[14:15]
	v_fma_f64 v[3:4], v[3:4], v[10:11], v[12:13]
	buffer_store_dword v2, off, s[0:3], 0 offset:516
	buffer_store_dword v1, off, s[0:3], 0 offset:512
	;; [unrolled: 1-line block ×4, first 2 shown]
.LBB46_623:
	s_or_b32 exec_lo, exec_lo, s4
	v_mov_b32_e32 v4, s20
	s_mov_b32 s4, exec_lo
	s_clause 0x3
	buffer_load_dword v1, v4, s[0:3], 0 offen
	buffer_load_dword v2, v4, s[0:3], 0 offen offset:4
	buffer_load_dword v3, v4, s[0:3], 0 offen offset:8
	;; [unrolled: 1-line block ×3, first 2 shown]
	s_waitcnt vmcnt(0)
	ds_write_b128 v8, v[1:4]
	s_waitcnt lgkmcnt(0)
	s_waitcnt_vscnt null, 0x0
	s_barrier
	buffer_gl0_inv
	v_cmpx_gt_u32_e32 33, v0
	s_cbranch_execz .LBB46_631
; %bb.624:
	ds_read_b128 v[1:4], v8
	v_cmp_ne_u32_e32 vcc_lo, 1, v9
	s_cbranch_vccnz .LBB46_626
; %bb.625:
	s_clause 0x3
	buffer_load_dword v10, v7, s[0:3], 0 offen offset:8
	buffer_load_dword v11, v7, s[0:3], 0 offen offset:12
	buffer_load_dword v12, v7, s[0:3], 0 offen
	buffer_load_dword v13, v7, s[0:3], 0 offen offset:4
	s_waitcnt vmcnt(2) lgkmcnt(0)
	v_mul_f64 v[14:15], v[3:4], v[10:11]
	v_mul_f64 v[10:11], v[1:2], v[10:11]
	s_waitcnt vmcnt(0)
	v_fma_f64 v[1:2], v[1:2], v[12:13], -v[14:15]
	v_fma_f64 v[3:4], v[3:4], v[12:13], v[10:11]
.LBB46_626:
	s_mov_b32 s8, exec_lo
	v_cmpx_ne_u32_e32 32, v0
	s_cbranch_execz .LBB46_630
; %bb.627:
	v_add_nc_u32_e32 v10, 0x300, v117
	v_add3_u32 v11, 0, v117, 16
	v_mov_b32_e32 v12, v0
	s_mov_b32 s54, 0
	.p2align	6
.LBB46_628:                             ; =>This Inner Loop Header: Depth=1
	s_clause 0x3
	buffer_load_dword v17, v11, s[0:3], 0 offen offset:8
	buffer_load_dword v18, v11, s[0:3], 0 offen offset:12
	buffer_load_dword v19, v11, s[0:3], 0 offen
	buffer_load_dword v20, v11, s[0:3], 0 offen offset:4
	ds_read_b128 v[13:16], v10
	v_add_nc_u32_e32 v12, 1, v12
	v_add_nc_u32_e32 v10, 16, v10
	;; [unrolled: 1-line block ×3, first 2 shown]
	v_cmp_lt_u32_e32 vcc_lo, 31, v12
	s_or_b32 s54, vcc_lo, s54
	s_waitcnt vmcnt(2) lgkmcnt(0)
	v_mul_f64 v[21:22], v[15:16], v[17:18]
	v_mul_f64 v[17:18], v[13:14], v[17:18]
	s_waitcnt vmcnt(0)
	v_fma_f64 v[13:14], v[13:14], v[19:20], -v[21:22]
	v_fma_f64 v[15:16], v[15:16], v[19:20], v[17:18]
	v_add_f64 v[1:2], v[1:2], v[13:14]
	v_add_f64 v[3:4], v[3:4], v[15:16]
	s_andn2_b32 exec_lo, exec_lo, s54
	s_cbranch_execnz .LBB46_628
; %bb.629:
	s_or_b32 exec_lo, exec_lo, s54
.LBB46_630:
	s_or_b32 exec_lo, exec_lo, s8
	v_mov_b32_e32 v10, 0
	ds_read_b128 v[10:13], v10 offset:528
	s_waitcnt lgkmcnt(0)
	v_mul_f64 v[14:15], v[3:4], v[12:13]
	v_mul_f64 v[12:13], v[1:2], v[12:13]
	v_fma_f64 v[1:2], v[1:2], v[10:11], -v[14:15]
	v_fma_f64 v[3:4], v[3:4], v[10:11], v[12:13]
	buffer_store_dword v2, off, s[0:3], 0 offset:532
	buffer_store_dword v1, off, s[0:3], 0 offset:528
	;; [unrolled: 1-line block ×4, first 2 shown]
.LBB46_631:
	s_or_b32 exec_lo, exec_lo, s4
	v_mov_b32_e32 v4, s19
	s_mov_b32 s4, exec_lo
	s_clause 0x3
	buffer_load_dword v1, v4, s[0:3], 0 offen
	buffer_load_dword v2, v4, s[0:3], 0 offen offset:4
	buffer_load_dword v3, v4, s[0:3], 0 offen offset:8
	;; [unrolled: 1-line block ×3, first 2 shown]
	s_waitcnt vmcnt(0)
	ds_write_b128 v8, v[1:4]
	s_waitcnt lgkmcnt(0)
	s_waitcnt_vscnt null, 0x0
	s_barrier
	buffer_gl0_inv
	v_cmpx_gt_u32_e32 34, v0
	s_cbranch_execz .LBB46_639
; %bb.632:
	ds_read_b128 v[1:4], v8
	v_cmp_ne_u32_e32 vcc_lo, 1, v9
	s_cbranch_vccnz .LBB46_634
; %bb.633:
	s_clause 0x3
	buffer_load_dword v10, v7, s[0:3], 0 offen offset:8
	buffer_load_dword v11, v7, s[0:3], 0 offen offset:12
	buffer_load_dword v12, v7, s[0:3], 0 offen
	buffer_load_dword v13, v7, s[0:3], 0 offen offset:4
	s_waitcnt vmcnt(2) lgkmcnt(0)
	v_mul_f64 v[14:15], v[3:4], v[10:11]
	v_mul_f64 v[10:11], v[1:2], v[10:11]
	s_waitcnt vmcnt(0)
	v_fma_f64 v[1:2], v[1:2], v[12:13], -v[14:15]
	v_fma_f64 v[3:4], v[3:4], v[12:13], v[10:11]
.LBB46_634:
	s_mov_b32 s8, exec_lo
	v_cmpx_ne_u32_e32 33, v0
	s_cbranch_execz .LBB46_638
; %bb.635:
	v_add_nc_u32_e32 v10, 0x300, v117
	v_add3_u32 v11, 0, v117, 16
	v_mov_b32_e32 v12, v0
	s_mov_b32 s54, 0
	.p2align	6
.LBB46_636:                             ; =>This Inner Loop Header: Depth=1
	s_clause 0x3
	buffer_load_dword v17, v11, s[0:3], 0 offen offset:8
	buffer_load_dword v18, v11, s[0:3], 0 offen offset:12
	buffer_load_dword v19, v11, s[0:3], 0 offen
	buffer_load_dword v20, v11, s[0:3], 0 offen offset:4
	ds_read_b128 v[13:16], v10
	v_add_nc_u32_e32 v12, 1, v12
	v_add_nc_u32_e32 v10, 16, v10
	;; [unrolled: 1-line block ×3, first 2 shown]
	v_cmp_lt_u32_e32 vcc_lo, 32, v12
	s_or_b32 s54, vcc_lo, s54
	s_waitcnt vmcnt(2) lgkmcnt(0)
	v_mul_f64 v[21:22], v[15:16], v[17:18]
	v_mul_f64 v[17:18], v[13:14], v[17:18]
	s_waitcnt vmcnt(0)
	v_fma_f64 v[13:14], v[13:14], v[19:20], -v[21:22]
	v_fma_f64 v[15:16], v[15:16], v[19:20], v[17:18]
	v_add_f64 v[1:2], v[1:2], v[13:14]
	v_add_f64 v[3:4], v[3:4], v[15:16]
	s_andn2_b32 exec_lo, exec_lo, s54
	s_cbranch_execnz .LBB46_636
; %bb.637:
	s_or_b32 exec_lo, exec_lo, s54
.LBB46_638:
	s_or_b32 exec_lo, exec_lo, s8
	v_mov_b32_e32 v10, 0
	ds_read_b128 v[10:13], v10 offset:544
	s_waitcnt lgkmcnt(0)
	v_mul_f64 v[14:15], v[3:4], v[12:13]
	v_mul_f64 v[12:13], v[1:2], v[12:13]
	v_fma_f64 v[1:2], v[1:2], v[10:11], -v[14:15]
	v_fma_f64 v[3:4], v[3:4], v[10:11], v[12:13]
	buffer_store_dword v2, off, s[0:3], 0 offset:548
	buffer_store_dword v1, off, s[0:3], 0 offset:544
	;; [unrolled: 1-line block ×4, first 2 shown]
.LBB46_639:
	s_or_b32 exec_lo, exec_lo, s4
	v_mov_b32_e32 v4, s18
	s_mov_b32 s4, exec_lo
	s_clause 0x3
	buffer_load_dword v1, v4, s[0:3], 0 offen
	buffer_load_dword v2, v4, s[0:3], 0 offen offset:4
	buffer_load_dword v3, v4, s[0:3], 0 offen offset:8
	;; [unrolled: 1-line block ×3, first 2 shown]
	s_waitcnt vmcnt(0)
	ds_write_b128 v8, v[1:4]
	s_waitcnt lgkmcnt(0)
	s_waitcnt_vscnt null, 0x0
	s_barrier
	buffer_gl0_inv
	v_cmpx_gt_u32_e32 35, v0
	s_cbranch_execz .LBB46_647
; %bb.640:
	ds_read_b128 v[1:4], v8
	v_cmp_ne_u32_e32 vcc_lo, 1, v9
	s_cbranch_vccnz .LBB46_642
; %bb.641:
	s_clause 0x3
	buffer_load_dword v10, v7, s[0:3], 0 offen offset:8
	buffer_load_dword v11, v7, s[0:3], 0 offen offset:12
	buffer_load_dword v12, v7, s[0:3], 0 offen
	buffer_load_dword v13, v7, s[0:3], 0 offen offset:4
	s_waitcnt vmcnt(2) lgkmcnt(0)
	v_mul_f64 v[14:15], v[3:4], v[10:11]
	v_mul_f64 v[10:11], v[1:2], v[10:11]
	s_waitcnt vmcnt(0)
	v_fma_f64 v[1:2], v[1:2], v[12:13], -v[14:15]
	v_fma_f64 v[3:4], v[3:4], v[12:13], v[10:11]
.LBB46_642:
	s_mov_b32 s8, exec_lo
	v_cmpx_ne_u32_e32 34, v0
	s_cbranch_execz .LBB46_646
; %bb.643:
	v_add_nc_u32_e32 v10, 0x300, v117
	v_add3_u32 v11, 0, v117, 16
	v_mov_b32_e32 v12, v0
	s_mov_b32 s54, 0
	.p2align	6
.LBB46_644:                             ; =>This Inner Loop Header: Depth=1
	s_clause 0x3
	buffer_load_dword v17, v11, s[0:3], 0 offen offset:8
	buffer_load_dword v18, v11, s[0:3], 0 offen offset:12
	buffer_load_dword v19, v11, s[0:3], 0 offen
	buffer_load_dword v20, v11, s[0:3], 0 offen offset:4
	ds_read_b128 v[13:16], v10
	v_add_nc_u32_e32 v12, 1, v12
	v_add_nc_u32_e32 v10, 16, v10
	;; [unrolled: 1-line block ×3, first 2 shown]
	v_cmp_lt_u32_e32 vcc_lo, 33, v12
	s_or_b32 s54, vcc_lo, s54
	s_waitcnt vmcnt(2) lgkmcnt(0)
	v_mul_f64 v[21:22], v[15:16], v[17:18]
	v_mul_f64 v[17:18], v[13:14], v[17:18]
	s_waitcnt vmcnt(0)
	v_fma_f64 v[13:14], v[13:14], v[19:20], -v[21:22]
	v_fma_f64 v[15:16], v[15:16], v[19:20], v[17:18]
	v_add_f64 v[1:2], v[1:2], v[13:14]
	v_add_f64 v[3:4], v[3:4], v[15:16]
	s_andn2_b32 exec_lo, exec_lo, s54
	s_cbranch_execnz .LBB46_644
; %bb.645:
	s_or_b32 exec_lo, exec_lo, s54
.LBB46_646:
	s_or_b32 exec_lo, exec_lo, s8
	v_mov_b32_e32 v10, 0
	ds_read_b128 v[10:13], v10 offset:560
	s_waitcnt lgkmcnt(0)
	v_mul_f64 v[14:15], v[3:4], v[12:13]
	v_mul_f64 v[12:13], v[1:2], v[12:13]
	v_fma_f64 v[1:2], v[1:2], v[10:11], -v[14:15]
	v_fma_f64 v[3:4], v[3:4], v[10:11], v[12:13]
	buffer_store_dword v2, off, s[0:3], 0 offset:564
	buffer_store_dword v1, off, s[0:3], 0 offset:560
	;; [unrolled: 1-line block ×4, first 2 shown]
.LBB46_647:
	s_or_b32 exec_lo, exec_lo, s4
	v_mov_b32_e32 v4, s17
	s_mov_b32 s4, exec_lo
	s_clause 0x3
	buffer_load_dword v1, v4, s[0:3], 0 offen
	buffer_load_dword v2, v4, s[0:3], 0 offen offset:4
	buffer_load_dword v3, v4, s[0:3], 0 offen offset:8
	;; [unrolled: 1-line block ×3, first 2 shown]
	s_waitcnt vmcnt(0)
	ds_write_b128 v8, v[1:4]
	s_waitcnt lgkmcnt(0)
	s_waitcnt_vscnt null, 0x0
	s_barrier
	buffer_gl0_inv
	v_cmpx_gt_u32_e32 36, v0
	s_cbranch_execz .LBB46_655
; %bb.648:
	ds_read_b128 v[1:4], v8
	v_cmp_ne_u32_e32 vcc_lo, 1, v9
	s_cbranch_vccnz .LBB46_650
; %bb.649:
	s_clause 0x3
	buffer_load_dword v10, v7, s[0:3], 0 offen offset:8
	buffer_load_dword v11, v7, s[0:3], 0 offen offset:12
	buffer_load_dword v12, v7, s[0:3], 0 offen
	buffer_load_dword v13, v7, s[0:3], 0 offen offset:4
	s_waitcnt vmcnt(2) lgkmcnt(0)
	v_mul_f64 v[14:15], v[3:4], v[10:11]
	v_mul_f64 v[10:11], v[1:2], v[10:11]
	s_waitcnt vmcnt(0)
	v_fma_f64 v[1:2], v[1:2], v[12:13], -v[14:15]
	v_fma_f64 v[3:4], v[3:4], v[12:13], v[10:11]
.LBB46_650:
	s_mov_b32 s8, exec_lo
	v_cmpx_ne_u32_e32 35, v0
	s_cbranch_execz .LBB46_654
; %bb.651:
	v_add_nc_u32_e32 v10, 0x300, v117
	v_add3_u32 v11, 0, v117, 16
	v_mov_b32_e32 v12, v0
	s_mov_b32 s54, 0
	.p2align	6
.LBB46_652:                             ; =>This Inner Loop Header: Depth=1
	s_clause 0x3
	buffer_load_dword v17, v11, s[0:3], 0 offen offset:8
	buffer_load_dword v18, v11, s[0:3], 0 offen offset:12
	buffer_load_dword v19, v11, s[0:3], 0 offen
	buffer_load_dword v20, v11, s[0:3], 0 offen offset:4
	ds_read_b128 v[13:16], v10
	v_add_nc_u32_e32 v12, 1, v12
	v_add_nc_u32_e32 v10, 16, v10
	;; [unrolled: 1-line block ×3, first 2 shown]
	v_cmp_lt_u32_e32 vcc_lo, 34, v12
	s_or_b32 s54, vcc_lo, s54
	s_waitcnt vmcnt(2) lgkmcnt(0)
	v_mul_f64 v[21:22], v[15:16], v[17:18]
	v_mul_f64 v[17:18], v[13:14], v[17:18]
	s_waitcnt vmcnt(0)
	v_fma_f64 v[13:14], v[13:14], v[19:20], -v[21:22]
	v_fma_f64 v[15:16], v[15:16], v[19:20], v[17:18]
	v_add_f64 v[1:2], v[1:2], v[13:14]
	v_add_f64 v[3:4], v[3:4], v[15:16]
	s_andn2_b32 exec_lo, exec_lo, s54
	s_cbranch_execnz .LBB46_652
; %bb.653:
	s_or_b32 exec_lo, exec_lo, s54
.LBB46_654:
	s_or_b32 exec_lo, exec_lo, s8
	v_mov_b32_e32 v10, 0
	ds_read_b128 v[10:13], v10 offset:576
	s_waitcnt lgkmcnt(0)
	v_mul_f64 v[14:15], v[3:4], v[12:13]
	v_mul_f64 v[12:13], v[1:2], v[12:13]
	v_fma_f64 v[1:2], v[1:2], v[10:11], -v[14:15]
	v_fma_f64 v[3:4], v[3:4], v[10:11], v[12:13]
	buffer_store_dword v2, off, s[0:3], 0 offset:580
	buffer_store_dword v1, off, s[0:3], 0 offset:576
	;; [unrolled: 1-line block ×4, first 2 shown]
.LBB46_655:
	s_or_b32 exec_lo, exec_lo, s4
	v_mov_b32_e32 v4, s16
	s_mov_b32 s4, exec_lo
	s_clause 0x3
	buffer_load_dword v1, v4, s[0:3], 0 offen
	buffer_load_dword v2, v4, s[0:3], 0 offen offset:4
	buffer_load_dword v3, v4, s[0:3], 0 offen offset:8
	;; [unrolled: 1-line block ×3, first 2 shown]
	s_waitcnt vmcnt(0)
	ds_write_b128 v8, v[1:4]
	s_waitcnt lgkmcnt(0)
	s_waitcnt_vscnt null, 0x0
	s_barrier
	buffer_gl0_inv
	v_cmpx_gt_u32_e32 37, v0
	s_cbranch_execz .LBB46_663
; %bb.656:
	ds_read_b128 v[1:4], v8
	v_cmp_ne_u32_e32 vcc_lo, 1, v9
	s_cbranch_vccnz .LBB46_658
; %bb.657:
	s_clause 0x3
	buffer_load_dword v10, v7, s[0:3], 0 offen offset:8
	buffer_load_dword v11, v7, s[0:3], 0 offen offset:12
	buffer_load_dword v12, v7, s[0:3], 0 offen
	buffer_load_dword v13, v7, s[0:3], 0 offen offset:4
	s_waitcnt vmcnt(2) lgkmcnt(0)
	v_mul_f64 v[14:15], v[3:4], v[10:11]
	v_mul_f64 v[10:11], v[1:2], v[10:11]
	s_waitcnt vmcnt(0)
	v_fma_f64 v[1:2], v[1:2], v[12:13], -v[14:15]
	v_fma_f64 v[3:4], v[3:4], v[12:13], v[10:11]
.LBB46_658:
	s_mov_b32 s8, exec_lo
	v_cmpx_ne_u32_e32 36, v0
	s_cbranch_execz .LBB46_662
; %bb.659:
	v_add_nc_u32_e32 v10, 0x300, v117
	v_add3_u32 v11, 0, v117, 16
	v_mov_b32_e32 v12, v0
	s_mov_b32 s54, 0
	.p2align	6
.LBB46_660:                             ; =>This Inner Loop Header: Depth=1
	s_clause 0x3
	buffer_load_dword v17, v11, s[0:3], 0 offen offset:8
	buffer_load_dword v18, v11, s[0:3], 0 offen offset:12
	buffer_load_dword v19, v11, s[0:3], 0 offen
	buffer_load_dword v20, v11, s[0:3], 0 offen offset:4
	ds_read_b128 v[13:16], v10
	v_add_nc_u32_e32 v12, 1, v12
	v_add_nc_u32_e32 v10, 16, v10
	;; [unrolled: 1-line block ×3, first 2 shown]
	v_cmp_lt_u32_e32 vcc_lo, 35, v12
	s_or_b32 s54, vcc_lo, s54
	s_waitcnt vmcnt(2) lgkmcnt(0)
	v_mul_f64 v[21:22], v[15:16], v[17:18]
	v_mul_f64 v[17:18], v[13:14], v[17:18]
	s_waitcnt vmcnt(0)
	v_fma_f64 v[13:14], v[13:14], v[19:20], -v[21:22]
	v_fma_f64 v[15:16], v[15:16], v[19:20], v[17:18]
	v_add_f64 v[1:2], v[1:2], v[13:14]
	v_add_f64 v[3:4], v[3:4], v[15:16]
	s_andn2_b32 exec_lo, exec_lo, s54
	s_cbranch_execnz .LBB46_660
; %bb.661:
	s_or_b32 exec_lo, exec_lo, s54
.LBB46_662:
	s_or_b32 exec_lo, exec_lo, s8
	v_mov_b32_e32 v10, 0
	ds_read_b128 v[10:13], v10 offset:592
	s_waitcnt lgkmcnt(0)
	v_mul_f64 v[14:15], v[3:4], v[12:13]
	v_mul_f64 v[12:13], v[1:2], v[12:13]
	v_fma_f64 v[1:2], v[1:2], v[10:11], -v[14:15]
	v_fma_f64 v[3:4], v[3:4], v[10:11], v[12:13]
	buffer_store_dword v2, off, s[0:3], 0 offset:596
	buffer_store_dword v1, off, s[0:3], 0 offset:592
	;; [unrolled: 1-line block ×4, first 2 shown]
.LBB46_663:
	s_or_b32 exec_lo, exec_lo, s4
	v_mov_b32_e32 v4, s15
	s_mov_b32 s4, exec_lo
	s_clause 0x3
	buffer_load_dword v1, v4, s[0:3], 0 offen
	buffer_load_dword v2, v4, s[0:3], 0 offen offset:4
	buffer_load_dword v3, v4, s[0:3], 0 offen offset:8
	;; [unrolled: 1-line block ×3, first 2 shown]
	s_waitcnt vmcnt(0)
	ds_write_b128 v8, v[1:4]
	s_waitcnt lgkmcnt(0)
	s_waitcnt_vscnt null, 0x0
	s_barrier
	buffer_gl0_inv
	v_cmpx_gt_u32_e32 38, v0
	s_cbranch_execz .LBB46_671
; %bb.664:
	ds_read_b128 v[1:4], v8
	v_cmp_ne_u32_e32 vcc_lo, 1, v9
	s_cbranch_vccnz .LBB46_666
; %bb.665:
	s_clause 0x3
	buffer_load_dword v10, v7, s[0:3], 0 offen offset:8
	buffer_load_dword v11, v7, s[0:3], 0 offen offset:12
	buffer_load_dword v12, v7, s[0:3], 0 offen
	buffer_load_dword v13, v7, s[0:3], 0 offen offset:4
	s_waitcnt vmcnt(2) lgkmcnt(0)
	v_mul_f64 v[14:15], v[3:4], v[10:11]
	v_mul_f64 v[10:11], v[1:2], v[10:11]
	s_waitcnt vmcnt(0)
	v_fma_f64 v[1:2], v[1:2], v[12:13], -v[14:15]
	v_fma_f64 v[3:4], v[3:4], v[12:13], v[10:11]
.LBB46_666:
	s_mov_b32 s8, exec_lo
	v_cmpx_ne_u32_e32 37, v0
	s_cbranch_execz .LBB46_670
; %bb.667:
	v_add_nc_u32_e32 v10, 0x300, v117
	v_add3_u32 v11, 0, v117, 16
	v_mov_b32_e32 v12, v0
	s_mov_b32 s54, 0
	.p2align	6
.LBB46_668:                             ; =>This Inner Loop Header: Depth=1
	s_clause 0x3
	buffer_load_dword v17, v11, s[0:3], 0 offen offset:8
	buffer_load_dword v18, v11, s[0:3], 0 offen offset:12
	buffer_load_dword v19, v11, s[0:3], 0 offen
	buffer_load_dword v20, v11, s[0:3], 0 offen offset:4
	ds_read_b128 v[13:16], v10
	v_add_nc_u32_e32 v12, 1, v12
	v_add_nc_u32_e32 v10, 16, v10
	;; [unrolled: 1-line block ×3, first 2 shown]
	v_cmp_lt_u32_e32 vcc_lo, 36, v12
	s_or_b32 s54, vcc_lo, s54
	s_waitcnt vmcnt(2) lgkmcnt(0)
	v_mul_f64 v[21:22], v[15:16], v[17:18]
	v_mul_f64 v[17:18], v[13:14], v[17:18]
	s_waitcnt vmcnt(0)
	v_fma_f64 v[13:14], v[13:14], v[19:20], -v[21:22]
	v_fma_f64 v[15:16], v[15:16], v[19:20], v[17:18]
	v_add_f64 v[1:2], v[1:2], v[13:14]
	v_add_f64 v[3:4], v[3:4], v[15:16]
	s_andn2_b32 exec_lo, exec_lo, s54
	s_cbranch_execnz .LBB46_668
; %bb.669:
	s_or_b32 exec_lo, exec_lo, s54
.LBB46_670:
	s_or_b32 exec_lo, exec_lo, s8
	v_mov_b32_e32 v10, 0
	ds_read_b128 v[10:13], v10 offset:608
	s_waitcnt lgkmcnt(0)
	v_mul_f64 v[14:15], v[3:4], v[12:13]
	v_mul_f64 v[12:13], v[1:2], v[12:13]
	v_fma_f64 v[1:2], v[1:2], v[10:11], -v[14:15]
	v_fma_f64 v[3:4], v[3:4], v[10:11], v[12:13]
	buffer_store_dword v2, off, s[0:3], 0 offset:612
	buffer_store_dword v1, off, s[0:3], 0 offset:608
	;; [unrolled: 1-line block ×4, first 2 shown]
.LBB46_671:
	s_or_b32 exec_lo, exec_lo, s4
	v_mov_b32_e32 v4, s14
	s_mov_b32 s4, exec_lo
	s_clause 0x3
	buffer_load_dword v1, v4, s[0:3], 0 offen
	buffer_load_dword v2, v4, s[0:3], 0 offen offset:4
	buffer_load_dword v3, v4, s[0:3], 0 offen offset:8
	;; [unrolled: 1-line block ×3, first 2 shown]
	s_waitcnt vmcnt(0)
	ds_write_b128 v8, v[1:4]
	s_waitcnt lgkmcnt(0)
	s_waitcnt_vscnt null, 0x0
	s_barrier
	buffer_gl0_inv
	v_cmpx_gt_u32_e32 39, v0
	s_cbranch_execz .LBB46_679
; %bb.672:
	ds_read_b128 v[1:4], v8
	v_cmp_ne_u32_e32 vcc_lo, 1, v9
	s_cbranch_vccnz .LBB46_674
; %bb.673:
	s_clause 0x3
	buffer_load_dword v10, v7, s[0:3], 0 offen offset:8
	buffer_load_dword v11, v7, s[0:3], 0 offen offset:12
	buffer_load_dword v12, v7, s[0:3], 0 offen
	buffer_load_dword v13, v7, s[0:3], 0 offen offset:4
	s_waitcnt vmcnt(2) lgkmcnt(0)
	v_mul_f64 v[14:15], v[3:4], v[10:11]
	v_mul_f64 v[10:11], v[1:2], v[10:11]
	s_waitcnt vmcnt(0)
	v_fma_f64 v[1:2], v[1:2], v[12:13], -v[14:15]
	v_fma_f64 v[3:4], v[3:4], v[12:13], v[10:11]
.LBB46_674:
	s_mov_b32 s8, exec_lo
	v_cmpx_ne_u32_e32 38, v0
	s_cbranch_execz .LBB46_678
; %bb.675:
	v_add_nc_u32_e32 v10, 0x300, v117
	v_add3_u32 v11, 0, v117, 16
	v_mov_b32_e32 v12, v0
	s_mov_b32 s54, 0
	.p2align	6
.LBB46_676:                             ; =>This Inner Loop Header: Depth=1
	s_clause 0x3
	buffer_load_dword v17, v11, s[0:3], 0 offen offset:8
	buffer_load_dword v18, v11, s[0:3], 0 offen offset:12
	buffer_load_dword v19, v11, s[0:3], 0 offen
	buffer_load_dword v20, v11, s[0:3], 0 offen offset:4
	ds_read_b128 v[13:16], v10
	v_add_nc_u32_e32 v12, 1, v12
	v_add_nc_u32_e32 v10, 16, v10
	;; [unrolled: 1-line block ×3, first 2 shown]
	v_cmp_lt_u32_e32 vcc_lo, 37, v12
	s_or_b32 s54, vcc_lo, s54
	s_waitcnt vmcnt(2) lgkmcnt(0)
	v_mul_f64 v[21:22], v[15:16], v[17:18]
	v_mul_f64 v[17:18], v[13:14], v[17:18]
	s_waitcnt vmcnt(0)
	v_fma_f64 v[13:14], v[13:14], v[19:20], -v[21:22]
	v_fma_f64 v[15:16], v[15:16], v[19:20], v[17:18]
	v_add_f64 v[1:2], v[1:2], v[13:14]
	v_add_f64 v[3:4], v[3:4], v[15:16]
	s_andn2_b32 exec_lo, exec_lo, s54
	s_cbranch_execnz .LBB46_676
; %bb.677:
	s_or_b32 exec_lo, exec_lo, s54
.LBB46_678:
	s_or_b32 exec_lo, exec_lo, s8
	v_mov_b32_e32 v10, 0
	ds_read_b128 v[10:13], v10 offset:624
	s_waitcnt lgkmcnt(0)
	v_mul_f64 v[14:15], v[3:4], v[12:13]
	v_mul_f64 v[12:13], v[1:2], v[12:13]
	v_fma_f64 v[1:2], v[1:2], v[10:11], -v[14:15]
	v_fma_f64 v[3:4], v[3:4], v[10:11], v[12:13]
	buffer_store_dword v2, off, s[0:3], 0 offset:628
	buffer_store_dword v1, off, s[0:3], 0 offset:624
	;; [unrolled: 1-line block ×4, first 2 shown]
.LBB46_679:
	s_or_b32 exec_lo, exec_lo, s4
	v_mov_b32_e32 v4, s13
	s_mov_b32 s4, exec_lo
	s_clause 0x3
	buffer_load_dword v1, v4, s[0:3], 0 offen
	buffer_load_dword v2, v4, s[0:3], 0 offen offset:4
	buffer_load_dword v3, v4, s[0:3], 0 offen offset:8
	;; [unrolled: 1-line block ×3, first 2 shown]
	s_waitcnt vmcnt(0)
	ds_write_b128 v8, v[1:4]
	s_waitcnt lgkmcnt(0)
	s_waitcnt_vscnt null, 0x0
	s_barrier
	buffer_gl0_inv
	v_cmpx_gt_u32_e32 40, v0
	s_cbranch_execz .LBB46_687
; %bb.680:
	ds_read_b128 v[1:4], v8
	v_cmp_ne_u32_e32 vcc_lo, 1, v9
	s_cbranch_vccnz .LBB46_682
; %bb.681:
	s_clause 0x3
	buffer_load_dword v10, v7, s[0:3], 0 offen offset:8
	buffer_load_dword v11, v7, s[0:3], 0 offen offset:12
	buffer_load_dword v12, v7, s[0:3], 0 offen
	buffer_load_dword v13, v7, s[0:3], 0 offen offset:4
	s_waitcnt vmcnt(2) lgkmcnt(0)
	v_mul_f64 v[14:15], v[3:4], v[10:11]
	v_mul_f64 v[10:11], v[1:2], v[10:11]
	s_waitcnt vmcnt(0)
	v_fma_f64 v[1:2], v[1:2], v[12:13], -v[14:15]
	v_fma_f64 v[3:4], v[3:4], v[12:13], v[10:11]
.LBB46_682:
	s_mov_b32 s8, exec_lo
	v_cmpx_ne_u32_e32 39, v0
	s_cbranch_execz .LBB46_686
; %bb.683:
	v_add_nc_u32_e32 v10, 0x300, v117
	v_add3_u32 v11, 0, v117, 16
	v_mov_b32_e32 v12, v0
	s_mov_b32 s54, 0
	.p2align	6
.LBB46_684:                             ; =>This Inner Loop Header: Depth=1
	s_clause 0x3
	buffer_load_dword v17, v11, s[0:3], 0 offen offset:8
	buffer_load_dword v18, v11, s[0:3], 0 offen offset:12
	buffer_load_dword v19, v11, s[0:3], 0 offen
	buffer_load_dword v20, v11, s[0:3], 0 offen offset:4
	ds_read_b128 v[13:16], v10
	v_add_nc_u32_e32 v12, 1, v12
	v_add_nc_u32_e32 v10, 16, v10
	;; [unrolled: 1-line block ×3, first 2 shown]
	v_cmp_lt_u32_e32 vcc_lo, 38, v12
	s_or_b32 s54, vcc_lo, s54
	s_waitcnt vmcnt(2) lgkmcnt(0)
	v_mul_f64 v[21:22], v[15:16], v[17:18]
	v_mul_f64 v[17:18], v[13:14], v[17:18]
	s_waitcnt vmcnt(0)
	v_fma_f64 v[13:14], v[13:14], v[19:20], -v[21:22]
	v_fma_f64 v[15:16], v[15:16], v[19:20], v[17:18]
	v_add_f64 v[1:2], v[1:2], v[13:14]
	v_add_f64 v[3:4], v[3:4], v[15:16]
	s_andn2_b32 exec_lo, exec_lo, s54
	s_cbranch_execnz .LBB46_684
; %bb.685:
	s_or_b32 exec_lo, exec_lo, s54
.LBB46_686:
	s_or_b32 exec_lo, exec_lo, s8
	v_mov_b32_e32 v10, 0
	ds_read_b128 v[10:13], v10 offset:640
	s_waitcnt lgkmcnt(0)
	v_mul_f64 v[14:15], v[3:4], v[12:13]
	v_mul_f64 v[12:13], v[1:2], v[12:13]
	v_fma_f64 v[1:2], v[1:2], v[10:11], -v[14:15]
	v_fma_f64 v[3:4], v[3:4], v[10:11], v[12:13]
	buffer_store_dword v2, off, s[0:3], 0 offset:644
	buffer_store_dword v1, off, s[0:3], 0 offset:640
	buffer_store_dword v4, off, s[0:3], 0 offset:652
	buffer_store_dword v3, off, s[0:3], 0 offset:648
.LBB46_687:
	s_or_b32 exec_lo, exec_lo, s4
	v_mov_b32_e32 v4, s12
	s_mov_b32 s4, exec_lo
	s_clause 0x3
	buffer_load_dword v1, v4, s[0:3], 0 offen
	buffer_load_dword v2, v4, s[0:3], 0 offen offset:4
	buffer_load_dword v3, v4, s[0:3], 0 offen offset:8
	;; [unrolled: 1-line block ×3, first 2 shown]
	s_waitcnt vmcnt(0)
	ds_write_b128 v8, v[1:4]
	s_waitcnt lgkmcnt(0)
	s_waitcnt_vscnt null, 0x0
	s_barrier
	buffer_gl0_inv
	v_cmpx_gt_u32_e32 41, v0
	s_cbranch_execz .LBB46_695
; %bb.688:
	ds_read_b128 v[1:4], v8
	v_cmp_ne_u32_e32 vcc_lo, 1, v9
	s_cbranch_vccnz .LBB46_690
; %bb.689:
	s_clause 0x3
	buffer_load_dword v10, v7, s[0:3], 0 offen offset:8
	buffer_load_dword v11, v7, s[0:3], 0 offen offset:12
	buffer_load_dword v12, v7, s[0:3], 0 offen
	buffer_load_dword v13, v7, s[0:3], 0 offen offset:4
	s_waitcnt vmcnt(2) lgkmcnt(0)
	v_mul_f64 v[14:15], v[3:4], v[10:11]
	v_mul_f64 v[10:11], v[1:2], v[10:11]
	s_waitcnt vmcnt(0)
	v_fma_f64 v[1:2], v[1:2], v[12:13], -v[14:15]
	v_fma_f64 v[3:4], v[3:4], v[12:13], v[10:11]
.LBB46_690:
	s_mov_b32 s8, exec_lo
	v_cmpx_ne_u32_e32 40, v0
	s_cbranch_execz .LBB46_694
; %bb.691:
	v_add_nc_u32_e32 v10, 0x300, v117
	v_add3_u32 v11, 0, v117, 16
	v_mov_b32_e32 v12, v0
	s_mov_b32 s54, 0
	.p2align	6
.LBB46_692:                             ; =>This Inner Loop Header: Depth=1
	s_clause 0x3
	buffer_load_dword v17, v11, s[0:3], 0 offen offset:8
	buffer_load_dword v18, v11, s[0:3], 0 offen offset:12
	buffer_load_dword v19, v11, s[0:3], 0 offen
	buffer_load_dword v20, v11, s[0:3], 0 offen offset:4
	ds_read_b128 v[13:16], v10
	v_add_nc_u32_e32 v12, 1, v12
	v_add_nc_u32_e32 v10, 16, v10
	;; [unrolled: 1-line block ×3, first 2 shown]
	v_cmp_lt_u32_e32 vcc_lo, 39, v12
	s_or_b32 s54, vcc_lo, s54
	s_waitcnt vmcnt(2) lgkmcnt(0)
	v_mul_f64 v[21:22], v[15:16], v[17:18]
	v_mul_f64 v[17:18], v[13:14], v[17:18]
	s_waitcnt vmcnt(0)
	v_fma_f64 v[13:14], v[13:14], v[19:20], -v[21:22]
	v_fma_f64 v[15:16], v[15:16], v[19:20], v[17:18]
	v_add_f64 v[1:2], v[1:2], v[13:14]
	v_add_f64 v[3:4], v[3:4], v[15:16]
	s_andn2_b32 exec_lo, exec_lo, s54
	s_cbranch_execnz .LBB46_692
; %bb.693:
	s_or_b32 exec_lo, exec_lo, s54
.LBB46_694:
	s_or_b32 exec_lo, exec_lo, s8
	v_mov_b32_e32 v10, 0
	ds_read_b128 v[10:13], v10 offset:656
	s_waitcnt lgkmcnt(0)
	v_mul_f64 v[14:15], v[3:4], v[12:13]
	v_mul_f64 v[12:13], v[1:2], v[12:13]
	v_fma_f64 v[1:2], v[1:2], v[10:11], -v[14:15]
	v_fma_f64 v[3:4], v[3:4], v[10:11], v[12:13]
	buffer_store_dword v2, off, s[0:3], 0 offset:660
	buffer_store_dword v1, off, s[0:3], 0 offset:656
	;; [unrolled: 1-line block ×4, first 2 shown]
.LBB46_695:
	s_or_b32 exec_lo, exec_lo, s4
	v_mov_b32_e32 v4, s11
	s_mov_b32 s4, exec_lo
	s_clause 0x3
	buffer_load_dword v1, v4, s[0:3], 0 offen
	buffer_load_dword v2, v4, s[0:3], 0 offen offset:4
	buffer_load_dword v3, v4, s[0:3], 0 offen offset:8
	;; [unrolled: 1-line block ×3, first 2 shown]
	s_waitcnt vmcnt(0)
	ds_write_b128 v8, v[1:4]
	s_waitcnt lgkmcnt(0)
	s_waitcnt_vscnt null, 0x0
	s_barrier
	buffer_gl0_inv
	v_cmpx_gt_u32_e32 42, v0
	s_cbranch_execz .LBB46_703
; %bb.696:
	ds_read_b128 v[1:4], v8
	v_cmp_ne_u32_e32 vcc_lo, 1, v9
	s_cbranch_vccnz .LBB46_698
; %bb.697:
	s_clause 0x3
	buffer_load_dword v10, v7, s[0:3], 0 offen offset:8
	buffer_load_dword v11, v7, s[0:3], 0 offen offset:12
	buffer_load_dword v12, v7, s[0:3], 0 offen
	buffer_load_dword v13, v7, s[0:3], 0 offen offset:4
	s_waitcnt vmcnt(2) lgkmcnt(0)
	v_mul_f64 v[14:15], v[3:4], v[10:11]
	v_mul_f64 v[10:11], v[1:2], v[10:11]
	s_waitcnt vmcnt(0)
	v_fma_f64 v[1:2], v[1:2], v[12:13], -v[14:15]
	v_fma_f64 v[3:4], v[3:4], v[12:13], v[10:11]
.LBB46_698:
	s_mov_b32 s8, exec_lo
	v_cmpx_ne_u32_e32 41, v0
	s_cbranch_execz .LBB46_702
; %bb.699:
	v_add_nc_u32_e32 v10, 0x300, v117
	v_add3_u32 v11, 0, v117, 16
	v_mov_b32_e32 v12, v0
	s_mov_b32 s54, 0
	.p2align	6
.LBB46_700:                             ; =>This Inner Loop Header: Depth=1
	s_clause 0x3
	buffer_load_dword v17, v11, s[0:3], 0 offen offset:8
	buffer_load_dword v18, v11, s[0:3], 0 offen offset:12
	buffer_load_dword v19, v11, s[0:3], 0 offen
	buffer_load_dword v20, v11, s[0:3], 0 offen offset:4
	ds_read_b128 v[13:16], v10
	v_add_nc_u32_e32 v12, 1, v12
	v_add_nc_u32_e32 v10, 16, v10
	;; [unrolled: 1-line block ×3, first 2 shown]
	v_cmp_lt_u32_e32 vcc_lo, 40, v12
	s_or_b32 s54, vcc_lo, s54
	s_waitcnt vmcnt(2) lgkmcnt(0)
	v_mul_f64 v[21:22], v[15:16], v[17:18]
	v_mul_f64 v[17:18], v[13:14], v[17:18]
	s_waitcnt vmcnt(0)
	v_fma_f64 v[13:14], v[13:14], v[19:20], -v[21:22]
	v_fma_f64 v[15:16], v[15:16], v[19:20], v[17:18]
	v_add_f64 v[1:2], v[1:2], v[13:14]
	v_add_f64 v[3:4], v[3:4], v[15:16]
	s_andn2_b32 exec_lo, exec_lo, s54
	s_cbranch_execnz .LBB46_700
; %bb.701:
	s_or_b32 exec_lo, exec_lo, s54
.LBB46_702:
	s_or_b32 exec_lo, exec_lo, s8
	v_mov_b32_e32 v10, 0
	ds_read_b128 v[10:13], v10 offset:672
	s_waitcnt lgkmcnt(0)
	v_mul_f64 v[14:15], v[3:4], v[12:13]
	v_mul_f64 v[12:13], v[1:2], v[12:13]
	v_fma_f64 v[1:2], v[1:2], v[10:11], -v[14:15]
	v_fma_f64 v[3:4], v[3:4], v[10:11], v[12:13]
	buffer_store_dword v2, off, s[0:3], 0 offset:676
	buffer_store_dword v1, off, s[0:3], 0 offset:672
	;; [unrolled: 1-line block ×4, first 2 shown]
.LBB46_703:
	s_or_b32 exec_lo, exec_lo, s4
	v_mov_b32_e32 v4, s10
	s_mov_b32 s4, exec_lo
	s_clause 0x3
	buffer_load_dword v1, v4, s[0:3], 0 offen
	buffer_load_dword v2, v4, s[0:3], 0 offen offset:4
	buffer_load_dword v3, v4, s[0:3], 0 offen offset:8
	;; [unrolled: 1-line block ×3, first 2 shown]
	s_waitcnt vmcnt(0)
	ds_write_b128 v8, v[1:4]
	s_waitcnt lgkmcnt(0)
	s_waitcnt_vscnt null, 0x0
	s_barrier
	buffer_gl0_inv
	v_cmpx_gt_u32_e32 43, v0
	s_cbranch_execz .LBB46_711
; %bb.704:
	ds_read_b128 v[1:4], v8
	v_cmp_ne_u32_e32 vcc_lo, 1, v9
	s_cbranch_vccnz .LBB46_706
; %bb.705:
	s_clause 0x3
	buffer_load_dword v10, v7, s[0:3], 0 offen offset:8
	buffer_load_dword v11, v7, s[0:3], 0 offen offset:12
	buffer_load_dword v12, v7, s[0:3], 0 offen
	buffer_load_dword v13, v7, s[0:3], 0 offen offset:4
	s_waitcnt vmcnt(2) lgkmcnt(0)
	v_mul_f64 v[14:15], v[3:4], v[10:11]
	v_mul_f64 v[10:11], v[1:2], v[10:11]
	s_waitcnt vmcnt(0)
	v_fma_f64 v[1:2], v[1:2], v[12:13], -v[14:15]
	v_fma_f64 v[3:4], v[3:4], v[12:13], v[10:11]
.LBB46_706:
	s_mov_b32 s8, exec_lo
	v_cmpx_ne_u32_e32 42, v0
	s_cbranch_execz .LBB46_710
; %bb.707:
	v_add_nc_u32_e32 v10, 0x300, v117
	v_add3_u32 v11, 0, v117, 16
	v_mov_b32_e32 v12, v0
	s_mov_b32 s54, 0
	.p2align	6
.LBB46_708:                             ; =>This Inner Loop Header: Depth=1
	s_clause 0x3
	buffer_load_dword v17, v11, s[0:3], 0 offen offset:8
	buffer_load_dword v18, v11, s[0:3], 0 offen offset:12
	buffer_load_dword v19, v11, s[0:3], 0 offen
	buffer_load_dword v20, v11, s[0:3], 0 offen offset:4
	ds_read_b128 v[13:16], v10
	v_add_nc_u32_e32 v12, 1, v12
	v_add_nc_u32_e32 v10, 16, v10
	v_add_nc_u32_e32 v11, 16, v11
	v_cmp_lt_u32_e32 vcc_lo, 41, v12
	s_or_b32 s54, vcc_lo, s54
	s_waitcnt vmcnt(2) lgkmcnt(0)
	v_mul_f64 v[21:22], v[15:16], v[17:18]
	v_mul_f64 v[17:18], v[13:14], v[17:18]
	s_waitcnt vmcnt(0)
	v_fma_f64 v[13:14], v[13:14], v[19:20], -v[21:22]
	v_fma_f64 v[15:16], v[15:16], v[19:20], v[17:18]
	v_add_f64 v[1:2], v[1:2], v[13:14]
	v_add_f64 v[3:4], v[3:4], v[15:16]
	s_andn2_b32 exec_lo, exec_lo, s54
	s_cbranch_execnz .LBB46_708
; %bb.709:
	s_or_b32 exec_lo, exec_lo, s54
.LBB46_710:
	s_or_b32 exec_lo, exec_lo, s8
	v_mov_b32_e32 v10, 0
	ds_read_b128 v[10:13], v10 offset:688
	s_waitcnt lgkmcnt(0)
	v_mul_f64 v[14:15], v[3:4], v[12:13]
	v_mul_f64 v[12:13], v[1:2], v[12:13]
	v_fma_f64 v[1:2], v[1:2], v[10:11], -v[14:15]
	v_fma_f64 v[3:4], v[3:4], v[10:11], v[12:13]
	buffer_store_dword v2, off, s[0:3], 0 offset:692
	buffer_store_dword v1, off, s[0:3], 0 offset:688
	;; [unrolled: 1-line block ×4, first 2 shown]
.LBB46_711:
	s_or_b32 exec_lo, exec_lo, s4
	v_mov_b32_e32 v4, s9
	s_mov_b32 s4, exec_lo
	s_clause 0x3
	buffer_load_dword v1, v4, s[0:3], 0 offen
	buffer_load_dword v2, v4, s[0:3], 0 offen offset:4
	buffer_load_dword v3, v4, s[0:3], 0 offen offset:8
	;; [unrolled: 1-line block ×3, first 2 shown]
	s_waitcnt vmcnt(0)
	ds_write_b128 v8, v[1:4]
	s_waitcnt lgkmcnt(0)
	s_waitcnt_vscnt null, 0x0
	s_barrier
	buffer_gl0_inv
	v_cmpx_gt_u32_e32 44, v0
	s_cbranch_execz .LBB46_719
; %bb.712:
	ds_read_b128 v[1:4], v8
	v_cmp_ne_u32_e32 vcc_lo, 1, v9
	s_cbranch_vccnz .LBB46_714
; %bb.713:
	s_clause 0x3
	buffer_load_dword v10, v7, s[0:3], 0 offen offset:8
	buffer_load_dword v11, v7, s[0:3], 0 offen offset:12
	buffer_load_dword v12, v7, s[0:3], 0 offen
	buffer_load_dword v13, v7, s[0:3], 0 offen offset:4
	s_waitcnt vmcnt(2) lgkmcnt(0)
	v_mul_f64 v[14:15], v[3:4], v[10:11]
	v_mul_f64 v[10:11], v[1:2], v[10:11]
	s_waitcnt vmcnt(0)
	v_fma_f64 v[1:2], v[1:2], v[12:13], -v[14:15]
	v_fma_f64 v[3:4], v[3:4], v[12:13], v[10:11]
.LBB46_714:
	s_mov_b32 s8, exec_lo
	v_cmpx_ne_u32_e32 43, v0
	s_cbranch_execz .LBB46_718
; %bb.715:
	v_add_nc_u32_e32 v10, 0x300, v117
	v_add3_u32 v11, 0, v117, 16
	v_mov_b32_e32 v12, v0
	s_mov_b32 s54, 0
	.p2align	6
.LBB46_716:                             ; =>This Inner Loop Header: Depth=1
	s_clause 0x3
	buffer_load_dword v17, v11, s[0:3], 0 offen offset:8
	buffer_load_dword v18, v11, s[0:3], 0 offen offset:12
	buffer_load_dword v19, v11, s[0:3], 0 offen
	buffer_load_dword v20, v11, s[0:3], 0 offen offset:4
	ds_read_b128 v[13:16], v10
	v_add_nc_u32_e32 v12, 1, v12
	v_add_nc_u32_e32 v10, 16, v10
	v_add_nc_u32_e32 v11, 16, v11
	v_cmp_lt_u32_e32 vcc_lo, 42, v12
	s_or_b32 s54, vcc_lo, s54
	s_waitcnt vmcnt(2) lgkmcnt(0)
	v_mul_f64 v[21:22], v[15:16], v[17:18]
	v_mul_f64 v[17:18], v[13:14], v[17:18]
	s_waitcnt vmcnt(0)
	v_fma_f64 v[13:14], v[13:14], v[19:20], -v[21:22]
	v_fma_f64 v[15:16], v[15:16], v[19:20], v[17:18]
	v_add_f64 v[1:2], v[1:2], v[13:14]
	v_add_f64 v[3:4], v[3:4], v[15:16]
	s_andn2_b32 exec_lo, exec_lo, s54
	s_cbranch_execnz .LBB46_716
; %bb.717:
	s_or_b32 exec_lo, exec_lo, s54
.LBB46_718:
	s_or_b32 exec_lo, exec_lo, s8
	v_mov_b32_e32 v10, 0
	ds_read_b128 v[10:13], v10 offset:704
	s_waitcnt lgkmcnt(0)
	v_mul_f64 v[14:15], v[3:4], v[12:13]
	v_mul_f64 v[12:13], v[1:2], v[12:13]
	v_fma_f64 v[1:2], v[1:2], v[10:11], -v[14:15]
	v_fma_f64 v[3:4], v[3:4], v[10:11], v[12:13]
	buffer_store_dword v2, off, s[0:3], 0 offset:708
	buffer_store_dword v1, off, s[0:3], 0 offset:704
	;; [unrolled: 1-line block ×4, first 2 shown]
.LBB46_719:
	s_or_b32 exec_lo, exec_lo, s4
	v_mov_b32_e32 v4, s7
	v_cmp_gt_u32_e64 s4, 45, v0
	s_clause 0x3
	buffer_load_dword v1, v4, s[0:3], 0 offen
	buffer_load_dword v2, v4, s[0:3], 0 offen offset:4
	buffer_load_dword v3, v4, s[0:3], 0 offen offset:8
	;; [unrolled: 1-line block ×3, first 2 shown]
	s_waitcnt vmcnt(0)
	ds_write_b128 v8, v[1:4]
	s_waitcnt lgkmcnt(0)
	s_waitcnt_vscnt null, 0x0
	s_barrier
	buffer_gl0_inv
	s_and_saveexec_b32 s8, s4
	s_cbranch_execz .LBB46_727
; %bb.720:
	ds_read_b128 v[1:4], v8
	v_cmp_ne_u32_e32 vcc_lo, 1, v9
	s_cbranch_vccnz .LBB46_722
; %bb.721:
	s_clause 0x3
	buffer_load_dword v10, v7, s[0:3], 0 offen offset:8
	buffer_load_dword v11, v7, s[0:3], 0 offen offset:12
	buffer_load_dword v12, v7, s[0:3], 0 offen
	buffer_load_dword v13, v7, s[0:3], 0 offen offset:4
	s_waitcnt vmcnt(2) lgkmcnt(0)
	v_mul_f64 v[14:15], v[3:4], v[10:11]
	v_mul_f64 v[10:11], v[1:2], v[10:11]
	s_waitcnt vmcnt(0)
	v_fma_f64 v[1:2], v[1:2], v[12:13], -v[14:15]
	v_fma_f64 v[3:4], v[3:4], v[12:13], v[10:11]
.LBB46_722:
	s_mov_b32 s54, exec_lo
	v_cmpx_ne_u32_e32 44, v0
	s_cbranch_execz .LBB46_726
; %bb.723:
	v_add_nc_u32_e32 v10, 0x300, v117
	v_add3_u32 v11, 0, v117, 16
	v_mov_b32_e32 v12, v0
	s_mov_b32 s55, 0
	.p2align	6
.LBB46_724:                             ; =>This Inner Loop Header: Depth=1
	s_clause 0x3
	buffer_load_dword v17, v11, s[0:3], 0 offen offset:8
	buffer_load_dword v18, v11, s[0:3], 0 offen offset:12
	buffer_load_dword v19, v11, s[0:3], 0 offen
	buffer_load_dword v20, v11, s[0:3], 0 offen offset:4
	ds_read_b128 v[13:16], v10
	v_add_nc_u32_e32 v12, 1, v12
	v_add_nc_u32_e32 v10, 16, v10
	v_add_nc_u32_e32 v11, 16, v11
	v_cmp_lt_u32_e32 vcc_lo, 43, v12
	s_or_b32 s55, vcc_lo, s55
	s_waitcnt vmcnt(2) lgkmcnt(0)
	v_mul_f64 v[21:22], v[15:16], v[17:18]
	v_mul_f64 v[17:18], v[13:14], v[17:18]
	s_waitcnt vmcnt(0)
	v_fma_f64 v[13:14], v[13:14], v[19:20], -v[21:22]
	v_fma_f64 v[15:16], v[15:16], v[19:20], v[17:18]
	v_add_f64 v[1:2], v[1:2], v[13:14]
	v_add_f64 v[3:4], v[3:4], v[15:16]
	s_andn2_b32 exec_lo, exec_lo, s55
	s_cbranch_execnz .LBB46_724
; %bb.725:
	s_or_b32 exec_lo, exec_lo, s55
.LBB46_726:
	s_or_b32 exec_lo, exec_lo, s54
	v_mov_b32_e32 v10, 0
	ds_read_b128 v[10:13], v10 offset:720
	s_waitcnt lgkmcnt(0)
	v_mul_f64 v[14:15], v[3:4], v[12:13]
	v_mul_f64 v[12:13], v[1:2], v[12:13]
	v_fma_f64 v[1:2], v[1:2], v[10:11], -v[14:15]
	v_fma_f64 v[3:4], v[3:4], v[10:11], v[12:13]
	buffer_store_dword v2, off, s[0:3], 0 offset:724
	buffer_store_dword v1, off, s[0:3], 0 offset:720
	;; [unrolled: 1-line block ×4, first 2 shown]
.LBB46_727:
	s_or_b32 exec_lo, exec_lo, s8
	v_mov_b32_e32 v4, s6
	s_mov_b32 s8, exec_lo
                                        ; implicit-def: $sgpr56
	s_clause 0x3
	buffer_load_dword v1, v4, s[0:3], 0 offen
	buffer_load_dword v2, v4, s[0:3], 0 offen offset:4
	buffer_load_dword v3, v4, s[0:3], 0 offen offset:8
	;; [unrolled: 1-line block ×3, first 2 shown]
	s_waitcnt vmcnt(0)
	ds_write_b128 v8, v[1:4]
	s_waitcnt lgkmcnt(0)
	s_waitcnt_vscnt null, 0x0
	s_barrier
	buffer_gl0_inv
                                        ; implicit-def: $vgpr1_vgpr2
	v_cmpx_ne_u32_e32 46, v0
	s_cbranch_execz .LBB46_735
; %bb.728:
	ds_read_b128 v[1:4], v8
	v_cmp_ne_u32_e32 vcc_lo, 1, v9
	s_cbranch_vccnz .LBB46_730
; %bb.729:
	s_clause 0x3
	buffer_load_dword v8, v7, s[0:3], 0 offen offset:8
	buffer_load_dword v9, v7, s[0:3], 0 offen offset:12
	buffer_load_dword v10, v7, s[0:3], 0 offen
	buffer_load_dword v11, v7, s[0:3], 0 offen offset:4
	s_waitcnt vmcnt(2) lgkmcnt(0)
	v_mul_f64 v[12:13], v[3:4], v[8:9]
	v_mul_f64 v[7:8], v[1:2], v[8:9]
	s_waitcnt vmcnt(0)
	v_fma_f64 v[1:2], v[1:2], v[10:11], -v[12:13]
	v_fma_f64 v[3:4], v[3:4], v[10:11], v[7:8]
.LBB46_730:
	s_and_saveexec_b32 s54, s4
	s_cbranch_execz .LBB46_734
; %bb.731:
	v_add_nc_u32_e32 v7, 0x300, v117
	v_add3_u32 v8, 0, v117, 16
	s_mov_b32 s4, 0
	.p2align	6
.LBB46_732:                             ; =>This Inner Loop Header: Depth=1
	s_clause 0x3
	buffer_load_dword v13, v8, s[0:3], 0 offen offset:8
	buffer_load_dword v14, v8, s[0:3], 0 offen offset:12
	buffer_load_dword v15, v8, s[0:3], 0 offen
	buffer_load_dword v16, v8, s[0:3], 0 offen offset:4
	ds_read_b128 v[9:12], v7
	v_add_nc_u32_e32 v0, 1, v0
	v_add_nc_u32_e32 v7, 16, v7
	;; [unrolled: 1-line block ×3, first 2 shown]
	v_cmp_lt_u32_e32 vcc_lo, 44, v0
	s_or_b32 s4, vcc_lo, s4
	s_waitcnt vmcnt(2) lgkmcnt(0)
	v_mul_f64 v[17:18], v[11:12], v[13:14]
	v_mul_f64 v[13:14], v[9:10], v[13:14]
	s_waitcnt vmcnt(0)
	v_fma_f64 v[9:10], v[9:10], v[15:16], -v[17:18]
	v_fma_f64 v[11:12], v[11:12], v[15:16], v[13:14]
	v_add_f64 v[1:2], v[1:2], v[9:10]
	v_add_f64 v[3:4], v[3:4], v[11:12]
	s_andn2_b32 exec_lo, exec_lo, s4
	s_cbranch_execnz .LBB46_732
; %bb.733:
	s_or_b32 exec_lo, exec_lo, s4
.LBB46_734:
	s_or_b32 exec_lo, exec_lo, s54
	v_mov_b32_e32 v0, 0
	s_movk_i32 s56, 0x2e8
	s_or_b32 s5, s5, exec_lo
	ds_read_b128 v[7:10], v0 offset:736
	s_waitcnt lgkmcnt(0)
	v_mul_f64 v[11:12], v[3:4], v[9:10]
	v_mul_f64 v[9:10], v[1:2], v[9:10]
	v_fma_f64 v[11:12], v[1:2], v[7:8], -v[11:12]
	v_fma_f64 v[1:2], v[3:4], v[7:8], v[9:10]
	buffer_store_dword v12, off, s[0:3], 0 offset:740
	buffer_store_dword v11, off, s[0:3], 0 offset:736
.LBB46_735:
	s_or_b32 exec_lo, exec_lo, s8
.LBB46_736:
	s_and_saveexec_b32 s4, s5
	s_cbranch_execz .LBB46_738
; %bb.737:
	v_mov_b32_e32 v0, s56
	buffer_store_dword v2, v0, s[0:3], 0 offen offset:4
	buffer_store_dword v1, v0, s[0:3], 0 offen
.LBB46_738:
	s_or_b32 exec_lo, exec_lo, s4
	s_clause 0x3
	buffer_load_dword v0, off, s[0:3], 0
	buffer_load_dword v1, off, s[0:3], 0 offset:4
	buffer_load_dword v2, off, s[0:3], 0 offset:8
	;; [unrolled: 1-line block ×3, first 2 shown]
	v_mov_b32_e32 v4, s53
	v_mov_b32_e32 v23, s49
	v_mov_b32_e32 v129, s17
	v_mov_b32_e32 v131, s15
	s_clause 0x3
	buffer_load_dword v7, v4, s[0:3], 0 offen
	buffer_load_dword v8, v4, s[0:3], 0 offen offset:4
	buffer_load_dword v9, v4, s[0:3], 0 offen offset:8
	;; [unrolled: 1-line block ×3, first 2 shown]
	v_mov_b32_e32 v4, s52
	v_mov_b32_e32 v133, s13
	;; [unrolled: 1-line block ×3, first 2 shown]
	s_clause 0x3
	buffer_load_dword v11, v4, s[0:3], 0 offen
	buffer_load_dword v12, v4, s[0:3], 0 offen offset:4
	buffer_load_dword v13, v4, s[0:3], 0 offen offset:8
	;; [unrolled: 1-line block ×3, first 2 shown]
	v_mov_b32_e32 v4, s51
	v_mov_b32_e32 v130, s16
	s_clause 0x3
	buffer_load_dword v15, v4, s[0:3], 0 offen
	buffer_load_dword v16, v4, s[0:3], 0 offen offset:4
	buffer_load_dword v17, v4, s[0:3], 0 offen offset:8
	;; [unrolled: 1-line block ×3, first 2 shown]
	v_mov_b32_e32 v4, s50
	s_clause 0x7
	buffer_load_dword v19, v4, s[0:3], 0 offen
	buffer_load_dword v20, v4, s[0:3], 0 offen offset:4
	buffer_load_dword v21, v4, s[0:3], 0 offen offset:8
	;; [unrolled: 1-line block ×3, first 2 shown]
	buffer_load_dword v117, v23, s[0:3], 0 offen
	buffer_load_dword v118, v23, s[0:3], 0 offen offset:4
	buffer_load_dword v119, v23, s[0:3], 0 offen offset:8
	;; [unrolled: 1-line block ×3, first 2 shown]
	v_mov_b32_e32 v4, s48
	s_clause 0x3
	buffer_load_dword v121, v4, s[0:3], 0 offen
	buffer_load_dword v122, v4, s[0:3], 0 offen offset:4
	buffer_load_dword v123, v4, s[0:3], 0 offen offset:8
	;; [unrolled: 1-line block ×3, first 2 shown]
	v_mov_b32_e32 v4, s47
	v_mov_b32_e32 v137, s9
	;; [unrolled: 1-line block ×7, first 2 shown]
	s_waitcnt vmcnt(24)
	global_store_dwordx4 v[27:28], v[0:3], off
	s_clause 0x3
	buffer_load_dword v0, v4, s[0:3], 0 offen
	buffer_load_dword v1, v4, s[0:3], 0 offen offset:4
	buffer_load_dword v2, v4, s[0:3], 0 offen offset:8
	;; [unrolled: 1-line block ×3, first 2 shown]
	v_mov_b32_e32 v4, s46
	s_clause 0x3
	buffer_load_dword v125, v4, s[0:3], 0 offen
	buffer_load_dword v126, v4, s[0:3], 0 offen offset:4
	buffer_load_dword v127, v4, s[0:3], 0 offen offset:8
	;; [unrolled: 1-line block ×3, first 2 shown]
	v_mov_b32_e32 v4, s45
	s_waitcnt vmcnt(28)
	global_store_dwordx4 v[29:30], v[7:10], off
	v_mov_b32_e32 v30, s40
	s_clause 0x3
	buffer_load_dword v7, v4, s[0:3], 0 offen
	buffer_load_dword v8, v4, s[0:3], 0 offen offset:4
	buffer_load_dword v9, v4, s[0:3], 0 offen offset:8
	;; [unrolled: 1-line block ×3, first 2 shown]
	v_mov_b32_e32 v4, s44
	s_waitcnt vmcnt(28)
	global_store_dwordx4 v[25:26], v[11:14], off
	s_clause 0x3
	buffer_load_dword v11, v4, s[0:3], 0 offen
	buffer_load_dword v12, v4, s[0:3], 0 offen offset:4
	buffer_load_dword v13, v4, s[0:3], 0 offen offset:8
	buffer_load_dword v14, v4, s[0:3], 0 offen offset:12
	v_mov_b32_e32 v4, s43
	s_clause 0x3
	buffer_load_dword v23, v4, s[0:3], 0 offen
	buffer_load_dword v24, v4, s[0:3], 0 offen offset:4
	buffer_load_dword v25, v4, s[0:3], 0 offen offset:8
	;; [unrolled: 1-line block ×3, first 2 shown]
	v_mov_b32_e32 v4, s42
	s_waitcnt vmcnt(32)
	global_store_dwordx4 v[91:92], v[15:18], off
	s_clause 0x3
	buffer_load_dword v15, v4, s[0:3], 0 offen
	buffer_load_dword v16, v4, s[0:3], 0 offen offset:4
	buffer_load_dword v17, v4, s[0:3], 0 offen offset:8
	;; [unrolled: 1-line block ×3, first 2 shown]
	v_mov_b32_e32 v4, s41
	s_waitcnt vmcnt(32)
	global_store_dwordx4 v[85:86], v[19:22], off
	s_clause 0x3
	buffer_load_dword v19, v4, s[0:3], 0 offen
	buffer_load_dword v20, v4, s[0:3], 0 offen offset:4
	buffer_load_dword v21, v4, s[0:3], 0 offen offset:8
	;; [unrolled: 1-line block ×3, first 2 shown]
	v_mov_b32_e32 v4, s39
	v_mov_b32_e32 v91, s38
	s_waitcnt vmcnt(32)
	global_store_dwordx4 v[87:88], v[117:120], off
	s_clause 0x7
	buffer_load_dword v27, v30, s[0:3], 0 offen
	buffer_load_dword v28, v30, s[0:3], 0 offen offset:4
	buffer_load_dword v29, v30, s[0:3], 0 offen offset:8
	;; [unrolled: 1-line block ×3, first 2 shown]
	buffer_load_dword v85, v4, s[0:3], 0 offen
	buffer_load_dword v86, v4, s[0:3], 0 offen offset:4
	buffer_load_dword v87, v4, s[0:3], 0 offen offset:8
	;; [unrolled: 1-line block ×3, first 2 shown]
	v_mov_b32_e32 v4, s37
	s_waitcnt vmcnt(36)
	global_store_dwordx4 v[79:80], v[121:124], off
	s_clause 0x7
	buffer_load_dword v117, v91, s[0:3], 0 offen
	buffer_load_dword v118, v91, s[0:3], 0 offen offset:4
	buffer_load_dword v119, v91, s[0:3], 0 offen offset:8
	;; [unrolled: 1-line block ×3, first 2 shown]
	buffer_load_dword v121, v4, s[0:3], 0 offen
	buffer_load_dword v122, v4, s[0:3], 0 offen offset:4
	buffer_load_dword v123, v4, s[0:3], 0 offen offset:8
	;; [unrolled: 1-line block ×3, first 2 shown]
	v_mov_b32_e32 v4, s35
	v_mov_b32_e32 v91, s34
	;; [unrolled: 1-line block ×3, first 2 shown]
	s_waitcnt vmcnt(40)
	global_store_dwordx4 v[81:82], v[0:3], off
	v_mov_b32_e32 v3, s36
	s_clause 0x3
	buffer_load_dword v0, v3, s[0:3], 0 offen
	buffer_load_dword v1, v3, s[0:3], 0 offen offset:4
	buffer_load_dword v2, v3, s[0:3], 0 offen offset:8
	;; [unrolled: 1-line block ×3, first 2 shown]
	s_waitcnt vmcnt(40)
	global_store_dwordx4 v[75:76], v[125:128], off
	s_clause 0x7
	buffer_load_dword v79, v4, s[0:3], 0 offen
	buffer_load_dword v80, v4, s[0:3], 0 offen offset:4
	buffer_load_dword v81, v4, s[0:3], 0 offen offset:8
	;; [unrolled: 1-line block ×3, first 2 shown]
	buffer_load_dword v125, v91, s[0:3], 0 offen
	buffer_load_dword v126, v91, s[0:3], 0 offen offset:4
	buffer_load_dword v127, v91, s[0:3], 0 offen offset:8
	;; [unrolled: 1-line block ×3, first 2 shown]
	v_mov_b32_e32 v4, s33
	v_mov_b32_e32 v76, s30
	;; [unrolled: 1-line block ×3, first 2 shown]
	s_waitcnt vmcnt(44)
	global_store_dwordx4 v[73:74], v[7:10], off
	s_clause 0x3
	buffer_load_dword v7, v4, s[0:3], 0 offen
	buffer_load_dword v8, v4, s[0:3], 0 offen offset:4
	buffer_load_dword v9, v4, s[0:3], 0 offen offset:8
	;; [unrolled: 1-line block ×3, first 2 shown]
	v_mov_b32_e32 v4, s31
	s_waitcnt vmcnt(44)
	global_store_dwordx4 v[69:70], v[11:14], off
	s_clause 0x7
	buffer_load_dword v11, v4, s[0:3], 0 offen
	buffer_load_dword v12, v4, s[0:3], 0 offen offset:4
	buffer_load_dword v13, v4, s[0:3], 0 offen offset:8
	;; [unrolled: 1-line block ×3, first 2 shown]
	buffer_load_dword v73, v76, s[0:3], 0 offen
	buffer_load_dword v74, v76, s[0:3], 0 offen offset:4
	buffer_load_dword v75, v76, s[0:3], 0 offen offset:8
	;; [unrolled: 1-line block ×3, first 2 shown]
	v_mov_b32_e32 v4, s29
	s_waitcnt vmcnt(48)
	global_store_dwordx4 v[67:68], v[23:26], off
	s_clause 0x3
	buffer_load_dword v23, v4, s[0:3], 0 offen
	buffer_load_dword v24, v4, s[0:3], 0 offen offset:4
	buffer_load_dword v25, v4, s[0:3], 0 offen offset:8
	;; [unrolled: 1-line block ×3, first 2 shown]
	v_mov_b32_e32 v4, s28
	s_waitcnt vmcnt(48)
	global_store_dwordx4 v[63:64], v[15:18], off
	s_clause 0x3
	buffer_load_dword v15, v4, s[0:3], 0 offen
	buffer_load_dword v16, v4, s[0:3], 0 offen offset:4
	buffer_load_dword v17, v4, s[0:3], 0 offen offset:8
	;; [unrolled: 1-line block ×3, first 2 shown]
	v_mov_b32_e32 v4, s27
	s_clause 0x3
	buffer_load_dword v67, v4, s[0:3], 0 offen
	buffer_load_dword v68, v4, s[0:3], 0 offen offset:4
	buffer_load_dword v69, v4, s[0:3], 0 offen offset:8
	;; [unrolled: 1-line block ×3, first 2 shown]
	v_mov_b32_e32 v4, s26
	s_waitcnt vmcnt(52)
	global_store_dwordx4 v[59:60], v[19:22], off
	v_mov_b32_e32 v59, s25
	v_mov_b32_e32 v63, s23
	s_waitcnt vmcnt(48)
	global_store_dwordx4 v[51:52], v[27:30], off
	v_mov_b32_e32 v52, s19
	s_waitcnt vmcnt(44)
	global_store_dwordx4 v[41:42], v[85:88], off
	s_waitcnt vmcnt(40)
	global_store_dwordx4 v[39:40], v[117:120], off
	v_mov_b32_e32 v60, s24
	s_clause 0x3
	buffer_load_dword v19, v4, s[0:3], 0 offen
	buffer_load_dword v20, v4, s[0:3], 0 offen offset:4
	buffer_load_dword v21, v4, s[0:3], 0 offen offset:8
	;; [unrolled: 1-line block ×3, first 2 shown]
	s_waitcnt vmcnt(40)
	global_store_dwordx4 v[37:38], v[121:124], off
	v_mov_b32_e32 v64, s22
	s_clause 0x7
	buffer_load_dword v27, v59, s[0:3], 0 offen
	buffer_load_dword v28, v59, s[0:3], 0 offen offset:4
	buffer_load_dword v29, v59, s[0:3], 0 offen offset:8
	;; [unrolled: 1-line block ×3, first 2 shown]
	buffer_load_dword v37, v60, s[0:3], 0 offen
	buffer_load_dword v38, v60, s[0:3], 0 offen offset:4
	buffer_load_dword v39, v60, s[0:3], 0 offen offset:8
	;; [unrolled: 1-line block ×3, first 2 shown]
	v_mov_b32_e32 v51, s20
	s_waitcnt vmcnt(44)
	global_store_dwordx4 v[35:36], v[0:3], off
	s_clause 0x7
	buffer_load_dword v0, v63, s[0:3], 0 offen
	buffer_load_dword v1, v63, s[0:3], 0 offen offset:4
	buffer_load_dword v2, v63, s[0:3], 0 offen offset:8
	buffer_load_dword v3, v63, s[0:3], 0 offen offset:12
	buffer_load_dword v85, v64, s[0:3], 0 offen
	buffer_load_dword v86, v64, s[0:3], 0 offen offset:4
	buffer_load_dword v87, v64, s[0:3], 0 offen offset:8
	buffer_load_dword v88, v64, s[0:3], 0 offen offset:12
	s_waitcnt vmcnt(48)
	global_store_dwordx4 v[33:34], v[79:82], off
	s_clause 0x7
	buffer_load_dword v33, v91, s[0:3], 0 offen
	buffer_load_dword v34, v91, s[0:3], 0 offen offset:4
	buffer_load_dword v35, v91, s[0:3], 0 offen offset:8
	buffer_load_dword v36, v91, s[0:3], 0 offen offset:12
	buffer_load_dword v79, v51, s[0:3], 0 offen
	buffer_load_dword v80, v51, s[0:3], 0 offen offset:4
	buffer_load_dword v81, v51, s[0:3], 0 offen offset:8
	buffer_load_dword v82, v51, s[0:3], 0 offen offset:12
	;; [unrolled: 11-line block ×7, first 2 shown]
	global_store_dwordx4 v[53:54], v[15:18], off
	s_clause 0x7
	buffer_load_dword v15, v137, s[0:3], 0 offen
	buffer_load_dword v16, v137, s[0:3], 0 offen offset:4
	buffer_load_dword v17, v137, s[0:3], 0 offen offset:8
	;; [unrolled: 1-line block ×3, first 2 shown]
	buffer_load_dword v129, v138, s[0:3], 0 offen
	buffer_load_dword v130, v138, s[0:3], 0 offen offset:4
	buffer_load_dword v131, v138, s[0:3], 0 offen offset:8
	;; [unrolled: 1-line block ×3, first 2 shown]
	s_waitcnt vmcnt(62)
	global_store_dwordx4 v[55:56], v[67:70], off
	s_clause 0x3
	buffer_load_dword v53, v139, s[0:3], 0 offen
	buffer_load_dword v54, v139, s[0:3], 0 offen offset:4
	buffer_load_dword v55, v139, s[0:3], 0 offen offset:8
	;; [unrolled: 1-line block ×3, first 2 shown]
	global_store_dwordx4 v[57:58], v[19:22], off
	global_store_dwordx4 v[61:62], v[27:30], off
	;; [unrolled: 1-line block ×3, first 2 shown]
	s_waitcnt vmcnt(62)
	global_store_dwordx4 v[71:72], v[0:3], off
	s_waitcnt vmcnt(60)
	global_store_dwordx4 v[77:78], v[85:88], off
	;; [unrolled: 2-line block ×17, first 2 shown]
.LBB46_739:
	s_endpgm
	.section	.rodata,"a",@progbits
	.p2align	6, 0x0
	.amdhsa_kernel _ZN9rocsolver6v33100L18trti2_kernel_smallILi47E19rocblas_complex_numIdEPS3_EEv13rocblas_fill_17rocblas_diagonal_T1_iil
		.amdhsa_group_segment_fixed_size 1504
		.amdhsa_private_segment_fixed_size 768
		.amdhsa_kernarg_size 32
		.amdhsa_user_sgpr_count 6
		.amdhsa_user_sgpr_private_segment_buffer 1
		.amdhsa_user_sgpr_dispatch_ptr 0
		.amdhsa_user_sgpr_queue_ptr 0
		.amdhsa_user_sgpr_kernarg_segment_ptr 1
		.amdhsa_user_sgpr_dispatch_id 0
		.amdhsa_user_sgpr_flat_scratch_init 0
		.amdhsa_user_sgpr_private_segment_size 0
		.amdhsa_wavefront_size32 1
		.amdhsa_uses_dynamic_stack 0
		.amdhsa_system_sgpr_private_segment_wavefront_offset 1
		.amdhsa_system_sgpr_workgroup_id_x 1
		.amdhsa_system_sgpr_workgroup_id_y 0
		.amdhsa_system_sgpr_workgroup_id_z 0
		.amdhsa_system_sgpr_workgroup_info 0
		.amdhsa_system_vgpr_workitem_id 0
		.amdhsa_next_free_vgpr 140
		.amdhsa_next_free_sgpr 75
		.amdhsa_reserve_vcc 1
		.amdhsa_reserve_flat_scratch 0
		.amdhsa_float_round_mode_32 0
		.amdhsa_float_round_mode_16_64 0
		.amdhsa_float_denorm_mode_32 3
		.amdhsa_float_denorm_mode_16_64 3
		.amdhsa_dx10_clamp 1
		.amdhsa_ieee_mode 1
		.amdhsa_fp16_overflow 0
		.amdhsa_workgroup_processor_mode 1
		.amdhsa_memory_ordered 1
		.amdhsa_forward_progress 1
		.amdhsa_shared_vgpr_count 0
		.amdhsa_exception_fp_ieee_invalid_op 0
		.amdhsa_exception_fp_denorm_src 0
		.amdhsa_exception_fp_ieee_div_zero 0
		.amdhsa_exception_fp_ieee_overflow 0
		.amdhsa_exception_fp_ieee_underflow 0
		.amdhsa_exception_fp_ieee_inexact 0
		.amdhsa_exception_int_div_zero 0
	.end_amdhsa_kernel
	.section	.text._ZN9rocsolver6v33100L18trti2_kernel_smallILi47E19rocblas_complex_numIdEPS3_EEv13rocblas_fill_17rocblas_diagonal_T1_iil,"axG",@progbits,_ZN9rocsolver6v33100L18trti2_kernel_smallILi47E19rocblas_complex_numIdEPS3_EEv13rocblas_fill_17rocblas_diagonal_T1_iil,comdat
.Lfunc_end46:
	.size	_ZN9rocsolver6v33100L18trti2_kernel_smallILi47E19rocblas_complex_numIdEPS3_EEv13rocblas_fill_17rocblas_diagonal_T1_iil, .Lfunc_end46-_ZN9rocsolver6v33100L18trti2_kernel_smallILi47E19rocblas_complex_numIdEPS3_EEv13rocblas_fill_17rocblas_diagonal_T1_iil
                                        ; -- End function
	.set _ZN9rocsolver6v33100L18trti2_kernel_smallILi47E19rocblas_complex_numIdEPS3_EEv13rocblas_fill_17rocblas_diagonal_T1_iil.num_vgpr, 140
	.set _ZN9rocsolver6v33100L18trti2_kernel_smallILi47E19rocblas_complex_numIdEPS3_EEv13rocblas_fill_17rocblas_diagonal_T1_iil.num_agpr, 0
	.set _ZN9rocsolver6v33100L18trti2_kernel_smallILi47E19rocblas_complex_numIdEPS3_EEv13rocblas_fill_17rocblas_diagonal_T1_iil.numbered_sgpr, 75
	.set _ZN9rocsolver6v33100L18trti2_kernel_smallILi47E19rocblas_complex_numIdEPS3_EEv13rocblas_fill_17rocblas_diagonal_T1_iil.num_named_barrier, 0
	.set _ZN9rocsolver6v33100L18trti2_kernel_smallILi47E19rocblas_complex_numIdEPS3_EEv13rocblas_fill_17rocblas_diagonal_T1_iil.private_seg_size, 768
	.set _ZN9rocsolver6v33100L18trti2_kernel_smallILi47E19rocblas_complex_numIdEPS3_EEv13rocblas_fill_17rocblas_diagonal_T1_iil.uses_vcc, 1
	.set _ZN9rocsolver6v33100L18trti2_kernel_smallILi47E19rocblas_complex_numIdEPS3_EEv13rocblas_fill_17rocblas_diagonal_T1_iil.uses_flat_scratch, 0
	.set _ZN9rocsolver6v33100L18trti2_kernel_smallILi47E19rocblas_complex_numIdEPS3_EEv13rocblas_fill_17rocblas_diagonal_T1_iil.has_dyn_sized_stack, 0
	.set _ZN9rocsolver6v33100L18trti2_kernel_smallILi47E19rocblas_complex_numIdEPS3_EEv13rocblas_fill_17rocblas_diagonal_T1_iil.has_recursion, 0
	.set _ZN9rocsolver6v33100L18trti2_kernel_smallILi47E19rocblas_complex_numIdEPS3_EEv13rocblas_fill_17rocblas_diagonal_T1_iil.has_indirect_call, 0
	.section	.AMDGPU.csdata,"",@progbits
; Kernel info:
; codeLenInByte = 47800
; TotalNumSgprs: 77
; NumVgprs: 140
; ScratchSize: 768
; MemoryBound: 0
; FloatMode: 240
; IeeeMode: 1
; LDSByteSize: 1504 bytes/workgroup (compile time only)
; SGPRBlocks: 0
; VGPRBlocks: 17
; NumSGPRsForWavesPerEU: 77
; NumVGPRsForWavesPerEU: 140
; Occupancy: 7
; WaveLimiterHint : 0
; COMPUTE_PGM_RSRC2:SCRATCH_EN: 1
; COMPUTE_PGM_RSRC2:USER_SGPR: 6
; COMPUTE_PGM_RSRC2:TRAP_HANDLER: 0
; COMPUTE_PGM_RSRC2:TGID_X_EN: 1
; COMPUTE_PGM_RSRC2:TGID_Y_EN: 0
; COMPUTE_PGM_RSRC2:TGID_Z_EN: 0
; COMPUTE_PGM_RSRC2:TIDIG_COMP_CNT: 0
	.section	.text._ZN9rocsolver6v33100L18trti2_kernel_smallILi48E19rocblas_complex_numIdEPS3_EEv13rocblas_fill_17rocblas_diagonal_T1_iil,"axG",@progbits,_ZN9rocsolver6v33100L18trti2_kernel_smallILi48E19rocblas_complex_numIdEPS3_EEv13rocblas_fill_17rocblas_diagonal_T1_iil,comdat
	.globl	_ZN9rocsolver6v33100L18trti2_kernel_smallILi48E19rocblas_complex_numIdEPS3_EEv13rocblas_fill_17rocblas_diagonal_T1_iil ; -- Begin function _ZN9rocsolver6v33100L18trti2_kernel_smallILi48E19rocblas_complex_numIdEPS3_EEv13rocblas_fill_17rocblas_diagonal_T1_iil
	.p2align	8
	.type	_ZN9rocsolver6v33100L18trti2_kernel_smallILi48E19rocblas_complex_numIdEPS3_EEv13rocblas_fill_17rocblas_diagonal_T1_iil,@function
_ZN9rocsolver6v33100L18trti2_kernel_smallILi48E19rocblas_complex_numIdEPS3_EEv13rocblas_fill_17rocblas_diagonal_T1_iil: ; @_ZN9rocsolver6v33100L18trti2_kernel_smallILi48E19rocblas_complex_numIdEPS3_EEv13rocblas_fill_17rocblas_diagonal_T1_iil
; %bb.0:
	s_add_u32 s0, s0, s7
	s_addc_u32 s1, s1, 0
	s_mov_b32 s7, exec_lo
	v_cmpx_gt_u32_e32 48, v0
	s_cbranch_execz .LBB47_755
; %bb.1:
	s_load_dwordx8 s[8:15], s[4:5], 0x0
	s_ashr_i32 s4, s6, 31
	v_lshlrev_b32_e32 v107, 4, v0
	s_movk_i32 s16, 0xf0
	s_movk_i32 s17, 0x100
	;; [unrolled: 1-line block ×17, first 2 shown]
	s_waitcnt lgkmcnt(0)
	s_mul_hi_u32 s5, s14, s6
	s_mul_i32 s4, s14, s4
	s_mul_i32 s7, s15, s6
	s_add_i32 s5, s5, s4
	s_mul_i32 s4, s14, s6
	s_add_i32 s5, s5, s7
	s_ashr_i32 s7, s12, 31
	s_lshl_b64 s[4:5], s[4:5], 4
	s_mov_b32 s6, s12
	s_add_u32 s10, s10, s4
	s_addc_u32 s11, s11, s5
	s_lshl_b64 s[4:5], s[6:7], 4
	s_mov_b32 s6, s13
	s_add_u32 s4, s10, s4
	s_addc_u32 s5, s11, s5
	v_add_co_u32 v47, s10, s4, v107
	s_ashr_i32 s7, s13, 31
	v_add_co_ci_u32_e64 v48, null, s5, 0, s10
	s_lshl_b64 s[6:7], s[6:7], 4
	global_load_dwordx4 v[7:10], v107, s[4:5]
	v_add_co_u32 v41, vcc_lo, v47, s6
	v_add_co_ci_u32_e64 v42, null, s7, v48, vcc_lo
	v_add3_u32 v1, s13, s13, v0
	s_cmpk_lg_i32 s9, 0x84
	s_movk_i32 s6, 0x70
	global_load_dwordx4 v[11:14], v[41:42], off
	s_movk_i32 s7, 0x80
	v_add_nc_u32_e32 v3, s13, v1
	v_ashrrev_i32_e32 v2, 31, v1
	s_movk_i32 s10, 0x90
	s_movk_i32 s11, 0xa0
	;; [unrolled: 1-line block ×3, first 2 shown]
	v_add_nc_u32_e32 v5, s13, v3
	v_lshlrev_b64 v[1:2], 4, v[1:2]
	v_ashrrev_i32_e32 v4, 31, v3
	s_movk_i32 s14, 0xd0
	s_movk_i32 s15, 0xe0
	v_add_nc_u32_e32 v23, s13, v5
	v_ashrrev_i32_e32 v6, 31, v5
	v_add_co_u32 v75, vcc_lo, s4, v1
	v_add_co_ci_u32_e64 v76, null, s5, v2, vcc_lo
	v_add_nc_u32_e32 v25, s13, v23
	v_lshlrev_b64 v[1:2], 4, v[3:4]
	v_lshlrev_b64 v[3:4], 4, v[5:6]
	v_ashrrev_i32_e32 v24, 31, v23
	global_load_dwordx4 v[15:18], v[75:76], off
	v_add_nc_u32_e32 v27, s13, v25
	v_ashrrev_i32_e32 v26, 31, v25
	v_add_co_u32 v77, vcc_lo, s4, v1
	v_add_co_ci_u32_e64 v78, null, s5, v2, vcc_lo
	v_add_nc_u32_e32 v29, s13, v27
	v_add_co_u32 v71, vcc_lo, s4, v3
	global_load_dwordx4 v[19:22], v[77:78], off
	v_add_co_ci_u32_e64 v72, null, s5, v4, vcc_lo
	v_add_nc_u32_e32 v31, s13, v29
	v_lshlrev_b64 v[3:4], 4, v[23:24]
	v_lshlrev_b64 v[43:44], 4, v[25:26]
	global_load_dwordx4 v[23:26], v[71:72], off
	v_ashrrev_i32_e32 v28, 31, v27
	v_add_nc_u32_e32 v33, s13, v31
	v_ashrrev_i32_e32 v30, 31, v29
	v_ashrrev_i32_e32 v32, 31, v31
	s_movk_i32 s61, 0x200
	v_lshlrev_b64 v[27:28], 4, v[27:28]
	v_add_nc_u32_e32 v35, s13, v33
	v_lshlrev_b64 v[29:30], 4, v[29:30]
	v_ashrrev_i32_e32 v34, 31, v33
	s_movk_i32 s62, 0x210
	s_movk_i32 s63, 0x220
	v_add_nc_u32_e32 v37, s13, v35
	v_ashrrev_i32_e32 v36, 31, v35
	s_movk_i32 s64, 0x230
	s_movk_i32 s65, 0x240
	s_movk_i32 s66, 0x250
	v_add_nc_u32_e32 v39, s13, v37
	v_ashrrev_i32_e32 v38, 31, v37
	s_movk_i32 s67, 0x260
	;; [unrolled: 5-line block ×4, first 2 shown]
	s_movk_i32 s74, 0x2d0
	s_movk_i32 s75, 0x2e0
	v_add_nc_u32_e32 v67, s13, v51
	v_ashrrev_i32_e32 v52, 31, v51
	s_cselect_b32 s56, -1, 0
	s_cmpk_eq_i32 s9, 0x84
	s_movk_i32 s76, 0x2f0
	v_add_nc_u32_e32 v79, s13, v67
	v_ashrrev_i32_e32 v68, 31, v67
	v_add_nc_u32_e32 v89, s13, v79
	v_ashrrev_i32_e32 v80, 31, v79
	v_add_nc_u32_e32 v103, s13, v89
	v_ashrrev_i32_e32 v90, 31, v89
	v_add_nc_u32_e32 v108, s13, v103
	v_ashrrev_i32_e32 v104, 31, v103
	v_add_nc_u32_e32 v110, s13, v108
	v_ashrrev_i32_e32 v109, 31, v108
	v_add_nc_u32_e32 v112, s13, v110
	v_ashrrev_i32_e32 v111, 31, v110
	v_add_nc_u32_e32 v114, s13, v112
	v_ashrrev_i32_e32 v113, 31, v112
	v_add_nc_u32_e32 v116, s13, v114
	v_ashrrev_i32_e32 v115, 31, v114
	v_add_nc_u32_e32 v118, s13, v116
	v_ashrrev_i32_e32 v117, 31, v116
	v_add_nc_u32_e32 v120, s13, v118
	v_ashrrev_i32_e32 v119, 31, v118
	v_add_nc_u32_e32 v122, s13, v120
	v_ashrrev_i32_e32 v121, 31, v120
	v_add_nc_u32_e32 v124, s13, v122
	v_ashrrev_i32_e32 v123, 31, v122
	v_add_nc_u32_e32 v126, s13, v124
	v_ashrrev_i32_e32 v125, 31, v124
	v_add_nc_u32_e32 v128, s13, v126
	v_ashrrev_i32_e32 v127, 31, v126
	v_add_nc_u32_e32 v130, s13, v128
	v_ashrrev_i32_e32 v129, 31, v128
	v_add_nc_u32_e32 v132, s13, v130
	v_ashrrev_i32_e32 v131, 31, v130
	v_add_nc_u32_e32 v134, s13, v132
	v_ashrrev_i32_e32 v133, 31, v132
	v_add_nc_u32_e32 v136, s13, v134
	v_ashrrev_i32_e32 v135, 31, v134
	v_add_nc_u32_e32 v69, s13, v136
	v_ashrrev_i32_e32 v137, 31, v136
	v_add_nc_u32_e32 v73, s13, v69
	v_ashrrev_i32_e32 v70, 31, v69
	v_add_nc_u32_e32 v81, s13, v73
	v_ashrrev_i32_e32 v74, 31, v73
	v_add_nc_u32_e32 v88, s13, v81
	v_ashrrev_i32_e32 v82, 31, v81
	v_add_nc_u32_e32 v83, s13, v88
	v_lshlrev_b64 v[81:82], 4, v[81:82]
	v_add_nc_u32_e32 v85, s13, v83
	v_ashrrev_i32_e32 v84, 31, v83
	v_add_nc_u32_e32 v87, s13, v85
	v_ashrrev_i32_e32 v86, 31, v85
	v_add_nc_u32_e32 v91, s13, v87
	v_add_nc_u32_e32 v98, s13, v91
	v_ashrrev_i32_e32 v92, 31, v91
	v_add_nc_u32_e32 v93, s13, v98
	v_lshlrev_b64 v[91:92], 4, v[91:92]
	v_add_nc_u32_e32 v95, s13, v93
	v_ashrrev_i32_e32 v94, 31, v93
	v_add_nc_u32_e32 v97, s13, v95
	v_ashrrev_i32_e32 v96, 31, v95
	v_add_nc_u32_e32 v5, s13, v97
	s_movk_i32 s13, 0xc0
	v_ashrrev_i32_e32 v6, 31, v5
	v_lshlrev_b64 v[1:2], 4, v[5:6]
	v_add_co_u32 v5, vcc_lo, s4, v1
	v_add_co_ci_u32_e64 v6, null, s5, v2, vcc_lo
	v_add_co_u32 v61, vcc_lo, s4, v3
	v_add_co_ci_u32_e64 v62, null, s5, v4, vcc_lo
	v_add_co_u32 v53, vcc_lo, s4, v43
	global_load_dwordx4 v[1:4], v[5:6], off
	v_add_co_ci_u32_e64 v54, null, s5, v44, vcc_lo
	v_add_co_u32 v63, vcc_lo, s4, v27
	v_add_co_ci_u32_e64 v64, null, s5, v28, vcc_lo
	v_lshlrev_b64 v[27:28], 4, v[31:32]
	v_add_co_u32 v65, vcc_lo, s4, v29
	v_add_co_ci_u32_e64 v66, null, s5, v30, vcc_lo
	v_lshlrev_b64 v[29:30], 4, v[33:34]
	;; [unrolled: 3-line block ×5, first 2 shown]
	v_lshlrev_b64 v[31:32], 4, v[45:46]
	v_lshlrev_b64 v[33:34], 4, v[51:52]
	;; [unrolled: 1-line block ×4, first 2 shown]
	s_waitcnt vmcnt(5)
	buffer_store_dword v10, off, s[0:3], 0 offset:12
	buffer_store_dword v9, off, s[0:3], 0 offset:8
	;; [unrolled: 1-line block ×3, first 2 shown]
	buffer_store_dword v7, off, s[0:3], 0
	global_load_dwordx4 v[7:10], v[61:62], off
	v_add_co_u32 v49, vcc_lo, s4, v27
	s_waitcnt vmcnt(5)
	buffer_store_dword v14, off, s[0:3], 0 offset:28
	buffer_store_dword v13, off, s[0:3], 0 offset:24
	buffer_store_dword v12, off, s[0:3], 0 offset:20
	buffer_store_dword v11, off, s[0:3], 0 offset:16
	global_load_dwordx4 v[11:14], v[53:54], off
	s_waitcnt vmcnt(5)
	buffer_store_dword v18, off, s[0:3], 0 offset:44
	buffer_store_dword v17, off, s[0:3], 0 offset:40
	buffer_store_dword v16, off, s[0:3], 0 offset:36
	buffer_store_dword v15, off, s[0:3], 0 offset:32
	global_load_dwordx4 v[15:18], v[63:64], off
	;; [unrolled: 6-line block ×4, first 2 shown]
	v_add_co_ci_u32_e64 v50, null, s5, v28, vcc_lo
	v_add_co_u32 v59, vcc_lo, s4, v29
	v_add_co_ci_u32_e64 v60, null, s5, v30, vcc_lo
	v_add_co_u32 v51, vcc_lo, s4, v31
	;; [unrolled: 2-line block ×3, first 2 shown]
	v_add_co_ci_u32_e64 v34, null, s5, v34, vcc_lo
	s_waitcnt vmcnt(4)
	buffer_store_dword v10, off, s[0:3], 0 offset:92
	buffer_store_dword v9, off, s[0:3], 0 offset:88
	buffer_store_dword v8, off, s[0:3], 0 offset:84
	buffer_store_dword v7, off, s[0:3], 0 offset:80
	global_load_dwordx4 v[7:10], v[55:56], off
	s_waitcnt vmcnt(4)
	buffer_store_dword v14, off, s[0:3], 0 offset:108
	buffer_store_dword v13, off, s[0:3], 0 offset:104
	buffer_store_dword v12, off, s[0:3], 0 offset:100
	buffer_store_dword v11, off, s[0:3], 0 offset:96
	global_load_dwordx4 v[11:14], v[43:44], off
	;; [unrolled: 6-line block ×4, first 2 shown]
	v_lshlrev_b64 v[19:20], 4, v[67:68]
	s_waitcnt vmcnt(4)
	buffer_store_dword v23, off, s[0:3], 0 offset:144
	buffer_store_dword v24, off, s[0:3], 0 offset:148
	;; [unrolled: 1-line block ×4, first 2 shown]
	global_load_dwordx4 v[21:24], v[51:52], off
	v_add_co_u32 v19, vcc_lo, s4, v19
	v_add_co_ci_u32_e64 v20, null, s5, v20, vcc_lo
	v_lshlrev_b64 v[67:68], 4, v[134:135]
	s_waitcnt vmcnt(4)
	buffer_store_dword v7, off, s[0:3], 0 offset:160
	buffer_store_dword v8, off, s[0:3], 0 offset:164
	;; [unrolled: 1-line block ×4, first 2 shown]
	global_load_dwordx4 v[35:38], v[33:34], off
	v_lshlrev_b64 v[7:8], 4, v[79:80]
	v_lshlrev_b64 v[9:10], 4, v[89:90]
	s_waitcnt vmcnt(4)
	buffer_store_dword v11, off, s[0:3], 0 offset:176
	buffer_store_dword v12, off, s[0:3], 0 offset:180
	buffer_store_dword v13, off, s[0:3], 0 offset:184
	buffer_store_dword v14, off, s[0:3], 0 offset:188
	global_load_dwordx4 v[99:102], v[19:20], off
	v_add_co_u32 v11, vcc_lo, s4, v7
	v_add_co_ci_u32_e64 v12, null, s5, v8, vcc_lo
	v_lshlrev_b64 v[13:14], 4, v[103:104]
	v_add_co_u32 v7, vcc_lo, s4, v9
	v_add_co_ci_u32_e64 v8, null, s5, v10, vcc_lo
	s_waitcnt vmcnt(4)
	buffer_store_dword v18, off, s[0:3], 0 offset:204
	buffer_store_dword v17, off, s[0:3], 0 offset:200
	;; [unrolled: 1-line block ×4, first 2 shown]
	global_load_dwordx4 v[103:106], v[11:12], off
	s_waitcnt vmcnt(4)
	buffer_store_dword v30, off, s[0:3], 0 offset:220
	buffer_store_dword v29, off, s[0:3], 0 offset:216
	;; [unrolled: 1-line block ×4, first 2 shown]
	v_add_co_u32 v15, vcc_lo, s4, v13
	global_load_dwordx4 v[25:28], v[7:8], off
	v_lshlrev_b64 v[9:10], 4, v[108:109]
	v_add_co_ci_u32_e64 v16, null, s5, v14, vcc_lo
	v_lshlrev_b64 v[17:18], 4, v[110:111]
	s_waitcnt vmcnt(4)
	buffer_store_dword v24, off, s[0:3], 0 offset:236
	buffer_store_dword v23, off, s[0:3], 0 offset:232
	;; [unrolled: 1-line block ×4, first 2 shown]
	v_lshlrev_b64 v[21:22], 4, v[114:115]
	global_load_dwordx4 v[29:32], v[15:16], off
	v_add_co_u32 v13, vcc_lo, s4, v9
	v_add_co_ci_u32_e64 v14, null, s5, v10, vcc_lo
	v_add_co_u32 v9, vcc_lo, s4, v17
	v_add_co_ci_u32_e64 v10, null, s5, v18, vcc_lo
	v_lshlrev_b64 v[17:18], 4, v[112:113]
	v_lshlrev_b64 v[23:24], 4, v[116:117]
	;; [unrolled: 1-line block ×4, first 2 shown]
	s_waitcnt vmcnt(4)
	buffer_store_dword v38, off, s[0:3], 0 offset:252
	buffer_store_dword v37, off, s[0:3], 0 offset:248
	buffer_store_dword v36, off, s[0:3], 0 offset:244
	buffer_store_dword v35, off, s[0:3], 0 offset:240
	global_load_dwordx4 v[35:38], v[13:14], off
	v_add_co_u32 v17, vcc_lo, s4, v17
	s_waitcnt vmcnt(4)
	buffer_store_dword v102, off, s[0:3], 0 offset:268
	buffer_store_dword v101, off, s[0:3], 0 offset:264
	;; [unrolled: 1-line block ×4, first 2 shown]
	global_load_dwordx4 v[99:102], v[9:10], off
	v_add_co_ci_u32_e64 v18, null, s5, v18, vcc_lo
	v_add_co_u32 v21, vcc_lo, s4, v21
	v_add_co_ci_u32_e64 v22, null, s5, v22, vcc_lo
	s_waitcnt vmcnt(4)
	buffer_store_dword v106, off, s[0:3], 0 offset:284
	buffer_store_dword v105, off, s[0:3], 0 offset:280
	;; [unrolled: 1-line block ×4, first 2 shown]
	global_load_dwordx4 v[103:106], v[17:18], off
	s_waitcnt vmcnt(4)
	buffer_store_dword v28, off, s[0:3], 0 offset:300
	buffer_store_dword v27, off, s[0:3], 0 offset:296
	;; [unrolled: 1-line block ×4, first 2 shown]
	v_add_co_u32 v27, vcc_lo, s4, v23
	v_add_co_ci_u32_e64 v28, null, s5, v24, vcc_lo
	global_load_dwordx4 v[108:111], v[21:22], off
	v_lshlrev_b64 v[25:26], 4, v[120:121]
	s_waitcnt vmcnt(4)
	buffer_store_dword v32, off, s[0:3], 0 offset:316
	buffer_store_dword v31, off, s[0:3], 0 offset:312
	;; [unrolled: 1-line block ×4, first 2 shown]
	global_load_dwordx4 v[112:115], v[27:28], off
	v_add_co_u32 v23, vcc_lo, s4, v39
	v_add_co_ci_u32_e64 v24, null, s5, v40, vcc_lo
	v_add_co_u32 v25, vcc_lo, s4, v25
	v_add_co_ci_u32_e64 v26, null, s5, v26, vcc_lo
	v_lshlrev_b64 v[29:30], 4, v[122:123]
	v_lshlrev_b64 v[31:32], 4, v[124:125]
	;; [unrolled: 1-line block ×5, first 2 shown]
	s_waitcnt vmcnt(4)
	buffer_store_dword v38, off, s[0:3], 0 offset:332
	buffer_store_dword v37, off, s[0:3], 0 offset:328
	buffer_store_dword v36, off, s[0:3], 0 offset:324
	buffer_store_dword v35, off, s[0:3], 0 offset:320
	global_load_dwordx4 v[116:119], v[23:24], off
	v_add_co_u32 v29, vcc_lo, s4, v29
	s_waitcnt vmcnt(4)
	buffer_store_dword v102, off, s[0:3], 0 offset:348
	buffer_store_dword v101, off, s[0:3], 0 offset:344
	;; [unrolled: 1-line block ×4, first 2 shown]
	global_load_dwordx4 v[99:102], v[25:26], off
	v_lshlrev_b64 v[35:36], 4, v[126:127]
	v_add_co_ci_u32_e64 v30, null, s5, v30, vcc_lo
	v_add_co_u32 v31, vcc_lo, s4, v31
	v_add_co_ci_u32_e64 v32, null, s5, v32, vcc_lo
	v_add_co_u32 v35, vcc_lo, s4, v35
	s_waitcnt vmcnt(4)
	buffer_store_dword v106, off, s[0:3], 0 offset:364
	buffer_store_dword v105, off, s[0:3], 0 offset:360
	;; [unrolled: 1-line block ×4, first 2 shown]
	global_load_dwordx4 v[103:106], v[29:30], off
	v_lshlrev_b64 v[37:38], 4, v[128:129]
	s_waitcnt vmcnt(4)
	buffer_store_dword v111, off, s[0:3], 0 offset:380
	buffer_store_dword v110, off, s[0:3], 0 offset:376
	;; [unrolled: 1-line block ×4, first 2 shown]
	v_add_co_ci_u32_e64 v36, null, s5, v36, vcc_lo
	global_load_dwordx4 v[108:111], v[31:32], off
	s_waitcnt vmcnt(4)
	buffer_store_dword v115, off, s[0:3], 0 offset:396
	buffer_store_dword v114, off, s[0:3], 0 offset:392
	;; [unrolled: 1-line block ×4, first 2 shown]
	v_add_co_u32 v37, vcc_lo, s4, v37
	global_load_dwordx4 v[112:115], v[35:36], off
	v_add_co_ci_u32_e64 v38, null, s5, v38, vcc_lo
	v_add_co_u32 v39, vcc_lo, s4, v39
	v_add_co_ci_u32_e64 v40, null, s5, v40, vcc_lo
	v_add_co_u32 v45, vcc_lo, s4, v45
	;; [unrolled: 2-line block ×4, first 2 shown]
	v_add_co_ci_u32_e64 v70, null, s5, v80, vcc_lo
	v_lshlrev_b64 v[79:80], 4, v[73:74]
	v_add_co_u32 v73, vcc_lo, s4, v89
	v_add_co_ci_u32_e64 v74, null, s5, v90, vcc_lo
	v_ashrrev_i32_e32 v89, 31, v88
	v_add_co_u32 v79, vcc_lo, s4, v79
	v_add_co_ci_u32_e64 v80, null, s5, v80, vcc_lo
	v_lshlrev_b64 v[88:89], 4, v[88:89]
	v_add_co_u32 v81, vcc_lo, s4, v81
	v_add_co_ci_u32_e64 v82, null, s5, v82, vcc_lo
	s_waitcnt vmcnt(4)
	buffer_store_dword v119, off, s[0:3], 0 offset:412
	buffer_store_dword v118, off, s[0:3], 0 offset:408
	;; [unrolled: 1-line block ×4, first 2 shown]
	global_load_dwordx4 v[116:119], v[37:38], off
	v_add_co_u32 v83, vcc_lo, s4, v88
	s_waitcnt vmcnt(4)
	buffer_store_dword v102, off, s[0:3], 0 offset:428
	buffer_store_dword v101, off, s[0:3], 0 offset:424
	buffer_store_dword v100, off, s[0:3], 0 offset:420
	buffer_store_dword v99, off, s[0:3], 0 offset:416
	global_load_dwordx4 v[99:102], v[39:40], off
	s_waitcnt vmcnt(4)
	buffer_store_dword v106, off, s[0:3], 0 offset:444
	buffer_store_dword v105, off, s[0:3], 0 offset:440
	buffer_store_dword v104, off, s[0:3], 0 offset:436
	buffer_store_dword v103, off, s[0:3], 0 offset:432
	global_load_dwordx4 v[103:106], v[45:46], off
	;; [unrolled: 6-line block ×4, first 2 shown]
	v_add_co_ci_u32_e64 v84, null, s5, v89, vcc_lo
	v_lshlrev_b64 v[89:90], 4, v[85:86]
	v_add_co_u32 v85, vcc_lo, s4, v120
	v_ashrrev_i32_e32 v88, 31, v87
	v_add_co_ci_u32_e64 v86, null, s5, v121, vcc_lo
	s_waitcnt vmcnt(4)
	buffer_store_dword v119, off, s[0:3], 0 offset:492
	buffer_store_dword v118, off, s[0:3], 0 offset:488
	;; [unrolled: 1-line block ×4, first 2 shown]
	global_load_dwordx4 v[116:119], v[73:74], off
	v_lshlrev_b64 v[120:121], 4, v[87:88]
	v_add_co_u32 v87, vcc_lo, s4, v89
	s_waitcnt vmcnt(4)
	buffer_store_dword v102, off, s[0:3], 0 offset:508
	buffer_store_dword v101, off, s[0:3], 0 offset:504
	buffer_store_dword v100, off, s[0:3], 0 offset:500
	buffer_store_dword v99, off, s[0:3], 0 offset:496
	global_load_dwordx4 v[99:102], v[79:80], off
	s_waitcnt vmcnt(4)
	buffer_store_dword v106, off, s[0:3], 0 offset:524
	buffer_store_dword v105, off, s[0:3], 0 offset:520
	buffer_store_dword v104, off, s[0:3], 0 offset:516
	buffer_store_dword v103, off, s[0:3], 0 offset:512
	global_load_dwordx4 v[103:106], v[81:82], off
	s_waitcnt vmcnt(4)
	buffer_store_dword v111, off, s[0:3], 0 offset:540
	buffer_store_dword v110, off, s[0:3], 0 offset:536
	buffer_store_dword v109, off, s[0:3], 0 offset:532
	buffer_store_dword v108, off, s[0:3], 0 offset:528
	global_load_dwordx4 v[108:111], v[83:84], off
	s_waitcnt vmcnt(4)
	buffer_store_dword v115, off, s[0:3], 0 offset:556
	buffer_store_dword v114, off, s[0:3], 0 offset:552
	buffer_store_dword v113, off, s[0:3], 0 offset:548
	buffer_store_dword v112, off, s[0:3], 0 offset:544
	global_load_dwordx4 v[112:115], v[85:86], off
	v_add_co_ci_u32_e64 v88, null, s5, v90, vcc_lo
	v_add_co_u32 v89, vcc_lo, s4, v120
	v_add_co_ci_u32_e64 v90, null, s5, v121, vcc_lo
	v_add_co_u32 v91, vcc_lo, s4, v91
	v_add_co_ci_u32_e64 v92, null, s5, v92, vcc_lo
	s_waitcnt vmcnt(4)
	buffer_store_dword v119, off, s[0:3], 0 offset:572
	buffer_store_dword v118, off, s[0:3], 0 offset:568
	;; [unrolled: 1-line block ×4, first 2 shown]
	global_load_dwordx4 v[116:119], v[87:88], off
	s_waitcnt vmcnt(4)
	buffer_store_dword v102, off, s[0:3], 0 offset:588
	buffer_store_dword v101, off, s[0:3], 0 offset:584
	;; [unrolled: 1-line block ×4, first 2 shown]
	global_load_dwordx4 v[120:123], v[89:90], off
	v_ashrrev_i32_e32 v99, 31, v98
	s_waitcnt vmcnt(4)
	buffer_store_dword v106, off, s[0:3], 0 offset:604
	buffer_store_dword v105, off, s[0:3], 0 offset:600
	;; [unrolled: 1-line block ×4, first 2 shown]
	v_lshlrev_b64 v[98:99], 4, v[98:99]
	global_load_dwordx4 v[101:104], v[91:92], off
	s_waitcnt vmcnt(4)
	buffer_store_dword v111, off, s[0:3], 0 offset:620
	buffer_store_dword v110, off, s[0:3], 0 offset:616
	;; [unrolled: 1-line block ×4, first 2 shown]
	s_waitcnt vmcnt(3)
	buffer_store_dword v115, off, s[0:3], 0 offset:636
	buffer_store_dword v114, off, s[0:3], 0 offset:632
	;; [unrolled: 1-line block ×4, first 2 shown]
	v_add_co_u32 v93, vcc_lo, s4, v98
	v_add_co_ci_u32_e64 v94, null, s5, v99, vcc_lo
	v_lshlrev_b64 v[99:100], 4, v[95:96]
	v_add_co_u32 v95, vcc_lo, s4, v124
	v_add_co_ci_u32_e64 v96, null, s5, v125, vcc_lo
	v_ashrrev_i32_e32 v98, 31, v97
	s_clause 0x1
	global_load_dwordx4 v[108:111], v[93:94], off
	global_load_dwordx4 v[112:115], v[95:96], off
	s_waitcnt vmcnt(4)
	buffer_store_dword v119, off, s[0:3], 0 offset:652
	buffer_store_dword v118, off, s[0:3], 0 offset:648
	;; [unrolled: 1-line block ×4, first 2 shown]
	s_waitcnt vmcnt(3)
	buffer_store_dword v123, off, s[0:3], 0 offset:668
	v_lshlrev_b64 v[105:106], 4, v[97:98]
	v_add_co_u32 v97, vcc_lo, s4, v99
	v_add_co_ci_u32_e64 v98, null, s5, v100, vcc_lo
	v_add_co_u32 v99, vcc_lo, s4, v105
	v_add_co_ci_u32_e64 v100, null, s5, v106, vcc_lo
	global_load_dwordx4 v[116:119], v[97:98], off
	buffer_store_dword v122, off, s[0:3], 0 offset:664
	buffer_store_dword v121, off, s[0:3], 0 offset:660
	buffer_store_dword v120, off, s[0:3], 0 offset:656
	s_movk_i32 s4, 0x50
	global_load_dwordx4 v[120:123], v[99:100], off
	s_movk_i32 s5, 0x60
	s_waitcnt vmcnt(4)
	buffer_store_dword v104, off, s[0:3], 0 offset:684
	buffer_store_dword v103, off, s[0:3], 0 offset:680
	buffer_store_dword v102, off, s[0:3], 0 offset:676
	buffer_store_dword v101, off, s[0:3], 0 offset:672
	s_waitcnt vmcnt(3)
	buffer_store_dword v111, off, s[0:3], 0 offset:700
	buffer_store_dword v110, off, s[0:3], 0 offset:696
	buffer_store_dword v109, off, s[0:3], 0 offset:692
	buffer_store_dword v108, off, s[0:3], 0 offset:688
	;; [unrolled: 5-line block ×5, first 2 shown]
	buffer_store_dword v4, off, s[0:3], 0 offset:764
	buffer_store_dword v3, off, s[0:3], 0 offset:760
	;; [unrolled: 1-line block ×4, first 2 shown]
	s_cbranch_scc1 .LBB47_7
; %bb.2:
	v_lshl_add_u32 v108, v0, 4, 0
                                        ; implicit-def: $vgpr103_vgpr104
                                        ; implicit-def: $vgpr3_vgpr4
	s_clause 0x3
	buffer_load_dword v101, v108, s[0:3], 0 offen
	buffer_load_dword v102, v108, s[0:3], 0 offen offset:4
	buffer_load_dword v105, v108, s[0:3], 0 offen offset:8
	;; [unrolled: 1-line block ×3, first 2 shown]
	s_waitcnt vmcnt(0)
	v_cmp_ngt_f64_e64 s9, |v[101:102]|, |v[105:106]|
	s_and_saveexec_b32 s29, s9
	s_xor_b32 s9, exec_lo, s29
	s_cbranch_execz .LBB47_4
; %bb.3:
	v_div_scale_f64 v[1:2], null, v[105:106], v[105:106], v[101:102]
	v_div_scale_f64 v[109:110], vcc_lo, v[101:102], v[105:106], v[101:102]
	v_rcp_f64_e32 v[3:4], v[1:2]
	v_fma_f64 v[103:104], -v[1:2], v[3:4], 1.0
	v_fma_f64 v[3:4], v[3:4], v[103:104], v[3:4]
	v_fma_f64 v[103:104], -v[1:2], v[3:4], 1.0
	v_fma_f64 v[3:4], v[3:4], v[103:104], v[3:4]
	v_mul_f64 v[103:104], v[109:110], v[3:4]
	v_fma_f64 v[1:2], -v[1:2], v[103:104], v[109:110]
	v_div_fmas_f64 v[1:2], v[1:2], v[3:4], v[103:104]
	v_div_fixup_f64 v[1:2], v[1:2], v[105:106], v[101:102]
	v_fma_f64 v[3:4], v[101:102], v[1:2], v[105:106]
	v_div_scale_f64 v[101:102], null, v[3:4], v[3:4], 1.0
	v_div_scale_f64 v[109:110], vcc_lo, 1.0, v[3:4], 1.0
	v_rcp_f64_e32 v[103:104], v[101:102]
	v_fma_f64 v[105:106], -v[101:102], v[103:104], 1.0
	v_fma_f64 v[103:104], v[103:104], v[105:106], v[103:104]
	v_fma_f64 v[105:106], -v[101:102], v[103:104], 1.0
	v_fma_f64 v[103:104], v[103:104], v[105:106], v[103:104]
	v_mul_f64 v[105:106], v[109:110], v[103:104]
	v_fma_f64 v[101:102], -v[101:102], v[105:106], v[109:110]
	v_div_fmas_f64 v[101:102], v[101:102], v[103:104], v[105:106]
                                        ; implicit-def: $vgpr105_vgpr106
	v_div_fixup_f64 v[3:4], v[101:102], v[3:4], 1.0
                                        ; implicit-def: $vgpr101_vgpr102
	v_mul_f64 v[103:104], v[1:2], v[3:4]
	v_xor_b32_e32 v4, 0x80000000, v4
	v_xor_b32_e32 v2, 0x80000000, v104
	v_mov_b32_e32 v1, v103
.LBB47_4:
	s_andn2_saveexec_b32 s9, s9
	s_cbranch_execz .LBB47_6
; %bb.5:
	v_div_scale_f64 v[1:2], null, v[101:102], v[101:102], v[105:106]
	v_div_scale_f64 v[109:110], vcc_lo, v[105:106], v[101:102], v[105:106]
	v_rcp_f64_e32 v[3:4], v[1:2]
	v_fma_f64 v[103:104], -v[1:2], v[3:4], 1.0
	v_fma_f64 v[3:4], v[3:4], v[103:104], v[3:4]
	v_fma_f64 v[103:104], -v[1:2], v[3:4], 1.0
	v_fma_f64 v[3:4], v[3:4], v[103:104], v[3:4]
	v_mul_f64 v[103:104], v[109:110], v[3:4]
	v_fma_f64 v[1:2], -v[1:2], v[103:104], v[109:110]
	v_div_fmas_f64 v[1:2], v[1:2], v[3:4], v[103:104]
	v_div_fixup_f64 v[1:2], v[1:2], v[101:102], v[105:106]
	v_fma_f64 v[3:4], v[105:106], v[1:2], v[101:102]
	v_div_scale_f64 v[101:102], null, v[3:4], v[3:4], 1.0
	v_rcp_f64_e32 v[103:104], v[101:102]
	v_fma_f64 v[105:106], -v[101:102], v[103:104], 1.0
	v_fma_f64 v[103:104], v[103:104], v[105:106], v[103:104]
	v_fma_f64 v[105:106], -v[101:102], v[103:104], 1.0
	v_fma_f64 v[103:104], v[103:104], v[105:106], v[103:104]
	v_div_scale_f64 v[105:106], vcc_lo, 1.0, v[3:4], 1.0
	v_mul_f64 v[109:110], v[105:106], v[103:104]
	v_fma_f64 v[101:102], -v[101:102], v[109:110], v[105:106]
	v_div_fmas_f64 v[101:102], v[101:102], v[103:104], v[109:110]
	v_div_fixup_f64 v[103:104], v[101:102], v[3:4], 1.0
	v_mul_f64 v[3:4], v[1:2], -v[103:104]
	v_xor_b32_e32 v2, 0x80000000, v104
	v_mov_b32_e32 v1, v103
.LBB47_6:
	s_or_b32 exec_lo, exec_lo, s9
	buffer_store_dword v4, v108, s[0:3], 0 offen offset:12
	v_xor_b32_e32 v4, 0x80000000, v4
	buffer_store_dword v104, v108, s[0:3], 0 offen offset:4
	buffer_store_dword v103, v108, s[0:3], 0 offen
	buffer_store_dword v3, v108, s[0:3], 0 offen offset:8
	s_branch .LBB47_8
.LBB47_7:
	v_mov_b32_e32 v1, 0
	v_mov_b32_e32 v3, 0
	;; [unrolled: 1-line block ×4, first 2 shown]
.LBB47_8:
	v_add_nc_u32_e32 v102, 0x300, v107
	v_mov_b32_e32 v101, v107
	s_mov_b32 s54, 16
	s_mov_b32 s55, 32
	s_mov_b32 s53, 48
	s_mov_b32 s52, 64
	s_mov_b32 s51, s4
	s_mov_b32 s50, s5
	s_mov_b32 s49, s6
	s_mov_b32 s48, s7
	s_mov_b32 s47, s10
	s_mov_b32 s46, s11
	s_mov_b32 s45, s12
	s_mov_b32 s44, s13
	s_mov_b32 s43, s14
	s_mov_b32 s42, s15
	s_mov_b32 s41, s16
	s_mov_b32 s40, s17
	s_mov_b32 s39, s18
	s_mov_b32 s38, s19
	s_mov_b32 s37, s20
	s_mov_b32 s36, s21
	s_mov_b32 s35, s22
	s_mov_b32 s34, s23
	s_mov_b32 s33, s24
	s_mov_b32 s31, s25
	s_mov_b32 s30, s26
	s_mov_b32 s29, s27
	s_mov_b32 s27, s57
	s_mov_b32 s26, s58
	s_mov_b32 s25, s59
	s_mov_b32 s24, s60
	s_mov_b32 s23, s61
	s_mov_b32 s22, s62
	s_mov_b32 s21, s63
	s_mov_b32 s20, s64
	s_mov_b32 s19, s65
	s_mov_b32 s18, s66
	s_mov_b32 s17, s67
	s_mov_b32 s16, s68
	s_mov_b32 s15, s69
	s_mov_b32 s14, s70
	s_mov_b32 s13, s71
	s_mov_b32 s12, s72
	s_mov_b32 s11, s73
	s_mov_b32 s10, s74
	s_mov_b32 s9, s75
	s_mov_b32 s7, s76
	s_cmpk_eq_i32 s8, 0x79
	ds_write_b128 v107, v[1:4]
	s_cbranch_scc1 .LBB47_380
; %bb.9:
	v_mov_b32_e32 v4, s9
	v_cmp_eq_u32_e64 s4, 47, v0
	s_clause 0x3
	buffer_load_dword v1, v4, s[0:3], 0 offen
	buffer_load_dword v2, v4, s[0:3], 0 offen offset:4
	buffer_load_dword v3, v4, s[0:3], 0 offen offset:8
	;; [unrolled: 1-line block ×3, first 2 shown]
	s_waitcnt vmcnt(0)
	ds_write_b128 v102, v[1:4]
	s_waitcnt lgkmcnt(0)
	s_waitcnt_vscnt null, 0x0
	s_barrier
	buffer_gl0_inv
	s_and_saveexec_b32 s5, s4
	s_cbranch_execz .LBB47_13
; %bb.10:
	ds_read_b128 v[1:4], v102
	s_andn2_b32 vcc_lo, exec_lo, s56
	s_cbranch_vccnz .LBB47_12
; %bb.11:
	s_clause 0x3
	buffer_load_dword v103, v101, s[0:3], 0 offen offset:8
	buffer_load_dword v104, v101, s[0:3], 0 offen offset:12
	buffer_load_dword v105, v101, s[0:3], 0 offen
	buffer_load_dword v106, v101, s[0:3], 0 offen offset:4
	s_waitcnt vmcnt(2) lgkmcnt(0)
	v_mul_f64 v[108:109], v[3:4], v[103:104]
	v_mul_f64 v[103:104], v[1:2], v[103:104]
	s_waitcnt vmcnt(0)
	v_fma_f64 v[1:2], v[1:2], v[105:106], -v[108:109]
	v_fma_f64 v[3:4], v[3:4], v[105:106], v[103:104]
.LBB47_12:
	v_mov_b32_e32 v103, 0
	ds_read_b128 v[103:106], v103 offset:736
	s_waitcnt lgkmcnt(0)
	v_mul_f64 v[108:109], v[3:4], v[105:106]
	v_mul_f64 v[105:106], v[1:2], v[105:106]
	v_fma_f64 v[1:2], v[1:2], v[103:104], -v[108:109]
	v_fma_f64 v[3:4], v[3:4], v[103:104], v[105:106]
	buffer_store_dword v2, off, s[0:3], 0 offset:740
	buffer_store_dword v1, off, s[0:3], 0 offset:736
	;; [unrolled: 1-line block ×4, first 2 shown]
.LBB47_13:
	s_or_b32 exec_lo, exec_lo, s5
	v_mov_b32_e32 v4, s10
	v_cmp_lt_u32_e64 s5, 45, v0
	s_clause 0x3
	buffer_load_dword v1, v4, s[0:3], 0 offen
	buffer_load_dword v2, v4, s[0:3], 0 offen offset:4
	buffer_load_dword v3, v4, s[0:3], 0 offen offset:8
	;; [unrolled: 1-line block ×3, first 2 shown]
	s_waitcnt vmcnt(0)
	ds_write_b128 v102, v[1:4]
	s_waitcnt lgkmcnt(0)
	s_waitcnt_vscnt null, 0x0
	s_barrier
	buffer_gl0_inv
	s_and_saveexec_b32 s6, s5
	s_cbranch_execz .LBB47_19
; %bb.14:
	ds_read_b128 v[1:4], v102
	s_andn2_b32 vcc_lo, exec_lo, s56
	s_cbranch_vccnz .LBB47_16
; %bb.15:
	s_clause 0x3
	buffer_load_dword v103, v101, s[0:3], 0 offen offset:8
	buffer_load_dword v104, v101, s[0:3], 0 offen offset:12
	buffer_load_dword v105, v101, s[0:3], 0 offen
	buffer_load_dword v106, v101, s[0:3], 0 offen offset:4
	s_waitcnt vmcnt(2) lgkmcnt(0)
	v_mul_f64 v[108:109], v[3:4], v[103:104]
	v_mul_f64 v[103:104], v[1:2], v[103:104]
	s_waitcnt vmcnt(0)
	v_fma_f64 v[1:2], v[1:2], v[105:106], -v[108:109]
	v_fma_f64 v[3:4], v[3:4], v[105:106], v[103:104]
.LBB47_16:
	s_and_saveexec_b32 s8, s4
	s_cbranch_execz .LBB47_18
; %bb.17:
	s_clause 0x3
	buffer_load_dword v108, off, s[0:3], 0 offset:744
	buffer_load_dword v109, off, s[0:3], 0 offset:748
	;; [unrolled: 1-line block ×4, first 2 shown]
	v_mov_b32_e32 v103, 0
	ds_read_b128 v[103:106], v103 offset:1504
	s_waitcnt vmcnt(2) lgkmcnt(0)
	v_mul_f64 v[112:113], v[103:104], v[108:109]
	v_mul_f64 v[108:109], v[105:106], v[108:109]
	s_waitcnt vmcnt(0)
	v_fma_f64 v[105:106], v[105:106], v[110:111], v[112:113]
	v_fma_f64 v[103:104], v[103:104], v[110:111], -v[108:109]
	v_add_f64 v[3:4], v[3:4], v[105:106]
	v_add_f64 v[1:2], v[1:2], v[103:104]
.LBB47_18:
	s_or_b32 exec_lo, exec_lo, s8
	v_mov_b32_e32 v103, 0
	ds_read_b128 v[103:106], v103 offset:720
	s_waitcnt lgkmcnt(0)
	v_mul_f64 v[108:109], v[3:4], v[105:106]
	v_mul_f64 v[105:106], v[1:2], v[105:106]
	v_fma_f64 v[1:2], v[1:2], v[103:104], -v[108:109]
	v_fma_f64 v[3:4], v[3:4], v[103:104], v[105:106]
	buffer_store_dword v2, off, s[0:3], 0 offset:724
	buffer_store_dword v1, off, s[0:3], 0 offset:720
	;; [unrolled: 1-line block ×4, first 2 shown]
.LBB47_19:
	s_or_b32 exec_lo, exec_lo, s6
	v_mov_b32_e32 v4, s11
	v_cmp_lt_u32_e64 s4, 44, v0
	s_clause 0x3
	buffer_load_dword v1, v4, s[0:3], 0 offen
	buffer_load_dword v2, v4, s[0:3], 0 offen offset:4
	buffer_load_dword v3, v4, s[0:3], 0 offen offset:8
	;; [unrolled: 1-line block ×3, first 2 shown]
	s_waitcnt vmcnt(0)
	ds_write_b128 v102, v[1:4]
	s_waitcnt lgkmcnt(0)
	s_waitcnt_vscnt null, 0x0
	s_barrier
	buffer_gl0_inv
	s_and_saveexec_b32 s6, s4
	s_cbranch_execz .LBB47_27
; %bb.20:
	ds_read_b128 v[1:4], v102
	s_andn2_b32 vcc_lo, exec_lo, s56
	s_cbranch_vccnz .LBB47_22
; %bb.21:
	s_clause 0x3
	buffer_load_dword v103, v101, s[0:3], 0 offen offset:8
	buffer_load_dword v104, v101, s[0:3], 0 offen offset:12
	buffer_load_dword v105, v101, s[0:3], 0 offen
	buffer_load_dword v106, v101, s[0:3], 0 offen offset:4
	s_waitcnt vmcnt(2) lgkmcnt(0)
	v_mul_f64 v[108:109], v[3:4], v[103:104]
	v_mul_f64 v[103:104], v[1:2], v[103:104]
	s_waitcnt vmcnt(0)
	v_fma_f64 v[1:2], v[1:2], v[105:106], -v[108:109]
	v_fma_f64 v[3:4], v[3:4], v[105:106], v[103:104]
.LBB47_22:
	s_and_saveexec_b32 s8, s5
	s_cbranch_execz .LBB47_26
; %bb.23:
	v_subrev_nc_u32_e32 v103, 45, v0
	s_movk_i32 s57, 0x5d0
	s_mov_b32 s5, 0
	s_mov_b32 s58, s10
	.p2align	6
.LBB47_24:                              ; =>This Inner Loop Header: Depth=1
	v_mov_b32_e32 v106, s58
	v_add_nc_u32_e32 v103, -1, v103
	s_add_i32 s58, s58, 16
	s_clause 0x3
	buffer_load_dword v104, v106, s[0:3], 0 offen offset:8
	buffer_load_dword v105, v106, s[0:3], 0 offen offset:12
	buffer_load_dword v112, v106, s[0:3], 0 offen
	buffer_load_dword v113, v106, s[0:3], 0 offen offset:4
	v_mov_b32_e32 v106, s57
	v_cmp_eq_u32_e32 vcc_lo, 0, v103
	s_add_i32 s57, s57, 16
	ds_read_b128 v[108:111], v106
	s_or_b32 s5, vcc_lo, s5
	s_waitcnt vmcnt(2) lgkmcnt(0)
	v_mul_f64 v[114:115], v[110:111], v[104:105]
	v_mul_f64 v[104:105], v[108:109], v[104:105]
	s_waitcnt vmcnt(0)
	v_fma_f64 v[108:109], v[108:109], v[112:113], -v[114:115]
	v_fma_f64 v[104:105], v[110:111], v[112:113], v[104:105]
	v_add_f64 v[1:2], v[1:2], v[108:109]
	v_add_f64 v[3:4], v[3:4], v[104:105]
	s_andn2_b32 exec_lo, exec_lo, s5
	s_cbranch_execnz .LBB47_24
; %bb.25:
	s_or_b32 exec_lo, exec_lo, s5
.LBB47_26:
	s_or_b32 exec_lo, exec_lo, s8
	v_mov_b32_e32 v103, 0
	ds_read_b128 v[103:106], v103 offset:704
	s_waitcnt lgkmcnt(0)
	v_mul_f64 v[108:109], v[3:4], v[105:106]
	v_mul_f64 v[105:106], v[1:2], v[105:106]
	v_fma_f64 v[1:2], v[1:2], v[103:104], -v[108:109]
	v_fma_f64 v[3:4], v[3:4], v[103:104], v[105:106]
	buffer_store_dword v2, off, s[0:3], 0 offset:708
	buffer_store_dword v1, off, s[0:3], 0 offset:704
	;; [unrolled: 1-line block ×4, first 2 shown]
.LBB47_27:
	s_or_b32 exec_lo, exec_lo, s6
	v_mov_b32_e32 v4, s12
	v_cmp_lt_u32_e64 s5, 43, v0
	s_clause 0x3
	buffer_load_dword v1, v4, s[0:3], 0 offen
	buffer_load_dword v2, v4, s[0:3], 0 offen offset:4
	buffer_load_dword v3, v4, s[0:3], 0 offen offset:8
	;; [unrolled: 1-line block ×3, first 2 shown]
	s_waitcnt vmcnt(0)
	ds_write_b128 v102, v[1:4]
	s_waitcnt lgkmcnt(0)
	s_waitcnt_vscnt null, 0x0
	s_barrier
	buffer_gl0_inv
	s_and_saveexec_b32 s6, s5
	s_cbranch_execz .LBB47_35
; %bb.28:
	ds_read_b128 v[1:4], v102
	s_andn2_b32 vcc_lo, exec_lo, s56
	s_cbranch_vccnz .LBB47_30
; %bb.29:
	s_clause 0x3
	buffer_load_dword v103, v101, s[0:3], 0 offen offset:8
	buffer_load_dword v104, v101, s[0:3], 0 offen offset:12
	buffer_load_dword v105, v101, s[0:3], 0 offen
	buffer_load_dword v106, v101, s[0:3], 0 offen offset:4
	s_waitcnt vmcnt(2) lgkmcnt(0)
	v_mul_f64 v[108:109], v[3:4], v[103:104]
	v_mul_f64 v[103:104], v[1:2], v[103:104]
	s_waitcnt vmcnt(0)
	v_fma_f64 v[1:2], v[1:2], v[105:106], -v[108:109]
	v_fma_f64 v[3:4], v[3:4], v[105:106], v[103:104]
.LBB47_30:
	s_and_saveexec_b32 s8, s4
	s_cbranch_execz .LBB47_34
; %bb.31:
	v_subrev_nc_u32_e32 v103, 44, v0
	s_movk_i32 s57, 0x5c0
	s_mov_b32 s4, 0
	s_mov_b32 s58, s11
	.p2align	6
.LBB47_32:                              ; =>This Inner Loop Header: Depth=1
	v_mov_b32_e32 v106, s58
	v_add_nc_u32_e32 v103, -1, v103
	s_add_i32 s58, s58, 16
	s_clause 0x3
	buffer_load_dword v104, v106, s[0:3], 0 offen offset:8
	buffer_load_dword v105, v106, s[0:3], 0 offen offset:12
	buffer_load_dword v112, v106, s[0:3], 0 offen
	buffer_load_dword v113, v106, s[0:3], 0 offen offset:4
	v_mov_b32_e32 v106, s57
	v_cmp_eq_u32_e32 vcc_lo, 0, v103
	s_add_i32 s57, s57, 16
	ds_read_b128 v[108:111], v106
	s_or_b32 s4, vcc_lo, s4
	s_waitcnt vmcnt(2) lgkmcnt(0)
	v_mul_f64 v[114:115], v[110:111], v[104:105]
	v_mul_f64 v[104:105], v[108:109], v[104:105]
	s_waitcnt vmcnt(0)
	v_fma_f64 v[108:109], v[108:109], v[112:113], -v[114:115]
	v_fma_f64 v[104:105], v[110:111], v[112:113], v[104:105]
	v_add_f64 v[1:2], v[1:2], v[108:109]
	v_add_f64 v[3:4], v[3:4], v[104:105]
	s_andn2_b32 exec_lo, exec_lo, s4
	s_cbranch_execnz .LBB47_32
; %bb.33:
	s_or_b32 exec_lo, exec_lo, s4
.LBB47_34:
	s_or_b32 exec_lo, exec_lo, s8
	v_mov_b32_e32 v103, 0
	ds_read_b128 v[103:106], v103 offset:688
	s_waitcnt lgkmcnt(0)
	v_mul_f64 v[108:109], v[3:4], v[105:106]
	v_mul_f64 v[105:106], v[1:2], v[105:106]
	v_fma_f64 v[1:2], v[1:2], v[103:104], -v[108:109]
	v_fma_f64 v[3:4], v[3:4], v[103:104], v[105:106]
	buffer_store_dword v2, off, s[0:3], 0 offset:692
	buffer_store_dword v1, off, s[0:3], 0 offset:688
	;; [unrolled: 1-line block ×4, first 2 shown]
.LBB47_35:
	s_or_b32 exec_lo, exec_lo, s6
	v_mov_b32_e32 v4, s13
	v_cmp_lt_u32_e64 s4, 42, v0
	s_clause 0x3
	buffer_load_dword v1, v4, s[0:3], 0 offen
	buffer_load_dword v2, v4, s[0:3], 0 offen offset:4
	buffer_load_dword v3, v4, s[0:3], 0 offen offset:8
	;; [unrolled: 1-line block ×3, first 2 shown]
	s_waitcnt vmcnt(0)
	ds_write_b128 v102, v[1:4]
	s_waitcnt lgkmcnt(0)
	s_waitcnt_vscnt null, 0x0
	s_barrier
	buffer_gl0_inv
	s_and_saveexec_b32 s6, s4
	s_cbranch_execz .LBB47_43
; %bb.36:
	ds_read_b128 v[1:4], v102
	s_andn2_b32 vcc_lo, exec_lo, s56
	s_cbranch_vccnz .LBB47_38
; %bb.37:
	s_clause 0x3
	buffer_load_dword v103, v101, s[0:3], 0 offen offset:8
	buffer_load_dword v104, v101, s[0:3], 0 offen offset:12
	buffer_load_dword v105, v101, s[0:3], 0 offen
	buffer_load_dword v106, v101, s[0:3], 0 offen offset:4
	s_waitcnt vmcnt(2) lgkmcnt(0)
	v_mul_f64 v[108:109], v[3:4], v[103:104]
	v_mul_f64 v[103:104], v[1:2], v[103:104]
	s_waitcnt vmcnt(0)
	v_fma_f64 v[1:2], v[1:2], v[105:106], -v[108:109]
	v_fma_f64 v[3:4], v[3:4], v[105:106], v[103:104]
.LBB47_38:
	s_and_saveexec_b32 s8, s5
	s_cbranch_execz .LBB47_42
; %bb.39:
	v_subrev_nc_u32_e32 v103, 43, v0
	s_movk_i32 s57, 0x5b0
	s_mov_b32 s5, 0
	s_mov_b32 s58, s12
	.p2align	6
.LBB47_40:                              ; =>This Inner Loop Header: Depth=1
	v_mov_b32_e32 v106, s58
	v_add_nc_u32_e32 v103, -1, v103
	s_add_i32 s58, s58, 16
	s_clause 0x3
	buffer_load_dword v104, v106, s[0:3], 0 offen offset:8
	buffer_load_dword v105, v106, s[0:3], 0 offen offset:12
	buffer_load_dword v112, v106, s[0:3], 0 offen
	buffer_load_dword v113, v106, s[0:3], 0 offen offset:4
	v_mov_b32_e32 v106, s57
	v_cmp_eq_u32_e32 vcc_lo, 0, v103
	s_add_i32 s57, s57, 16
	ds_read_b128 v[108:111], v106
	s_or_b32 s5, vcc_lo, s5
	s_waitcnt vmcnt(2) lgkmcnt(0)
	v_mul_f64 v[114:115], v[110:111], v[104:105]
	v_mul_f64 v[104:105], v[108:109], v[104:105]
	s_waitcnt vmcnt(0)
	v_fma_f64 v[108:109], v[108:109], v[112:113], -v[114:115]
	v_fma_f64 v[104:105], v[110:111], v[112:113], v[104:105]
	v_add_f64 v[1:2], v[1:2], v[108:109]
	v_add_f64 v[3:4], v[3:4], v[104:105]
	s_andn2_b32 exec_lo, exec_lo, s5
	s_cbranch_execnz .LBB47_40
; %bb.41:
	s_or_b32 exec_lo, exec_lo, s5
.LBB47_42:
	s_or_b32 exec_lo, exec_lo, s8
	v_mov_b32_e32 v103, 0
	ds_read_b128 v[103:106], v103 offset:672
	s_waitcnt lgkmcnt(0)
	v_mul_f64 v[108:109], v[3:4], v[105:106]
	v_mul_f64 v[105:106], v[1:2], v[105:106]
	v_fma_f64 v[1:2], v[1:2], v[103:104], -v[108:109]
	v_fma_f64 v[3:4], v[3:4], v[103:104], v[105:106]
	buffer_store_dword v2, off, s[0:3], 0 offset:676
	buffer_store_dword v1, off, s[0:3], 0 offset:672
	;; [unrolled: 1-line block ×4, first 2 shown]
.LBB47_43:
	s_or_b32 exec_lo, exec_lo, s6
	v_mov_b32_e32 v4, s14
	v_cmp_lt_u32_e64 s5, 41, v0
	s_clause 0x3
	buffer_load_dword v1, v4, s[0:3], 0 offen
	buffer_load_dword v2, v4, s[0:3], 0 offen offset:4
	buffer_load_dword v3, v4, s[0:3], 0 offen offset:8
	;; [unrolled: 1-line block ×3, first 2 shown]
	s_waitcnt vmcnt(0)
	ds_write_b128 v102, v[1:4]
	s_waitcnt lgkmcnt(0)
	s_waitcnt_vscnt null, 0x0
	s_barrier
	buffer_gl0_inv
	s_and_saveexec_b32 s6, s5
	s_cbranch_execz .LBB47_51
; %bb.44:
	ds_read_b128 v[1:4], v102
	s_andn2_b32 vcc_lo, exec_lo, s56
	s_cbranch_vccnz .LBB47_46
; %bb.45:
	s_clause 0x3
	buffer_load_dword v103, v101, s[0:3], 0 offen offset:8
	buffer_load_dword v104, v101, s[0:3], 0 offen offset:12
	buffer_load_dword v105, v101, s[0:3], 0 offen
	buffer_load_dword v106, v101, s[0:3], 0 offen offset:4
	s_waitcnt vmcnt(2) lgkmcnt(0)
	v_mul_f64 v[108:109], v[3:4], v[103:104]
	v_mul_f64 v[103:104], v[1:2], v[103:104]
	s_waitcnt vmcnt(0)
	v_fma_f64 v[1:2], v[1:2], v[105:106], -v[108:109]
	v_fma_f64 v[3:4], v[3:4], v[105:106], v[103:104]
.LBB47_46:
	s_and_saveexec_b32 s8, s4
	s_cbranch_execz .LBB47_50
; %bb.47:
	v_subrev_nc_u32_e32 v103, 42, v0
	s_movk_i32 s57, 0x5a0
	s_mov_b32 s4, 0
	s_mov_b32 s58, s13
	.p2align	6
.LBB47_48:                              ; =>This Inner Loop Header: Depth=1
	v_mov_b32_e32 v106, s58
	v_add_nc_u32_e32 v103, -1, v103
	s_add_i32 s58, s58, 16
	s_clause 0x3
	buffer_load_dword v104, v106, s[0:3], 0 offen offset:8
	buffer_load_dword v105, v106, s[0:3], 0 offen offset:12
	buffer_load_dword v112, v106, s[0:3], 0 offen
	buffer_load_dword v113, v106, s[0:3], 0 offen offset:4
	v_mov_b32_e32 v106, s57
	v_cmp_eq_u32_e32 vcc_lo, 0, v103
	s_add_i32 s57, s57, 16
	ds_read_b128 v[108:111], v106
	s_or_b32 s4, vcc_lo, s4
	s_waitcnt vmcnt(2) lgkmcnt(0)
	v_mul_f64 v[114:115], v[110:111], v[104:105]
	v_mul_f64 v[104:105], v[108:109], v[104:105]
	s_waitcnt vmcnt(0)
	v_fma_f64 v[108:109], v[108:109], v[112:113], -v[114:115]
	v_fma_f64 v[104:105], v[110:111], v[112:113], v[104:105]
	v_add_f64 v[1:2], v[1:2], v[108:109]
	v_add_f64 v[3:4], v[3:4], v[104:105]
	s_andn2_b32 exec_lo, exec_lo, s4
	s_cbranch_execnz .LBB47_48
; %bb.49:
	s_or_b32 exec_lo, exec_lo, s4
.LBB47_50:
	s_or_b32 exec_lo, exec_lo, s8
	v_mov_b32_e32 v103, 0
	ds_read_b128 v[103:106], v103 offset:656
	s_waitcnt lgkmcnt(0)
	v_mul_f64 v[108:109], v[3:4], v[105:106]
	v_mul_f64 v[105:106], v[1:2], v[105:106]
	v_fma_f64 v[1:2], v[1:2], v[103:104], -v[108:109]
	v_fma_f64 v[3:4], v[3:4], v[103:104], v[105:106]
	buffer_store_dword v2, off, s[0:3], 0 offset:660
	buffer_store_dword v1, off, s[0:3], 0 offset:656
	;; [unrolled: 1-line block ×4, first 2 shown]
.LBB47_51:
	s_or_b32 exec_lo, exec_lo, s6
	v_mov_b32_e32 v4, s15
	v_cmp_lt_u32_e64 s4, 40, v0
	s_clause 0x3
	buffer_load_dword v1, v4, s[0:3], 0 offen
	buffer_load_dword v2, v4, s[0:3], 0 offen offset:4
	buffer_load_dword v3, v4, s[0:3], 0 offen offset:8
	;; [unrolled: 1-line block ×3, first 2 shown]
	s_waitcnt vmcnt(0)
	ds_write_b128 v102, v[1:4]
	s_waitcnt lgkmcnt(0)
	s_waitcnt_vscnt null, 0x0
	s_barrier
	buffer_gl0_inv
	s_and_saveexec_b32 s6, s4
	s_cbranch_execz .LBB47_59
; %bb.52:
	ds_read_b128 v[1:4], v102
	s_andn2_b32 vcc_lo, exec_lo, s56
	s_cbranch_vccnz .LBB47_54
; %bb.53:
	s_clause 0x3
	buffer_load_dword v103, v101, s[0:3], 0 offen offset:8
	buffer_load_dword v104, v101, s[0:3], 0 offen offset:12
	buffer_load_dword v105, v101, s[0:3], 0 offen
	buffer_load_dword v106, v101, s[0:3], 0 offen offset:4
	s_waitcnt vmcnt(2) lgkmcnt(0)
	v_mul_f64 v[108:109], v[3:4], v[103:104]
	v_mul_f64 v[103:104], v[1:2], v[103:104]
	s_waitcnt vmcnt(0)
	v_fma_f64 v[1:2], v[1:2], v[105:106], -v[108:109]
	v_fma_f64 v[3:4], v[3:4], v[105:106], v[103:104]
.LBB47_54:
	s_and_saveexec_b32 s8, s5
	s_cbranch_execz .LBB47_58
; %bb.55:
	v_subrev_nc_u32_e32 v103, 41, v0
	s_movk_i32 s57, 0x590
	s_mov_b32 s5, 0
	s_mov_b32 s58, s14
	.p2align	6
.LBB47_56:                              ; =>This Inner Loop Header: Depth=1
	v_mov_b32_e32 v106, s58
	v_add_nc_u32_e32 v103, -1, v103
	s_add_i32 s58, s58, 16
	s_clause 0x3
	buffer_load_dword v104, v106, s[0:3], 0 offen offset:8
	buffer_load_dword v105, v106, s[0:3], 0 offen offset:12
	buffer_load_dword v112, v106, s[0:3], 0 offen
	buffer_load_dword v113, v106, s[0:3], 0 offen offset:4
	v_mov_b32_e32 v106, s57
	v_cmp_eq_u32_e32 vcc_lo, 0, v103
	s_add_i32 s57, s57, 16
	ds_read_b128 v[108:111], v106
	s_or_b32 s5, vcc_lo, s5
	s_waitcnt vmcnt(2) lgkmcnt(0)
	v_mul_f64 v[114:115], v[110:111], v[104:105]
	v_mul_f64 v[104:105], v[108:109], v[104:105]
	s_waitcnt vmcnt(0)
	v_fma_f64 v[108:109], v[108:109], v[112:113], -v[114:115]
	v_fma_f64 v[104:105], v[110:111], v[112:113], v[104:105]
	v_add_f64 v[1:2], v[1:2], v[108:109]
	v_add_f64 v[3:4], v[3:4], v[104:105]
	s_andn2_b32 exec_lo, exec_lo, s5
	s_cbranch_execnz .LBB47_56
; %bb.57:
	s_or_b32 exec_lo, exec_lo, s5
.LBB47_58:
	s_or_b32 exec_lo, exec_lo, s8
	v_mov_b32_e32 v103, 0
	ds_read_b128 v[103:106], v103 offset:640
	s_waitcnt lgkmcnt(0)
	v_mul_f64 v[108:109], v[3:4], v[105:106]
	v_mul_f64 v[105:106], v[1:2], v[105:106]
	v_fma_f64 v[1:2], v[1:2], v[103:104], -v[108:109]
	v_fma_f64 v[3:4], v[3:4], v[103:104], v[105:106]
	buffer_store_dword v2, off, s[0:3], 0 offset:644
	buffer_store_dword v1, off, s[0:3], 0 offset:640
	;; [unrolled: 1-line block ×4, first 2 shown]
.LBB47_59:
	s_or_b32 exec_lo, exec_lo, s6
	v_mov_b32_e32 v4, s16
	v_cmp_lt_u32_e64 s5, 39, v0
	s_clause 0x3
	buffer_load_dword v1, v4, s[0:3], 0 offen
	buffer_load_dword v2, v4, s[0:3], 0 offen offset:4
	buffer_load_dword v3, v4, s[0:3], 0 offen offset:8
	;; [unrolled: 1-line block ×3, first 2 shown]
	s_waitcnt vmcnt(0)
	ds_write_b128 v102, v[1:4]
	s_waitcnt lgkmcnt(0)
	s_waitcnt_vscnt null, 0x0
	s_barrier
	buffer_gl0_inv
	s_and_saveexec_b32 s6, s5
	s_cbranch_execz .LBB47_67
; %bb.60:
	ds_read_b128 v[1:4], v102
	s_andn2_b32 vcc_lo, exec_lo, s56
	s_cbranch_vccnz .LBB47_62
; %bb.61:
	s_clause 0x3
	buffer_load_dword v103, v101, s[0:3], 0 offen offset:8
	buffer_load_dword v104, v101, s[0:3], 0 offen offset:12
	buffer_load_dword v105, v101, s[0:3], 0 offen
	buffer_load_dword v106, v101, s[0:3], 0 offen offset:4
	s_waitcnt vmcnt(2) lgkmcnt(0)
	v_mul_f64 v[108:109], v[3:4], v[103:104]
	v_mul_f64 v[103:104], v[1:2], v[103:104]
	s_waitcnt vmcnt(0)
	v_fma_f64 v[1:2], v[1:2], v[105:106], -v[108:109]
	v_fma_f64 v[3:4], v[3:4], v[105:106], v[103:104]
.LBB47_62:
	s_and_saveexec_b32 s8, s4
	s_cbranch_execz .LBB47_66
; %bb.63:
	v_subrev_nc_u32_e32 v103, 40, v0
	s_movk_i32 s57, 0x580
	s_mov_b32 s4, 0
	s_mov_b32 s58, s15
	.p2align	6
.LBB47_64:                              ; =>This Inner Loop Header: Depth=1
	v_mov_b32_e32 v106, s58
	v_add_nc_u32_e32 v103, -1, v103
	s_add_i32 s58, s58, 16
	s_clause 0x3
	buffer_load_dword v104, v106, s[0:3], 0 offen offset:8
	buffer_load_dword v105, v106, s[0:3], 0 offen offset:12
	buffer_load_dword v112, v106, s[0:3], 0 offen
	buffer_load_dword v113, v106, s[0:3], 0 offen offset:4
	v_mov_b32_e32 v106, s57
	v_cmp_eq_u32_e32 vcc_lo, 0, v103
	s_add_i32 s57, s57, 16
	ds_read_b128 v[108:111], v106
	s_or_b32 s4, vcc_lo, s4
	s_waitcnt vmcnt(2) lgkmcnt(0)
	v_mul_f64 v[114:115], v[110:111], v[104:105]
	v_mul_f64 v[104:105], v[108:109], v[104:105]
	s_waitcnt vmcnt(0)
	v_fma_f64 v[108:109], v[108:109], v[112:113], -v[114:115]
	v_fma_f64 v[104:105], v[110:111], v[112:113], v[104:105]
	v_add_f64 v[1:2], v[1:2], v[108:109]
	v_add_f64 v[3:4], v[3:4], v[104:105]
	s_andn2_b32 exec_lo, exec_lo, s4
	s_cbranch_execnz .LBB47_64
; %bb.65:
	s_or_b32 exec_lo, exec_lo, s4
.LBB47_66:
	s_or_b32 exec_lo, exec_lo, s8
	v_mov_b32_e32 v103, 0
	ds_read_b128 v[103:106], v103 offset:624
	s_waitcnt lgkmcnt(0)
	v_mul_f64 v[108:109], v[3:4], v[105:106]
	v_mul_f64 v[105:106], v[1:2], v[105:106]
	v_fma_f64 v[1:2], v[1:2], v[103:104], -v[108:109]
	v_fma_f64 v[3:4], v[3:4], v[103:104], v[105:106]
	buffer_store_dword v2, off, s[0:3], 0 offset:628
	buffer_store_dword v1, off, s[0:3], 0 offset:624
	;; [unrolled: 1-line block ×4, first 2 shown]
.LBB47_67:
	s_or_b32 exec_lo, exec_lo, s6
	v_mov_b32_e32 v4, s17
	v_cmp_lt_u32_e64 s4, 38, v0
	s_clause 0x3
	buffer_load_dword v1, v4, s[0:3], 0 offen
	buffer_load_dword v2, v4, s[0:3], 0 offen offset:4
	buffer_load_dword v3, v4, s[0:3], 0 offen offset:8
	;; [unrolled: 1-line block ×3, first 2 shown]
	s_waitcnt vmcnt(0)
	ds_write_b128 v102, v[1:4]
	s_waitcnt lgkmcnt(0)
	s_waitcnt_vscnt null, 0x0
	s_barrier
	buffer_gl0_inv
	s_and_saveexec_b32 s6, s4
	s_cbranch_execz .LBB47_75
; %bb.68:
	ds_read_b128 v[1:4], v102
	s_andn2_b32 vcc_lo, exec_lo, s56
	s_cbranch_vccnz .LBB47_70
; %bb.69:
	s_clause 0x3
	buffer_load_dword v103, v101, s[0:3], 0 offen offset:8
	buffer_load_dword v104, v101, s[0:3], 0 offen offset:12
	buffer_load_dword v105, v101, s[0:3], 0 offen
	buffer_load_dword v106, v101, s[0:3], 0 offen offset:4
	s_waitcnt vmcnt(2) lgkmcnt(0)
	v_mul_f64 v[108:109], v[3:4], v[103:104]
	v_mul_f64 v[103:104], v[1:2], v[103:104]
	s_waitcnt vmcnt(0)
	v_fma_f64 v[1:2], v[1:2], v[105:106], -v[108:109]
	v_fma_f64 v[3:4], v[3:4], v[105:106], v[103:104]
.LBB47_70:
	s_and_saveexec_b32 s8, s5
	s_cbranch_execz .LBB47_74
; %bb.71:
	v_subrev_nc_u32_e32 v103, 39, v0
	s_movk_i32 s57, 0x570
	s_mov_b32 s5, 0
	s_mov_b32 s58, s16
	.p2align	6
.LBB47_72:                              ; =>This Inner Loop Header: Depth=1
	v_mov_b32_e32 v106, s58
	v_add_nc_u32_e32 v103, -1, v103
	s_add_i32 s58, s58, 16
	s_clause 0x3
	buffer_load_dword v104, v106, s[0:3], 0 offen offset:8
	buffer_load_dword v105, v106, s[0:3], 0 offen offset:12
	buffer_load_dword v112, v106, s[0:3], 0 offen
	buffer_load_dword v113, v106, s[0:3], 0 offen offset:4
	v_mov_b32_e32 v106, s57
	v_cmp_eq_u32_e32 vcc_lo, 0, v103
	s_add_i32 s57, s57, 16
	ds_read_b128 v[108:111], v106
	s_or_b32 s5, vcc_lo, s5
	s_waitcnt vmcnt(2) lgkmcnt(0)
	v_mul_f64 v[114:115], v[110:111], v[104:105]
	v_mul_f64 v[104:105], v[108:109], v[104:105]
	s_waitcnt vmcnt(0)
	v_fma_f64 v[108:109], v[108:109], v[112:113], -v[114:115]
	v_fma_f64 v[104:105], v[110:111], v[112:113], v[104:105]
	v_add_f64 v[1:2], v[1:2], v[108:109]
	v_add_f64 v[3:4], v[3:4], v[104:105]
	s_andn2_b32 exec_lo, exec_lo, s5
	s_cbranch_execnz .LBB47_72
; %bb.73:
	s_or_b32 exec_lo, exec_lo, s5
.LBB47_74:
	s_or_b32 exec_lo, exec_lo, s8
	v_mov_b32_e32 v103, 0
	ds_read_b128 v[103:106], v103 offset:608
	s_waitcnt lgkmcnt(0)
	v_mul_f64 v[108:109], v[3:4], v[105:106]
	v_mul_f64 v[105:106], v[1:2], v[105:106]
	v_fma_f64 v[1:2], v[1:2], v[103:104], -v[108:109]
	v_fma_f64 v[3:4], v[3:4], v[103:104], v[105:106]
	buffer_store_dword v2, off, s[0:3], 0 offset:612
	buffer_store_dword v1, off, s[0:3], 0 offset:608
	buffer_store_dword v4, off, s[0:3], 0 offset:620
	buffer_store_dword v3, off, s[0:3], 0 offset:616
.LBB47_75:
	s_or_b32 exec_lo, exec_lo, s6
	v_mov_b32_e32 v4, s18
	v_cmp_lt_u32_e64 s5, 37, v0
	s_clause 0x3
	buffer_load_dword v1, v4, s[0:3], 0 offen
	buffer_load_dword v2, v4, s[0:3], 0 offen offset:4
	buffer_load_dword v3, v4, s[0:3], 0 offen offset:8
	;; [unrolled: 1-line block ×3, first 2 shown]
	s_waitcnt vmcnt(0)
	ds_write_b128 v102, v[1:4]
	s_waitcnt lgkmcnt(0)
	s_waitcnt_vscnt null, 0x0
	s_barrier
	buffer_gl0_inv
	s_and_saveexec_b32 s6, s5
	s_cbranch_execz .LBB47_83
; %bb.76:
	ds_read_b128 v[1:4], v102
	s_andn2_b32 vcc_lo, exec_lo, s56
	s_cbranch_vccnz .LBB47_78
; %bb.77:
	s_clause 0x3
	buffer_load_dword v103, v101, s[0:3], 0 offen offset:8
	buffer_load_dword v104, v101, s[0:3], 0 offen offset:12
	buffer_load_dword v105, v101, s[0:3], 0 offen
	buffer_load_dword v106, v101, s[0:3], 0 offen offset:4
	s_waitcnt vmcnt(2) lgkmcnt(0)
	v_mul_f64 v[108:109], v[3:4], v[103:104]
	v_mul_f64 v[103:104], v[1:2], v[103:104]
	s_waitcnt vmcnt(0)
	v_fma_f64 v[1:2], v[1:2], v[105:106], -v[108:109]
	v_fma_f64 v[3:4], v[3:4], v[105:106], v[103:104]
.LBB47_78:
	s_and_saveexec_b32 s8, s4
	s_cbranch_execz .LBB47_82
; %bb.79:
	v_subrev_nc_u32_e32 v103, 38, v0
	s_movk_i32 s57, 0x560
	s_mov_b32 s4, 0
	s_mov_b32 s58, s17
	.p2align	6
.LBB47_80:                              ; =>This Inner Loop Header: Depth=1
	v_mov_b32_e32 v106, s58
	v_add_nc_u32_e32 v103, -1, v103
	s_add_i32 s58, s58, 16
	s_clause 0x3
	buffer_load_dword v104, v106, s[0:3], 0 offen offset:8
	buffer_load_dword v105, v106, s[0:3], 0 offen offset:12
	buffer_load_dword v112, v106, s[0:3], 0 offen
	buffer_load_dword v113, v106, s[0:3], 0 offen offset:4
	v_mov_b32_e32 v106, s57
	v_cmp_eq_u32_e32 vcc_lo, 0, v103
	s_add_i32 s57, s57, 16
	ds_read_b128 v[108:111], v106
	s_or_b32 s4, vcc_lo, s4
	s_waitcnt vmcnt(2) lgkmcnt(0)
	v_mul_f64 v[114:115], v[110:111], v[104:105]
	v_mul_f64 v[104:105], v[108:109], v[104:105]
	s_waitcnt vmcnt(0)
	v_fma_f64 v[108:109], v[108:109], v[112:113], -v[114:115]
	v_fma_f64 v[104:105], v[110:111], v[112:113], v[104:105]
	v_add_f64 v[1:2], v[1:2], v[108:109]
	v_add_f64 v[3:4], v[3:4], v[104:105]
	s_andn2_b32 exec_lo, exec_lo, s4
	s_cbranch_execnz .LBB47_80
; %bb.81:
	s_or_b32 exec_lo, exec_lo, s4
.LBB47_82:
	s_or_b32 exec_lo, exec_lo, s8
	v_mov_b32_e32 v103, 0
	ds_read_b128 v[103:106], v103 offset:592
	s_waitcnt lgkmcnt(0)
	v_mul_f64 v[108:109], v[3:4], v[105:106]
	v_mul_f64 v[105:106], v[1:2], v[105:106]
	v_fma_f64 v[1:2], v[1:2], v[103:104], -v[108:109]
	v_fma_f64 v[3:4], v[3:4], v[103:104], v[105:106]
	buffer_store_dword v2, off, s[0:3], 0 offset:596
	buffer_store_dword v1, off, s[0:3], 0 offset:592
	;; [unrolled: 1-line block ×4, first 2 shown]
.LBB47_83:
	s_or_b32 exec_lo, exec_lo, s6
	v_mov_b32_e32 v4, s19
	v_cmp_lt_u32_e64 s4, 36, v0
	s_clause 0x3
	buffer_load_dword v1, v4, s[0:3], 0 offen
	buffer_load_dword v2, v4, s[0:3], 0 offen offset:4
	buffer_load_dword v3, v4, s[0:3], 0 offen offset:8
	;; [unrolled: 1-line block ×3, first 2 shown]
	s_waitcnt vmcnt(0)
	ds_write_b128 v102, v[1:4]
	s_waitcnt lgkmcnt(0)
	s_waitcnt_vscnt null, 0x0
	s_barrier
	buffer_gl0_inv
	s_and_saveexec_b32 s6, s4
	s_cbranch_execz .LBB47_91
; %bb.84:
	ds_read_b128 v[1:4], v102
	s_andn2_b32 vcc_lo, exec_lo, s56
	s_cbranch_vccnz .LBB47_86
; %bb.85:
	s_clause 0x3
	buffer_load_dword v103, v101, s[0:3], 0 offen offset:8
	buffer_load_dword v104, v101, s[0:3], 0 offen offset:12
	buffer_load_dword v105, v101, s[0:3], 0 offen
	buffer_load_dword v106, v101, s[0:3], 0 offen offset:4
	s_waitcnt vmcnt(2) lgkmcnt(0)
	v_mul_f64 v[108:109], v[3:4], v[103:104]
	v_mul_f64 v[103:104], v[1:2], v[103:104]
	s_waitcnt vmcnt(0)
	v_fma_f64 v[1:2], v[1:2], v[105:106], -v[108:109]
	v_fma_f64 v[3:4], v[3:4], v[105:106], v[103:104]
.LBB47_86:
	s_and_saveexec_b32 s8, s5
	s_cbranch_execz .LBB47_90
; %bb.87:
	v_subrev_nc_u32_e32 v103, 37, v0
	s_movk_i32 s57, 0x550
	s_mov_b32 s5, 0
	s_mov_b32 s58, s18
	.p2align	6
.LBB47_88:                              ; =>This Inner Loop Header: Depth=1
	v_mov_b32_e32 v106, s58
	v_add_nc_u32_e32 v103, -1, v103
	s_add_i32 s58, s58, 16
	s_clause 0x3
	buffer_load_dword v104, v106, s[0:3], 0 offen offset:8
	buffer_load_dword v105, v106, s[0:3], 0 offen offset:12
	buffer_load_dword v112, v106, s[0:3], 0 offen
	buffer_load_dword v113, v106, s[0:3], 0 offen offset:4
	v_mov_b32_e32 v106, s57
	v_cmp_eq_u32_e32 vcc_lo, 0, v103
	s_add_i32 s57, s57, 16
	ds_read_b128 v[108:111], v106
	s_or_b32 s5, vcc_lo, s5
	s_waitcnt vmcnt(2) lgkmcnt(0)
	v_mul_f64 v[114:115], v[110:111], v[104:105]
	v_mul_f64 v[104:105], v[108:109], v[104:105]
	s_waitcnt vmcnt(0)
	v_fma_f64 v[108:109], v[108:109], v[112:113], -v[114:115]
	v_fma_f64 v[104:105], v[110:111], v[112:113], v[104:105]
	v_add_f64 v[1:2], v[1:2], v[108:109]
	v_add_f64 v[3:4], v[3:4], v[104:105]
	s_andn2_b32 exec_lo, exec_lo, s5
	s_cbranch_execnz .LBB47_88
; %bb.89:
	s_or_b32 exec_lo, exec_lo, s5
.LBB47_90:
	s_or_b32 exec_lo, exec_lo, s8
	v_mov_b32_e32 v103, 0
	ds_read_b128 v[103:106], v103 offset:576
	s_waitcnt lgkmcnt(0)
	v_mul_f64 v[108:109], v[3:4], v[105:106]
	v_mul_f64 v[105:106], v[1:2], v[105:106]
	v_fma_f64 v[1:2], v[1:2], v[103:104], -v[108:109]
	v_fma_f64 v[3:4], v[3:4], v[103:104], v[105:106]
	buffer_store_dword v2, off, s[0:3], 0 offset:580
	buffer_store_dword v1, off, s[0:3], 0 offset:576
	;; [unrolled: 1-line block ×4, first 2 shown]
.LBB47_91:
	s_or_b32 exec_lo, exec_lo, s6
	v_mov_b32_e32 v4, s20
	v_cmp_lt_u32_e64 s5, 35, v0
	s_clause 0x3
	buffer_load_dword v1, v4, s[0:3], 0 offen
	buffer_load_dword v2, v4, s[0:3], 0 offen offset:4
	buffer_load_dword v3, v4, s[0:3], 0 offen offset:8
	;; [unrolled: 1-line block ×3, first 2 shown]
	s_waitcnt vmcnt(0)
	ds_write_b128 v102, v[1:4]
	s_waitcnt lgkmcnt(0)
	s_waitcnt_vscnt null, 0x0
	s_barrier
	buffer_gl0_inv
	s_and_saveexec_b32 s6, s5
	s_cbranch_execz .LBB47_99
; %bb.92:
	ds_read_b128 v[1:4], v102
	s_andn2_b32 vcc_lo, exec_lo, s56
	s_cbranch_vccnz .LBB47_94
; %bb.93:
	s_clause 0x3
	buffer_load_dword v103, v101, s[0:3], 0 offen offset:8
	buffer_load_dword v104, v101, s[0:3], 0 offen offset:12
	buffer_load_dword v105, v101, s[0:3], 0 offen
	buffer_load_dword v106, v101, s[0:3], 0 offen offset:4
	s_waitcnt vmcnt(2) lgkmcnt(0)
	v_mul_f64 v[108:109], v[3:4], v[103:104]
	v_mul_f64 v[103:104], v[1:2], v[103:104]
	s_waitcnt vmcnt(0)
	v_fma_f64 v[1:2], v[1:2], v[105:106], -v[108:109]
	v_fma_f64 v[3:4], v[3:4], v[105:106], v[103:104]
.LBB47_94:
	s_and_saveexec_b32 s8, s4
	s_cbranch_execz .LBB47_98
; %bb.95:
	v_subrev_nc_u32_e32 v103, 36, v0
	s_movk_i32 s57, 0x540
	s_mov_b32 s4, 0
	s_mov_b32 s58, s19
	.p2align	6
.LBB47_96:                              ; =>This Inner Loop Header: Depth=1
	v_mov_b32_e32 v106, s58
	v_add_nc_u32_e32 v103, -1, v103
	s_add_i32 s58, s58, 16
	s_clause 0x3
	buffer_load_dword v104, v106, s[0:3], 0 offen offset:8
	buffer_load_dword v105, v106, s[0:3], 0 offen offset:12
	buffer_load_dword v112, v106, s[0:3], 0 offen
	buffer_load_dword v113, v106, s[0:3], 0 offen offset:4
	v_mov_b32_e32 v106, s57
	v_cmp_eq_u32_e32 vcc_lo, 0, v103
	s_add_i32 s57, s57, 16
	ds_read_b128 v[108:111], v106
	s_or_b32 s4, vcc_lo, s4
	s_waitcnt vmcnt(2) lgkmcnt(0)
	v_mul_f64 v[114:115], v[110:111], v[104:105]
	v_mul_f64 v[104:105], v[108:109], v[104:105]
	s_waitcnt vmcnt(0)
	v_fma_f64 v[108:109], v[108:109], v[112:113], -v[114:115]
	v_fma_f64 v[104:105], v[110:111], v[112:113], v[104:105]
	v_add_f64 v[1:2], v[1:2], v[108:109]
	v_add_f64 v[3:4], v[3:4], v[104:105]
	s_andn2_b32 exec_lo, exec_lo, s4
	s_cbranch_execnz .LBB47_96
; %bb.97:
	s_or_b32 exec_lo, exec_lo, s4
.LBB47_98:
	s_or_b32 exec_lo, exec_lo, s8
	v_mov_b32_e32 v103, 0
	ds_read_b128 v[103:106], v103 offset:560
	s_waitcnt lgkmcnt(0)
	v_mul_f64 v[108:109], v[3:4], v[105:106]
	v_mul_f64 v[105:106], v[1:2], v[105:106]
	v_fma_f64 v[1:2], v[1:2], v[103:104], -v[108:109]
	v_fma_f64 v[3:4], v[3:4], v[103:104], v[105:106]
	buffer_store_dword v2, off, s[0:3], 0 offset:564
	buffer_store_dword v1, off, s[0:3], 0 offset:560
	;; [unrolled: 1-line block ×4, first 2 shown]
.LBB47_99:
	s_or_b32 exec_lo, exec_lo, s6
	v_mov_b32_e32 v4, s21
	v_cmp_lt_u32_e64 s4, 34, v0
	s_clause 0x3
	buffer_load_dword v1, v4, s[0:3], 0 offen
	buffer_load_dword v2, v4, s[0:3], 0 offen offset:4
	buffer_load_dword v3, v4, s[0:3], 0 offen offset:8
	buffer_load_dword v4, v4, s[0:3], 0 offen offset:12
	s_waitcnt vmcnt(0)
	ds_write_b128 v102, v[1:4]
	s_waitcnt lgkmcnt(0)
	s_waitcnt_vscnt null, 0x0
	s_barrier
	buffer_gl0_inv
	s_and_saveexec_b32 s6, s4
	s_cbranch_execz .LBB47_107
; %bb.100:
	ds_read_b128 v[1:4], v102
	s_andn2_b32 vcc_lo, exec_lo, s56
	s_cbranch_vccnz .LBB47_102
; %bb.101:
	s_clause 0x3
	buffer_load_dword v103, v101, s[0:3], 0 offen offset:8
	buffer_load_dword v104, v101, s[0:3], 0 offen offset:12
	buffer_load_dword v105, v101, s[0:3], 0 offen
	buffer_load_dword v106, v101, s[0:3], 0 offen offset:4
	s_waitcnt vmcnt(2) lgkmcnt(0)
	v_mul_f64 v[108:109], v[3:4], v[103:104]
	v_mul_f64 v[103:104], v[1:2], v[103:104]
	s_waitcnt vmcnt(0)
	v_fma_f64 v[1:2], v[1:2], v[105:106], -v[108:109]
	v_fma_f64 v[3:4], v[3:4], v[105:106], v[103:104]
.LBB47_102:
	s_and_saveexec_b32 s8, s5
	s_cbranch_execz .LBB47_106
; %bb.103:
	v_subrev_nc_u32_e32 v103, 35, v0
	s_movk_i32 s57, 0x530
	s_mov_b32 s5, 0
	s_mov_b32 s58, s20
	.p2align	6
.LBB47_104:                             ; =>This Inner Loop Header: Depth=1
	v_mov_b32_e32 v106, s58
	v_add_nc_u32_e32 v103, -1, v103
	s_add_i32 s58, s58, 16
	s_clause 0x3
	buffer_load_dword v104, v106, s[0:3], 0 offen offset:8
	buffer_load_dword v105, v106, s[0:3], 0 offen offset:12
	buffer_load_dword v112, v106, s[0:3], 0 offen
	buffer_load_dword v113, v106, s[0:3], 0 offen offset:4
	v_mov_b32_e32 v106, s57
	v_cmp_eq_u32_e32 vcc_lo, 0, v103
	s_add_i32 s57, s57, 16
	ds_read_b128 v[108:111], v106
	s_or_b32 s5, vcc_lo, s5
	s_waitcnt vmcnt(2) lgkmcnt(0)
	v_mul_f64 v[114:115], v[110:111], v[104:105]
	v_mul_f64 v[104:105], v[108:109], v[104:105]
	s_waitcnt vmcnt(0)
	v_fma_f64 v[108:109], v[108:109], v[112:113], -v[114:115]
	v_fma_f64 v[104:105], v[110:111], v[112:113], v[104:105]
	v_add_f64 v[1:2], v[1:2], v[108:109]
	v_add_f64 v[3:4], v[3:4], v[104:105]
	s_andn2_b32 exec_lo, exec_lo, s5
	s_cbranch_execnz .LBB47_104
; %bb.105:
	s_or_b32 exec_lo, exec_lo, s5
.LBB47_106:
	s_or_b32 exec_lo, exec_lo, s8
	v_mov_b32_e32 v103, 0
	ds_read_b128 v[103:106], v103 offset:544
	s_waitcnt lgkmcnt(0)
	v_mul_f64 v[108:109], v[3:4], v[105:106]
	v_mul_f64 v[105:106], v[1:2], v[105:106]
	v_fma_f64 v[1:2], v[1:2], v[103:104], -v[108:109]
	v_fma_f64 v[3:4], v[3:4], v[103:104], v[105:106]
	buffer_store_dword v2, off, s[0:3], 0 offset:548
	buffer_store_dword v1, off, s[0:3], 0 offset:544
	;; [unrolled: 1-line block ×4, first 2 shown]
.LBB47_107:
	s_or_b32 exec_lo, exec_lo, s6
	v_mov_b32_e32 v4, s22
	v_cmp_lt_u32_e64 s5, 33, v0
	s_clause 0x3
	buffer_load_dword v1, v4, s[0:3], 0 offen
	buffer_load_dword v2, v4, s[0:3], 0 offen offset:4
	buffer_load_dword v3, v4, s[0:3], 0 offen offset:8
	;; [unrolled: 1-line block ×3, first 2 shown]
	s_waitcnt vmcnt(0)
	ds_write_b128 v102, v[1:4]
	s_waitcnt lgkmcnt(0)
	s_waitcnt_vscnt null, 0x0
	s_barrier
	buffer_gl0_inv
	s_and_saveexec_b32 s6, s5
	s_cbranch_execz .LBB47_115
; %bb.108:
	ds_read_b128 v[1:4], v102
	s_andn2_b32 vcc_lo, exec_lo, s56
	s_cbranch_vccnz .LBB47_110
; %bb.109:
	s_clause 0x3
	buffer_load_dword v103, v101, s[0:3], 0 offen offset:8
	buffer_load_dword v104, v101, s[0:3], 0 offen offset:12
	buffer_load_dword v105, v101, s[0:3], 0 offen
	buffer_load_dword v106, v101, s[0:3], 0 offen offset:4
	s_waitcnt vmcnt(2) lgkmcnt(0)
	v_mul_f64 v[108:109], v[3:4], v[103:104]
	v_mul_f64 v[103:104], v[1:2], v[103:104]
	s_waitcnt vmcnt(0)
	v_fma_f64 v[1:2], v[1:2], v[105:106], -v[108:109]
	v_fma_f64 v[3:4], v[3:4], v[105:106], v[103:104]
.LBB47_110:
	s_and_saveexec_b32 s8, s4
	s_cbranch_execz .LBB47_114
; %bb.111:
	v_subrev_nc_u32_e32 v103, 34, v0
	s_movk_i32 s57, 0x520
	s_mov_b32 s4, 0
	s_mov_b32 s58, s21
	.p2align	6
.LBB47_112:                             ; =>This Inner Loop Header: Depth=1
	v_mov_b32_e32 v106, s58
	v_add_nc_u32_e32 v103, -1, v103
	s_add_i32 s58, s58, 16
	s_clause 0x3
	buffer_load_dword v104, v106, s[0:3], 0 offen offset:8
	buffer_load_dword v105, v106, s[0:3], 0 offen offset:12
	buffer_load_dword v112, v106, s[0:3], 0 offen
	buffer_load_dword v113, v106, s[0:3], 0 offen offset:4
	v_mov_b32_e32 v106, s57
	v_cmp_eq_u32_e32 vcc_lo, 0, v103
	s_add_i32 s57, s57, 16
	ds_read_b128 v[108:111], v106
	s_or_b32 s4, vcc_lo, s4
	s_waitcnt vmcnt(2) lgkmcnt(0)
	v_mul_f64 v[114:115], v[110:111], v[104:105]
	v_mul_f64 v[104:105], v[108:109], v[104:105]
	s_waitcnt vmcnt(0)
	v_fma_f64 v[108:109], v[108:109], v[112:113], -v[114:115]
	v_fma_f64 v[104:105], v[110:111], v[112:113], v[104:105]
	v_add_f64 v[1:2], v[1:2], v[108:109]
	v_add_f64 v[3:4], v[3:4], v[104:105]
	s_andn2_b32 exec_lo, exec_lo, s4
	s_cbranch_execnz .LBB47_112
; %bb.113:
	s_or_b32 exec_lo, exec_lo, s4
.LBB47_114:
	s_or_b32 exec_lo, exec_lo, s8
	v_mov_b32_e32 v103, 0
	ds_read_b128 v[103:106], v103 offset:528
	s_waitcnt lgkmcnt(0)
	v_mul_f64 v[108:109], v[3:4], v[105:106]
	v_mul_f64 v[105:106], v[1:2], v[105:106]
	v_fma_f64 v[1:2], v[1:2], v[103:104], -v[108:109]
	v_fma_f64 v[3:4], v[3:4], v[103:104], v[105:106]
	buffer_store_dword v2, off, s[0:3], 0 offset:532
	buffer_store_dword v1, off, s[0:3], 0 offset:528
	;; [unrolled: 1-line block ×4, first 2 shown]
.LBB47_115:
	s_or_b32 exec_lo, exec_lo, s6
	v_mov_b32_e32 v4, s23
	v_cmp_lt_u32_e64 s4, 32, v0
	s_clause 0x3
	buffer_load_dword v1, v4, s[0:3], 0 offen
	buffer_load_dword v2, v4, s[0:3], 0 offen offset:4
	buffer_load_dword v3, v4, s[0:3], 0 offen offset:8
	;; [unrolled: 1-line block ×3, first 2 shown]
	s_waitcnt vmcnt(0)
	ds_write_b128 v102, v[1:4]
	s_waitcnt lgkmcnt(0)
	s_waitcnt_vscnt null, 0x0
	s_barrier
	buffer_gl0_inv
	s_and_saveexec_b32 s6, s4
	s_cbranch_execz .LBB47_123
; %bb.116:
	ds_read_b128 v[1:4], v102
	s_andn2_b32 vcc_lo, exec_lo, s56
	s_cbranch_vccnz .LBB47_118
; %bb.117:
	s_clause 0x3
	buffer_load_dword v103, v101, s[0:3], 0 offen offset:8
	buffer_load_dword v104, v101, s[0:3], 0 offen offset:12
	buffer_load_dword v105, v101, s[0:3], 0 offen
	buffer_load_dword v106, v101, s[0:3], 0 offen offset:4
	s_waitcnt vmcnt(2) lgkmcnt(0)
	v_mul_f64 v[108:109], v[3:4], v[103:104]
	v_mul_f64 v[103:104], v[1:2], v[103:104]
	s_waitcnt vmcnt(0)
	v_fma_f64 v[1:2], v[1:2], v[105:106], -v[108:109]
	v_fma_f64 v[3:4], v[3:4], v[105:106], v[103:104]
.LBB47_118:
	s_and_saveexec_b32 s8, s5
	s_cbranch_execz .LBB47_122
; %bb.119:
	v_subrev_nc_u32_e32 v103, 33, v0
	s_movk_i32 s57, 0x510
	s_mov_b32 s5, 0
	s_mov_b32 s58, s22
	.p2align	6
.LBB47_120:                             ; =>This Inner Loop Header: Depth=1
	v_mov_b32_e32 v106, s58
	v_add_nc_u32_e32 v103, -1, v103
	s_add_i32 s58, s58, 16
	s_clause 0x3
	buffer_load_dword v104, v106, s[0:3], 0 offen offset:8
	buffer_load_dword v105, v106, s[0:3], 0 offen offset:12
	buffer_load_dword v112, v106, s[0:3], 0 offen
	buffer_load_dword v113, v106, s[0:3], 0 offen offset:4
	v_mov_b32_e32 v106, s57
	v_cmp_eq_u32_e32 vcc_lo, 0, v103
	s_add_i32 s57, s57, 16
	ds_read_b128 v[108:111], v106
	s_or_b32 s5, vcc_lo, s5
	s_waitcnt vmcnt(2) lgkmcnt(0)
	v_mul_f64 v[114:115], v[110:111], v[104:105]
	v_mul_f64 v[104:105], v[108:109], v[104:105]
	s_waitcnt vmcnt(0)
	v_fma_f64 v[108:109], v[108:109], v[112:113], -v[114:115]
	v_fma_f64 v[104:105], v[110:111], v[112:113], v[104:105]
	v_add_f64 v[1:2], v[1:2], v[108:109]
	v_add_f64 v[3:4], v[3:4], v[104:105]
	s_andn2_b32 exec_lo, exec_lo, s5
	s_cbranch_execnz .LBB47_120
; %bb.121:
	s_or_b32 exec_lo, exec_lo, s5
.LBB47_122:
	s_or_b32 exec_lo, exec_lo, s8
	v_mov_b32_e32 v103, 0
	ds_read_b128 v[103:106], v103 offset:512
	s_waitcnt lgkmcnt(0)
	v_mul_f64 v[108:109], v[3:4], v[105:106]
	v_mul_f64 v[105:106], v[1:2], v[105:106]
	v_fma_f64 v[1:2], v[1:2], v[103:104], -v[108:109]
	v_fma_f64 v[3:4], v[3:4], v[103:104], v[105:106]
	buffer_store_dword v2, off, s[0:3], 0 offset:516
	buffer_store_dword v1, off, s[0:3], 0 offset:512
	;; [unrolled: 1-line block ×4, first 2 shown]
.LBB47_123:
	s_or_b32 exec_lo, exec_lo, s6
	v_mov_b32_e32 v4, s24
	v_cmp_lt_u32_e64 s5, 31, v0
	s_clause 0x3
	buffer_load_dword v1, v4, s[0:3], 0 offen
	buffer_load_dword v2, v4, s[0:3], 0 offen offset:4
	buffer_load_dword v3, v4, s[0:3], 0 offen offset:8
	;; [unrolled: 1-line block ×3, first 2 shown]
	s_waitcnt vmcnt(0)
	ds_write_b128 v102, v[1:4]
	s_waitcnt lgkmcnt(0)
	s_waitcnt_vscnt null, 0x0
	s_barrier
	buffer_gl0_inv
	s_and_saveexec_b32 s6, s5
	s_cbranch_execz .LBB47_131
; %bb.124:
	ds_read_b128 v[1:4], v102
	s_andn2_b32 vcc_lo, exec_lo, s56
	s_cbranch_vccnz .LBB47_126
; %bb.125:
	s_clause 0x3
	buffer_load_dword v103, v101, s[0:3], 0 offen offset:8
	buffer_load_dword v104, v101, s[0:3], 0 offen offset:12
	buffer_load_dword v105, v101, s[0:3], 0 offen
	buffer_load_dword v106, v101, s[0:3], 0 offen offset:4
	s_waitcnt vmcnt(2) lgkmcnt(0)
	v_mul_f64 v[108:109], v[3:4], v[103:104]
	v_mul_f64 v[103:104], v[1:2], v[103:104]
	s_waitcnt vmcnt(0)
	v_fma_f64 v[1:2], v[1:2], v[105:106], -v[108:109]
	v_fma_f64 v[3:4], v[3:4], v[105:106], v[103:104]
.LBB47_126:
	s_and_saveexec_b32 s8, s4
	s_cbranch_execz .LBB47_130
; %bb.127:
	v_subrev_nc_u32_e32 v103, 32, v0
	s_movk_i32 s57, 0x500
	s_mov_b32 s4, 0
	s_mov_b32 s58, s23
	.p2align	6
.LBB47_128:                             ; =>This Inner Loop Header: Depth=1
	v_mov_b32_e32 v106, s58
	v_add_nc_u32_e32 v103, -1, v103
	s_add_i32 s58, s58, 16
	s_clause 0x3
	buffer_load_dword v104, v106, s[0:3], 0 offen offset:8
	buffer_load_dword v105, v106, s[0:3], 0 offen offset:12
	buffer_load_dword v112, v106, s[0:3], 0 offen
	buffer_load_dword v113, v106, s[0:3], 0 offen offset:4
	v_mov_b32_e32 v106, s57
	v_cmp_eq_u32_e32 vcc_lo, 0, v103
	s_add_i32 s57, s57, 16
	ds_read_b128 v[108:111], v106
	s_or_b32 s4, vcc_lo, s4
	s_waitcnt vmcnt(2) lgkmcnt(0)
	v_mul_f64 v[114:115], v[110:111], v[104:105]
	v_mul_f64 v[104:105], v[108:109], v[104:105]
	s_waitcnt vmcnt(0)
	v_fma_f64 v[108:109], v[108:109], v[112:113], -v[114:115]
	v_fma_f64 v[104:105], v[110:111], v[112:113], v[104:105]
	v_add_f64 v[1:2], v[1:2], v[108:109]
	v_add_f64 v[3:4], v[3:4], v[104:105]
	s_andn2_b32 exec_lo, exec_lo, s4
	s_cbranch_execnz .LBB47_128
; %bb.129:
	s_or_b32 exec_lo, exec_lo, s4
.LBB47_130:
	s_or_b32 exec_lo, exec_lo, s8
	v_mov_b32_e32 v103, 0
	ds_read_b128 v[103:106], v103 offset:496
	s_waitcnt lgkmcnt(0)
	v_mul_f64 v[108:109], v[3:4], v[105:106]
	v_mul_f64 v[105:106], v[1:2], v[105:106]
	v_fma_f64 v[1:2], v[1:2], v[103:104], -v[108:109]
	v_fma_f64 v[3:4], v[3:4], v[103:104], v[105:106]
	buffer_store_dword v2, off, s[0:3], 0 offset:500
	buffer_store_dword v1, off, s[0:3], 0 offset:496
	;; [unrolled: 1-line block ×4, first 2 shown]
.LBB47_131:
	s_or_b32 exec_lo, exec_lo, s6
	v_mov_b32_e32 v4, s25
	v_cmp_lt_u32_e64 s4, 30, v0
	s_clause 0x3
	buffer_load_dword v1, v4, s[0:3], 0 offen
	buffer_load_dword v2, v4, s[0:3], 0 offen offset:4
	buffer_load_dword v3, v4, s[0:3], 0 offen offset:8
	;; [unrolled: 1-line block ×3, first 2 shown]
	s_waitcnt vmcnt(0)
	ds_write_b128 v102, v[1:4]
	s_waitcnt lgkmcnt(0)
	s_waitcnt_vscnt null, 0x0
	s_barrier
	buffer_gl0_inv
	s_and_saveexec_b32 s6, s4
	s_cbranch_execz .LBB47_139
; %bb.132:
	ds_read_b128 v[1:4], v102
	s_andn2_b32 vcc_lo, exec_lo, s56
	s_cbranch_vccnz .LBB47_134
; %bb.133:
	s_clause 0x3
	buffer_load_dword v103, v101, s[0:3], 0 offen offset:8
	buffer_load_dword v104, v101, s[0:3], 0 offen offset:12
	buffer_load_dword v105, v101, s[0:3], 0 offen
	buffer_load_dword v106, v101, s[0:3], 0 offen offset:4
	s_waitcnt vmcnt(2) lgkmcnt(0)
	v_mul_f64 v[108:109], v[3:4], v[103:104]
	v_mul_f64 v[103:104], v[1:2], v[103:104]
	s_waitcnt vmcnt(0)
	v_fma_f64 v[1:2], v[1:2], v[105:106], -v[108:109]
	v_fma_f64 v[3:4], v[3:4], v[105:106], v[103:104]
.LBB47_134:
	s_and_saveexec_b32 s8, s5
	s_cbranch_execz .LBB47_138
; %bb.135:
	v_subrev_nc_u32_e32 v103, 31, v0
	s_movk_i32 s57, 0x4f0
	s_mov_b32 s5, 0
	s_mov_b32 s58, s24
	.p2align	6
.LBB47_136:                             ; =>This Inner Loop Header: Depth=1
	v_mov_b32_e32 v106, s58
	v_add_nc_u32_e32 v103, -1, v103
	s_add_i32 s58, s58, 16
	s_clause 0x3
	buffer_load_dword v104, v106, s[0:3], 0 offen offset:8
	buffer_load_dword v105, v106, s[0:3], 0 offen offset:12
	buffer_load_dword v112, v106, s[0:3], 0 offen
	buffer_load_dword v113, v106, s[0:3], 0 offen offset:4
	v_mov_b32_e32 v106, s57
	v_cmp_eq_u32_e32 vcc_lo, 0, v103
	s_add_i32 s57, s57, 16
	ds_read_b128 v[108:111], v106
	s_or_b32 s5, vcc_lo, s5
	s_waitcnt vmcnt(2) lgkmcnt(0)
	v_mul_f64 v[114:115], v[110:111], v[104:105]
	v_mul_f64 v[104:105], v[108:109], v[104:105]
	s_waitcnt vmcnt(0)
	v_fma_f64 v[108:109], v[108:109], v[112:113], -v[114:115]
	v_fma_f64 v[104:105], v[110:111], v[112:113], v[104:105]
	v_add_f64 v[1:2], v[1:2], v[108:109]
	v_add_f64 v[3:4], v[3:4], v[104:105]
	s_andn2_b32 exec_lo, exec_lo, s5
	s_cbranch_execnz .LBB47_136
; %bb.137:
	s_or_b32 exec_lo, exec_lo, s5
.LBB47_138:
	s_or_b32 exec_lo, exec_lo, s8
	v_mov_b32_e32 v103, 0
	ds_read_b128 v[103:106], v103 offset:480
	s_waitcnt lgkmcnt(0)
	v_mul_f64 v[108:109], v[3:4], v[105:106]
	v_mul_f64 v[105:106], v[1:2], v[105:106]
	v_fma_f64 v[1:2], v[1:2], v[103:104], -v[108:109]
	v_fma_f64 v[3:4], v[3:4], v[103:104], v[105:106]
	buffer_store_dword v2, off, s[0:3], 0 offset:484
	buffer_store_dword v1, off, s[0:3], 0 offset:480
	;; [unrolled: 1-line block ×4, first 2 shown]
.LBB47_139:
	s_or_b32 exec_lo, exec_lo, s6
	v_mov_b32_e32 v4, s26
	v_cmp_lt_u32_e64 s5, 29, v0
	s_clause 0x3
	buffer_load_dword v1, v4, s[0:3], 0 offen
	buffer_load_dword v2, v4, s[0:3], 0 offen offset:4
	buffer_load_dword v3, v4, s[0:3], 0 offen offset:8
	buffer_load_dword v4, v4, s[0:3], 0 offen offset:12
	s_waitcnt vmcnt(0)
	ds_write_b128 v102, v[1:4]
	s_waitcnt lgkmcnt(0)
	s_waitcnt_vscnt null, 0x0
	s_barrier
	buffer_gl0_inv
	s_and_saveexec_b32 s6, s5
	s_cbranch_execz .LBB47_147
; %bb.140:
	ds_read_b128 v[1:4], v102
	s_andn2_b32 vcc_lo, exec_lo, s56
	s_cbranch_vccnz .LBB47_142
; %bb.141:
	s_clause 0x3
	buffer_load_dword v103, v101, s[0:3], 0 offen offset:8
	buffer_load_dword v104, v101, s[0:3], 0 offen offset:12
	buffer_load_dword v105, v101, s[0:3], 0 offen
	buffer_load_dword v106, v101, s[0:3], 0 offen offset:4
	s_waitcnt vmcnt(2) lgkmcnt(0)
	v_mul_f64 v[108:109], v[3:4], v[103:104]
	v_mul_f64 v[103:104], v[1:2], v[103:104]
	s_waitcnt vmcnt(0)
	v_fma_f64 v[1:2], v[1:2], v[105:106], -v[108:109]
	v_fma_f64 v[3:4], v[3:4], v[105:106], v[103:104]
.LBB47_142:
	s_and_saveexec_b32 s8, s4
	s_cbranch_execz .LBB47_146
; %bb.143:
	v_subrev_nc_u32_e32 v103, 30, v0
	s_movk_i32 s57, 0x4e0
	s_mov_b32 s4, 0
	s_mov_b32 s58, s25
	.p2align	6
.LBB47_144:                             ; =>This Inner Loop Header: Depth=1
	v_mov_b32_e32 v106, s58
	v_add_nc_u32_e32 v103, -1, v103
	s_add_i32 s58, s58, 16
	s_clause 0x3
	buffer_load_dword v104, v106, s[0:3], 0 offen offset:8
	buffer_load_dword v105, v106, s[0:3], 0 offen offset:12
	buffer_load_dword v112, v106, s[0:3], 0 offen
	buffer_load_dword v113, v106, s[0:3], 0 offen offset:4
	v_mov_b32_e32 v106, s57
	v_cmp_eq_u32_e32 vcc_lo, 0, v103
	s_add_i32 s57, s57, 16
	ds_read_b128 v[108:111], v106
	s_or_b32 s4, vcc_lo, s4
	s_waitcnt vmcnt(2) lgkmcnt(0)
	v_mul_f64 v[114:115], v[110:111], v[104:105]
	v_mul_f64 v[104:105], v[108:109], v[104:105]
	s_waitcnt vmcnt(0)
	v_fma_f64 v[108:109], v[108:109], v[112:113], -v[114:115]
	v_fma_f64 v[104:105], v[110:111], v[112:113], v[104:105]
	v_add_f64 v[1:2], v[1:2], v[108:109]
	v_add_f64 v[3:4], v[3:4], v[104:105]
	s_andn2_b32 exec_lo, exec_lo, s4
	s_cbranch_execnz .LBB47_144
; %bb.145:
	s_or_b32 exec_lo, exec_lo, s4
.LBB47_146:
	s_or_b32 exec_lo, exec_lo, s8
	v_mov_b32_e32 v103, 0
	ds_read_b128 v[103:106], v103 offset:464
	s_waitcnt lgkmcnt(0)
	v_mul_f64 v[108:109], v[3:4], v[105:106]
	v_mul_f64 v[105:106], v[1:2], v[105:106]
	v_fma_f64 v[1:2], v[1:2], v[103:104], -v[108:109]
	v_fma_f64 v[3:4], v[3:4], v[103:104], v[105:106]
	buffer_store_dword v2, off, s[0:3], 0 offset:468
	buffer_store_dword v1, off, s[0:3], 0 offset:464
	;; [unrolled: 1-line block ×4, first 2 shown]
.LBB47_147:
	s_or_b32 exec_lo, exec_lo, s6
	v_mov_b32_e32 v4, s27
	v_cmp_lt_u32_e64 s4, 28, v0
	s_clause 0x3
	buffer_load_dword v1, v4, s[0:3], 0 offen
	buffer_load_dword v2, v4, s[0:3], 0 offen offset:4
	buffer_load_dword v3, v4, s[0:3], 0 offen offset:8
	;; [unrolled: 1-line block ×3, first 2 shown]
	s_waitcnt vmcnt(0)
	ds_write_b128 v102, v[1:4]
	s_waitcnt lgkmcnt(0)
	s_waitcnt_vscnt null, 0x0
	s_barrier
	buffer_gl0_inv
	s_and_saveexec_b32 s6, s4
	s_cbranch_execz .LBB47_155
; %bb.148:
	ds_read_b128 v[1:4], v102
	s_andn2_b32 vcc_lo, exec_lo, s56
	s_cbranch_vccnz .LBB47_150
; %bb.149:
	s_clause 0x3
	buffer_load_dword v103, v101, s[0:3], 0 offen offset:8
	buffer_load_dword v104, v101, s[0:3], 0 offen offset:12
	buffer_load_dword v105, v101, s[0:3], 0 offen
	buffer_load_dword v106, v101, s[0:3], 0 offen offset:4
	s_waitcnt vmcnt(2) lgkmcnt(0)
	v_mul_f64 v[108:109], v[3:4], v[103:104]
	v_mul_f64 v[103:104], v[1:2], v[103:104]
	s_waitcnt vmcnt(0)
	v_fma_f64 v[1:2], v[1:2], v[105:106], -v[108:109]
	v_fma_f64 v[3:4], v[3:4], v[105:106], v[103:104]
.LBB47_150:
	s_and_saveexec_b32 s8, s5
	s_cbranch_execz .LBB47_154
; %bb.151:
	v_subrev_nc_u32_e32 v103, 29, v0
	s_movk_i32 s57, 0x4d0
	s_mov_b32 s5, 0
	s_mov_b32 s58, s26
	.p2align	6
.LBB47_152:                             ; =>This Inner Loop Header: Depth=1
	v_mov_b32_e32 v106, s58
	v_add_nc_u32_e32 v103, -1, v103
	s_add_i32 s58, s58, 16
	s_clause 0x3
	buffer_load_dword v104, v106, s[0:3], 0 offen offset:8
	buffer_load_dword v105, v106, s[0:3], 0 offen offset:12
	buffer_load_dword v112, v106, s[0:3], 0 offen
	buffer_load_dword v113, v106, s[0:3], 0 offen offset:4
	v_mov_b32_e32 v106, s57
	v_cmp_eq_u32_e32 vcc_lo, 0, v103
	s_add_i32 s57, s57, 16
	ds_read_b128 v[108:111], v106
	s_or_b32 s5, vcc_lo, s5
	s_waitcnt vmcnt(2) lgkmcnt(0)
	v_mul_f64 v[114:115], v[110:111], v[104:105]
	v_mul_f64 v[104:105], v[108:109], v[104:105]
	s_waitcnt vmcnt(0)
	v_fma_f64 v[108:109], v[108:109], v[112:113], -v[114:115]
	v_fma_f64 v[104:105], v[110:111], v[112:113], v[104:105]
	v_add_f64 v[1:2], v[1:2], v[108:109]
	v_add_f64 v[3:4], v[3:4], v[104:105]
	s_andn2_b32 exec_lo, exec_lo, s5
	s_cbranch_execnz .LBB47_152
; %bb.153:
	s_or_b32 exec_lo, exec_lo, s5
.LBB47_154:
	s_or_b32 exec_lo, exec_lo, s8
	v_mov_b32_e32 v103, 0
	ds_read_b128 v[103:106], v103 offset:448
	s_waitcnt lgkmcnt(0)
	v_mul_f64 v[108:109], v[3:4], v[105:106]
	v_mul_f64 v[105:106], v[1:2], v[105:106]
	v_fma_f64 v[1:2], v[1:2], v[103:104], -v[108:109]
	v_fma_f64 v[3:4], v[3:4], v[103:104], v[105:106]
	buffer_store_dword v2, off, s[0:3], 0 offset:452
	buffer_store_dword v1, off, s[0:3], 0 offset:448
	;; [unrolled: 1-line block ×4, first 2 shown]
.LBB47_155:
	s_or_b32 exec_lo, exec_lo, s6
	v_mov_b32_e32 v4, s28
	v_cmp_lt_u32_e64 s5, 27, v0
	s_clause 0x3
	buffer_load_dword v1, v4, s[0:3], 0 offen
	buffer_load_dword v2, v4, s[0:3], 0 offen offset:4
	buffer_load_dword v3, v4, s[0:3], 0 offen offset:8
	;; [unrolled: 1-line block ×3, first 2 shown]
	s_waitcnt vmcnt(0)
	ds_write_b128 v102, v[1:4]
	s_waitcnt lgkmcnt(0)
	s_waitcnt_vscnt null, 0x0
	s_barrier
	buffer_gl0_inv
	s_and_saveexec_b32 s6, s5
	s_cbranch_execz .LBB47_163
; %bb.156:
	ds_read_b128 v[1:4], v102
	s_andn2_b32 vcc_lo, exec_lo, s56
	s_cbranch_vccnz .LBB47_158
; %bb.157:
	s_clause 0x3
	buffer_load_dword v103, v101, s[0:3], 0 offen offset:8
	buffer_load_dword v104, v101, s[0:3], 0 offen offset:12
	buffer_load_dword v105, v101, s[0:3], 0 offen
	buffer_load_dword v106, v101, s[0:3], 0 offen offset:4
	s_waitcnt vmcnt(2) lgkmcnt(0)
	v_mul_f64 v[108:109], v[3:4], v[103:104]
	v_mul_f64 v[103:104], v[1:2], v[103:104]
	s_waitcnt vmcnt(0)
	v_fma_f64 v[1:2], v[1:2], v[105:106], -v[108:109]
	v_fma_f64 v[3:4], v[3:4], v[105:106], v[103:104]
.LBB47_158:
	s_and_saveexec_b32 s8, s4
	s_cbranch_execz .LBB47_162
; %bb.159:
	v_subrev_nc_u32_e32 v103, 28, v0
	s_movk_i32 s57, 0x4c0
	s_mov_b32 s4, 0
	s_mov_b32 s58, s27
	.p2align	6
.LBB47_160:                             ; =>This Inner Loop Header: Depth=1
	v_mov_b32_e32 v106, s58
	v_add_nc_u32_e32 v103, -1, v103
	s_add_i32 s58, s58, 16
	s_clause 0x3
	buffer_load_dword v104, v106, s[0:3], 0 offen offset:8
	buffer_load_dword v105, v106, s[0:3], 0 offen offset:12
	buffer_load_dword v112, v106, s[0:3], 0 offen
	buffer_load_dword v113, v106, s[0:3], 0 offen offset:4
	v_mov_b32_e32 v106, s57
	v_cmp_eq_u32_e32 vcc_lo, 0, v103
	s_add_i32 s57, s57, 16
	ds_read_b128 v[108:111], v106
	s_or_b32 s4, vcc_lo, s4
	s_waitcnt vmcnt(2) lgkmcnt(0)
	v_mul_f64 v[114:115], v[110:111], v[104:105]
	v_mul_f64 v[104:105], v[108:109], v[104:105]
	s_waitcnt vmcnt(0)
	v_fma_f64 v[108:109], v[108:109], v[112:113], -v[114:115]
	v_fma_f64 v[104:105], v[110:111], v[112:113], v[104:105]
	v_add_f64 v[1:2], v[1:2], v[108:109]
	v_add_f64 v[3:4], v[3:4], v[104:105]
	s_andn2_b32 exec_lo, exec_lo, s4
	s_cbranch_execnz .LBB47_160
; %bb.161:
	s_or_b32 exec_lo, exec_lo, s4
.LBB47_162:
	s_or_b32 exec_lo, exec_lo, s8
	v_mov_b32_e32 v103, 0
	ds_read_b128 v[103:106], v103 offset:432
	s_waitcnt lgkmcnt(0)
	v_mul_f64 v[108:109], v[3:4], v[105:106]
	v_mul_f64 v[105:106], v[1:2], v[105:106]
	v_fma_f64 v[1:2], v[1:2], v[103:104], -v[108:109]
	v_fma_f64 v[3:4], v[3:4], v[103:104], v[105:106]
	buffer_store_dword v2, off, s[0:3], 0 offset:436
	buffer_store_dword v1, off, s[0:3], 0 offset:432
	;; [unrolled: 1-line block ×4, first 2 shown]
.LBB47_163:
	s_or_b32 exec_lo, exec_lo, s6
	v_mov_b32_e32 v4, s29
	v_cmp_lt_u32_e64 s4, 26, v0
	s_clause 0x3
	buffer_load_dword v1, v4, s[0:3], 0 offen
	buffer_load_dword v2, v4, s[0:3], 0 offen offset:4
	buffer_load_dword v3, v4, s[0:3], 0 offen offset:8
	;; [unrolled: 1-line block ×3, first 2 shown]
	s_waitcnt vmcnt(0)
	ds_write_b128 v102, v[1:4]
	s_waitcnt lgkmcnt(0)
	s_waitcnt_vscnt null, 0x0
	s_barrier
	buffer_gl0_inv
	s_and_saveexec_b32 s6, s4
	s_cbranch_execz .LBB47_171
; %bb.164:
	ds_read_b128 v[1:4], v102
	s_andn2_b32 vcc_lo, exec_lo, s56
	s_cbranch_vccnz .LBB47_166
; %bb.165:
	s_clause 0x3
	buffer_load_dword v103, v101, s[0:3], 0 offen offset:8
	buffer_load_dword v104, v101, s[0:3], 0 offen offset:12
	buffer_load_dword v105, v101, s[0:3], 0 offen
	buffer_load_dword v106, v101, s[0:3], 0 offen offset:4
	s_waitcnt vmcnt(2) lgkmcnt(0)
	v_mul_f64 v[108:109], v[3:4], v[103:104]
	v_mul_f64 v[103:104], v[1:2], v[103:104]
	s_waitcnt vmcnt(0)
	v_fma_f64 v[1:2], v[1:2], v[105:106], -v[108:109]
	v_fma_f64 v[3:4], v[3:4], v[105:106], v[103:104]
.LBB47_166:
	s_and_saveexec_b32 s8, s5
	s_cbranch_execz .LBB47_170
; %bb.167:
	v_subrev_nc_u32_e32 v103, 27, v0
	s_movk_i32 s57, 0x4b0
	s_mov_b32 s5, 0
	s_mov_b32 s58, s28
	.p2align	6
.LBB47_168:                             ; =>This Inner Loop Header: Depth=1
	v_mov_b32_e32 v106, s58
	v_add_nc_u32_e32 v103, -1, v103
	s_add_i32 s58, s58, 16
	s_clause 0x3
	buffer_load_dword v104, v106, s[0:3], 0 offen offset:8
	buffer_load_dword v105, v106, s[0:3], 0 offen offset:12
	buffer_load_dword v112, v106, s[0:3], 0 offen
	buffer_load_dword v113, v106, s[0:3], 0 offen offset:4
	v_mov_b32_e32 v106, s57
	v_cmp_eq_u32_e32 vcc_lo, 0, v103
	s_add_i32 s57, s57, 16
	ds_read_b128 v[108:111], v106
	s_or_b32 s5, vcc_lo, s5
	s_waitcnt vmcnt(2) lgkmcnt(0)
	v_mul_f64 v[114:115], v[110:111], v[104:105]
	v_mul_f64 v[104:105], v[108:109], v[104:105]
	s_waitcnt vmcnt(0)
	v_fma_f64 v[108:109], v[108:109], v[112:113], -v[114:115]
	v_fma_f64 v[104:105], v[110:111], v[112:113], v[104:105]
	v_add_f64 v[1:2], v[1:2], v[108:109]
	v_add_f64 v[3:4], v[3:4], v[104:105]
	s_andn2_b32 exec_lo, exec_lo, s5
	s_cbranch_execnz .LBB47_168
; %bb.169:
	s_or_b32 exec_lo, exec_lo, s5
.LBB47_170:
	s_or_b32 exec_lo, exec_lo, s8
	v_mov_b32_e32 v103, 0
	ds_read_b128 v[103:106], v103 offset:416
	s_waitcnt lgkmcnt(0)
	v_mul_f64 v[108:109], v[3:4], v[105:106]
	v_mul_f64 v[105:106], v[1:2], v[105:106]
	v_fma_f64 v[1:2], v[1:2], v[103:104], -v[108:109]
	v_fma_f64 v[3:4], v[3:4], v[103:104], v[105:106]
	buffer_store_dword v2, off, s[0:3], 0 offset:420
	buffer_store_dword v1, off, s[0:3], 0 offset:416
	;; [unrolled: 1-line block ×4, first 2 shown]
.LBB47_171:
	s_or_b32 exec_lo, exec_lo, s6
	v_mov_b32_e32 v4, s30
	v_cmp_lt_u32_e64 s5, 25, v0
	s_clause 0x3
	buffer_load_dword v1, v4, s[0:3], 0 offen
	buffer_load_dword v2, v4, s[0:3], 0 offen offset:4
	buffer_load_dword v3, v4, s[0:3], 0 offen offset:8
	;; [unrolled: 1-line block ×3, first 2 shown]
	s_waitcnt vmcnt(0)
	ds_write_b128 v102, v[1:4]
	s_waitcnt lgkmcnt(0)
	s_waitcnt_vscnt null, 0x0
	s_barrier
	buffer_gl0_inv
	s_and_saveexec_b32 s6, s5
	s_cbranch_execz .LBB47_179
; %bb.172:
	ds_read_b128 v[1:4], v102
	s_andn2_b32 vcc_lo, exec_lo, s56
	s_cbranch_vccnz .LBB47_174
; %bb.173:
	s_clause 0x3
	buffer_load_dword v103, v101, s[0:3], 0 offen offset:8
	buffer_load_dword v104, v101, s[0:3], 0 offen offset:12
	buffer_load_dword v105, v101, s[0:3], 0 offen
	buffer_load_dword v106, v101, s[0:3], 0 offen offset:4
	s_waitcnt vmcnt(2) lgkmcnt(0)
	v_mul_f64 v[108:109], v[3:4], v[103:104]
	v_mul_f64 v[103:104], v[1:2], v[103:104]
	s_waitcnt vmcnt(0)
	v_fma_f64 v[1:2], v[1:2], v[105:106], -v[108:109]
	v_fma_f64 v[3:4], v[3:4], v[105:106], v[103:104]
.LBB47_174:
	s_and_saveexec_b32 s8, s4
	s_cbranch_execz .LBB47_178
; %bb.175:
	v_subrev_nc_u32_e32 v103, 26, v0
	s_movk_i32 s57, 0x4a0
	s_mov_b32 s4, 0
	s_mov_b32 s58, s29
	.p2align	6
.LBB47_176:                             ; =>This Inner Loop Header: Depth=1
	v_mov_b32_e32 v106, s58
	v_add_nc_u32_e32 v103, -1, v103
	s_add_i32 s58, s58, 16
	s_clause 0x3
	buffer_load_dword v104, v106, s[0:3], 0 offen offset:8
	buffer_load_dword v105, v106, s[0:3], 0 offen offset:12
	buffer_load_dword v112, v106, s[0:3], 0 offen
	buffer_load_dword v113, v106, s[0:3], 0 offen offset:4
	v_mov_b32_e32 v106, s57
	v_cmp_eq_u32_e32 vcc_lo, 0, v103
	s_add_i32 s57, s57, 16
	ds_read_b128 v[108:111], v106
	s_or_b32 s4, vcc_lo, s4
	s_waitcnt vmcnt(2) lgkmcnt(0)
	v_mul_f64 v[114:115], v[110:111], v[104:105]
	v_mul_f64 v[104:105], v[108:109], v[104:105]
	s_waitcnt vmcnt(0)
	v_fma_f64 v[108:109], v[108:109], v[112:113], -v[114:115]
	v_fma_f64 v[104:105], v[110:111], v[112:113], v[104:105]
	v_add_f64 v[1:2], v[1:2], v[108:109]
	v_add_f64 v[3:4], v[3:4], v[104:105]
	s_andn2_b32 exec_lo, exec_lo, s4
	s_cbranch_execnz .LBB47_176
; %bb.177:
	s_or_b32 exec_lo, exec_lo, s4
.LBB47_178:
	s_or_b32 exec_lo, exec_lo, s8
	v_mov_b32_e32 v103, 0
	ds_read_b128 v[103:106], v103 offset:400
	s_waitcnt lgkmcnt(0)
	v_mul_f64 v[108:109], v[3:4], v[105:106]
	v_mul_f64 v[105:106], v[1:2], v[105:106]
	v_fma_f64 v[1:2], v[1:2], v[103:104], -v[108:109]
	v_fma_f64 v[3:4], v[3:4], v[103:104], v[105:106]
	buffer_store_dword v2, off, s[0:3], 0 offset:404
	buffer_store_dword v1, off, s[0:3], 0 offset:400
	buffer_store_dword v4, off, s[0:3], 0 offset:412
	buffer_store_dword v3, off, s[0:3], 0 offset:408
.LBB47_179:
	s_or_b32 exec_lo, exec_lo, s6
	v_mov_b32_e32 v4, s31
	v_cmp_lt_u32_e64 s4, 24, v0
	s_clause 0x3
	buffer_load_dword v1, v4, s[0:3], 0 offen
	buffer_load_dword v2, v4, s[0:3], 0 offen offset:4
	buffer_load_dword v3, v4, s[0:3], 0 offen offset:8
	;; [unrolled: 1-line block ×3, first 2 shown]
	s_waitcnt vmcnt(0)
	ds_write_b128 v102, v[1:4]
	s_waitcnt lgkmcnt(0)
	s_waitcnt_vscnt null, 0x0
	s_barrier
	buffer_gl0_inv
	s_and_saveexec_b32 s6, s4
	s_cbranch_execz .LBB47_187
; %bb.180:
	ds_read_b128 v[1:4], v102
	s_andn2_b32 vcc_lo, exec_lo, s56
	s_cbranch_vccnz .LBB47_182
; %bb.181:
	s_clause 0x3
	buffer_load_dword v103, v101, s[0:3], 0 offen offset:8
	buffer_load_dword v104, v101, s[0:3], 0 offen offset:12
	buffer_load_dword v105, v101, s[0:3], 0 offen
	buffer_load_dword v106, v101, s[0:3], 0 offen offset:4
	s_waitcnt vmcnt(2) lgkmcnt(0)
	v_mul_f64 v[108:109], v[3:4], v[103:104]
	v_mul_f64 v[103:104], v[1:2], v[103:104]
	s_waitcnt vmcnt(0)
	v_fma_f64 v[1:2], v[1:2], v[105:106], -v[108:109]
	v_fma_f64 v[3:4], v[3:4], v[105:106], v[103:104]
.LBB47_182:
	s_and_saveexec_b32 s8, s5
	s_cbranch_execz .LBB47_186
; %bb.183:
	v_subrev_nc_u32_e32 v103, 25, v0
	s_movk_i32 s57, 0x490
	s_mov_b32 s5, 0
	s_mov_b32 s58, s30
	.p2align	6
.LBB47_184:                             ; =>This Inner Loop Header: Depth=1
	v_mov_b32_e32 v106, s58
	v_add_nc_u32_e32 v103, -1, v103
	s_add_i32 s58, s58, 16
	s_clause 0x3
	buffer_load_dword v104, v106, s[0:3], 0 offen offset:8
	buffer_load_dword v105, v106, s[0:3], 0 offen offset:12
	buffer_load_dword v112, v106, s[0:3], 0 offen
	buffer_load_dword v113, v106, s[0:3], 0 offen offset:4
	v_mov_b32_e32 v106, s57
	v_cmp_eq_u32_e32 vcc_lo, 0, v103
	s_add_i32 s57, s57, 16
	ds_read_b128 v[108:111], v106
	s_or_b32 s5, vcc_lo, s5
	s_waitcnt vmcnt(2) lgkmcnt(0)
	v_mul_f64 v[114:115], v[110:111], v[104:105]
	v_mul_f64 v[104:105], v[108:109], v[104:105]
	s_waitcnt vmcnt(0)
	v_fma_f64 v[108:109], v[108:109], v[112:113], -v[114:115]
	v_fma_f64 v[104:105], v[110:111], v[112:113], v[104:105]
	v_add_f64 v[1:2], v[1:2], v[108:109]
	v_add_f64 v[3:4], v[3:4], v[104:105]
	s_andn2_b32 exec_lo, exec_lo, s5
	s_cbranch_execnz .LBB47_184
; %bb.185:
	s_or_b32 exec_lo, exec_lo, s5
.LBB47_186:
	s_or_b32 exec_lo, exec_lo, s8
	v_mov_b32_e32 v103, 0
	ds_read_b128 v[103:106], v103 offset:384
	s_waitcnt lgkmcnt(0)
	v_mul_f64 v[108:109], v[3:4], v[105:106]
	v_mul_f64 v[105:106], v[1:2], v[105:106]
	v_fma_f64 v[1:2], v[1:2], v[103:104], -v[108:109]
	v_fma_f64 v[3:4], v[3:4], v[103:104], v[105:106]
	buffer_store_dword v2, off, s[0:3], 0 offset:388
	buffer_store_dword v1, off, s[0:3], 0 offset:384
	;; [unrolled: 1-line block ×4, first 2 shown]
.LBB47_187:
	s_or_b32 exec_lo, exec_lo, s6
	v_mov_b32_e32 v4, s33
	v_cmp_lt_u32_e64 s5, 23, v0
	s_clause 0x3
	buffer_load_dword v1, v4, s[0:3], 0 offen
	buffer_load_dword v2, v4, s[0:3], 0 offen offset:4
	buffer_load_dword v3, v4, s[0:3], 0 offen offset:8
	;; [unrolled: 1-line block ×3, first 2 shown]
	s_waitcnt vmcnt(0)
	ds_write_b128 v102, v[1:4]
	s_waitcnt lgkmcnt(0)
	s_waitcnt_vscnt null, 0x0
	s_barrier
	buffer_gl0_inv
	s_and_saveexec_b32 s6, s5
	s_cbranch_execz .LBB47_195
; %bb.188:
	ds_read_b128 v[1:4], v102
	s_andn2_b32 vcc_lo, exec_lo, s56
	s_cbranch_vccnz .LBB47_190
; %bb.189:
	s_clause 0x3
	buffer_load_dword v103, v101, s[0:3], 0 offen offset:8
	buffer_load_dword v104, v101, s[0:3], 0 offen offset:12
	buffer_load_dword v105, v101, s[0:3], 0 offen
	buffer_load_dword v106, v101, s[0:3], 0 offen offset:4
	s_waitcnt vmcnt(2) lgkmcnt(0)
	v_mul_f64 v[108:109], v[3:4], v[103:104]
	v_mul_f64 v[103:104], v[1:2], v[103:104]
	s_waitcnt vmcnt(0)
	v_fma_f64 v[1:2], v[1:2], v[105:106], -v[108:109]
	v_fma_f64 v[3:4], v[3:4], v[105:106], v[103:104]
.LBB47_190:
	s_and_saveexec_b32 s8, s4
	s_cbranch_execz .LBB47_194
; %bb.191:
	v_subrev_nc_u32_e32 v103, 24, v0
	s_movk_i32 s57, 0x480
	s_mov_b32 s4, 0
	s_mov_b32 s58, s31
	.p2align	6
.LBB47_192:                             ; =>This Inner Loop Header: Depth=1
	v_mov_b32_e32 v106, s58
	v_add_nc_u32_e32 v103, -1, v103
	s_add_i32 s58, s58, 16
	s_clause 0x3
	buffer_load_dword v104, v106, s[0:3], 0 offen offset:8
	buffer_load_dword v105, v106, s[0:3], 0 offen offset:12
	buffer_load_dword v112, v106, s[0:3], 0 offen
	buffer_load_dword v113, v106, s[0:3], 0 offen offset:4
	v_mov_b32_e32 v106, s57
	v_cmp_eq_u32_e32 vcc_lo, 0, v103
	s_add_i32 s57, s57, 16
	ds_read_b128 v[108:111], v106
	s_or_b32 s4, vcc_lo, s4
	s_waitcnt vmcnt(2) lgkmcnt(0)
	v_mul_f64 v[114:115], v[110:111], v[104:105]
	v_mul_f64 v[104:105], v[108:109], v[104:105]
	s_waitcnt vmcnt(0)
	v_fma_f64 v[108:109], v[108:109], v[112:113], -v[114:115]
	v_fma_f64 v[104:105], v[110:111], v[112:113], v[104:105]
	v_add_f64 v[1:2], v[1:2], v[108:109]
	v_add_f64 v[3:4], v[3:4], v[104:105]
	s_andn2_b32 exec_lo, exec_lo, s4
	s_cbranch_execnz .LBB47_192
; %bb.193:
	s_or_b32 exec_lo, exec_lo, s4
.LBB47_194:
	s_or_b32 exec_lo, exec_lo, s8
	v_mov_b32_e32 v103, 0
	ds_read_b128 v[103:106], v103 offset:368
	s_waitcnt lgkmcnt(0)
	v_mul_f64 v[108:109], v[3:4], v[105:106]
	v_mul_f64 v[105:106], v[1:2], v[105:106]
	v_fma_f64 v[1:2], v[1:2], v[103:104], -v[108:109]
	v_fma_f64 v[3:4], v[3:4], v[103:104], v[105:106]
	buffer_store_dword v2, off, s[0:3], 0 offset:372
	buffer_store_dword v1, off, s[0:3], 0 offset:368
	;; [unrolled: 1-line block ×4, first 2 shown]
.LBB47_195:
	s_or_b32 exec_lo, exec_lo, s6
	v_mov_b32_e32 v4, s34
	v_cmp_lt_u32_e64 s4, 22, v0
	s_clause 0x3
	buffer_load_dword v1, v4, s[0:3], 0 offen
	buffer_load_dword v2, v4, s[0:3], 0 offen offset:4
	buffer_load_dword v3, v4, s[0:3], 0 offen offset:8
	;; [unrolled: 1-line block ×3, first 2 shown]
	s_waitcnt vmcnt(0)
	ds_write_b128 v102, v[1:4]
	s_waitcnt lgkmcnt(0)
	s_waitcnt_vscnt null, 0x0
	s_barrier
	buffer_gl0_inv
	s_and_saveexec_b32 s6, s4
	s_cbranch_execz .LBB47_203
; %bb.196:
	ds_read_b128 v[1:4], v102
	s_andn2_b32 vcc_lo, exec_lo, s56
	s_cbranch_vccnz .LBB47_198
; %bb.197:
	s_clause 0x3
	buffer_load_dword v103, v101, s[0:3], 0 offen offset:8
	buffer_load_dword v104, v101, s[0:3], 0 offen offset:12
	buffer_load_dword v105, v101, s[0:3], 0 offen
	buffer_load_dword v106, v101, s[0:3], 0 offen offset:4
	s_waitcnt vmcnt(2) lgkmcnt(0)
	v_mul_f64 v[108:109], v[3:4], v[103:104]
	v_mul_f64 v[103:104], v[1:2], v[103:104]
	s_waitcnt vmcnt(0)
	v_fma_f64 v[1:2], v[1:2], v[105:106], -v[108:109]
	v_fma_f64 v[3:4], v[3:4], v[105:106], v[103:104]
.LBB47_198:
	s_and_saveexec_b32 s8, s5
	s_cbranch_execz .LBB47_202
; %bb.199:
	v_subrev_nc_u32_e32 v103, 23, v0
	s_movk_i32 s57, 0x470
	s_mov_b32 s5, 0
	s_mov_b32 s58, s33
	.p2align	6
.LBB47_200:                             ; =>This Inner Loop Header: Depth=1
	v_mov_b32_e32 v106, s58
	v_add_nc_u32_e32 v103, -1, v103
	s_add_i32 s58, s58, 16
	s_clause 0x3
	buffer_load_dword v104, v106, s[0:3], 0 offen offset:8
	buffer_load_dword v105, v106, s[0:3], 0 offen offset:12
	buffer_load_dword v112, v106, s[0:3], 0 offen
	buffer_load_dword v113, v106, s[0:3], 0 offen offset:4
	v_mov_b32_e32 v106, s57
	v_cmp_eq_u32_e32 vcc_lo, 0, v103
	s_add_i32 s57, s57, 16
	ds_read_b128 v[108:111], v106
	s_or_b32 s5, vcc_lo, s5
	s_waitcnt vmcnt(2) lgkmcnt(0)
	v_mul_f64 v[114:115], v[110:111], v[104:105]
	v_mul_f64 v[104:105], v[108:109], v[104:105]
	s_waitcnt vmcnt(0)
	v_fma_f64 v[108:109], v[108:109], v[112:113], -v[114:115]
	v_fma_f64 v[104:105], v[110:111], v[112:113], v[104:105]
	v_add_f64 v[1:2], v[1:2], v[108:109]
	v_add_f64 v[3:4], v[3:4], v[104:105]
	s_andn2_b32 exec_lo, exec_lo, s5
	s_cbranch_execnz .LBB47_200
; %bb.201:
	s_or_b32 exec_lo, exec_lo, s5
.LBB47_202:
	s_or_b32 exec_lo, exec_lo, s8
	v_mov_b32_e32 v103, 0
	ds_read_b128 v[103:106], v103 offset:352
	s_waitcnt lgkmcnt(0)
	v_mul_f64 v[108:109], v[3:4], v[105:106]
	v_mul_f64 v[105:106], v[1:2], v[105:106]
	v_fma_f64 v[1:2], v[1:2], v[103:104], -v[108:109]
	v_fma_f64 v[3:4], v[3:4], v[103:104], v[105:106]
	buffer_store_dword v2, off, s[0:3], 0 offset:356
	buffer_store_dword v1, off, s[0:3], 0 offset:352
	;; [unrolled: 1-line block ×4, first 2 shown]
.LBB47_203:
	s_or_b32 exec_lo, exec_lo, s6
	v_mov_b32_e32 v4, s35
	v_cmp_lt_u32_e64 s5, 21, v0
	s_clause 0x3
	buffer_load_dword v1, v4, s[0:3], 0 offen
	buffer_load_dword v2, v4, s[0:3], 0 offen offset:4
	buffer_load_dword v3, v4, s[0:3], 0 offen offset:8
	;; [unrolled: 1-line block ×3, first 2 shown]
	s_waitcnt vmcnt(0)
	ds_write_b128 v102, v[1:4]
	s_waitcnt lgkmcnt(0)
	s_waitcnt_vscnt null, 0x0
	s_barrier
	buffer_gl0_inv
	s_and_saveexec_b32 s6, s5
	s_cbranch_execz .LBB47_211
; %bb.204:
	ds_read_b128 v[1:4], v102
	s_andn2_b32 vcc_lo, exec_lo, s56
	s_cbranch_vccnz .LBB47_206
; %bb.205:
	s_clause 0x3
	buffer_load_dword v103, v101, s[0:3], 0 offen offset:8
	buffer_load_dword v104, v101, s[0:3], 0 offen offset:12
	buffer_load_dword v105, v101, s[0:3], 0 offen
	buffer_load_dword v106, v101, s[0:3], 0 offen offset:4
	s_waitcnt vmcnt(2) lgkmcnt(0)
	v_mul_f64 v[108:109], v[3:4], v[103:104]
	v_mul_f64 v[103:104], v[1:2], v[103:104]
	s_waitcnt vmcnt(0)
	v_fma_f64 v[1:2], v[1:2], v[105:106], -v[108:109]
	v_fma_f64 v[3:4], v[3:4], v[105:106], v[103:104]
.LBB47_206:
	s_and_saveexec_b32 s8, s4
	s_cbranch_execz .LBB47_210
; %bb.207:
	v_subrev_nc_u32_e32 v103, 22, v0
	s_movk_i32 s57, 0x460
	s_mov_b32 s4, 0
	s_mov_b32 s58, s34
	.p2align	6
.LBB47_208:                             ; =>This Inner Loop Header: Depth=1
	v_mov_b32_e32 v106, s58
	v_add_nc_u32_e32 v103, -1, v103
	s_add_i32 s58, s58, 16
	s_clause 0x3
	buffer_load_dword v104, v106, s[0:3], 0 offen offset:8
	buffer_load_dword v105, v106, s[0:3], 0 offen offset:12
	buffer_load_dword v112, v106, s[0:3], 0 offen
	buffer_load_dword v113, v106, s[0:3], 0 offen offset:4
	v_mov_b32_e32 v106, s57
	v_cmp_eq_u32_e32 vcc_lo, 0, v103
	s_add_i32 s57, s57, 16
	ds_read_b128 v[108:111], v106
	s_or_b32 s4, vcc_lo, s4
	s_waitcnt vmcnt(2) lgkmcnt(0)
	v_mul_f64 v[114:115], v[110:111], v[104:105]
	v_mul_f64 v[104:105], v[108:109], v[104:105]
	s_waitcnt vmcnt(0)
	v_fma_f64 v[108:109], v[108:109], v[112:113], -v[114:115]
	v_fma_f64 v[104:105], v[110:111], v[112:113], v[104:105]
	v_add_f64 v[1:2], v[1:2], v[108:109]
	v_add_f64 v[3:4], v[3:4], v[104:105]
	s_andn2_b32 exec_lo, exec_lo, s4
	s_cbranch_execnz .LBB47_208
; %bb.209:
	s_or_b32 exec_lo, exec_lo, s4
.LBB47_210:
	s_or_b32 exec_lo, exec_lo, s8
	v_mov_b32_e32 v103, 0
	ds_read_b128 v[103:106], v103 offset:336
	s_waitcnt lgkmcnt(0)
	v_mul_f64 v[108:109], v[3:4], v[105:106]
	v_mul_f64 v[105:106], v[1:2], v[105:106]
	v_fma_f64 v[1:2], v[1:2], v[103:104], -v[108:109]
	v_fma_f64 v[3:4], v[3:4], v[103:104], v[105:106]
	buffer_store_dword v2, off, s[0:3], 0 offset:340
	buffer_store_dword v1, off, s[0:3], 0 offset:336
	;; [unrolled: 1-line block ×4, first 2 shown]
.LBB47_211:
	s_or_b32 exec_lo, exec_lo, s6
	v_mov_b32_e32 v4, s36
	v_cmp_lt_u32_e64 s4, 20, v0
	s_clause 0x3
	buffer_load_dword v1, v4, s[0:3], 0 offen
	buffer_load_dword v2, v4, s[0:3], 0 offen offset:4
	buffer_load_dword v3, v4, s[0:3], 0 offen offset:8
	;; [unrolled: 1-line block ×3, first 2 shown]
	s_waitcnt vmcnt(0)
	ds_write_b128 v102, v[1:4]
	s_waitcnt lgkmcnt(0)
	s_waitcnt_vscnt null, 0x0
	s_barrier
	buffer_gl0_inv
	s_and_saveexec_b32 s6, s4
	s_cbranch_execz .LBB47_219
; %bb.212:
	ds_read_b128 v[1:4], v102
	s_andn2_b32 vcc_lo, exec_lo, s56
	s_cbranch_vccnz .LBB47_214
; %bb.213:
	s_clause 0x3
	buffer_load_dword v103, v101, s[0:3], 0 offen offset:8
	buffer_load_dword v104, v101, s[0:3], 0 offen offset:12
	buffer_load_dword v105, v101, s[0:3], 0 offen
	buffer_load_dword v106, v101, s[0:3], 0 offen offset:4
	s_waitcnt vmcnt(2) lgkmcnt(0)
	v_mul_f64 v[108:109], v[3:4], v[103:104]
	v_mul_f64 v[103:104], v[1:2], v[103:104]
	s_waitcnt vmcnt(0)
	v_fma_f64 v[1:2], v[1:2], v[105:106], -v[108:109]
	v_fma_f64 v[3:4], v[3:4], v[105:106], v[103:104]
.LBB47_214:
	s_and_saveexec_b32 s8, s5
	s_cbranch_execz .LBB47_218
; %bb.215:
	v_subrev_nc_u32_e32 v103, 21, v0
	s_movk_i32 s57, 0x450
	s_mov_b32 s5, 0
	s_mov_b32 s58, s35
	.p2align	6
.LBB47_216:                             ; =>This Inner Loop Header: Depth=1
	v_mov_b32_e32 v106, s58
	v_add_nc_u32_e32 v103, -1, v103
	s_add_i32 s58, s58, 16
	s_clause 0x3
	buffer_load_dword v104, v106, s[0:3], 0 offen offset:8
	buffer_load_dword v105, v106, s[0:3], 0 offen offset:12
	buffer_load_dword v112, v106, s[0:3], 0 offen
	buffer_load_dword v113, v106, s[0:3], 0 offen offset:4
	v_mov_b32_e32 v106, s57
	v_cmp_eq_u32_e32 vcc_lo, 0, v103
	s_add_i32 s57, s57, 16
	ds_read_b128 v[108:111], v106
	s_or_b32 s5, vcc_lo, s5
	s_waitcnt vmcnt(2) lgkmcnt(0)
	v_mul_f64 v[114:115], v[110:111], v[104:105]
	v_mul_f64 v[104:105], v[108:109], v[104:105]
	s_waitcnt vmcnt(0)
	v_fma_f64 v[108:109], v[108:109], v[112:113], -v[114:115]
	v_fma_f64 v[104:105], v[110:111], v[112:113], v[104:105]
	v_add_f64 v[1:2], v[1:2], v[108:109]
	v_add_f64 v[3:4], v[3:4], v[104:105]
	s_andn2_b32 exec_lo, exec_lo, s5
	s_cbranch_execnz .LBB47_216
; %bb.217:
	s_or_b32 exec_lo, exec_lo, s5
.LBB47_218:
	s_or_b32 exec_lo, exec_lo, s8
	v_mov_b32_e32 v103, 0
	ds_read_b128 v[103:106], v103 offset:320
	s_waitcnt lgkmcnt(0)
	v_mul_f64 v[108:109], v[3:4], v[105:106]
	v_mul_f64 v[105:106], v[1:2], v[105:106]
	v_fma_f64 v[1:2], v[1:2], v[103:104], -v[108:109]
	v_fma_f64 v[3:4], v[3:4], v[103:104], v[105:106]
	buffer_store_dword v2, off, s[0:3], 0 offset:324
	buffer_store_dword v1, off, s[0:3], 0 offset:320
	;; [unrolled: 1-line block ×4, first 2 shown]
.LBB47_219:
	s_or_b32 exec_lo, exec_lo, s6
	v_mov_b32_e32 v4, s37
	v_cmp_lt_u32_e64 s5, 19, v0
	s_clause 0x3
	buffer_load_dword v1, v4, s[0:3], 0 offen
	buffer_load_dword v2, v4, s[0:3], 0 offen offset:4
	buffer_load_dword v3, v4, s[0:3], 0 offen offset:8
	;; [unrolled: 1-line block ×3, first 2 shown]
	s_waitcnt vmcnt(0)
	ds_write_b128 v102, v[1:4]
	s_waitcnt lgkmcnt(0)
	s_waitcnt_vscnt null, 0x0
	s_barrier
	buffer_gl0_inv
	s_and_saveexec_b32 s6, s5
	s_cbranch_execz .LBB47_227
; %bb.220:
	ds_read_b128 v[1:4], v102
	s_andn2_b32 vcc_lo, exec_lo, s56
	s_cbranch_vccnz .LBB47_222
; %bb.221:
	s_clause 0x3
	buffer_load_dword v103, v101, s[0:3], 0 offen offset:8
	buffer_load_dword v104, v101, s[0:3], 0 offen offset:12
	buffer_load_dword v105, v101, s[0:3], 0 offen
	buffer_load_dword v106, v101, s[0:3], 0 offen offset:4
	s_waitcnt vmcnt(2) lgkmcnt(0)
	v_mul_f64 v[108:109], v[3:4], v[103:104]
	v_mul_f64 v[103:104], v[1:2], v[103:104]
	s_waitcnt vmcnt(0)
	v_fma_f64 v[1:2], v[1:2], v[105:106], -v[108:109]
	v_fma_f64 v[3:4], v[3:4], v[105:106], v[103:104]
.LBB47_222:
	s_and_saveexec_b32 s8, s4
	s_cbranch_execz .LBB47_226
; %bb.223:
	v_subrev_nc_u32_e32 v103, 20, v0
	s_movk_i32 s57, 0x440
	s_mov_b32 s4, 0
	s_mov_b32 s58, s36
	.p2align	6
.LBB47_224:                             ; =>This Inner Loop Header: Depth=1
	v_mov_b32_e32 v106, s58
	v_add_nc_u32_e32 v103, -1, v103
	s_add_i32 s58, s58, 16
	s_clause 0x3
	buffer_load_dword v104, v106, s[0:3], 0 offen offset:8
	buffer_load_dword v105, v106, s[0:3], 0 offen offset:12
	buffer_load_dword v112, v106, s[0:3], 0 offen
	buffer_load_dword v113, v106, s[0:3], 0 offen offset:4
	v_mov_b32_e32 v106, s57
	v_cmp_eq_u32_e32 vcc_lo, 0, v103
	s_add_i32 s57, s57, 16
	ds_read_b128 v[108:111], v106
	s_or_b32 s4, vcc_lo, s4
	s_waitcnt vmcnt(2) lgkmcnt(0)
	v_mul_f64 v[114:115], v[110:111], v[104:105]
	v_mul_f64 v[104:105], v[108:109], v[104:105]
	s_waitcnt vmcnt(0)
	v_fma_f64 v[108:109], v[108:109], v[112:113], -v[114:115]
	v_fma_f64 v[104:105], v[110:111], v[112:113], v[104:105]
	v_add_f64 v[1:2], v[1:2], v[108:109]
	v_add_f64 v[3:4], v[3:4], v[104:105]
	s_andn2_b32 exec_lo, exec_lo, s4
	s_cbranch_execnz .LBB47_224
; %bb.225:
	s_or_b32 exec_lo, exec_lo, s4
.LBB47_226:
	s_or_b32 exec_lo, exec_lo, s8
	v_mov_b32_e32 v103, 0
	ds_read_b128 v[103:106], v103 offset:304
	s_waitcnt lgkmcnt(0)
	v_mul_f64 v[108:109], v[3:4], v[105:106]
	v_mul_f64 v[105:106], v[1:2], v[105:106]
	v_fma_f64 v[1:2], v[1:2], v[103:104], -v[108:109]
	v_fma_f64 v[3:4], v[3:4], v[103:104], v[105:106]
	buffer_store_dword v2, off, s[0:3], 0 offset:308
	buffer_store_dword v1, off, s[0:3], 0 offset:304
	;; [unrolled: 1-line block ×4, first 2 shown]
.LBB47_227:
	s_or_b32 exec_lo, exec_lo, s6
	v_mov_b32_e32 v4, s38
	v_cmp_lt_u32_e64 s4, 18, v0
	s_clause 0x3
	buffer_load_dword v1, v4, s[0:3], 0 offen
	buffer_load_dword v2, v4, s[0:3], 0 offen offset:4
	buffer_load_dword v3, v4, s[0:3], 0 offen offset:8
	;; [unrolled: 1-line block ×3, first 2 shown]
	s_waitcnt vmcnt(0)
	ds_write_b128 v102, v[1:4]
	s_waitcnt lgkmcnt(0)
	s_waitcnt_vscnt null, 0x0
	s_barrier
	buffer_gl0_inv
	s_and_saveexec_b32 s6, s4
	s_cbranch_execz .LBB47_235
; %bb.228:
	ds_read_b128 v[1:4], v102
	s_andn2_b32 vcc_lo, exec_lo, s56
	s_cbranch_vccnz .LBB47_230
; %bb.229:
	s_clause 0x3
	buffer_load_dword v103, v101, s[0:3], 0 offen offset:8
	buffer_load_dword v104, v101, s[0:3], 0 offen offset:12
	buffer_load_dword v105, v101, s[0:3], 0 offen
	buffer_load_dword v106, v101, s[0:3], 0 offen offset:4
	s_waitcnt vmcnt(2) lgkmcnt(0)
	v_mul_f64 v[108:109], v[3:4], v[103:104]
	v_mul_f64 v[103:104], v[1:2], v[103:104]
	s_waitcnt vmcnt(0)
	v_fma_f64 v[1:2], v[1:2], v[105:106], -v[108:109]
	v_fma_f64 v[3:4], v[3:4], v[105:106], v[103:104]
.LBB47_230:
	s_and_saveexec_b32 s8, s5
	s_cbranch_execz .LBB47_234
; %bb.231:
	v_subrev_nc_u32_e32 v103, 19, v0
	s_movk_i32 s57, 0x430
	s_mov_b32 s5, 0
	s_mov_b32 s58, s37
	.p2align	6
.LBB47_232:                             ; =>This Inner Loop Header: Depth=1
	v_mov_b32_e32 v106, s58
	v_add_nc_u32_e32 v103, -1, v103
	s_add_i32 s58, s58, 16
	s_clause 0x3
	buffer_load_dword v104, v106, s[0:3], 0 offen offset:8
	buffer_load_dword v105, v106, s[0:3], 0 offen offset:12
	buffer_load_dword v112, v106, s[0:3], 0 offen
	buffer_load_dword v113, v106, s[0:3], 0 offen offset:4
	v_mov_b32_e32 v106, s57
	v_cmp_eq_u32_e32 vcc_lo, 0, v103
	s_add_i32 s57, s57, 16
	ds_read_b128 v[108:111], v106
	s_or_b32 s5, vcc_lo, s5
	s_waitcnt vmcnt(2) lgkmcnt(0)
	v_mul_f64 v[114:115], v[110:111], v[104:105]
	v_mul_f64 v[104:105], v[108:109], v[104:105]
	s_waitcnt vmcnt(0)
	v_fma_f64 v[108:109], v[108:109], v[112:113], -v[114:115]
	v_fma_f64 v[104:105], v[110:111], v[112:113], v[104:105]
	v_add_f64 v[1:2], v[1:2], v[108:109]
	v_add_f64 v[3:4], v[3:4], v[104:105]
	s_andn2_b32 exec_lo, exec_lo, s5
	s_cbranch_execnz .LBB47_232
; %bb.233:
	s_or_b32 exec_lo, exec_lo, s5
.LBB47_234:
	s_or_b32 exec_lo, exec_lo, s8
	v_mov_b32_e32 v103, 0
	ds_read_b128 v[103:106], v103 offset:288
	s_waitcnt lgkmcnt(0)
	v_mul_f64 v[108:109], v[3:4], v[105:106]
	v_mul_f64 v[105:106], v[1:2], v[105:106]
	v_fma_f64 v[1:2], v[1:2], v[103:104], -v[108:109]
	v_fma_f64 v[3:4], v[3:4], v[103:104], v[105:106]
	buffer_store_dword v2, off, s[0:3], 0 offset:292
	buffer_store_dword v1, off, s[0:3], 0 offset:288
	;; [unrolled: 1-line block ×4, first 2 shown]
.LBB47_235:
	s_or_b32 exec_lo, exec_lo, s6
	v_mov_b32_e32 v4, s39
	v_cmp_lt_u32_e64 s5, 17, v0
	s_clause 0x3
	buffer_load_dword v1, v4, s[0:3], 0 offen
	buffer_load_dword v2, v4, s[0:3], 0 offen offset:4
	buffer_load_dword v3, v4, s[0:3], 0 offen offset:8
	;; [unrolled: 1-line block ×3, first 2 shown]
	s_waitcnt vmcnt(0)
	ds_write_b128 v102, v[1:4]
	s_waitcnt lgkmcnt(0)
	s_waitcnt_vscnt null, 0x0
	s_barrier
	buffer_gl0_inv
	s_and_saveexec_b32 s6, s5
	s_cbranch_execz .LBB47_243
; %bb.236:
	ds_read_b128 v[1:4], v102
	s_andn2_b32 vcc_lo, exec_lo, s56
	s_cbranch_vccnz .LBB47_238
; %bb.237:
	s_clause 0x3
	buffer_load_dword v103, v101, s[0:3], 0 offen offset:8
	buffer_load_dword v104, v101, s[0:3], 0 offen offset:12
	buffer_load_dword v105, v101, s[0:3], 0 offen
	buffer_load_dword v106, v101, s[0:3], 0 offen offset:4
	s_waitcnt vmcnt(2) lgkmcnt(0)
	v_mul_f64 v[108:109], v[3:4], v[103:104]
	v_mul_f64 v[103:104], v[1:2], v[103:104]
	s_waitcnt vmcnt(0)
	v_fma_f64 v[1:2], v[1:2], v[105:106], -v[108:109]
	v_fma_f64 v[3:4], v[3:4], v[105:106], v[103:104]
.LBB47_238:
	s_and_saveexec_b32 s8, s4
	s_cbranch_execz .LBB47_242
; %bb.239:
	v_subrev_nc_u32_e32 v103, 18, v0
	s_movk_i32 s57, 0x420
	s_mov_b32 s4, 0
	s_mov_b32 s58, s38
	.p2align	6
.LBB47_240:                             ; =>This Inner Loop Header: Depth=1
	v_mov_b32_e32 v106, s58
	v_add_nc_u32_e32 v103, -1, v103
	s_add_i32 s58, s58, 16
	s_clause 0x3
	buffer_load_dword v104, v106, s[0:3], 0 offen offset:8
	buffer_load_dword v105, v106, s[0:3], 0 offen offset:12
	buffer_load_dword v112, v106, s[0:3], 0 offen
	buffer_load_dword v113, v106, s[0:3], 0 offen offset:4
	v_mov_b32_e32 v106, s57
	v_cmp_eq_u32_e32 vcc_lo, 0, v103
	s_add_i32 s57, s57, 16
	ds_read_b128 v[108:111], v106
	s_or_b32 s4, vcc_lo, s4
	s_waitcnt vmcnt(2) lgkmcnt(0)
	v_mul_f64 v[114:115], v[110:111], v[104:105]
	v_mul_f64 v[104:105], v[108:109], v[104:105]
	s_waitcnt vmcnt(0)
	v_fma_f64 v[108:109], v[108:109], v[112:113], -v[114:115]
	v_fma_f64 v[104:105], v[110:111], v[112:113], v[104:105]
	v_add_f64 v[1:2], v[1:2], v[108:109]
	v_add_f64 v[3:4], v[3:4], v[104:105]
	s_andn2_b32 exec_lo, exec_lo, s4
	s_cbranch_execnz .LBB47_240
; %bb.241:
	s_or_b32 exec_lo, exec_lo, s4
.LBB47_242:
	s_or_b32 exec_lo, exec_lo, s8
	v_mov_b32_e32 v103, 0
	ds_read_b128 v[103:106], v103 offset:272
	s_waitcnt lgkmcnt(0)
	v_mul_f64 v[108:109], v[3:4], v[105:106]
	v_mul_f64 v[105:106], v[1:2], v[105:106]
	v_fma_f64 v[1:2], v[1:2], v[103:104], -v[108:109]
	v_fma_f64 v[3:4], v[3:4], v[103:104], v[105:106]
	buffer_store_dword v2, off, s[0:3], 0 offset:276
	buffer_store_dword v1, off, s[0:3], 0 offset:272
	;; [unrolled: 1-line block ×4, first 2 shown]
.LBB47_243:
	s_or_b32 exec_lo, exec_lo, s6
	v_mov_b32_e32 v4, s40
	v_cmp_lt_u32_e64 s4, 16, v0
	s_clause 0x3
	buffer_load_dword v1, v4, s[0:3], 0 offen
	buffer_load_dword v2, v4, s[0:3], 0 offen offset:4
	buffer_load_dword v3, v4, s[0:3], 0 offen offset:8
	;; [unrolled: 1-line block ×3, first 2 shown]
	s_waitcnt vmcnt(0)
	ds_write_b128 v102, v[1:4]
	s_waitcnt lgkmcnt(0)
	s_waitcnt_vscnt null, 0x0
	s_barrier
	buffer_gl0_inv
	s_and_saveexec_b32 s6, s4
	s_cbranch_execz .LBB47_251
; %bb.244:
	ds_read_b128 v[1:4], v102
	s_andn2_b32 vcc_lo, exec_lo, s56
	s_cbranch_vccnz .LBB47_246
; %bb.245:
	s_clause 0x3
	buffer_load_dword v103, v101, s[0:3], 0 offen offset:8
	buffer_load_dword v104, v101, s[0:3], 0 offen offset:12
	buffer_load_dword v105, v101, s[0:3], 0 offen
	buffer_load_dword v106, v101, s[0:3], 0 offen offset:4
	s_waitcnt vmcnt(2) lgkmcnt(0)
	v_mul_f64 v[108:109], v[3:4], v[103:104]
	v_mul_f64 v[103:104], v[1:2], v[103:104]
	s_waitcnt vmcnt(0)
	v_fma_f64 v[1:2], v[1:2], v[105:106], -v[108:109]
	v_fma_f64 v[3:4], v[3:4], v[105:106], v[103:104]
.LBB47_246:
	s_and_saveexec_b32 s8, s5
	s_cbranch_execz .LBB47_250
; %bb.247:
	v_subrev_nc_u32_e32 v103, 17, v0
	s_movk_i32 s57, 0x410
	s_mov_b32 s5, 0
	s_mov_b32 s58, s39
	.p2align	6
.LBB47_248:                             ; =>This Inner Loop Header: Depth=1
	v_mov_b32_e32 v106, s58
	v_add_nc_u32_e32 v103, -1, v103
	s_add_i32 s58, s58, 16
	s_clause 0x3
	buffer_load_dword v104, v106, s[0:3], 0 offen offset:8
	buffer_load_dword v105, v106, s[0:3], 0 offen offset:12
	buffer_load_dword v112, v106, s[0:3], 0 offen
	buffer_load_dword v113, v106, s[0:3], 0 offen offset:4
	v_mov_b32_e32 v106, s57
	v_cmp_eq_u32_e32 vcc_lo, 0, v103
	s_add_i32 s57, s57, 16
	ds_read_b128 v[108:111], v106
	s_or_b32 s5, vcc_lo, s5
	s_waitcnt vmcnt(2) lgkmcnt(0)
	v_mul_f64 v[114:115], v[110:111], v[104:105]
	v_mul_f64 v[104:105], v[108:109], v[104:105]
	s_waitcnt vmcnt(0)
	v_fma_f64 v[108:109], v[108:109], v[112:113], -v[114:115]
	v_fma_f64 v[104:105], v[110:111], v[112:113], v[104:105]
	v_add_f64 v[1:2], v[1:2], v[108:109]
	v_add_f64 v[3:4], v[3:4], v[104:105]
	s_andn2_b32 exec_lo, exec_lo, s5
	s_cbranch_execnz .LBB47_248
; %bb.249:
	s_or_b32 exec_lo, exec_lo, s5
.LBB47_250:
	s_or_b32 exec_lo, exec_lo, s8
	v_mov_b32_e32 v103, 0
	ds_read_b128 v[103:106], v103 offset:256
	s_waitcnt lgkmcnt(0)
	v_mul_f64 v[108:109], v[3:4], v[105:106]
	v_mul_f64 v[105:106], v[1:2], v[105:106]
	v_fma_f64 v[1:2], v[1:2], v[103:104], -v[108:109]
	v_fma_f64 v[3:4], v[3:4], v[103:104], v[105:106]
	buffer_store_dword v2, off, s[0:3], 0 offset:260
	buffer_store_dword v1, off, s[0:3], 0 offset:256
	buffer_store_dword v4, off, s[0:3], 0 offset:268
	buffer_store_dword v3, off, s[0:3], 0 offset:264
.LBB47_251:
	s_or_b32 exec_lo, exec_lo, s6
	v_mov_b32_e32 v4, s41
	v_cmp_lt_u32_e64 s5, 15, v0
	s_clause 0x3
	buffer_load_dword v1, v4, s[0:3], 0 offen
	buffer_load_dword v2, v4, s[0:3], 0 offen offset:4
	buffer_load_dword v3, v4, s[0:3], 0 offen offset:8
	;; [unrolled: 1-line block ×3, first 2 shown]
	s_waitcnt vmcnt(0)
	ds_write_b128 v102, v[1:4]
	s_waitcnt lgkmcnt(0)
	s_waitcnt_vscnt null, 0x0
	s_barrier
	buffer_gl0_inv
	s_and_saveexec_b32 s6, s5
	s_cbranch_execz .LBB47_259
; %bb.252:
	ds_read_b128 v[1:4], v102
	s_andn2_b32 vcc_lo, exec_lo, s56
	s_cbranch_vccnz .LBB47_254
; %bb.253:
	s_clause 0x3
	buffer_load_dword v103, v101, s[0:3], 0 offen offset:8
	buffer_load_dword v104, v101, s[0:3], 0 offen offset:12
	buffer_load_dword v105, v101, s[0:3], 0 offen
	buffer_load_dword v106, v101, s[0:3], 0 offen offset:4
	s_waitcnt vmcnt(2) lgkmcnt(0)
	v_mul_f64 v[108:109], v[3:4], v[103:104]
	v_mul_f64 v[103:104], v[1:2], v[103:104]
	s_waitcnt vmcnt(0)
	v_fma_f64 v[1:2], v[1:2], v[105:106], -v[108:109]
	v_fma_f64 v[3:4], v[3:4], v[105:106], v[103:104]
.LBB47_254:
	s_and_saveexec_b32 s8, s4
	s_cbranch_execz .LBB47_258
; %bb.255:
	v_add_nc_u32_e32 v103, -16, v0
	s_movk_i32 s57, 0x400
	s_mov_b32 s4, 0
	s_mov_b32 s58, s40
	.p2align	6
.LBB47_256:                             ; =>This Inner Loop Header: Depth=1
	v_mov_b32_e32 v106, s58
	v_add_nc_u32_e32 v103, -1, v103
	s_add_i32 s58, s58, 16
	s_clause 0x3
	buffer_load_dword v104, v106, s[0:3], 0 offen offset:8
	buffer_load_dword v105, v106, s[0:3], 0 offen offset:12
	buffer_load_dword v112, v106, s[0:3], 0 offen
	buffer_load_dword v113, v106, s[0:3], 0 offen offset:4
	v_mov_b32_e32 v106, s57
	v_cmp_eq_u32_e32 vcc_lo, 0, v103
	s_add_i32 s57, s57, 16
	ds_read_b128 v[108:111], v106
	s_or_b32 s4, vcc_lo, s4
	s_waitcnt vmcnt(2) lgkmcnt(0)
	v_mul_f64 v[114:115], v[110:111], v[104:105]
	v_mul_f64 v[104:105], v[108:109], v[104:105]
	s_waitcnt vmcnt(0)
	v_fma_f64 v[108:109], v[108:109], v[112:113], -v[114:115]
	v_fma_f64 v[104:105], v[110:111], v[112:113], v[104:105]
	v_add_f64 v[1:2], v[1:2], v[108:109]
	v_add_f64 v[3:4], v[3:4], v[104:105]
	s_andn2_b32 exec_lo, exec_lo, s4
	s_cbranch_execnz .LBB47_256
; %bb.257:
	s_or_b32 exec_lo, exec_lo, s4
.LBB47_258:
	s_or_b32 exec_lo, exec_lo, s8
	v_mov_b32_e32 v103, 0
	ds_read_b128 v[103:106], v103 offset:240
	s_waitcnt lgkmcnt(0)
	v_mul_f64 v[108:109], v[3:4], v[105:106]
	v_mul_f64 v[105:106], v[1:2], v[105:106]
	v_fma_f64 v[1:2], v[1:2], v[103:104], -v[108:109]
	v_fma_f64 v[3:4], v[3:4], v[103:104], v[105:106]
	buffer_store_dword v2, off, s[0:3], 0 offset:244
	buffer_store_dword v1, off, s[0:3], 0 offset:240
	;; [unrolled: 1-line block ×4, first 2 shown]
.LBB47_259:
	s_or_b32 exec_lo, exec_lo, s6
	v_mov_b32_e32 v4, s42
	v_cmp_lt_u32_e64 s4, 14, v0
	s_clause 0x3
	buffer_load_dword v1, v4, s[0:3], 0 offen
	buffer_load_dword v2, v4, s[0:3], 0 offen offset:4
	buffer_load_dword v3, v4, s[0:3], 0 offen offset:8
	;; [unrolled: 1-line block ×3, first 2 shown]
	s_waitcnt vmcnt(0)
	ds_write_b128 v102, v[1:4]
	s_waitcnt lgkmcnt(0)
	s_waitcnt_vscnt null, 0x0
	s_barrier
	buffer_gl0_inv
	s_and_saveexec_b32 s6, s4
	s_cbranch_execz .LBB47_267
; %bb.260:
	ds_read_b128 v[1:4], v102
	s_andn2_b32 vcc_lo, exec_lo, s56
	s_cbranch_vccnz .LBB47_262
; %bb.261:
	s_clause 0x3
	buffer_load_dword v103, v101, s[0:3], 0 offen offset:8
	buffer_load_dword v104, v101, s[0:3], 0 offen offset:12
	buffer_load_dword v105, v101, s[0:3], 0 offen
	buffer_load_dword v106, v101, s[0:3], 0 offen offset:4
	s_waitcnt vmcnt(2) lgkmcnt(0)
	v_mul_f64 v[108:109], v[3:4], v[103:104]
	v_mul_f64 v[103:104], v[1:2], v[103:104]
	s_waitcnt vmcnt(0)
	v_fma_f64 v[1:2], v[1:2], v[105:106], -v[108:109]
	v_fma_f64 v[3:4], v[3:4], v[105:106], v[103:104]
.LBB47_262:
	s_and_saveexec_b32 s8, s5
	s_cbranch_execz .LBB47_266
; %bb.263:
	v_add_nc_u32_e32 v103, -15, v0
	s_movk_i32 s57, 0x3f0
	s_mov_b32 s5, 0
	s_mov_b32 s58, s41
	.p2align	6
.LBB47_264:                             ; =>This Inner Loop Header: Depth=1
	v_mov_b32_e32 v106, s58
	v_add_nc_u32_e32 v103, -1, v103
	s_add_i32 s58, s58, 16
	s_clause 0x3
	buffer_load_dword v104, v106, s[0:3], 0 offen offset:8
	buffer_load_dword v105, v106, s[0:3], 0 offen offset:12
	buffer_load_dword v112, v106, s[0:3], 0 offen
	buffer_load_dword v113, v106, s[0:3], 0 offen offset:4
	v_mov_b32_e32 v106, s57
	v_cmp_eq_u32_e32 vcc_lo, 0, v103
	s_add_i32 s57, s57, 16
	ds_read_b128 v[108:111], v106
	s_or_b32 s5, vcc_lo, s5
	s_waitcnt vmcnt(2) lgkmcnt(0)
	v_mul_f64 v[114:115], v[110:111], v[104:105]
	v_mul_f64 v[104:105], v[108:109], v[104:105]
	s_waitcnt vmcnt(0)
	v_fma_f64 v[108:109], v[108:109], v[112:113], -v[114:115]
	v_fma_f64 v[104:105], v[110:111], v[112:113], v[104:105]
	v_add_f64 v[1:2], v[1:2], v[108:109]
	v_add_f64 v[3:4], v[3:4], v[104:105]
	s_andn2_b32 exec_lo, exec_lo, s5
	s_cbranch_execnz .LBB47_264
; %bb.265:
	s_or_b32 exec_lo, exec_lo, s5
.LBB47_266:
	s_or_b32 exec_lo, exec_lo, s8
	v_mov_b32_e32 v103, 0
	ds_read_b128 v[103:106], v103 offset:224
	s_waitcnt lgkmcnt(0)
	v_mul_f64 v[108:109], v[3:4], v[105:106]
	v_mul_f64 v[105:106], v[1:2], v[105:106]
	v_fma_f64 v[1:2], v[1:2], v[103:104], -v[108:109]
	v_fma_f64 v[3:4], v[3:4], v[103:104], v[105:106]
	buffer_store_dword v2, off, s[0:3], 0 offset:228
	buffer_store_dword v1, off, s[0:3], 0 offset:224
	;; [unrolled: 1-line block ×4, first 2 shown]
.LBB47_267:
	s_or_b32 exec_lo, exec_lo, s6
	v_mov_b32_e32 v4, s43
	v_cmp_lt_u32_e64 s5, 13, v0
	s_clause 0x3
	buffer_load_dword v1, v4, s[0:3], 0 offen
	buffer_load_dword v2, v4, s[0:3], 0 offen offset:4
	buffer_load_dword v3, v4, s[0:3], 0 offen offset:8
	;; [unrolled: 1-line block ×3, first 2 shown]
	s_waitcnt vmcnt(0)
	ds_write_b128 v102, v[1:4]
	s_waitcnt lgkmcnt(0)
	s_waitcnt_vscnt null, 0x0
	s_barrier
	buffer_gl0_inv
	s_and_saveexec_b32 s6, s5
	s_cbranch_execz .LBB47_275
; %bb.268:
	ds_read_b128 v[1:4], v102
	s_andn2_b32 vcc_lo, exec_lo, s56
	s_cbranch_vccnz .LBB47_270
; %bb.269:
	s_clause 0x3
	buffer_load_dword v103, v101, s[0:3], 0 offen offset:8
	buffer_load_dword v104, v101, s[0:3], 0 offen offset:12
	buffer_load_dword v105, v101, s[0:3], 0 offen
	buffer_load_dword v106, v101, s[0:3], 0 offen offset:4
	s_waitcnt vmcnt(2) lgkmcnt(0)
	v_mul_f64 v[108:109], v[3:4], v[103:104]
	v_mul_f64 v[103:104], v[1:2], v[103:104]
	s_waitcnt vmcnt(0)
	v_fma_f64 v[1:2], v[1:2], v[105:106], -v[108:109]
	v_fma_f64 v[3:4], v[3:4], v[105:106], v[103:104]
.LBB47_270:
	s_and_saveexec_b32 s8, s4
	s_cbranch_execz .LBB47_274
; %bb.271:
	v_add_nc_u32_e32 v103, -14, v0
	s_movk_i32 s57, 0x3e0
	s_mov_b32 s4, 0
	s_mov_b32 s58, s42
	.p2align	6
.LBB47_272:                             ; =>This Inner Loop Header: Depth=1
	v_mov_b32_e32 v106, s58
	v_add_nc_u32_e32 v103, -1, v103
	s_add_i32 s58, s58, 16
	s_clause 0x3
	buffer_load_dword v104, v106, s[0:3], 0 offen offset:8
	buffer_load_dword v105, v106, s[0:3], 0 offen offset:12
	buffer_load_dword v112, v106, s[0:3], 0 offen
	buffer_load_dword v113, v106, s[0:3], 0 offen offset:4
	v_mov_b32_e32 v106, s57
	v_cmp_eq_u32_e32 vcc_lo, 0, v103
	s_add_i32 s57, s57, 16
	ds_read_b128 v[108:111], v106
	s_or_b32 s4, vcc_lo, s4
	s_waitcnt vmcnt(2) lgkmcnt(0)
	v_mul_f64 v[114:115], v[110:111], v[104:105]
	v_mul_f64 v[104:105], v[108:109], v[104:105]
	s_waitcnt vmcnt(0)
	v_fma_f64 v[108:109], v[108:109], v[112:113], -v[114:115]
	v_fma_f64 v[104:105], v[110:111], v[112:113], v[104:105]
	v_add_f64 v[1:2], v[1:2], v[108:109]
	v_add_f64 v[3:4], v[3:4], v[104:105]
	s_andn2_b32 exec_lo, exec_lo, s4
	s_cbranch_execnz .LBB47_272
; %bb.273:
	s_or_b32 exec_lo, exec_lo, s4
.LBB47_274:
	s_or_b32 exec_lo, exec_lo, s8
	v_mov_b32_e32 v103, 0
	ds_read_b128 v[103:106], v103 offset:208
	s_waitcnt lgkmcnt(0)
	v_mul_f64 v[108:109], v[3:4], v[105:106]
	v_mul_f64 v[105:106], v[1:2], v[105:106]
	v_fma_f64 v[1:2], v[1:2], v[103:104], -v[108:109]
	v_fma_f64 v[3:4], v[3:4], v[103:104], v[105:106]
	buffer_store_dword v2, off, s[0:3], 0 offset:212
	buffer_store_dword v1, off, s[0:3], 0 offset:208
	buffer_store_dword v4, off, s[0:3], 0 offset:220
	buffer_store_dword v3, off, s[0:3], 0 offset:216
.LBB47_275:
	s_or_b32 exec_lo, exec_lo, s6
	v_mov_b32_e32 v4, s44
	v_cmp_lt_u32_e64 s4, 12, v0
	s_clause 0x3
	buffer_load_dword v1, v4, s[0:3], 0 offen
	buffer_load_dword v2, v4, s[0:3], 0 offen offset:4
	buffer_load_dword v3, v4, s[0:3], 0 offen offset:8
	;; [unrolled: 1-line block ×3, first 2 shown]
	s_waitcnt vmcnt(0)
	ds_write_b128 v102, v[1:4]
	s_waitcnt lgkmcnt(0)
	s_waitcnt_vscnt null, 0x0
	s_barrier
	buffer_gl0_inv
	s_and_saveexec_b32 s6, s4
	s_cbranch_execz .LBB47_283
; %bb.276:
	ds_read_b128 v[1:4], v102
	s_andn2_b32 vcc_lo, exec_lo, s56
	s_cbranch_vccnz .LBB47_278
; %bb.277:
	s_clause 0x3
	buffer_load_dword v103, v101, s[0:3], 0 offen offset:8
	buffer_load_dword v104, v101, s[0:3], 0 offen offset:12
	buffer_load_dword v105, v101, s[0:3], 0 offen
	buffer_load_dword v106, v101, s[0:3], 0 offen offset:4
	s_waitcnt vmcnt(2) lgkmcnt(0)
	v_mul_f64 v[108:109], v[3:4], v[103:104]
	v_mul_f64 v[103:104], v[1:2], v[103:104]
	s_waitcnt vmcnt(0)
	v_fma_f64 v[1:2], v[1:2], v[105:106], -v[108:109]
	v_fma_f64 v[3:4], v[3:4], v[105:106], v[103:104]
.LBB47_278:
	s_and_saveexec_b32 s8, s5
	s_cbranch_execz .LBB47_282
; %bb.279:
	v_add_nc_u32_e32 v103, -13, v0
	s_movk_i32 s57, 0x3d0
	s_mov_b32 s5, 0
	s_mov_b32 s58, s43
	.p2align	6
.LBB47_280:                             ; =>This Inner Loop Header: Depth=1
	v_mov_b32_e32 v106, s58
	v_add_nc_u32_e32 v103, -1, v103
	s_add_i32 s58, s58, 16
	s_clause 0x3
	buffer_load_dword v104, v106, s[0:3], 0 offen offset:8
	buffer_load_dword v105, v106, s[0:3], 0 offen offset:12
	buffer_load_dword v112, v106, s[0:3], 0 offen
	buffer_load_dword v113, v106, s[0:3], 0 offen offset:4
	v_mov_b32_e32 v106, s57
	v_cmp_eq_u32_e32 vcc_lo, 0, v103
	s_add_i32 s57, s57, 16
	ds_read_b128 v[108:111], v106
	s_or_b32 s5, vcc_lo, s5
	s_waitcnt vmcnt(2) lgkmcnt(0)
	v_mul_f64 v[114:115], v[110:111], v[104:105]
	v_mul_f64 v[104:105], v[108:109], v[104:105]
	s_waitcnt vmcnt(0)
	v_fma_f64 v[108:109], v[108:109], v[112:113], -v[114:115]
	v_fma_f64 v[104:105], v[110:111], v[112:113], v[104:105]
	v_add_f64 v[1:2], v[1:2], v[108:109]
	v_add_f64 v[3:4], v[3:4], v[104:105]
	s_andn2_b32 exec_lo, exec_lo, s5
	s_cbranch_execnz .LBB47_280
; %bb.281:
	s_or_b32 exec_lo, exec_lo, s5
.LBB47_282:
	s_or_b32 exec_lo, exec_lo, s8
	v_mov_b32_e32 v103, 0
	ds_read_b128 v[103:106], v103 offset:192
	s_waitcnt lgkmcnt(0)
	v_mul_f64 v[108:109], v[3:4], v[105:106]
	v_mul_f64 v[105:106], v[1:2], v[105:106]
	v_fma_f64 v[1:2], v[1:2], v[103:104], -v[108:109]
	v_fma_f64 v[3:4], v[3:4], v[103:104], v[105:106]
	buffer_store_dword v2, off, s[0:3], 0 offset:196
	buffer_store_dword v1, off, s[0:3], 0 offset:192
	;; [unrolled: 1-line block ×4, first 2 shown]
.LBB47_283:
	s_or_b32 exec_lo, exec_lo, s6
	v_mov_b32_e32 v4, s45
	v_cmp_lt_u32_e64 s5, 11, v0
	s_clause 0x3
	buffer_load_dword v1, v4, s[0:3], 0 offen
	buffer_load_dword v2, v4, s[0:3], 0 offen offset:4
	buffer_load_dword v3, v4, s[0:3], 0 offen offset:8
	;; [unrolled: 1-line block ×3, first 2 shown]
	s_waitcnt vmcnt(0)
	ds_write_b128 v102, v[1:4]
	s_waitcnt lgkmcnt(0)
	s_waitcnt_vscnt null, 0x0
	s_barrier
	buffer_gl0_inv
	s_and_saveexec_b32 s6, s5
	s_cbranch_execz .LBB47_291
; %bb.284:
	ds_read_b128 v[1:4], v102
	s_andn2_b32 vcc_lo, exec_lo, s56
	s_cbranch_vccnz .LBB47_286
; %bb.285:
	s_clause 0x3
	buffer_load_dword v103, v101, s[0:3], 0 offen offset:8
	buffer_load_dword v104, v101, s[0:3], 0 offen offset:12
	buffer_load_dword v105, v101, s[0:3], 0 offen
	buffer_load_dword v106, v101, s[0:3], 0 offen offset:4
	s_waitcnt vmcnt(2) lgkmcnt(0)
	v_mul_f64 v[108:109], v[3:4], v[103:104]
	v_mul_f64 v[103:104], v[1:2], v[103:104]
	s_waitcnt vmcnt(0)
	v_fma_f64 v[1:2], v[1:2], v[105:106], -v[108:109]
	v_fma_f64 v[3:4], v[3:4], v[105:106], v[103:104]
.LBB47_286:
	s_and_saveexec_b32 s8, s4
	s_cbranch_execz .LBB47_290
; %bb.287:
	v_add_nc_u32_e32 v103, -12, v0
	s_movk_i32 s57, 0x3c0
	s_mov_b32 s4, 0
	s_mov_b32 s58, s44
	.p2align	6
.LBB47_288:                             ; =>This Inner Loop Header: Depth=1
	v_mov_b32_e32 v106, s58
	v_add_nc_u32_e32 v103, -1, v103
	s_add_i32 s58, s58, 16
	s_clause 0x3
	buffer_load_dword v104, v106, s[0:3], 0 offen offset:8
	buffer_load_dword v105, v106, s[0:3], 0 offen offset:12
	buffer_load_dword v112, v106, s[0:3], 0 offen
	buffer_load_dword v113, v106, s[0:3], 0 offen offset:4
	v_mov_b32_e32 v106, s57
	v_cmp_eq_u32_e32 vcc_lo, 0, v103
	s_add_i32 s57, s57, 16
	ds_read_b128 v[108:111], v106
	s_or_b32 s4, vcc_lo, s4
	s_waitcnt vmcnt(2) lgkmcnt(0)
	v_mul_f64 v[114:115], v[110:111], v[104:105]
	v_mul_f64 v[104:105], v[108:109], v[104:105]
	s_waitcnt vmcnt(0)
	v_fma_f64 v[108:109], v[108:109], v[112:113], -v[114:115]
	v_fma_f64 v[104:105], v[110:111], v[112:113], v[104:105]
	v_add_f64 v[1:2], v[1:2], v[108:109]
	v_add_f64 v[3:4], v[3:4], v[104:105]
	s_andn2_b32 exec_lo, exec_lo, s4
	s_cbranch_execnz .LBB47_288
; %bb.289:
	s_or_b32 exec_lo, exec_lo, s4
.LBB47_290:
	s_or_b32 exec_lo, exec_lo, s8
	v_mov_b32_e32 v103, 0
	ds_read_b128 v[103:106], v103 offset:176
	s_waitcnt lgkmcnt(0)
	v_mul_f64 v[108:109], v[3:4], v[105:106]
	v_mul_f64 v[105:106], v[1:2], v[105:106]
	v_fma_f64 v[1:2], v[1:2], v[103:104], -v[108:109]
	v_fma_f64 v[3:4], v[3:4], v[103:104], v[105:106]
	buffer_store_dword v2, off, s[0:3], 0 offset:180
	buffer_store_dword v1, off, s[0:3], 0 offset:176
	;; [unrolled: 1-line block ×4, first 2 shown]
.LBB47_291:
	s_or_b32 exec_lo, exec_lo, s6
	v_mov_b32_e32 v4, s46
	v_cmp_lt_u32_e64 s4, 10, v0
	s_clause 0x3
	buffer_load_dword v1, v4, s[0:3], 0 offen
	buffer_load_dword v2, v4, s[0:3], 0 offen offset:4
	buffer_load_dword v3, v4, s[0:3], 0 offen offset:8
	;; [unrolled: 1-line block ×3, first 2 shown]
	s_waitcnt vmcnt(0)
	ds_write_b128 v102, v[1:4]
	s_waitcnt lgkmcnt(0)
	s_waitcnt_vscnt null, 0x0
	s_barrier
	buffer_gl0_inv
	s_and_saveexec_b32 s6, s4
	s_cbranch_execz .LBB47_299
; %bb.292:
	ds_read_b128 v[1:4], v102
	s_andn2_b32 vcc_lo, exec_lo, s56
	s_cbranch_vccnz .LBB47_294
; %bb.293:
	s_clause 0x3
	buffer_load_dword v103, v101, s[0:3], 0 offen offset:8
	buffer_load_dword v104, v101, s[0:3], 0 offen offset:12
	buffer_load_dword v105, v101, s[0:3], 0 offen
	buffer_load_dword v106, v101, s[0:3], 0 offen offset:4
	s_waitcnt vmcnt(2) lgkmcnt(0)
	v_mul_f64 v[108:109], v[3:4], v[103:104]
	v_mul_f64 v[103:104], v[1:2], v[103:104]
	s_waitcnt vmcnt(0)
	v_fma_f64 v[1:2], v[1:2], v[105:106], -v[108:109]
	v_fma_f64 v[3:4], v[3:4], v[105:106], v[103:104]
.LBB47_294:
	s_and_saveexec_b32 s8, s5
	s_cbranch_execz .LBB47_298
; %bb.295:
	v_add_nc_u32_e32 v103, -11, v0
	s_movk_i32 s57, 0x3b0
	s_mov_b32 s5, 0
	s_mov_b32 s58, s45
	.p2align	6
.LBB47_296:                             ; =>This Inner Loop Header: Depth=1
	v_mov_b32_e32 v106, s58
	v_add_nc_u32_e32 v103, -1, v103
	s_add_i32 s58, s58, 16
	s_clause 0x3
	buffer_load_dword v104, v106, s[0:3], 0 offen offset:8
	buffer_load_dword v105, v106, s[0:3], 0 offen offset:12
	buffer_load_dword v112, v106, s[0:3], 0 offen
	buffer_load_dword v113, v106, s[0:3], 0 offen offset:4
	v_mov_b32_e32 v106, s57
	v_cmp_eq_u32_e32 vcc_lo, 0, v103
	s_add_i32 s57, s57, 16
	ds_read_b128 v[108:111], v106
	s_or_b32 s5, vcc_lo, s5
	s_waitcnt vmcnt(2) lgkmcnt(0)
	v_mul_f64 v[114:115], v[110:111], v[104:105]
	v_mul_f64 v[104:105], v[108:109], v[104:105]
	s_waitcnt vmcnt(0)
	v_fma_f64 v[108:109], v[108:109], v[112:113], -v[114:115]
	v_fma_f64 v[104:105], v[110:111], v[112:113], v[104:105]
	v_add_f64 v[1:2], v[1:2], v[108:109]
	v_add_f64 v[3:4], v[3:4], v[104:105]
	s_andn2_b32 exec_lo, exec_lo, s5
	s_cbranch_execnz .LBB47_296
; %bb.297:
	s_or_b32 exec_lo, exec_lo, s5
.LBB47_298:
	s_or_b32 exec_lo, exec_lo, s8
	v_mov_b32_e32 v103, 0
	ds_read_b128 v[103:106], v103 offset:160
	s_waitcnt lgkmcnt(0)
	v_mul_f64 v[108:109], v[3:4], v[105:106]
	v_mul_f64 v[105:106], v[1:2], v[105:106]
	v_fma_f64 v[1:2], v[1:2], v[103:104], -v[108:109]
	v_fma_f64 v[3:4], v[3:4], v[103:104], v[105:106]
	buffer_store_dword v2, off, s[0:3], 0 offset:164
	buffer_store_dword v1, off, s[0:3], 0 offset:160
	;; [unrolled: 1-line block ×4, first 2 shown]
.LBB47_299:
	s_or_b32 exec_lo, exec_lo, s6
	v_mov_b32_e32 v4, s47
	v_cmp_lt_u32_e64 s5, 9, v0
	s_clause 0x3
	buffer_load_dword v1, v4, s[0:3], 0 offen
	buffer_load_dword v2, v4, s[0:3], 0 offen offset:4
	buffer_load_dword v3, v4, s[0:3], 0 offen offset:8
	;; [unrolled: 1-line block ×3, first 2 shown]
	s_waitcnt vmcnt(0)
	ds_write_b128 v102, v[1:4]
	s_waitcnt lgkmcnt(0)
	s_waitcnt_vscnt null, 0x0
	s_barrier
	buffer_gl0_inv
	s_and_saveexec_b32 s6, s5
	s_cbranch_execz .LBB47_307
; %bb.300:
	ds_read_b128 v[1:4], v102
	s_andn2_b32 vcc_lo, exec_lo, s56
	s_cbranch_vccnz .LBB47_302
; %bb.301:
	s_clause 0x3
	buffer_load_dword v103, v101, s[0:3], 0 offen offset:8
	buffer_load_dword v104, v101, s[0:3], 0 offen offset:12
	buffer_load_dword v105, v101, s[0:3], 0 offen
	buffer_load_dword v106, v101, s[0:3], 0 offen offset:4
	s_waitcnt vmcnt(2) lgkmcnt(0)
	v_mul_f64 v[108:109], v[3:4], v[103:104]
	v_mul_f64 v[103:104], v[1:2], v[103:104]
	s_waitcnt vmcnt(0)
	v_fma_f64 v[1:2], v[1:2], v[105:106], -v[108:109]
	v_fma_f64 v[3:4], v[3:4], v[105:106], v[103:104]
.LBB47_302:
	s_and_saveexec_b32 s8, s4
	s_cbranch_execz .LBB47_306
; %bb.303:
	v_add_nc_u32_e32 v103, -10, v0
	s_movk_i32 s57, 0x3a0
	s_mov_b32 s4, 0
	s_mov_b32 s58, s46
	.p2align	6
.LBB47_304:                             ; =>This Inner Loop Header: Depth=1
	v_mov_b32_e32 v106, s58
	v_add_nc_u32_e32 v103, -1, v103
	s_add_i32 s58, s58, 16
	s_clause 0x3
	buffer_load_dword v104, v106, s[0:3], 0 offen offset:8
	buffer_load_dword v105, v106, s[0:3], 0 offen offset:12
	buffer_load_dword v112, v106, s[0:3], 0 offen
	buffer_load_dword v113, v106, s[0:3], 0 offen offset:4
	v_mov_b32_e32 v106, s57
	v_cmp_eq_u32_e32 vcc_lo, 0, v103
	s_add_i32 s57, s57, 16
	ds_read_b128 v[108:111], v106
	s_or_b32 s4, vcc_lo, s4
	s_waitcnt vmcnt(2) lgkmcnt(0)
	v_mul_f64 v[114:115], v[110:111], v[104:105]
	v_mul_f64 v[104:105], v[108:109], v[104:105]
	s_waitcnt vmcnt(0)
	v_fma_f64 v[108:109], v[108:109], v[112:113], -v[114:115]
	v_fma_f64 v[104:105], v[110:111], v[112:113], v[104:105]
	v_add_f64 v[1:2], v[1:2], v[108:109]
	v_add_f64 v[3:4], v[3:4], v[104:105]
	s_andn2_b32 exec_lo, exec_lo, s4
	s_cbranch_execnz .LBB47_304
; %bb.305:
	s_or_b32 exec_lo, exec_lo, s4
.LBB47_306:
	s_or_b32 exec_lo, exec_lo, s8
	v_mov_b32_e32 v103, 0
	ds_read_b128 v[103:106], v103 offset:144
	s_waitcnt lgkmcnt(0)
	v_mul_f64 v[108:109], v[3:4], v[105:106]
	v_mul_f64 v[105:106], v[1:2], v[105:106]
	v_fma_f64 v[1:2], v[1:2], v[103:104], -v[108:109]
	v_fma_f64 v[3:4], v[3:4], v[103:104], v[105:106]
	buffer_store_dword v2, off, s[0:3], 0 offset:148
	buffer_store_dword v1, off, s[0:3], 0 offset:144
	buffer_store_dword v4, off, s[0:3], 0 offset:156
	buffer_store_dword v3, off, s[0:3], 0 offset:152
.LBB47_307:
	s_or_b32 exec_lo, exec_lo, s6
	v_mov_b32_e32 v4, s48
	v_cmp_lt_u32_e64 s4, 8, v0
	s_clause 0x3
	buffer_load_dword v1, v4, s[0:3], 0 offen
	buffer_load_dword v2, v4, s[0:3], 0 offen offset:4
	buffer_load_dword v3, v4, s[0:3], 0 offen offset:8
	;; [unrolled: 1-line block ×3, first 2 shown]
	s_waitcnt vmcnt(0)
	ds_write_b128 v102, v[1:4]
	s_waitcnt lgkmcnt(0)
	s_waitcnt_vscnt null, 0x0
	s_barrier
	buffer_gl0_inv
	s_and_saveexec_b32 s6, s4
	s_cbranch_execz .LBB47_315
; %bb.308:
	ds_read_b128 v[1:4], v102
	s_andn2_b32 vcc_lo, exec_lo, s56
	s_cbranch_vccnz .LBB47_310
; %bb.309:
	s_clause 0x3
	buffer_load_dword v103, v101, s[0:3], 0 offen offset:8
	buffer_load_dword v104, v101, s[0:3], 0 offen offset:12
	buffer_load_dword v105, v101, s[0:3], 0 offen
	buffer_load_dword v106, v101, s[0:3], 0 offen offset:4
	s_waitcnt vmcnt(2) lgkmcnt(0)
	v_mul_f64 v[108:109], v[3:4], v[103:104]
	v_mul_f64 v[103:104], v[1:2], v[103:104]
	s_waitcnt vmcnt(0)
	v_fma_f64 v[1:2], v[1:2], v[105:106], -v[108:109]
	v_fma_f64 v[3:4], v[3:4], v[105:106], v[103:104]
.LBB47_310:
	s_and_saveexec_b32 s8, s5
	s_cbranch_execz .LBB47_314
; %bb.311:
	v_add_nc_u32_e32 v103, -9, v0
	s_movk_i32 s57, 0x390
	s_mov_b32 s5, 0
	s_mov_b32 s58, s47
	.p2align	6
.LBB47_312:                             ; =>This Inner Loop Header: Depth=1
	v_mov_b32_e32 v106, s58
	v_add_nc_u32_e32 v103, -1, v103
	s_add_i32 s58, s58, 16
	s_clause 0x3
	buffer_load_dword v104, v106, s[0:3], 0 offen offset:8
	buffer_load_dword v105, v106, s[0:3], 0 offen offset:12
	buffer_load_dword v112, v106, s[0:3], 0 offen
	buffer_load_dword v113, v106, s[0:3], 0 offen offset:4
	v_mov_b32_e32 v106, s57
	v_cmp_eq_u32_e32 vcc_lo, 0, v103
	s_add_i32 s57, s57, 16
	ds_read_b128 v[108:111], v106
	s_or_b32 s5, vcc_lo, s5
	s_waitcnt vmcnt(2) lgkmcnt(0)
	v_mul_f64 v[114:115], v[110:111], v[104:105]
	v_mul_f64 v[104:105], v[108:109], v[104:105]
	s_waitcnt vmcnt(0)
	v_fma_f64 v[108:109], v[108:109], v[112:113], -v[114:115]
	v_fma_f64 v[104:105], v[110:111], v[112:113], v[104:105]
	v_add_f64 v[1:2], v[1:2], v[108:109]
	v_add_f64 v[3:4], v[3:4], v[104:105]
	s_andn2_b32 exec_lo, exec_lo, s5
	s_cbranch_execnz .LBB47_312
; %bb.313:
	s_or_b32 exec_lo, exec_lo, s5
.LBB47_314:
	s_or_b32 exec_lo, exec_lo, s8
	v_mov_b32_e32 v103, 0
	ds_read_b128 v[103:106], v103 offset:128
	s_waitcnt lgkmcnt(0)
	v_mul_f64 v[108:109], v[3:4], v[105:106]
	v_mul_f64 v[105:106], v[1:2], v[105:106]
	v_fma_f64 v[1:2], v[1:2], v[103:104], -v[108:109]
	v_fma_f64 v[3:4], v[3:4], v[103:104], v[105:106]
	buffer_store_dword v2, off, s[0:3], 0 offset:132
	buffer_store_dword v1, off, s[0:3], 0 offset:128
	;; [unrolled: 1-line block ×4, first 2 shown]
.LBB47_315:
	s_or_b32 exec_lo, exec_lo, s6
	v_mov_b32_e32 v4, s49
	v_cmp_lt_u32_e64 s5, 7, v0
	s_clause 0x3
	buffer_load_dword v1, v4, s[0:3], 0 offen
	buffer_load_dword v2, v4, s[0:3], 0 offen offset:4
	buffer_load_dword v3, v4, s[0:3], 0 offen offset:8
	;; [unrolled: 1-line block ×3, first 2 shown]
	s_waitcnt vmcnt(0)
	ds_write_b128 v102, v[1:4]
	s_waitcnt lgkmcnt(0)
	s_waitcnt_vscnt null, 0x0
	s_barrier
	buffer_gl0_inv
	s_and_saveexec_b32 s6, s5
	s_cbranch_execz .LBB47_323
; %bb.316:
	ds_read_b128 v[1:4], v102
	s_andn2_b32 vcc_lo, exec_lo, s56
	s_cbranch_vccnz .LBB47_318
; %bb.317:
	s_clause 0x3
	buffer_load_dword v103, v101, s[0:3], 0 offen offset:8
	buffer_load_dword v104, v101, s[0:3], 0 offen offset:12
	buffer_load_dword v105, v101, s[0:3], 0 offen
	buffer_load_dword v106, v101, s[0:3], 0 offen offset:4
	s_waitcnt vmcnt(2) lgkmcnt(0)
	v_mul_f64 v[108:109], v[3:4], v[103:104]
	v_mul_f64 v[103:104], v[1:2], v[103:104]
	s_waitcnt vmcnt(0)
	v_fma_f64 v[1:2], v[1:2], v[105:106], -v[108:109]
	v_fma_f64 v[3:4], v[3:4], v[105:106], v[103:104]
.LBB47_318:
	s_and_saveexec_b32 s8, s4
	s_cbranch_execz .LBB47_322
; %bb.319:
	v_add_nc_u32_e32 v103, -8, v0
	s_movk_i32 s57, 0x380
	s_mov_b32 s4, 0
	s_mov_b32 s58, s48
	.p2align	6
.LBB47_320:                             ; =>This Inner Loop Header: Depth=1
	v_mov_b32_e32 v106, s58
	v_add_nc_u32_e32 v103, -1, v103
	s_add_i32 s58, s58, 16
	s_clause 0x3
	buffer_load_dword v104, v106, s[0:3], 0 offen offset:8
	buffer_load_dword v105, v106, s[0:3], 0 offen offset:12
	buffer_load_dword v112, v106, s[0:3], 0 offen
	buffer_load_dword v113, v106, s[0:3], 0 offen offset:4
	v_mov_b32_e32 v106, s57
	v_cmp_eq_u32_e32 vcc_lo, 0, v103
	s_add_i32 s57, s57, 16
	ds_read_b128 v[108:111], v106
	s_or_b32 s4, vcc_lo, s4
	s_waitcnt vmcnt(2) lgkmcnt(0)
	v_mul_f64 v[114:115], v[110:111], v[104:105]
	v_mul_f64 v[104:105], v[108:109], v[104:105]
	s_waitcnt vmcnt(0)
	v_fma_f64 v[108:109], v[108:109], v[112:113], -v[114:115]
	v_fma_f64 v[104:105], v[110:111], v[112:113], v[104:105]
	v_add_f64 v[1:2], v[1:2], v[108:109]
	v_add_f64 v[3:4], v[3:4], v[104:105]
	s_andn2_b32 exec_lo, exec_lo, s4
	s_cbranch_execnz .LBB47_320
; %bb.321:
	s_or_b32 exec_lo, exec_lo, s4
.LBB47_322:
	s_or_b32 exec_lo, exec_lo, s8
	v_mov_b32_e32 v103, 0
	ds_read_b128 v[103:106], v103 offset:112
	s_waitcnt lgkmcnt(0)
	v_mul_f64 v[108:109], v[3:4], v[105:106]
	v_mul_f64 v[105:106], v[1:2], v[105:106]
	v_fma_f64 v[1:2], v[1:2], v[103:104], -v[108:109]
	v_fma_f64 v[3:4], v[3:4], v[103:104], v[105:106]
	buffer_store_dword v2, off, s[0:3], 0 offset:116
	buffer_store_dword v1, off, s[0:3], 0 offset:112
	;; [unrolled: 1-line block ×4, first 2 shown]
.LBB47_323:
	s_or_b32 exec_lo, exec_lo, s6
	v_mov_b32_e32 v4, s50
	v_cmp_lt_u32_e64 s4, 6, v0
	s_clause 0x3
	buffer_load_dword v1, v4, s[0:3], 0 offen
	buffer_load_dword v2, v4, s[0:3], 0 offen offset:4
	buffer_load_dword v3, v4, s[0:3], 0 offen offset:8
	;; [unrolled: 1-line block ×3, first 2 shown]
	s_waitcnt vmcnt(0)
	ds_write_b128 v102, v[1:4]
	s_waitcnt lgkmcnt(0)
	s_waitcnt_vscnt null, 0x0
	s_barrier
	buffer_gl0_inv
	s_and_saveexec_b32 s6, s4
	s_cbranch_execz .LBB47_331
; %bb.324:
	ds_read_b128 v[1:4], v102
	s_andn2_b32 vcc_lo, exec_lo, s56
	s_cbranch_vccnz .LBB47_326
; %bb.325:
	s_clause 0x3
	buffer_load_dword v103, v101, s[0:3], 0 offen offset:8
	buffer_load_dword v104, v101, s[0:3], 0 offen offset:12
	buffer_load_dword v105, v101, s[0:3], 0 offen
	buffer_load_dword v106, v101, s[0:3], 0 offen offset:4
	s_waitcnt vmcnt(2) lgkmcnt(0)
	v_mul_f64 v[108:109], v[3:4], v[103:104]
	v_mul_f64 v[103:104], v[1:2], v[103:104]
	s_waitcnt vmcnt(0)
	v_fma_f64 v[1:2], v[1:2], v[105:106], -v[108:109]
	v_fma_f64 v[3:4], v[3:4], v[105:106], v[103:104]
.LBB47_326:
	s_and_saveexec_b32 s8, s5
	s_cbranch_execz .LBB47_330
; %bb.327:
	v_add_nc_u32_e32 v103, -7, v0
	s_movk_i32 s57, 0x370
	s_mov_b32 s5, 0
	s_mov_b32 s58, s49
	.p2align	6
.LBB47_328:                             ; =>This Inner Loop Header: Depth=1
	v_mov_b32_e32 v106, s58
	v_add_nc_u32_e32 v103, -1, v103
	s_add_i32 s58, s58, 16
	s_clause 0x3
	buffer_load_dword v104, v106, s[0:3], 0 offen offset:8
	buffer_load_dword v105, v106, s[0:3], 0 offen offset:12
	buffer_load_dword v112, v106, s[0:3], 0 offen
	buffer_load_dword v113, v106, s[0:3], 0 offen offset:4
	v_mov_b32_e32 v106, s57
	v_cmp_eq_u32_e32 vcc_lo, 0, v103
	s_add_i32 s57, s57, 16
	ds_read_b128 v[108:111], v106
	s_or_b32 s5, vcc_lo, s5
	s_waitcnt vmcnt(2) lgkmcnt(0)
	v_mul_f64 v[114:115], v[110:111], v[104:105]
	v_mul_f64 v[104:105], v[108:109], v[104:105]
	s_waitcnt vmcnt(0)
	v_fma_f64 v[108:109], v[108:109], v[112:113], -v[114:115]
	v_fma_f64 v[104:105], v[110:111], v[112:113], v[104:105]
	v_add_f64 v[1:2], v[1:2], v[108:109]
	v_add_f64 v[3:4], v[3:4], v[104:105]
	s_andn2_b32 exec_lo, exec_lo, s5
	s_cbranch_execnz .LBB47_328
; %bb.329:
	s_or_b32 exec_lo, exec_lo, s5
.LBB47_330:
	s_or_b32 exec_lo, exec_lo, s8
	v_mov_b32_e32 v103, 0
	ds_read_b128 v[103:106], v103 offset:96
	s_waitcnt lgkmcnt(0)
	v_mul_f64 v[108:109], v[3:4], v[105:106]
	v_mul_f64 v[105:106], v[1:2], v[105:106]
	v_fma_f64 v[1:2], v[1:2], v[103:104], -v[108:109]
	v_fma_f64 v[3:4], v[3:4], v[103:104], v[105:106]
	buffer_store_dword v2, off, s[0:3], 0 offset:100
	buffer_store_dword v1, off, s[0:3], 0 offset:96
	;; [unrolled: 1-line block ×4, first 2 shown]
.LBB47_331:
	s_or_b32 exec_lo, exec_lo, s6
	v_mov_b32_e32 v4, s51
	v_cmp_lt_u32_e64 s5, 5, v0
	s_clause 0x3
	buffer_load_dword v1, v4, s[0:3], 0 offen
	buffer_load_dword v2, v4, s[0:3], 0 offen offset:4
	buffer_load_dword v3, v4, s[0:3], 0 offen offset:8
	buffer_load_dword v4, v4, s[0:3], 0 offen offset:12
	s_waitcnt vmcnt(0)
	ds_write_b128 v102, v[1:4]
	s_waitcnt lgkmcnt(0)
	s_waitcnt_vscnt null, 0x0
	s_barrier
	buffer_gl0_inv
	s_and_saveexec_b32 s6, s5
	s_cbranch_execz .LBB47_339
; %bb.332:
	ds_read_b128 v[1:4], v102
	s_andn2_b32 vcc_lo, exec_lo, s56
	s_cbranch_vccnz .LBB47_334
; %bb.333:
	s_clause 0x3
	buffer_load_dword v103, v101, s[0:3], 0 offen offset:8
	buffer_load_dword v104, v101, s[0:3], 0 offen offset:12
	buffer_load_dword v105, v101, s[0:3], 0 offen
	buffer_load_dword v106, v101, s[0:3], 0 offen offset:4
	s_waitcnt vmcnt(2) lgkmcnt(0)
	v_mul_f64 v[108:109], v[3:4], v[103:104]
	v_mul_f64 v[103:104], v[1:2], v[103:104]
	s_waitcnt vmcnt(0)
	v_fma_f64 v[1:2], v[1:2], v[105:106], -v[108:109]
	v_fma_f64 v[3:4], v[3:4], v[105:106], v[103:104]
.LBB47_334:
	s_and_saveexec_b32 s8, s4
	s_cbranch_execz .LBB47_338
; %bb.335:
	v_add_nc_u32_e32 v103, -6, v0
	s_movk_i32 s57, 0x360
	s_mov_b32 s4, 0
	s_mov_b32 s58, s50
	.p2align	6
.LBB47_336:                             ; =>This Inner Loop Header: Depth=1
	v_mov_b32_e32 v106, s58
	v_add_nc_u32_e32 v103, -1, v103
	s_add_i32 s58, s58, 16
	s_clause 0x3
	buffer_load_dword v104, v106, s[0:3], 0 offen offset:8
	buffer_load_dword v105, v106, s[0:3], 0 offen offset:12
	buffer_load_dword v112, v106, s[0:3], 0 offen
	buffer_load_dword v113, v106, s[0:3], 0 offen offset:4
	v_mov_b32_e32 v106, s57
	v_cmp_eq_u32_e32 vcc_lo, 0, v103
	s_add_i32 s57, s57, 16
	ds_read_b128 v[108:111], v106
	s_or_b32 s4, vcc_lo, s4
	s_waitcnt vmcnt(2) lgkmcnt(0)
	v_mul_f64 v[114:115], v[110:111], v[104:105]
	v_mul_f64 v[104:105], v[108:109], v[104:105]
	s_waitcnt vmcnt(0)
	v_fma_f64 v[108:109], v[108:109], v[112:113], -v[114:115]
	v_fma_f64 v[104:105], v[110:111], v[112:113], v[104:105]
	v_add_f64 v[1:2], v[1:2], v[108:109]
	v_add_f64 v[3:4], v[3:4], v[104:105]
	s_andn2_b32 exec_lo, exec_lo, s4
	s_cbranch_execnz .LBB47_336
; %bb.337:
	s_or_b32 exec_lo, exec_lo, s4
.LBB47_338:
	s_or_b32 exec_lo, exec_lo, s8
	v_mov_b32_e32 v103, 0
	ds_read_b128 v[103:106], v103 offset:80
	s_waitcnt lgkmcnt(0)
	v_mul_f64 v[108:109], v[3:4], v[105:106]
	v_mul_f64 v[105:106], v[1:2], v[105:106]
	v_fma_f64 v[1:2], v[1:2], v[103:104], -v[108:109]
	v_fma_f64 v[3:4], v[3:4], v[103:104], v[105:106]
	buffer_store_dword v2, off, s[0:3], 0 offset:84
	buffer_store_dword v1, off, s[0:3], 0 offset:80
	;; [unrolled: 1-line block ×4, first 2 shown]
.LBB47_339:
	s_or_b32 exec_lo, exec_lo, s6
	v_mov_b32_e32 v4, s52
	v_cmp_lt_u32_e64 s4, 4, v0
	s_clause 0x3
	buffer_load_dword v1, v4, s[0:3], 0 offen
	buffer_load_dword v2, v4, s[0:3], 0 offen offset:4
	buffer_load_dword v3, v4, s[0:3], 0 offen offset:8
	;; [unrolled: 1-line block ×3, first 2 shown]
	s_waitcnt vmcnt(0)
	ds_write_b128 v102, v[1:4]
	s_waitcnt lgkmcnt(0)
	s_waitcnt_vscnt null, 0x0
	s_barrier
	buffer_gl0_inv
	s_and_saveexec_b32 s6, s4
	s_cbranch_execz .LBB47_347
; %bb.340:
	ds_read_b128 v[1:4], v102
	s_andn2_b32 vcc_lo, exec_lo, s56
	s_cbranch_vccnz .LBB47_342
; %bb.341:
	s_clause 0x3
	buffer_load_dword v103, v101, s[0:3], 0 offen offset:8
	buffer_load_dword v104, v101, s[0:3], 0 offen offset:12
	buffer_load_dword v105, v101, s[0:3], 0 offen
	buffer_load_dword v106, v101, s[0:3], 0 offen offset:4
	s_waitcnt vmcnt(2) lgkmcnt(0)
	v_mul_f64 v[108:109], v[3:4], v[103:104]
	v_mul_f64 v[103:104], v[1:2], v[103:104]
	s_waitcnt vmcnt(0)
	v_fma_f64 v[1:2], v[1:2], v[105:106], -v[108:109]
	v_fma_f64 v[3:4], v[3:4], v[105:106], v[103:104]
.LBB47_342:
	s_and_saveexec_b32 s8, s5
	s_cbranch_execz .LBB47_346
; %bb.343:
	v_add_nc_u32_e32 v103, -5, v0
	s_movk_i32 s57, 0x350
	s_mov_b32 s5, 0
	s_mov_b32 s58, s51
	.p2align	6
.LBB47_344:                             ; =>This Inner Loop Header: Depth=1
	v_mov_b32_e32 v106, s58
	v_add_nc_u32_e32 v103, -1, v103
	s_add_i32 s58, s58, 16
	s_clause 0x3
	buffer_load_dword v104, v106, s[0:3], 0 offen offset:8
	buffer_load_dword v105, v106, s[0:3], 0 offen offset:12
	buffer_load_dword v112, v106, s[0:3], 0 offen
	buffer_load_dword v113, v106, s[0:3], 0 offen offset:4
	v_mov_b32_e32 v106, s57
	v_cmp_eq_u32_e32 vcc_lo, 0, v103
	s_add_i32 s57, s57, 16
	ds_read_b128 v[108:111], v106
	s_or_b32 s5, vcc_lo, s5
	s_waitcnt vmcnt(2) lgkmcnt(0)
	v_mul_f64 v[114:115], v[110:111], v[104:105]
	v_mul_f64 v[104:105], v[108:109], v[104:105]
	s_waitcnt vmcnt(0)
	v_fma_f64 v[108:109], v[108:109], v[112:113], -v[114:115]
	v_fma_f64 v[104:105], v[110:111], v[112:113], v[104:105]
	v_add_f64 v[1:2], v[1:2], v[108:109]
	v_add_f64 v[3:4], v[3:4], v[104:105]
	s_andn2_b32 exec_lo, exec_lo, s5
	s_cbranch_execnz .LBB47_344
; %bb.345:
	s_or_b32 exec_lo, exec_lo, s5
.LBB47_346:
	s_or_b32 exec_lo, exec_lo, s8
	v_mov_b32_e32 v103, 0
	ds_read_b128 v[103:106], v103 offset:64
	s_waitcnt lgkmcnt(0)
	v_mul_f64 v[108:109], v[3:4], v[105:106]
	v_mul_f64 v[105:106], v[1:2], v[105:106]
	v_fma_f64 v[1:2], v[1:2], v[103:104], -v[108:109]
	v_fma_f64 v[3:4], v[3:4], v[103:104], v[105:106]
	buffer_store_dword v2, off, s[0:3], 0 offset:68
	buffer_store_dword v1, off, s[0:3], 0 offset:64
	;; [unrolled: 1-line block ×4, first 2 shown]
.LBB47_347:
	s_or_b32 exec_lo, exec_lo, s6
	v_mov_b32_e32 v4, s53
	v_cmp_lt_u32_e64 s5, 3, v0
	s_clause 0x3
	buffer_load_dword v1, v4, s[0:3], 0 offen
	buffer_load_dword v2, v4, s[0:3], 0 offen offset:4
	buffer_load_dword v3, v4, s[0:3], 0 offen offset:8
	buffer_load_dword v4, v4, s[0:3], 0 offen offset:12
	s_waitcnt vmcnt(0)
	ds_write_b128 v102, v[1:4]
	s_waitcnt lgkmcnt(0)
	s_waitcnt_vscnt null, 0x0
	s_barrier
	buffer_gl0_inv
	s_and_saveexec_b32 s6, s5
	s_cbranch_execz .LBB47_355
; %bb.348:
	ds_read_b128 v[1:4], v102
	s_andn2_b32 vcc_lo, exec_lo, s56
	s_cbranch_vccnz .LBB47_350
; %bb.349:
	s_clause 0x3
	buffer_load_dword v103, v101, s[0:3], 0 offen offset:8
	buffer_load_dword v104, v101, s[0:3], 0 offen offset:12
	buffer_load_dword v105, v101, s[0:3], 0 offen
	buffer_load_dword v106, v101, s[0:3], 0 offen offset:4
	s_waitcnt vmcnt(2) lgkmcnt(0)
	v_mul_f64 v[108:109], v[3:4], v[103:104]
	v_mul_f64 v[103:104], v[1:2], v[103:104]
	s_waitcnt vmcnt(0)
	v_fma_f64 v[1:2], v[1:2], v[105:106], -v[108:109]
	v_fma_f64 v[3:4], v[3:4], v[105:106], v[103:104]
.LBB47_350:
	s_and_saveexec_b32 s8, s4
	s_cbranch_execz .LBB47_354
; %bb.351:
	v_add_nc_u32_e32 v103, -4, v0
	s_movk_i32 s57, 0x340
	s_mov_b32 s4, 0
	s_mov_b32 s58, s52
	.p2align	6
.LBB47_352:                             ; =>This Inner Loop Header: Depth=1
	v_mov_b32_e32 v106, s58
	v_add_nc_u32_e32 v103, -1, v103
	s_add_i32 s58, s58, 16
	s_clause 0x3
	buffer_load_dword v104, v106, s[0:3], 0 offen offset:8
	buffer_load_dword v105, v106, s[0:3], 0 offen offset:12
	buffer_load_dword v112, v106, s[0:3], 0 offen
	buffer_load_dword v113, v106, s[0:3], 0 offen offset:4
	v_mov_b32_e32 v106, s57
	v_cmp_eq_u32_e32 vcc_lo, 0, v103
	s_add_i32 s57, s57, 16
	ds_read_b128 v[108:111], v106
	s_or_b32 s4, vcc_lo, s4
	s_waitcnt vmcnt(2) lgkmcnt(0)
	v_mul_f64 v[114:115], v[110:111], v[104:105]
	v_mul_f64 v[104:105], v[108:109], v[104:105]
	s_waitcnt vmcnt(0)
	v_fma_f64 v[108:109], v[108:109], v[112:113], -v[114:115]
	v_fma_f64 v[104:105], v[110:111], v[112:113], v[104:105]
	v_add_f64 v[1:2], v[1:2], v[108:109]
	v_add_f64 v[3:4], v[3:4], v[104:105]
	s_andn2_b32 exec_lo, exec_lo, s4
	s_cbranch_execnz .LBB47_352
; %bb.353:
	s_or_b32 exec_lo, exec_lo, s4
.LBB47_354:
	s_or_b32 exec_lo, exec_lo, s8
	v_mov_b32_e32 v103, 0
	ds_read_b128 v[103:106], v103 offset:48
	s_waitcnt lgkmcnt(0)
	v_mul_f64 v[108:109], v[3:4], v[105:106]
	v_mul_f64 v[105:106], v[1:2], v[105:106]
	v_fma_f64 v[1:2], v[1:2], v[103:104], -v[108:109]
	v_fma_f64 v[3:4], v[3:4], v[103:104], v[105:106]
	buffer_store_dword v2, off, s[0:3], 0 offset:52
	buffer_store_dword v1, off, s[0:3], 0 offset:48
	;; [unrolled: 1-line block ×4, first 2 shown]
.LBB47_355:
	s_or_b32 exec_lo, exec_lo, s6
	v_mov_b32_e32 v4, s55
	v_cmp_lt_u32_e64 s6, 2, v0
	s_clause 0x3
	buffer_load_dword v1, v4, s[0:3], 0 offen
	buffer_load_dword v2, v4, s[0:3], 0 offen offset:4
	buffer_load_dword v3, v4, s[0:3], 0 offen offset:8
	;; [unrolled: 1-line block ×3, first 2 shown]
	s_waitcnt vmcnt(0)
	ds_write_b128 v102, v[1:4]
	s_waitcnt lgkmcnt(0)
	s_waitcnt_vscnt null, 0x0
	s_barrier
	buffer_gl0_inv
	s_and_saveexec_b32 s4, s6
	s_cbranch_execz .LBB47_363
; %bb.356:
	ds_read_b128 v[1:4], v102
	s_andn2_b32 vcc_lo, exec_lo, s56
	s_cbranch_vccnz .LBB47_358
; %bb.357:
	s_clause 0x3
	buffer_load_dword v103, v101, s[0:3], 0 offen offset:8
	buffer_load_dword v104, v101, s[0:3], 0 offen offset:12
	buffer_load_dword v105, v101, s[0:3], 0 offen
	buffer_load_dword v106, v101, s[0:3], 0 offen offset:4
	s_waitcnt vmcnt(2) lgkmcnt(0)
	v_mul_f64 v[108:109], v[3:4], v[103:104]
	v_mul_f64 v[103:104], v[1:2], v[103:104]
	s_waitcnt vmcnt(0)
	v_fma_f64 v[1:2], v[1:2], v[105:106], -v[108:109]
	v_fma_f64 v[3:4], v[3:4], v[105:106], v[103:104]
.LBB47_358:
	s_and_saveexec_b32 s8, s5
	s_cbranch_execz .LBB47_362
; %bb.359:
	v_add_nc_u32_e32 v103, -3, v0
	s_movk_i32 s57, 0x330
	s_mov_b32 s5, 0
	s_mov_b32 s58, s53
	.p2align	6
.LBB47_360:                             ; =>This Inner Loop Header: Depth=1
	v_mov_b32_e32 v106, s58
	v_add_nc_u32_e32 v103, -1, v103
	s_add_i32 s58, s58, 16
	s_clause 0x3
	buffer_load_dword v104, v106, s[0:3], 0 offen offset:8
	buffer_load_dword v105, v106, s[0:3], 0 offen offset:12
	buffer_load_dword v112, v106, s[0:3], 0 offen
	buffer_load_dword v113, v106, s[0:3], 0 offen offset:4
	v_mov_b32_e32 v106, s57
	v_cmp_eq_u32_e32 vcc_lo, 0, v103
	s_add_i32 s57, s57, 16
	ds_read_b128 v[108:111], v106
	s_or_b32 s5, vcc_lo, s5
	s_waitcnt vmcnt(2) lgkmcnt(0)
	v_mul_f64 v[114:115], v[110:111], v[104:105]
	v_mul_f64 v[104:105], v[108:109], v[104:105]
	s_waitcnt vmcnt(0)
	v_fma_f64 v[108:109], v[108:109], v[112:113], -v[114:115]
	v_fma_f64 v[104:105], v[110:111], v[112:113], v[104:105]
	v_add_f64 v[1:2], v[1:2], v[108:109]
	v_add_f64 v[3:4], v[3:4], v[104:105]
	s_andn2_b32 exec_lo, exec_lo, s5
	s_cbranch_execnz .LBB47_360
; %bb.361:
	s_or_b32 exec_lo, exec_lo, s5
.LBB47_362:
	s_or_b32 exec_lo, exec_lo, s8
	v_mov_b32_e32 v103, 0
	ds_read_b128 v[103:106], v103 offset:32
	s_waitcnt lgkmcnt(0)
	v_mul_f64 v[108:109], v[3:4], v[105:106]
	v_mul_f64 v[105:106], v[1:2], v[105:106]
	v_fma_f64 v[1:2], v[1:2], v[103:104], -v[108:109]
	v_fma_f64 v[3:4], v[3:4], v[103:104], v[105:106]
	buffer_store_dword v2, off, s[0:3], 0 offset:36
	buffer_store_dword v1, off, s[0:3], 0 offset:32
	;; [unrolled: 1-line block ×4, first 2 shown]
.LBB47_363:
	s_or_b32 exec_lo, exec_lo, s4
	v_mov_b32_e32 v4, s54
	v_cmp_lt_u32_e64 s4, 1, v0
	s_clause 0x3
	buffer_load_dword v1, v4, s[0:3], 0 offen
	buffer_load_dword v2, v4, s[0:3], 0 offen offset:4
	buffer_load_dword v3, v4, s[0:3], 0 offen offset:8
	buffer_load_dword v4, v4, s[0:3], 0 offen offset:12
	s_waitcnt vmcnt(0)
	ds_write_b128 v102, v[1:4]
	s_waitcnt lgkmcnt(0)
	s_waitcnt_vscnt null, 0x0
	s_barrier
	buffer_gl0_inv
	s_and_saveexec_b32 s5, s4
	s_cbranch_execz .LBB47_371
; %bb.364:
	ds_read_b128 v[1:4], v102
	s_andn2_b32 vcc_lo, exec_lo, s56
	s_cbranch_vccnz .LBB47_366
; %bb.365:
	s_clause 0x3
	buffer_load_dword v103, v101, s[0:3], 0 offen offset:8
	buffer_load_dword v104, v101, s[0:3], 0 offen offset:12
	buffer_load_dword v105, v101, s[0:3], 0 offen
	buffer_load_dword v106, v101, s[0:3], 0 offen offset:4
	s_waitcnt vmcnt(2) lgkmcnt(0)
	v_mul_f64 v[108:109], v[3:4], v[103:104]
	v_mul_f64 v[103:104], v[1:2], v[103:104]
	s_waitcnt vmcnt(0)
	v_fma_f64 v[1:2], v[1:2], v[105:106], -v[108:109]
	v_fma_f64 v[3:4], v[3:4], v[105:106], v[103:104]
.LBB47_366:
	s_and_saveexec_b32 s8, s6
	s_cbranch_execz .LBB47_370
; %bb.367:
	v_add_nc_u32_e32 v103, -2, v0
	s_movk_i32 s57, 0x320
	s_mov_b32 s6, 0
	s_mov_b32 s58, s55
	.p2align	6
.LBB47_368:                             ; =>This Inner Loop Header: Depth=1
	v_mov_b32_e32 v106, s58
	v_add_nc_u32_e32 v103, -1, v103
	s_add_i32 s58, s58, 16
	s_clause 0x3
	buffer_load_dword v104, v106, s[0:3], 0 offen offset:8
	buffer_load_dword v105, v106, s[0:3], 0 offen offset:12
	buffer_load_dword v112, v106, s[0:3], 0 offen
	buffer_load_dword v113, v106, s[0:3], 0 offen offset:4
	v_mov_b32_e32 v106, s57
	v_cmp_eq_u32_e32 vcc_lo, 0, v103
	s_add_i32 s57, s57, 16
	ds_read_b128 v[108:111], v106
	s_or_b32 s6, vcc_lo, s6
	s_waitcnt vmcnt(2) lgkmcnt(0)
	v_mul_f64 v[114:115], v[110:111], v[104:105]
	v_mul_f64 v[104:105], v[108:109], v[104:105]
	s_waitcnt vmcnt(0)
	v_fma_f64 v[108:109], v[108:109], v[112:113], -v[114:115]
	v_fma_f64 v[104:105], v[110:111], v[112:113], v[104:105]
	v_add_f64 v[1:2], v[1:2], v[108:109]
	v_add_f64 v[3:4], v[3:4], v[104:105]
	s_andn2_b32 exec_lo, exec_lo, s6
	s_cbranch_execnz .LBB47_368
; %bb.369:
	s_or_b32 exec_lo, exec_lo, s6
.LBB47_370:
	s_or_b32 exec_lo, exec_lo, s8
	v_mov_b32_e32 v103, 0
	ds_read_b128 v[103:106], v103 offset:16
	s_waitcnt lgkmcnt(0)
	v_mul_f64 v[108:109], v[3:4], v[105:106]
	v_mul_f64 v[105:106], v[1:2], v[105:106]
	v_fma_f64 v[1:2], v[1:2], v[103:104], -v[108:109]
	v_fma_f64 v[3:4], v[3:4], v[103:104], v[105:106]
	buffer_store_dword v2, off, s[0:3], 0 offset:20
	buffer_store_dword v1, off, s[0:3], 0 offset:16
	;; [unrolled: 1-line block ×4, first 2 shown]
.LBB47_371:
	s_or_b32 exec_lo, exec_lo, s5
	s_clause 0x3
	buffer_load_dword v1, off, s[0:3], 0
	buffer_load_dword v2, off, s[0:3], 0 offset:4
	buffer_load_dword v3, off, s[0:3], 0 offset:8
	;; [unrolled: 1-line block ×3, first 2 shown]
	s_mov_b32 s6, 0
	s_mov_b32 s5, 0
	s_mov_b32 s8, exec_lo
                                        ; implicit-def: $sgpr57
	s_waitcnt vmcnt(0)
	ds_write_b128 v102, v[1:4]
	s_waitcnt lgkmcnt(0)
	s_waitcnt_vscnt null, 0x0
	s_barrier
	buffer_gl0_inv
                                        ; implicit-def: $vgpr1_vgpr2
	v_cmpx_ne_u32_e32 0, v0
	s_cbranch_execz .LBB47_379
; %bb.372:
	ds_read_b128 v[1:4], v102
	s_andn2_b32 vcc_lo, exec_lo, s56
	s_cbranch_vccnz .LBB47_374
; %bb.373:
	s_clause 0x3
	buffer_load_dword v103, v101, s[0:3], 0 offen offset:8
	buffer_load_dword v104, v101, s[0:3], 0 offen offset:12
	buffer_load_dword v105, v101, s[0:3], 0 offen
	buffer_load_dword v106, v101, s[0:3], 0 offen offset:4
	s_waitcnt vmcnt(2) lgkmcnt(0)
	v_mul_f64 v[108:109], v[3:4], v[103:104]
	v_mul_f64 v[103:104], v[1:2], v[103:104]
	s_waitcnt vmcnt(0)
	v_fma_f64 v[1:2], v[1:2], v[105:106], -v[108:109]
	v_fma_f64 v[3:4], v[3:4], v[105:106], v[103:104]
.LBB47_374:
	s_and_saveexec_b32 s5, s4
	s_cbranch_execz .LBB47_378
; %bb.375:
	v_add_nc_u32_e32 v103, -1, v0
	s_movk_i32 s57, 0x310
	s_mov_b32 s4, 0
	s_mov_b32 s58, s54
	.p2align	6
.LBB47_376:                             ; =>This Inner Loop Header: Depth=1
	v_mov_b32_e32 v106, s58
	v_add_nc_u32_e32 v103, -1, v103
	s_add_i32 s58, s58, 16
	s_clause 0x3
	buffer_load_dword v104, v106, s[0:3], 0 offen offset:8
	buffer_load_dword v105, v106, s[0:3], 0 offen offset:12
	buffer_load_dword v112, v106, s[0:3], 0 offen
	buffer_load_dword v113, v106, s[0:3], 0 offen offset:4
	v_mov_b32_e32 v106, s57
	v_cmp_eq_u32_e32 vcc_lo, 0, v103
	s_add_i32 s57, s57, 16
	ds_read_b128 v[108:111], v106
	s_or_b32 s4, vcc_lo, s4
	s_waitcnt vmcnt(2) lgkmcnt(0)
	v_mul_f64 v[114:115], v[110:111], v[104:105]
	v_mul_f64 v[104:105], v[108:109], v[104:105]
	s_waitcnt vmcnt(0)
	v_fma_f64 v[108:109], v[108:109], v[112:113], -v[114:115]
	v_fma_f64 v[104:105], v[110:111], v[112:113], v[104:105]
	v_add_f64 v[1:2], v[1:2], v[108:109]
	v_add_f64 v[3:4], v[3:4], v[104:105]
	s_andn2_b32 exec_lo, exec_lo, s4
	s_cbranch_execnz .LBB47_376
; %bb.377:
	s_or_b32 exec_lo, exec_lo, s4
.LBB47_378:
	s_or_b32 exec_lo, exec_lo, s5
	v_mov_b32_e32 v103, 0
	s_mov_b32 s5, exec_lo
	s_or_b32 s57, 0, 8
	ds_read_b128 v[103:106], v103
	s_waitcnt lgkmcnt(0)
	v_mul_f64 v[108:109], v[3:4], v[105:106]
	v_mul_f64 v[105:106], v[1:2], v[105:106]
	v_fma_f64 v[108:109], v[1:2], v[103:104], -v[108:109]
	v_fma_f64 v[1:2], v[3:4], v[103:104], v[105:106]
	buffer_store_dword v109, off, s[0:3], 0 offset:4
	buffer_store_dword v108, off, s[0:3], 0
.LBB47_379:
	s_or_b32 exec_lo, exec_lo, s8
	s_and_b32 vcc_lo, exec_lo, s6
	s_cbranch_vccnz .LBB47_381
	s_branch .LBB47_752
.LBB47_380:
	s_mov_b32 s5, 0
                                        ; implicit-def: $vgpr1_vgpr2
                                        ; implicit-def: $sgpr57
	s_cbranch_execz .LBB47_752
.LBB47_381:
	v_mov_b32_e32 v4, s54
	v_cmp_eq_u32_e64 s4, 0, v0
	v_cndmask_b32_e64 v103, 0, 1, s56
	s_clause 0x3
	buffer_load_dword v1, v4, s[0:3], 0 offen
	buffer_load_dword v2, v4, s[0:3], 0 offen offset:4
	buffer_load_dword v3, v4, s[0:3], 0 offen offset:8
	;; [unrolled: 1-line block ×3, first 2 shown]
	s_waitcnt vmcnt(0)
	ds_write_b128 v102, v[1:4]
	s_waitcnt lgkmcnt(0)
	s_waitcnt_vscnt null, 0x0
	s_barrier
	buffer_gl0_inv
	s_and_saveexec_b32 s6, s4
	s_cbranch_execz .LBB47_385
; %bb.382:
	ds_read_b128 v[1:4], v102
	s_andn2_b32 vcc_lo, exec_lo, s56
	s_cbranch_vccnz .LBB47_384
; %bb.383:
	s_clause 0x3
	buffer_load_dword v104, v101, s[0:3], 0 offen offset:8
	buffer_load_dword v105, v101, s[0:3], 0 offen offset:12
	buffer_load_dword v108, v101, s[0:3], 0 offen
	buffer_load_dword v109, v101, s[0:3], 0 offen offset:4
	s_waitcnt vmcnt(2) lgkmcnt(0)
	v_mul_f64 v[110:111], v[3:4], v[104:105]
	v_mul_f64 v[104:105], v[1:2], v[104:105]
	s_waitcnt vmcnt(0)
	v_fma_f64 v[1:2], v[1:2], v[108:109], -v[110:111]
	v_fma_f64 v[3:4], v[3:4], v[108:109], v[104:105]
.LBB47_384:
	v_mov_b32_e32 v104, 0
	ds_read_b128 v[108:111], v104 offset:16
	s_waitcnt lgkmcnt(0)
	v_mul_f64 v[104:105], v[3:4], v[110:111]
	v_mul_f64 v[110:111], v[1:2], v[110:111]
	v_fma_f64 v[1:2], v[1:2], v[108:109], -v[104:105]
	v_fma_f64 v[3:4], v[3:4], v[108:109], v[110:111]
	buffer_store_dword v2, off, s[0:3], 0 offset:20
	buffer_store_dword v1, off, s[0:3], 0 offset:16
	;; [unrolled: 1-line block ×4, first 2 shown]
.LBB47_385:
	s_or_b32 exec_lo, exec_lo, s6
	v_mov_b32_e32 v4, s55
	s_mov_b32 s6, exec_lo
	s_clause 0x3
	buffer_load_dword v1, v4, s[0:3], 0 offen
	buffer_load_dword v2, v4, s[0:3], 0 offen offset:4
	buffer_load_dword v3, v4, s[0:3], 0 offen offset:8
	;; [unrolled: 1-line block ×3, first 2 shown]
	s_waitcnt vmcnt(0)
	ds_write_b128 v102, v[1:4]
	s_waitcnt lgkmcnt(0)
	s_waitcnt_vscnt null, 0x0
	s_barrier
	buffer_gl0_inv
	v_cmpx_gt_u32_e32 2, v0
	s_cbranch_execz .LBB47_391
; %bb.386:
	ds_read_b128 v[1:4], v102
	v_cmp_ne_u32_e32 vcc_lo, 1, v103
	s_cbranch_vccnz .LBB47_388
; %bb.387:
	s_clause 0x3
	buffer_load_dword v104, v101, s[0:3], 0 offen offset:8
	buffer_load_dword v105, v101, s[0:3], 0 offen offset:12
	buffer_load_dword v108, v101, s[0:3], 0 offen
	buffer_load_dword v109, v101, s[0:3], 0 offen offset:4
	s_waitcnt vmcnt(2) lgkmcnt(0)
	v_mul_f64 v[110:111], v[3:4], v[104:105]
	v_mul_f64 v[104:105], v[1:2], v[104:105]
	s_waitcnt vmcnt(0)
	v_fma_f64 v[1:2], v[1:2], v[108:109], -v[110:111]
	v_fma_f64 v[3:4], v[3:4], v[108:109], v[104:105]
.LBB47_388:
	s_and_saveexec_b32 s8, s4
	s_cbranch_execz .LBB47_390
; %bb.389:
	s_clause 0x3
	buffer_load_dword v104, off, s[0:3], 0 offset:24
	buffer_load_dword v105, off, s[0:3], 0 offset:28
	buffer_load_dword v112, off, s[0:3], 0 offset:16
	buffer_load_dword v113, off, s[0:3], 0 offset:20
	v_mov_b32_e32 v106, 0
	ds_read_b128 v[108:111], v106 offset:784
	s_waitcnt vmcnt(2) lgkmcnt(0)
	v_mul_f64 v[114:115], v[110:111], v[104:105]
	v_mul_f64 v[104:105], v[108:109], v[104:105]
	s_waitcnt vmcnt(0)
	v_fma_f64 v[108:109], v[108:109], v[112:113], -v[114:115]
	v_fma_f64 v[104:105], v[110:111], v[112:113], v[104:105]
	v_add_f64 v[1:2], v[1:2], v[108:109]
	v_add_f64 v[3:4], v[3:4], v[104:105]
.LBB47_390:
	s_or_b32 exec_lo, exec_lo, s8
	v_mov_b32_e32 v104, 0
	ds_read_b128 v[108:111], v104 offset:32
	s_waitcnt lgkmcnt(0)
	v_mul_f64 v[104:105], v[3:4], v[110:111]
	v_mul_f64 v[110:111], v[1:2], v[110:111]
	v_fma_f64 v[1:2], v[1:2], v[108:109], -v[104:105]
	v_fma_f64 v[3:4], v[3:4], v[108:109], v[110:111]
	buffer_store_dword v2, off, s[0:3], 0 offset:36
	buffer_store_dword v1, off, s[0:3], 0 offset:32
	;; [unrolled: 1-line block ×4, first 2 shown]
.LBB47_391:
	s_or_b32 exec_lo, exec_lo, s6
	v_mov_b32_e32 v4, s53
	s_mov_b32 s6, exec_lo
	s_clause 0x3
	buffer_load_dword v1, v4, s[0:3], 0 offen
	buffer_load_dword v2, v4, s[0:3], 0 offen offset:4
	buffer_load_dword v3, v4, s[0:3], 0 offen offset:8
	;; [unrolled: 1-line block ×3, first 2 shown]
	s_waitcnt vmcnt(0)
	ds_write_b128 v102, v[1:4]
	s_waitcnt lgkmcnt(0)
	s_waitcnt_vscnt null, 0x0
	s_barrier
	buffer_gl0_inv
	v_cmpx_gt_u32_e32 3, v0
	s_cbranch_execz .LBB47_399
; %bb.392:
	ds_read_b128 v[1:4], v102
	v_cmp_ne_u32_e32 vcc_lo, 1, v103
	s_cbranch_vccnz .LBB47_394
; %bb.393:
	s_clause 0x3
	buffer_load_dword v104, v101, s[0:3], 0 offen offset:8
	buffer_load_dword v105, v101, s[0:3], 0 offen offset:12
	buffer_load_dword v108, v101, s[0:3], 0 offen
	buffer_load_dword v109, v101, s[0:3], 0 offen offset:4
	s_waitcnt vmcnt(2) lgkmcnt(0)
	v_mul_f64 v[110:111], v[3:4], v[104:105]
	v_mul_f64 v[104:105], v[1:2], v[104:105]
	s_waitcnt vmcnt(0)
	v_fma_f64 v[1:2], v[1:2], v[108:109], -v[110:111]
	v_fma_f64 v[3:4], v[3:4], v[108:109], v[104:105]
.LBB47_394:
	s_mov_b32 s8, exec_lo
	v_cmpx_ne_u32_e32 2, v0
	s_cbranch_execz .LBB47_398
; %bb.395:
	s_clause 0x3
	buffer_load_dword v104, v101, s[0:3], 0 offen offset:24
	buffer_load_dword v105, v101, s[0:3], 0 offen offset:28
	buffer_load_dword v112, v101, s[0:3], 0 offen offset:16
	buffer_load_dword v113, v101, s[0:3], 0 offen offset:20
	ds_read_b128 v[108:111], v102 offset:16
	s_waitcnt vmcnt(2) lgkmcnt(0)
	v_mul_f64 v[114:115], v[110:111], v[104:105]
	v_mul_f64 v[104:105], v[108:109], v[104:105]
	s_waitcnt vmcnt(0)
	v_fma_f64 v[108:109], v[108:109], v[112:113], -v[114:115]
	v_fma_f64 v[104:105], v[110:111], v[112:113], v[104:105]
	v_add_f64 v[1:2], v[1:2], v[108:109]
	v_add_f64 v[3:4], v[3:4], v[104:105]
	s_and_saveexec_b32 s56, s4
	s_cbranch_execz .LBB47_397
; %bb.396:
	s_clause 0x3
	buffer_load_dword v104, off, s[0:3], 0 offset:40
	buffer_load_dword v105, off, s[0:3], 0 offset:44
	;; [unrolled: 1-line block ×4, first 2 shown]
	v_mov_b32_e32 v106, 0
	ds_read_b128 v[108:111], v106 offset:800
	s_waitcnt vmcnt(2) lgkmcnt(0)
	v_mul_f64 v[114:115], v[108:109], v[104:105]
	v_mul_f64 v[104:105], v[110:111], v[104:105]
	s_waitcnt vmcnt(0)
	v_fma_f64 v[110:111], v[110:111], v[112:113], v[114:115]
	v_fma_f64 v[104:105], v[108:109], v[112:113], -v[104:105]
	v_add_f64 v[3:4], v[3:4], v[110:111]
	v_add_f64 v[1:2], v[1:2], v[104:105]
.LBB47_397:
	s_or_b32 exec_lo, exec_lo, s56
.LBB47_398:
	s_or_b32 exec_lo, exec_lo, s8
	v_mov_b32_e32 v104, 0
	ds_read_b128 v[108:111], v104 offset:48
	s_waitcnt lgkmcnt(0)
	v_mul_f64 v[104:105], v[3:4], v[110:111]
	v_mul_f64 v[110:111], v[1:2], v[110:111]
	v_fma_f64 v[1:2], v[1:2], v[108:109], -v[104:105]
	v_fma_f64 v[3:4], v[3:4], v[108:109], v[110:111]
	buffer_store_dword v2, off, s[0:3], 0 offset:52
	buffer_store_dword v1, off, s[0:3], 0 offset:48
	;; [unrolled: 1-line block ×4, first 2 shown]
.LBB47_399:
	s_or_b32 exec_lo, exec_lo, s6
	v_mov_b32_e32 v4, s52
	s_mov_b32 s4, exec_lo
	s_clause 0x3
	buffer_load_dword v1, v4, s[0:3], 0 offen
	buffer_load_dword v2, v4, s[0:3], 0 offen offset:4
	buffer_load_dword v3, v4, s[0:3], 0 offen offset:8
	buffer_load_dword v4, v4, s[0:3], 0 offen offset:12
	s_waitcnt vmcnt(0)
	ds_write_b128 v102, v[1:4]
	s_waitcnt lgkmcnt(0)
	s_waitcnt_vscnt null, 0x0
	s_barrier
	buffer_gl0_inv
	v_cmpx_gt_u32_e32 4, v0
	s_cbranch_execz .LBB47_407
; %bb.400:
	ds_read_b128 v[1:4], v102
	v_cmp_ne_u32_e32 vcc_lo, 1, v103
	s_cbranch_vccnz .LBB47_402
; %bb.401:
	s_clause 0x3
	buffer_load_dword v104, v101, s[0:3], 0 offen offset:8
	buffer_load_dword v105, v101, s[0:3], 0 offen offset:12
	buffer_load_dword v108, v101, s[0:3], 0 offen
	buffer_load_dword v109, v101, s[0:3], 0 offen offset:4
	s_waitcnt vmcnt(2) lgkmcnt(0)
	v_mul_f64 v[110:111], v[3:4], v[104:105]
	v_mul_f64 v[104:105], v[1:2], v[104:105]
	s_waitcnt vmcnt(0)
	v_fma_f64 v[1:2], v[1:2], v[108:109], -v[110:111]
	v_fma_f64 v[3:4], v[3:4], v[108:109], v[104:105]
.LBB47_402:
	s_mov_b32 s6, exec_lo
	v_cmpx_ne_u32_e32 3, v0
	s_cbranch_execz .LBB47_406
; %bb.403:
	v_add_nc_u32_e32 v104, 0x310, v107
	v_add3_u32 v105, 0, v107, 16
	v_mov_b32_e32 v106, v0
	s_mov_b32 s8, 0
	.p2align	6
.LBB47_404:                             ; =>This Inner Loop Header: Depth=1
	s_clause 0x3
	buffer_load_dword v112, v105, s[0:3], 0 offen offset:8
	buffer_load_dword v113, v105, s[0:3], 0 offen offset:12
	buffer_load_dword v114, v105, s[0:3], 0 offen
	buffer_load_dword v115, v105, s[0:3], 0 offen offset:4
	ds_read_b128 v[108:111], v104
	v_add_nc_u32_e32 v106, 1, v106
	v_add_nc_u32_e32 v104, 16, v104
	v_add_nc_u32_e32 v105, 16, v105
	v_cmp_lt_u32_e32 vcc_lo, 2, v106
	s_or_b32 s8, vcc_lo, s8
	s_waitcnt vmcnt(2) lgkmcnt(0)
	v_mul_f64 v[116:117], v[110:111], v[112:113]
	v_mul_f64 v[112:113], v[108:109], v[112:113]
	s_waitcnt vmcnt(0)
	v_fma_f64 v[108:109], v[108:109], v[114:115], -v[116:117]
	v_fma_f64 v[110:111], v[110:111], v[114:115], v[112:113]
	v_add_f64 v[1:2], v[1:2], v[108:109]
	v_add_f64 v[3:4], v[3:4], v[110:111]
	s_andn2_b32 exec_lo, exec_lo, s8
	s_cbranch_execnz .LBB47_404
; %bb.405:
	s_or_b32 exec_lo, exec_lo, s8
.LBB47_406:
	s_or_b32 exec_lo, exec_lo, s6
	v_mov_b32_e32 v104, 0
	ds_read_b128 v[108:111], v104 offset:64
	s_waitcnt lgkmcnt(0)
	v_mul_f64 v[104:105], v[3:4], v[110:111]
	v_mul_f64 v[110:111], v[1:2], v[110:111]
	v_fma_f64 v[1:2], v[1:2], v[108:109], -v[104:105]
	v_fma_f64 v[3:4], v[3:4], v[108:109], v[110:111]
	buffer_store_dword v2, off, s[0:3], 0 offset:68
	buffer_store_dword v1, off, s[0:3], 0 offset:64
	;; [unrolled: 1-line block ×4, first 2 shown]
.LBB47_407:
	s_or_b32 exec_lo, exec_lo, s4
	v_mov_b32_e32 v4, s51
	s_mov_b32 s4, exec_lo
	s_clause 0x3
	buffer_load_dword v1, v4, s[0:3], 0 offen
	buffer_load_dword v2, v4, s[0:3], 0 offen offset:4
	buffer_load_dword v3, v4, s[0:3], 0 offen offset:8
	;; [unrolled: 1-line block ×3, first 2 shown]
	s_waitcnt vmcnt(0)
	ds_write_b128 v102, v[1:4]
	s_waitcnt lgkmcnt(0)
	s_waitcnt_vscnt null, 0x0
	s_barrier
	buffer_gl0_inv
	v_cmpx_gt_u32_e32 5, v0
	s_cbranch_execz .LBB47_415
; %bb.408:
	ds_read_b128 v[1:4], v102
	v_cmp_ne_u32_e32 vcc_lo, 1, v103
	s_cbranch_vccnz .LBB47_410
; %bb.409:
	s_clause 0x3
	buffer_load_dword v104, v101, s[0:3], 0 offen offset:8
	buffer_load_dword v105, v101, s[0:3], 0 offen offset:12
	buffer_load_dword v108, v101, s[0:3], 0 offen
	buffer_load_dword v109, v101, s[0:3], 0 offen offset:4
	s_waitcnt vmcnt(2) lgkmcnt(0)
	v_mul_f64 v[110:111], v[3:4], v[104:105]
	v_mul_f64 v[104:105], v[1:2], v[104:105]
	s_waitcnt vmcnt(0)
	v_fma_f64 v[1:2], v[1:2], v[108:109], -v[110:111]
	v_fma_f64 v[3:4], v[3:4], v[108:109], v[104:105]
.LBB47_410:
	s_mov_b32 s6, exec_lo
	v_cmpx_ne_u32_e32 4, v0
	s_cbranch_execz .LBB47_414
; %bb.411:
	v_add_nc_u32_e32 v104, 0x310, v107
	v_add3_u32 v105, 0, v107, 16
	v_mov_b32_e32 v106, v0
	s_mov_b32 s8, 0
	.p2align	6
.LBB47_412:                             ; =>This Inner Loop Header: Depth=1
	s_clause 0x3
	buffer_load_dword v112, v105, s[0:3], 0 offen offset:8
	buffer_load_dword v113, v105, s[0:3], 0 offen offset:12
	buffer_load_dword v114, v105, s[0:3], 0 offen
	buffer_load_dword v115, v105, s[0:3], 0 offen offset:4
	ds_read_b128 v[108:111], v104
	v_add_nc_u32_e32 v106, 1, v106
	v_add_nc_u32_e32 v104, 16, v104
	;; [unrolled: 1-line block ×3, first 2 shown]
	v_cmp_lt_u32_e32 vcc_lo, 3, v106
	s_or_b32 s8, vcc_lo, s8
	s_waitcnt vmcnt(2) lgkmcnt(0)
	v_mul_f64 v[116:117], v[110:111], v[112:113]
	v_mul_f64 v[112:113], v[108:109], v[112:113]
	s_waitcnt vmcnt(0)
	v_fma_f64 v[108:109], v[108:109], v[114:115], -v[116:117]
	v_fma_f64 v[110:111], v[110:111], v[114:115], v[112:113]
	v_add_f64 v[1:2], v[1:2], v[108:109]
	v_add_f64 v[3:4], v[3:4], v[110:111]
	s_andn2_b32 exec_lo, exec_lo, s8
	s_cbranch_execnz .LBB47_412
; %bb.413:
	s_or_b32 exec_lo, exec_lo, s8
.LBB47_414:
	s_or_b32 exec_lo, exec_lo, s6
	v_mov_b32_e32 v104, 0
	ds_read_b128 v[108:111], v104 offset:80
	s_waitcnt lgkmcnt(0)
	v_mul_f64 v[104:105], v[3:4], v[110:111]
	v_mul_f64 v[110:111], v[1:2], v[110:111]
	v_fma_f64 v[1:2], v[1:2], v[108:109], -v[104:105]
	v_fma_f64 v[3:4], v[3:4], v[108:109], v[110:111]
	buffer_store_dword v2, off, s[0:3], 0 offset:84
	buffer_store_dword v1, off, s[0:3], 0 offset:80
	;; [unrolled: 1-line block ×4, first 2 shown]
.LBB47_415:
	s_or_b32 exec_lo, exec_lo, s4
	v_mov_b32_e32 v4, s50
	s_mov_b32 s4, exec_lo
	s_clause 0x3
	buffer_load_dword v1, v4, s[0:3], 0 offen
	buffer_load_dword v2, v4, s[0:3], 0 offen offset:4
	buffer_load_dword v3, v4, s[0:3], 0 offen offset:8
	buffer_load_dword v4, v4, s[0:3], 0 offen offset:12
	s_waitcnt vmcnt(0)
	ds_write_b128 v102, v[1:4]
	s_waitcnt lgkmcnt(0)
	s_waitcnt_vscnt null, 0x0
	s_barrier
	buffer_gl0_inv
	v_cmpx_gt_u32_e32 6, v0
	s_cbranch_execz .LBB47_423
; %bb.416:
	ds_read_b128 v[1:4], v102
	v_cmp_ne_u32_e32 vcc_lo, 1, v103
	s_cbranch_vccnz .LBB47_418
; %bb.417:
	s_clause 0x3
	buffer_load_dword v104, v101, s[0:3], 0 offen offset:8
	buffer_load_dword v105, v101, s[0:3], 0 offen offset:12
	buffer_load_dword v108, v101, s[0:3], 0 offen
	buffer_load_dword v109, v101, s[0:3], 0 offen offset:4
	s_waitcnt vmcnt(2) lgkmcnt(0)
	v_mul_f64 v[110:111], v[3:4], v[104:105]
	v_mul_f64 v[104:105], v[1:2], v[104:105]
	s_waitcnt vmcnt(0)
	v_fma_f64 v[1:2], v[1:2], v[108:109], -v[110:111]
	v_fma_f64 v[3:4], v[3:4], v[108:109], v[104:105]
.LBB47_418:
	s_mov_b32 s6, exec_lo
	v_cmpx_ne_u32_e32 5, v0
	s_cbranch_execz .LBB47_422
; %bb.419:
	v_add_nc_u32_e32 v104, 0x310, v107
	v_add3_u32 v105, 0, v107, 16
	v_mov_b32_e32 v106, v0
	s_mov_b32 s8, 0
	.p2align	6
.LBB47_420:                             ; =>This Inner Loop Header: Depth=1
	s_clause 0x3
	buffer_load_dword v112, v105, s[0:3], 0 offen offset:8
	buffer_load_dword v113, v105, s[0:3], 0 offen offset:12
	buffer_load_dword v114, v105, s[0:3], 0 offen
	buffer_load_dword v115, v105, s[0:3], 0 offen offset:4
	ds_read_b128 v[108:111], v104
	v_add_nc_u32_e32 v106, 1, v106
	v_add_nc_u32_e32 v104, 16, v104
	;; [unrolled: 1-line block ×3, first 2 shown]
	v_cmp_lt_u32_e32 vcc_lo, 4, v106
	s_or_b32 s8, vcc_lo, s8
	s_waitcnt vmcnt(2) lgkmcnt(0)
	v_mul_f64 v[116:117], v[110:111], v[112:113]
	v_mul_f64 v[112:113], v[108:109], v[112:113]
	s_waitcnt vmcnt(0)
	v_fma_f64 v[108:109], v[108:109], v[114:115], -v[116:117]
	v_fma_f64 v[110:111], v[110:111], v[114:115], v[112:113]
	v_add_f64 v[1:2], v[1:2], v[108:109]
	v_add_f64 v[3:4], v[3:4], v[110:111]
	s_andn2_b32 exec_lo, exec_lo, s8
	s_cbranch_execnz .LBB47_420
; %bb.421:
	s_or_b32 exec_lo, exec_lo, s8
.LBB47_422:
	s_or_b32 exec_lo, exec_lo, s6
	v_mov_b32_e32 v104, 0
	ds_read_b128 v[108:111], v104 offset:96
	s_waitcnt lgkmcnt(0)
	v_mul_f64 v[104:105], v[3:4], v[110:111]
	v_mul_f64 v[110:111], v[1:2], v[110:111]
	v_fma_f64 v[1:2], v[1:2], v[108:109], -v[104:105]
	v_fma_f64 v[3:4], v[3:4], v[108:109], v[110:111]
	buffer_store_dword v2, off, s[0:3], 0 offset:100
	buffer_store_dword v1, off, s[0:3], 0 offset:96
	;; [unrolled: 1-line block ×4, first 2 shown]
.LBB47_423:
	s_or_b32 exec_lo, exec_lo, s4
	v_mov_b32_e32 v4, s49
	s_mov_b32 s4, exec_lo
	s_clause 0x3
	buffer_load_dword v1, v4, s[0:3], 0 offen
	buffer_load_dword v2, v4, s[0:3], 0 offen offset:4
	buffer_load_dword v3, v4, s[0:3], 0 offen offset:8
	;; [unrolled: 1-line block ×3, first 2 shown]
	s_waitcnt vmcnt(0)
	ds_write_b128 v102, v[1:4]
	s_waitcnt lgkmcnt(0)
	s_waitcnt_vscnt null, 0x0
	s_barrier
	buffer_gl0_inv
	v_cmpx_gt_u32_e32 7, v0
	s_cbranch_execz .LBB47_431
; %bb.424:
	ds_read_b128 v[1:4], v102
	v_cmp_ne_u32_e32 vcc_lo, 1, v103
	s_cbranch_vccnz .LBB47_426
; %bb.425:
	s_clause 0x3
	buffer_load_dword v104, v101, s[0:3], 0 offen offset:8
	buffer_load_dword v105, v101, s[0:3], 0 offen offset:12
	buffer_load_dword v108, v101, s[0:3], 0 offen
	buffer_load_dword v109, v101, s[0:3], 0 offen offset:4
	s_waitcnt vmcnt(2) lgkmcnt(0)
	v_mul_f64 v[110:111], v[3:4], v[104:105]
	v_mul_f64 v[104:105], v[1:2], v[104:105]
	s_waitcnt vmcnt(0)
	v_fma_f64 v[1:2], v[1:2], v[108:109], -v[110:111]
	v_fma_f64 v[3:4], v[3:4], v[108:109], v[104:105]
.LBB47_426:
	s_mov_b32 s6, exec_lo
	v_cmpx_ne_u32_e32 6, v0
	s_cbranch_execz .LBB47_430
; %bb.427:
	v_add_nc_u32_e32 v104, 0x310, v107
	v_add3_u32 v105, 0, v107, 16
	v_mov_b32_e32 v106, v0
	s_mov_b32 s8, 0
	.p2align	6
.LBB47_428:                             ; =>This Inner Loop Header: Depth=1
	s_clause 0x3
	buffer_load_dword v112, v105, s[0:3], 0 offen offset:8
	buffer_load_dword v113, v105, s[0:3], 0 offen offset:12
	buffer_load_dword v114, v105, s[0:3], 0 offen
	buffer_load_dword v115, v105, s[0:3], 0 offen offset:4
	ds_read_b128 v[108:111], v104
	v_add_nc_u32_e32 v106, 1, v106
	v_add_nc_u32_e32 v104, 16, v104
	;; [unrolled: 1-line block ×3, first 2 shown]
	v_cmp_lt_u32_e32 vcc_lo, 5, v106
	s_or_b32 s8, vcc_lo, s8
	s_waitcnt vmcnt(2) lgkmcnt(0)
	v_mul_f64 v[116:117], v[110:111], v[112:113]
	v_mul_f64 v[112:113], v[108:109], v[112:113]
	s_waitcnt vmcnt(0)
	v_fma_f64 v[108:109], v[108:109], v[114:115], -v[116:117]
	v_fma_f64 v[110:111], v[110:111], v[114:115], v[112:113]
	v_add_f64 v[1:2], v[1:2], v[108:109]
	v_add_f64 v[3:4], v[3:4], v[110:111]
	s_andn2_b32 exec_lo, exec_lo, s8
	s_cbranch_execnz .LBB47_428
; %bb.429:
	s_or_b32 exec_lo, exec_lo, s8
.LBB47_430:
	s_or_b32 exec_lo, exec_lo, s6
	v_mov_b32_e32 v104, 0
	ds_read_b128 v[108:111], v104 offset:112
	s_waitcnt lgkmcnt(0)
	v_mul_f64 v[104:105], v[3:4], v[110:111]
	v_mul_f64 v[110:111], v[1:2], v[110:111]
	v_fma_f64 v[1:2], v[1:2], v[108:109], -v[104:105]
	v_fma_f64 v[3:4], v[3:4], v[108:109], v[110:111]
	buffer_store_dword v2, off, s[0:3], 0 offset:116
	buffer_store_dword v1, off, s[0:3], 0 offset:112
	;; [unrolled: 1-line block ×4, first 2 shown]
.LBB47_431:
	s_or_b32 exec_lo, exec_lo, s4
	v_mov_b32_e32 v4, s48
	s_mov_b32 s4, exec_lo
	s_clause 0x3
	buffer_load_dword v1, v4, s[0:3], 0 offen
	buffer_load_dword v2, v4, s[0:3], 0 offen offset:4
	buffer_load_dword v3, v4, s[0:3], 0 offen offset:8
	buffer_load_dword v4, v4, s[0:3], 0 offen offset:12
	s_waitcnt vmcnt(0)
	ds_write_b128 v102, v[1:4]
	s_waitcnt lgkmcnt(0)
	s_waitcnt_vscnt null, 0x0
	s_barrier
	buffer_gl0_inv
	v_cmpx_gt_u32_e32 8, v0
	s_cbranch_execz .LBB47_439
; %bb.432:
	ds_read_b128 v[1:4], v102
	v_cmp_ne_u32_e32 vcc_lo, 1, v103
	s_cbranch_vccnz .LBB47_434
; %bb.433:
	s_clause 0x3
	buffer_load_dword v104, v101, s[0:3], 0 offen offset:8
	buffer_load_dword v105, v101, s[0:3], 0 offen offset:12
	buffer_load_dword v108, v101, s[0:3], 0 offen
	buffer_load_dword v109, v101, s[0:3], 0 offen offset:4
	s_waitcnt vmcnt(2) lgkmcnt(0)
	v_mul_f64 v[110:111], v[3:4], v[104:105]
	v_mul_f64 v[104:105], v[1:2], v[104:105]
	s_waitcnt vmcnt(0)
	v_fma_f64 v[1:2], v[1:2], v[108:109], -v[110:111]
	v_fma_f64 v[3:4], v[3:4], v[108:109], v[104:105]
.LBB47_434:
	s_mov_b32 s6, exec_lo
	v_cmpx_ne_u32_e32 7, v0
	s_cbranch_execz .LBB47_438
; %bb.435:
	v_add_nc_u32_e32 v104, 0x310, v107
	v_add3_u32 v105, 0, v107, 16
	v_mov_b32_e32 v106, v0
	s_mov_b32 s8, 0
	.p2align	6
.LBB47_436:                             ; =>This Inner Loop Header: Depth=1
	s_clause 0x3
	buffer_load_dword v112, v105, s[0:3], 0 offen offset:8
	buffer_load_dword v113, v105, s[0:3], 0 offen offset:12
	buffer_load_dword v114, v105, s[0:3], 0 offen
	buffer_load_dword v115, v105, s[0:3], 0 offen offset:4
	ds_read_b128 v[108:111], v104
	v_add_nc_u32_e32 v106, 1, v106
	v_add_nc_u32_e32 v104, 16, v104
	v_add_nc_u32_e32 v105, 16, v105
	v_cmp_lt_u32_e32 vcc_lo, 6, v106
	s_or_b32 s8, vcc_lo, s8
	s_waitcnt vmcnt(2) lgkmcnt(0)
	v_mul_f64 v[116:117], v[110:111], v[112:113]
	v_mul_f64 v[112:113], v[108:109], v[112:113]
	s_waitcnt vmcnt(0)
	v_fma_f64 v[108:109], v[108:109], v[114:115], -v[116:117]
	v_fma_f64 v[110:111], v[110:111], v[114:115], v[112:113]
	v_add_f64 v[1:2], v[1:2], v[108:109]
	v_add_f64 v[3:4], v[3:4], v[110:111]
	s_andn2_b32 exec_lo, exec_lo, s8
	s_cbranch_execnz .LBB47_436
; %bb.437:
	s_or_b32 exec_lo, exec_lo, s8
.LBB47_438:
	s_or_b32 exec_lo, exec_lo, s6
	v_mov_b32_e32 v104, 0
	ds_read_b128 v[108:111], v104 offset:128
	s_waitcnt lgkmcnt(0)
	v_mul_f64 v[104:105], v[3:4], v[110:111]
	v_mul_f64 v[110:111], v[1:2], v[110:111]
	v_fma_f64 v[1:2], v[1:2], v[108:109], -v[104:105]
	v_fma_f64 v[3:4], v[3:4], v[108:109], v[110:111]
	buffer_store_dword v2, off, s[0:3], 0 offset:132
	buffer_store_dword v1, off, s[0:3], 0 offset:128
	;; [unrolled: 1-line block ×4, first 2 shown]
.LBB47_439:
	s_or_b32 exec_lo, exec_lo, s4
	v_mov_b32_e32 v4, s47
	s_mov_b32 s4, exec_lo
	s_clause 0x3
	buffer_load_dword v1, v4, s[0:3], 0 offen
	buffer_load_dword v2, v4, s[0:3], 0 offen offset:4
	buffer_load_dword v3, v4, s[0:3], 0 offen offset:8
	;; [unrolled: 1-line block ×3, first 2 shown]
	s_waitcnt vmcnt(0)
	ds_write_b128 v102, v[1:4]
	s_waitcnt lgkmcnt(0)
	s_waitcnt_vscnt null, 0x0
	s_barrier
	buffer_gl0_inv
	v_cmpx_gt_u32_e32 9, v0
	s_cbranch_execz .LBB47_447
; %bb.440:
	ds_read_b128 v[1:4], v102
	v_cmp_ne_u32_e32 vcc_lo, 1, v103
	s_cbranch_vccnz .LBB47_442
; %bb.441:
	s_clause 0x3
	buffer_load_dword v104, v101, s[0:3], 0 offen offset:8
	buffer_load_dword v105, v101, s[0:3], 0 offen offset:12
	buffer_load_dword v108, v101, s[0:3], 0 offen
	buffer_load_dword v109, v101, s[0:3], 0 offen offset:4
	s_waitcnt vmcnt(2) lgkmcnt(0)
	v_mul_f64 v[110:111], v[3:4], v[104:105]
	v_mul_f64 v[104:105], v[1:2], v[104:105]
	s_waitcnt vmcnt(0)
	v_fma_f64 v[1:2], v[1:2], v[108:109], -v[110:111]
	v_fma_f64 v[3:4], v[3:4], v[108:109], v[104:105]
.LBB47_442:
	s_mov_b32 s6, exec_lo
	v_cmpx_ne_u32_e32 8, v0
	s_cbranch_execz .LBB47_446
; %bb.443:
	v_add_nc_u32_e32 v104, 0x310, v107
	v_add3_u32 v105, 0, v107, 16
	v_mov_b32_e32 v106, v0
	s_mov_b32 s8, 0
	.p2align	6
.LBB47_444:                             ; =>This Inner Loop Header: Depth=1
	s_clause 0x3
	buffer_load_dword v112, v105, s[0:3], 0 offen offset:8
	buffer_load_dword v113, v105, s[0:3], 0 offen offset:12
	buffer_load_dword v114, v105, s[0:3], 0 offen
	buffer_load_dword v115, v105, s[0:3], 0 offen offset:4
	ds_read_b128 v[108:111], v104
	v_add_nc_u32_e32 v106, 1, v106
	v_add_nc_u32_e32 v104, 16, v104
	v_add_nc_u32_e32 v105, 16, v105
	v_cmp_lt_u32_e32 vcc_lo, 7, v106
	s_or_b32 s8, vcc_lo, s8
	s_waitcnt vmcnt(2) lgkmcnt(0)
	v_mul_f64 v[116:117], v[110:111], v[112:113]
	v_mul_f64 v[112:113], v[108:109], v[112:113]
	s_waitcnt vmcnt(0)
	v_fma_f64 v[108:109], v[108:109], v[114:115], -v[116:117]
	v_fma_f64 v[110:111], v[110:111], v[114:115], v[112:113]
	v_add_f64 v[1:2], v[1:2], v[108:109]
	v_add_f64 v[3:4], v[3:4], v[110:111]
	s_andn2_b32 exec_lo, exec_lo, s8
	s_cbranch_execnz .LBB47_444
; %bb.445:
	s_or_b32 exec_lo, exec_lo, s8
.LBB47_446:
	s_or_b32 exec_lo, exec_lo, s6
	v_mov_b32_e32 v104, 0
	ds_read_b128 v[108:111], v104 offset:144
	s_waitcnt lgkmcnt(0)
	v_mul_f64 v[104:105], v[3:4], v[110:111]
	v_mul_f64 v[110:111], v[1:2], v[110:111]
	v_fma_f64 v[1:2], v[1:2], v[108:109], -v[104:105]
	v_fma_f64 v[3:4], v[3:4], v[108:109], v[110:111]
	buffer_store_dword v2, off, s[0:3], 0 offset:148
	buffer_store_dword v1, off, s[0:3], 0 offset:144
	;; [unrolled: 1-line block ×4, first 2 shown]
.LBB47_447:
	s_or_b32 exec_lo, exec_lo, s4
	v_mov_b32_e32 v4, s46
	s_mov_b32 s4, exec_lo
	s_clause 0x3
	buffer_load_dword v1, v4, s[0:3], 0 offen
	buffer_load_dword v2, v4, s[0:3], 0 offen offset:4
	buffer_load_dword v3, v4, s[0:3], 0 offen offset:8
	;; [unrolled: 1-line block ×3, first 2 shown]
	s_waitcnt vmcnt(0)
	ds_write_b128 v102, v[1:4]
	s_waitcnt lgkmcnt(0)
	s_waitcnt_vscnt null, 0x0
	s_barrier
	buffer_gl0_inv
	v_cmpx_gt_u32_e32 10, v0
	s_cbranch_execz .LBB47_455
; %bb.448:
	ds_read_b128 v[1:4], v102
	v_cmp_ne_u32_e32 vcc_lo, 1, v103
	s_cbranch_vccnz .LBB47_450
; %bb.449:
	s_clause 0x3
	buffer_load_dword v104, v101, s[0:3], 0 offen offset:8
	buffer_load_dword v105, v101, s[0:3], 0 offen offset:12
	buffer_load_dword v108, v101, s[0:3], 0 offen
	buffer_load_dword v109, v101, s[0:3], 0 offen offset:4
	s_waitcnt vmcnt(2) lgkmcnt(0)
	v_mul_f64 v[110:111], v[3:4], v[104:105]
	v_mul_f64 v[104:105], v[1:2], v[104:105]
	s_waitcnt vmcnt(0)
	v_fma_f64 v[1:2], v[1:2], v[108:109], -v[110:111]
	v_fma_f64 v[3:4], v[3:4], v[108:109], v[104:105]
.LBB47_450:
	s_mov_b32 s6, exec_lo
	v_cmpx_ne_u32_e32 9, v0
	s_cbranch_execz .LBB47_454
; %bb.451:
	v_add_nc_u32_e32 v104, 0x310, v107
	v_add3_u32 v105, 0, v107, 16
	v_mov_b32_e32 v106, v0
	s_mov_b32 s8, 0
	.p2align	6
.LBB47_452:                             ; =>This Inner Loop Header: Depth=1
	s_clause 0x3
	buffer_load_dword v112, v105, s[0:3], 0 offen offset:8
	buffer_load_dword v113, v105, s[0:3], 0 offen offset:12
	buffer_load_dword v114, v105, s[0:3], 0 offen
	buffer_load_dword v115, v105, s[0:3], 0 offen offset:4
	ds_read_b128 v[108:111], v104
	v_add_nc_u32_e32 v106, 1, v106
	v_add_nc_u32_e32 v104, 16, v104
	;; [unrolled: 1-line block ×3, first 2 shown]
	v_cmp_lt_u32_e32 vcc_lo, 8, v106
	s_or_b32 s8, vcc_lo, s8
	s_waitcnt vmcnt(2) lgkmcnt(0)
	v_mul_f64 v[116:117], v[110:111], v[112:113]
	v_mul_f64 v[112:113], v[108:109], v[112:113]
	s_waitcnt vmcnt(0)
	v_fma_f64 v[108:109], v[108:109], v[114:115], -v[116:117]
	v_fma_f64 v[110:111], v[110:111], v[114:115], v[112:113]
	v_add_f64 v[1:2], v[1:2], v[108:109]
	v_add_f64 v[3:4], v[3:4], v[110:111]
	s_andn2_b32 exec_lo, exec_lo, s8
	s_cbranch_execnz .LBB47_452
; %bb.453:
	s_or_b32 exec_lo, exec_lo, s8
.LBB47_454:
	s_or_b32 exec_lo, exec_lo, s6
	v_mov_b32_e32 v104, 0
	ds_read_b128 v[108:111], v104 offset:160
	s_waitcnt lgkmcnt(0)
	v_mul_f64 v[104:105], v[3:4], v[110:111]
	v_mul_f64 v[110:111], v[1:2], v[110:111]
	v_fma_f64 v[1:2], v[1:2], v[108:109], -v[104:105]
	v_fma_f64 v[3:4], v[3:4], v[108:109], v[110:111]
	buffer_store_dword v2, off, s[0:3], 0 offset:164
	buffer_store_dword v1, off, s[0:3], 0 offset:160
	;; [unrolled: 1-line block ×4, first 2 shown]
.LBB47_455:
	s_or_b32 exec_lo, exec_lo, s4
	v_mov_b32_e32 v4, s45
	s_mov_b32 s4, exec_lo
	s_clause 0x3
	buffer_load_dword v1, v4, s[0:3], 0 offen
	buffer_load_dword v2, v4, s[0:3], 0 offen offset:4
	buffer_load_dword v3, v4, s[0:3], 0 offen offset:8
	;; [unrolled: 1-line block ×3, first 2 shown]
	s_waitcnt vmcnt(0)
	ds_write_b128 v102, v[1:4]
	s_waitcnt lgkmcnt(0)
	s_waitcnt_vscnt null, 0x0
	s_barrier
	buffer_gl0_inv
	v_cmpx_gt_u32_e32 11, v0
	s_cbranch_execz .LBB47_463
; %bb.456:
	ds_read_b128 v[1:4], v102
	v_cmp_ne_u32_e32 vcc_lo, 1, v103
	s_cbranch_vccnz .LBB47_458
; %bb.457:
	s_clause 0x3
	buffer_load_dword v104, v101, s[0:3], 0 offen offset:8
	buffer_load_dword v105, v101, s[0:3], 0 offen offset:12
	buffer_load_dword v108, v101, s[0:3], 0 offen
	buffer_load_dword v109, v101, s[0:3], 0 offen offset:4
	s_waitcnt vmcnt(2) lgkmcnt(0)
	v_mul_f64 v[110:111], v[3:4], v[104:105]
	v_mul_f64 v[104:105], v[1:2], v[104:105]
	s_waitcnt vmcnt(0)
	v_fma_f64 v[1:2], v[1:2], v[108:109], -v[110:111]
	v_fma_f64 v[3:4], v[3:4], v[108:109], v[104:105]
.LBB47_458:
	s_mov_b32 s6, exec_lo
	v_cmpx_ne_u32_e32 10, v0
	s_cbranch_execz .LBB47_462
; %bb.459:
	v_add_nc_u32_e32 v104, 0x310, v107
	v_add3_u32 v105, 0, v107, 16
	v_mov_b32_e32 v106, v0
	s_mov_b32 s8, 0
	.p2align	6
.LBB47_460:                             ; =>This Inner Loop Header: Depth=1
	s_clause 0x3
	buffer_load_dword v112, v105, s[0:3], 0 offen offset:8
	buffer_load_dword v113, v105, s[0:3], 0 offen offset:12
	buffer_load_dword v114, v105, s[0:3], 0 offen
	buffer_load_dword v115, v105, s[0:3], 0 offen offset:4
	ds_read_b128 v[108:111], v104
	v_add_nc_u32_e32 v106, 1, v106
	v_add_nc_u32_e32 v104, 16, v104
	;; [unrolled: 1-line block ×3, first 2 shown]
	v_cmp_lt_u32_e32 vcc_lo, 9, v106
	s_or_b32 s8, vcc_lo, s8
	s_waitcnt vmcnt(2) lgkmcnt(0)
	v_mul_f64 v[116:117], v[110:111], v[112:113]
	v_mul_f64 v[112:113], v[108:109], v[112:113]
	s_waitcnt vmcnt(0)
	v_fma_f64 v[108:109], v[108:109], v[114:115], -v[116:117]
	v_fma_f64 v[110:111], v[110:111], v[114:115], v[112:113]
	v_add_f64 v[1:2], v[1:2], v[108:109]
	v_add_f64 v[3:4], v[3:4], v[110:111]
	s_andn2_b32 exec_lo, exec_lo, s8
	s_cbranch_execnz .LBB47_460
; %bb.461:
	s_or_b32 exec_lo, exec_lo, s8
.LBB47_462:
	s_or_b32 exec_lo, exec_lo, s6
	v_mov_b32_e32 v104, 0
	ds_read_b128 v[108:111], v104 offset:176
	s_waitcnt lgkmcnt(0)
	v_mul_f64 v[104:105], v[3:4], v[110:111]
	v_mul_f64 v[110:111], v[1:2], v[110:111]
	v_fma_f64 v[1:2], v[1:2], v[108:109], -v[104:105]
	v_fma_f64 v[3:4], v[3:4], v[108:109], v[110:111]
	buffer_store_dword v2, off, s[0:3], 0 offset:180
	buffer_store_dword v1, off, s[0:3], 0 offset:176
	;; [unrolled: 1-line block ×4, first 2 shown]
.LBB47_463:
	s_or_b32 exec_lo, exec_lo, s4
	v_mov_b32_e32 v4, s44
	s_mov_b32 s4, exec_lo
	s_clause 0x3
	buffer_load_dword v1, v4, s[0:3], 0 offen
	buffer_load_dword v2, v4, s[0:3], 0 offen offset:4
	buffer_load_dword v3, v4, s[0:3], 0 offen offset:8
	;; [unrolled: 1-line block ×3, first 2 shown]
	s_waitcnt vmcnt(0)
	ds_write_b128 v102, v[1:4]
	s_waitcnt lgkmcnt(0)
	s_waitcnt_vscnt null, 0x0
	s_barrier
	buffer_gl0_inv
	v_cmpx_gt_u32_e32 12, v0
	s_cbranch_execz .LBB47_471
; %bb.464:
	ds_read_b128 v[1:4], v102
	v_cmp_ne_u32_e32 vcc_lo, 1, v103
	s_cbranch_vccnz .LBB47_466
; %bb.465:
	s_clause 0x3
	buffer_load_dword v104, v101, s[0:3], 0 offen offset:8
	buffer_load_dword v105, v101, s[0:3], 0 offen offset:12
	buffer_load_dword v108, v101, s[0:3], 0 offen
	buffer_load_dword v109, v101, s[0:3], 0 offen offset:4
	s_waitcnt vmcnt(2) lgkmcnt(0)
	v_mul_f64 v[110:111], v[3:4], v[104:105]
	v_mul_f64 v[104:105], v[1:2], v[104:105]
	s_waitcnt vmcnt(0)
	v_fma_f64 v[1:2], v[1:2], v[108:109], -v[110:111]
	v_fma_f64 v[3:4], v[3:4], v[108:109], v[104:105]
.LBB47_466:
	s_mov_b32 s6, exec_lo
	v_cmpx_ne_u32_e32 11, v0
	s_cbranch_execz .LBB47_470
; %bb.467:
	v_add_nc_u32_e32 v104, 0x310, v107
	v_add3_u32 v105, 0, v107, 16
	v_mov_b32_e32 v106, v0
	s_mov_b32 s8, 0
	.p2align	6
.LBB47_468:                             ; =>This Inner Loop Header: Depth=1
	s_clause 0x3
	buffer_load_dword v112, v105, s[0:3], 0 offen offset:8
	buffer_load_dword v113, v105, s[0:3], 0 offen offset:12
	buffer_load_dword v114, v105, s[0:3], 0 offen
	buffer_load_dword v115, v105, s[0:3], 0 offen offset:4
	ds_read_b128 v[108:111], v104
	v_add_nc_u32_e32 v106, 1, v106
	v_add_nc_u32_e32 v104, 16, v104
	;; [unrolled: 1-line block ×3, first 2 shown]
	v_cmp_lt_u32_e32 vcc_lo, 10, v106
	s_or_b32 s8, vcc_lo, s8
	s_waitcnt vmcnt(2) lgkmcnt(0)
	v_mul_f64 v[116:117], v[110:111], v[112:113]
	v_mul_f64 v[112:113], v[108:109], v[112:113]
	s_waitcnt vmcnt(0)
	v_fma_f64 v[108:109], v[108:109], v[114:115], -v[116:117]
	v_fma_f64 v[110:111], v[110:111], v[114:115], v[112:113]
	v_add_f64 v[1:2], v[1:2], v[108:109]
	v_add_f64 v[3:4], v[3:4], v[110:111]
	s_andn2_b32 exec_lo, exec_lo, s8
	s_cbranch_execnz .LBB47_468
; %bb.469:
	s_or_b32 exec_lo, exec_lo, s8
.LBB47_470:
	s_or_b32 exec_lo, exec_lo, s6
	v_mov_b32_e32 v104, 0
	ds_read_b128 v[108:111], v104 offset:192
	s_waitcnt lgkmcnt(0)
	v_mul_f64 v[104:105], v[3:4], v[110:111]
	v_mul_f64 v[110:111], v[1:2], v[110:111]
	v_fma_f64 v[1:2], v[1:2], v[108:109], -v[104:105]
	v_fma_f64 v[3:4], v[3:4], v[108:109], v[110:111]
	buffer_store_dword v2, off, s[0:3], 0 offset:196
	buffer_store_dword v1, off, s[0:3], 0 offset:192
	;; [unrolled: 1-line block ×4, first 2 shown]
.LBB47_471:
	s_or_b32 exec_lo, exec_lo, s4
	v_mov_b32_e32 v4, s43
	s_mov_b32 s4, exec_lo
	s_clause 0x3
	buffer_load_dword v1, v4, s[0:3], 0 offen
	buffer_load_dword v2, v4, s[0:3], 0 offen offset:4
	buffer_load_dword v3, v4, s[0:3], 0 offen offset:8
	;; [unrolled: 1-line block ×3, first 2 shown]
	s_waitcnt vmcnt(0)
	ds_write_b128 v102, v[1:4]
	s_waitcnt lgkmcnt(0)
	s_waitcnt_vscnt null, 0x0
	s_barrier
	buffer_gl0_inv
	v_cmpx_gt_u32_e32 13, v0
	s_cbranch_execz .LBB47_479
; %bb.472:
	ds_read_b128 v[1:4], v102
	v_cmp_ne_u32_e32 vcc_lo, 1, v103
	s_cbranch_vccnz .LBB47_474
; %bb.473:
	s_clause 0x3
	buffer_load_dword v104, v101, s[0:3], 0 offen offset:8
	buffer_load_dword v105, v101, s[0:3], 0 offen offset:12
	buffer_load_dword v108, v101, s[0:3], 0 offen
	buffer_load_dword v109, v101, s[0:3], 0 offen offset:4
	s_waitcnt vmcnt(2) lgkmcnt(0)
	v_mul_f64 v[110:111], v[3:4], v[104:105]
	v_mul_f64 v[104:105], v[1:2], v[104:105]
	s_waitcnt vmcnt(0)
	v_fma_f64 v[1:2], v[1:2], v[108:109], -v[110:111]
	v_fma_f64 v[3:4], v[3:4], v[108:109], v[104:105]
.LBB47_474:
	s_mov_b32 s6, exec_lo
	v_cmpx_ne_u32_e32 12, v0
	s_cbranch_execz .LBB47_478
; %bb.475:
	v_add_nc_u32_e32 v104, 0x310, v107
	v_add3_u32 v105, 0, v107, 16
	v_mov_b32_e32 v106, v0
	s_mov_b32 s8, 0
	.p2align	6
.LBB47_476:                             ; =>This Inner Loop Header: Depth=1
	s_clause 0x3
	buffer_load_dword v112, v105, s[0:3], 0 offen offset:8
	buffer_load_dword v113, v105, s[0:3], 0 offen offset:12
	buffer_load_dword v114, v105, s[0:3], 0 offen
	buffer_load_dword v115, v105, s[0:3], 0 offen offset:4
	ds_read_b128 v[108:111], v104
	v_add_nc_u32_e32 v106, 1, v106
	v_add_nc_u32_e32 v104, 16, v104
	;; [unrolled: 1-line block ×3, first 2 shown]
	v_cmp_lt_u32_e32 vcc_lo, 11, v106
	s_or_b32 s8, vcc_lo, s8
	s_waitcnt vmcnt(2) lgkmcnt(0)
	v_mul_f64 v[116:117], v[110:111], v[112:113]
	v_mul_f64 v[112:113], v[108:109], v[112:113]
	s_waitcnt vmcnt(0)
	v_fma_f64 v[108:109], v[108:109], v[114:115], -v[116:117]
	v_fma_f64 v[110:111], v[110:111], v[114:115], v[112:113]
	v_add_f64 v[1:2], v[1:2], v[108:109]
	v_add_f64 v[3:4], v[3:4], v[110:111]
	s_andn2_b32 exec_lo, exec_lo, s8
	s_cbranch_execnz .LBB47_476
; %bb.477:
	s_or_b32 exec_lo, exec_lo, s8
.LBB47_478:
	s_or_b32 exec_lo, exec_lo, s6
	v_mov_b32_e32 v104, 0
	ds_read_b128 v[108:111], v104 offset:208
	s_waitcnt lgkmcnt(0)
	v_mul_f64 v[104:105], v[3:4], v[110:111]
	v_mul_f64 v[110:111], v[1:2], v[110:111]
	v_fma_f64 v[1:2], v[1:2], v[108:109], -v[104:105]
	v_fma_f64 v[3:4], v[3:4], v[108:109], v[110:111]
	buffer_store_dword v2, off, s[0:3], 0 offset:212
	buffer_store_dword v1, off, s[0:3], 0 offset:208
	;; [unrolled: 1-line block ×4, first 2 shown]
.LBB47_479:
	s_or_b32 exec_lo, exec_lo, s4
	v_mov_b32_e32 v4, s42
	s_mov_b32 s4, exec_lo
	s_clause 0x3
	buffer_load_dword v1, v4, s[0:3], 0 offen
	buffer_load_dword v2, v4, s[0:3], 0 offen offset:4
	buffer_load_dword v3, v4, s[0:3], 0 offen offset:8
	;; [unrolled: 1-line block ×3, first 2 shown]
	s_waitcnt vmcnt(0)
	ds_write_b128 v102, v[1:4]
	s_waitcnt lgkmcnt(0)
	s_waitcnt_vscnt null, 0x0
	s_barrier
	buffer_gl0_inv
	v_cmpx_gt_u32_e32 14, v0
	s_cbranch_execz .LBB47_487
; %bb.480:
	ds_read_b128 v[1:4], v102
	v_cmp_ne_u32_e32 vcc_lo, 1, v103
	s_cbranch_vccnz .LBB47_482
; %bb.481:
	s_clause 0x3
	buffer_load_dword v104, v101, s[0:3], 0 offen offset:8
	buffer_load_dword v105, v101, s[0:3], 0 offen offset:12
	buffer_load_dword v108, v101, s[0:3], 0 offen
	buffer_load_dword v109, v101, s[0:3], 0 offen offset:4
	s_waitcnt vmcnt(2) lgkmcnt(0)
	v_mul_f64 v[110:111], v[3:4], v[104:105]
	v_mul_f64 v[104:105], v[1:2], v[104:105]
	s_waitcnt vmcnt(0)
	v_fma_f64 v[1:2], v[1:2], v[108:109], -v[110:111]
	v_fma_f64 v[3:4], v[3:4], v[108:109], v[104:105]
.LBB47_482:
	s_mov_b32 s6, exec_lo
	v_cmpx_ne_u32_e32 13, v0
	s_cbranch_execz .LBB47_486
; %bb.483:
	v_add_nc_u32_e32 v104, 0x310, v107
	v_add3_u32 v105, 0, v107, 16
	v_mov_b32_e32 v106, v0
	s_mov_b32 s8, 0
	.p2align	6
.LBB47_484:                             ; =>This Inner Loop Header: Depth=1
	s_clause 0x3
	buffer_load_dword v112, v105, s[0:3], 0 offen offset:8
	buffer_load_dword v113, v105, s[0:3], 0 offen offset:12
	buffer_load_dword v114, v105, s[0:3], 0 offen
	buffer_load_dword v115, v105, s[0:3], 0 offen offset:4
	ds_read_b128 v[108:111], v104
	v_add_nc_u32_e32 v106, 1, v106
	v_add_nc_u32_e32 v104, 16, v104
	;; [unrolled: 1-line block ×3, first 2 shown]
	v_cmp_lt_u32_e32 vcc_lo, 12, v106
	s_or_b32 s8, vcc_lo, s8
	s_waitcnt vmcnt(2) lgkmcnt(0)
	v_mul_f64 v[116:117], v[110:111], v[112:113]
	v_mul_f64 v[112:113], v[108:109], v[112:113]
	s_waitcnt vmcnt(0)
	v_fma_f64 v[108:109], v[108:109], v[114:115], -v[116:117]
	v_fma_f64 v[110:111], v[110:111], v[114:115], v[112:113]
	v_add_f64 v[1:2], v[1:2], v[108:109]
	v_add_f64 v[3:4], v[3:4], v[110:111]
	s_andn2_b32 exec_lo, exec_lo, s8
	s_cbranch_execnz .LBB47_484
; %bb.485:
	s_or_b32 exec_lo, exec_lo, s8
.LBB47_486:
	s_or_b32 exec_lo, exec_lo, s6
	v_mov_b32_e32 v104, 0
	ds_read_b128 v[108:111], v104 offset:224
	s_waitcnt lgkmcnt(0)
	v_mul_f64 v[104:105], v[3:4], v[110:111]
	v_mul_f64 v[110:111], v[1:2], v[110:111]
	v_fma_f64 v[1:2], v[1:2], v[108:109], -v[104:105]
	v_fma_f64 v[3:4], v[3:4], v[108:109], v[110:111]
	buffer_store_dword v2, off, s[0:3], 0 offset:228
	buffer_store_dword v1, off, s[0:3], 0 offset:224
	;; [unrolled: 1-line block ×4, first 2 shown]
.LBB47_487:
	s_or_b32 exec_lo, exec_lo, s4
	v_mov_b32_e32 v4, s41
	s_mov_b32 s4, exec_lo
	s_clause 0x3
	buffer_load_dword v1, v4, s[0:3], 0 offen
	buffer_load_dword v2, v4, s[0:3], 0 offen offset:4
	buffer_load_dword v3, v4, s[0:3], 0 offen offset:8
	;; [unrolled: 1-line block ×3, first 2 shown]
	s_waitcnt vmcnt(0)
	ds_write_b128 v102, v[1:4]
	s_waitcnt lgkmcnt(0)
	s_waitcnt_vscnt null, 0x0
	s_barrier
	buffer_gl0_inv
	v_cmpx_gt_u32_e32 15, v0
	s_cbranch_execz .LBB47_495
; %bb.488:
	ds_read_b128 v[1:4], v102
	v_cmp_ne_u32_e32 vcc_lo, 1, v103
	s_cbranch_vccnz .LBB47_490
; %bb.489:
	s_clause 0x3
	buffer_load_dword v104, v101, s[0:3], 0 offen offset:8
	buffer_load_dword v105, v101, s[0:3], 0 offen offset:12
	buffer_load_dword v108, v101, s[0:3], 0 offen
	buffer_load_dword v109, v101, s[0:3], 0 offen offset:4
	s_waitcnt vmcnt(2) lgkmcnt(0)
	v_mul_f64 v[110:111], v[3:4], v[104:105]
	v_mul_f64 v[104:105], v[1:2], v[104:105]
	s_waitcnt vmcnt(0)
	v_fma_f64 v[1:2], v[1:2], v[108:109], -v[110:111]
	v_fma_f64 v[3:4], v[3:4], v[108:109], v[104:105]
.LBB47_490:
	s_mov_b32 s6, exec_lo
	v_cmpx_ne_u32_e32 14, v0
	s_cbranch_execz .LBB47_494
; %bb.491:
	v_add_nc_u32_e32 v104, 0x310, v107
	v_add3_u32 v105, 0, v107, 16
	v_mov_b32_e32 v106, v0
	s_mov_b32 s8, 0
	.p2align	6
.LBB47_492:                             ; =>This Inner Loop Header: Depth=1
	s_clause 0x3
	buffer_load_dword v112, v105, s[0:3], 0 offen offset:8
	buffer_load_dword v113, v105, s[0:3], 0 offen offset:12
	buffer_load_dword v114, v105, s[0:3], 0 offen
	buffer_load_dword v115, v105, s[0:3], 0 offen offset:4
	ds_read_b128 v[108:111], v104
	v_add_nc_u32_e32 v106, 1, v106
	v_add_nc_u32_e32 v104, 16, v104
	;; [unrolled: 1-line block ×3, first 2 shown]
	v_cmp_lt_u32_e32 vcc_lo, 13, v106
	s_or_b32 s8, vcc_lo, s8
	s_waitcnt vmcnt(2) lgkmcnt(0)
	v_mul_f64 v[116:117], v[110:111], v[112:113]
	v_mul_f64 v[112:113], v[108:109], v[112:113]
	s_waitcnt vmcnt(0)
	v_fma_f64 v[108:109], v[108:109], v[114:115], -v[116:117]
	v_fma_f64 v[110:111], v[110:111], v[114:115], v[112:113]
	v_add_f64 v[1:2], v[1:2], v[108:109]
	v_add_f64 v[3:4], v[3:4], v[110:111]
	s_andn2_b32 exec_lo, exec_lo, s8
	s_cbranch_execnz .LBB47_492
; %bb.493:
	s_or_b32 exec_lo, exec_lo, s8
.LBB47_494:
	s_or_b32 exec_lo, exec_lo, s6
	v_mov_b32_e32 v104, 0
	ds_read_b128 v[108:111], v104 offset:240
	s_waitcnt lgkmcnt(0)
	v_mul_f64 v[104:105], v[3:4], v[110:111]
	v_mul_f64 v[110:111], v[1:2], v[110:111]
	v_fma_f64 v[1:2], v[1:2], v[108:109], -v[104:105]
	v_fma_f64 v[3:4], v[3:4], v[108:109], v[110:111]
	buffer_store_dword v2, off, s[0:3], 0 offset:244
	buffer_store_dword v1, off, s[0:3], 0 offset:240
	;; [unrolled: 1-line block ×4, first 2 shown]
.LBB47_495:
	s_or_b32 exec_lo, exec_lo, s4
	v_mov_b32_e32 v4, s40
	s_mov_b32 s4, exec_lo
	s_clause 0x3
	buffer_load_dword v1, v4, s[0:3], 0 offen
	buffer_load_dword v2, v4, s[0:3], 0 offen offset:4
	buffer_load_dword v3, v4, s[0:3], 0 offen offset:8
	;; [unrolled: 1-line block ×3, first 2 shown]
	s_waitcnt vmcnt(0)
	ds_write_b128 v102, v[1:4]
	s_waitcnt lgkmcnt(0)
	s_waitcnt_vscnt null, 0x0
	s_barrier
	buffer_gl0_inv
	v_cmpx_gt_u32_e32 16, v0
	s_cbranch_execz .LBB47_503
; %bb.496:
	ds_read_b128 v[1:4], v102
	v_cmp_ne_u32_e32 vcc_lo, 1, v103
	s_cbranch_vccnz .LBB47_498
; %bb.497:
	s_clause 0x3
	buffer_load_dword v104, v101, s[0:3], 0 offen offset:8
	buffer_load_dword v105, v101, s[0:3], 0 offen offset:12
	buffer_load_dword v108, v101, s[0:3], 0 offen
	buffer_load_dword v109, v101, s[0:3], 0 offen offset:4
	s_waitcnt vmcnt(2) lgkmcnt(0)
	v_mul_f64 v[110:111], v[3:4], v[104:105]
	v_mul_f64 v[104:105], v[1:2], v[104:105]
	s_waitcnt vmcnt(0)
	v_fma_f64 v[1:2], v[1:2], v[108:109], -v[110:111]
	v_fma_f64 v[3:4], v[3:4], v[108:109], v[104:105]
.LBB47_498:
	s_mov_b32 s6, exec_lo
	v_cmpx_ne_u32_e32 15, v0
	s_cbranch_execz .LBB47_502
; %bb.499:
	v_add_nc_u32_e32 v104, 0x310, v107
	v_add3_u32 v105, 0, v107, 16
	v_mov_b32_e32 v106, v0
	s_mov_b32 s8, 0
	.p2align	6
.LBB47_500:                             ; =>This Inner Loop Header: Depth=1
	s_clause 0x3
	buffer_load_dword v112, v105, s[0:3], 0 offen offset:8
	buffer_load_dword v113, v105, s[0:3], 0 offen offset:12
	buffer_load_dword v114, v105, s[0:3], 0 offen
	buffer_load_dword v115, v105, s[0:3], 0 offen offset:4
	ds_read_b128 v[108:111], v104
	v_add_nc_u32_e32 v106, 1, v106
	v_add_nc_u32_e32 v104, 16, v104
	v_add_nc_u32_e32 v105, 16, v105
	v_cmp_lt_u32_e32 vcc_lo, 14, v106
	s_or_b32 s8, vcc_lo, s8
	s_waitcnt vmcnt(2) lgkmcnt(0)
	v_mul_f64 v[116:117], v[110:111], v[112:113]
	v_mul_f64 v[112:113], v[108:109], v[112:113]
	s_waitcnt vmcnt(0)
	v_fma_f64 v[108:109], v[108:109], v[114:115], -v[116:117]
	v_fma_f64 v[110:111], v[110:111], v[114:115], v[112:113]
	v_add_f64 v[1:2], v[1:2], v[108:109]
	v_add_f64 v[3:4], v[3:4], v[110:111]
	s_andn2_b32 exec_lo, exec_lo, s8
	s_cbranch_execnz .LBB47_500
; %bb.501:
	s_or_b32 exec_lo, exec_lo, s8
.LBB47_502:
	s_or_b32 exec_lo, exec_lo, s6
	v_mov_b32_e32 v104, 0
	ds_read_b128 v[108:111], v104 offset:256
	s_waitcnt lgkmcnt(0)
	v_mul_f64 v[104:105], v[3:4], v[110:111]
	v_mul_f64 v[110:111], v[1:2], v[110:111]
	v_fma_f64 v[1:2], v[1:2], v[108:109], -v[104:105]
	v_fma_f64 v[3:4], v[3:4], v[108:109], v[110:111]
	buffer_store_dword v2, off, s[0:3], 0 offset:260
	buffer_store_dword v1, off, s[0:3], 0 offset:256
	;; [unrolled: 1-line block ×4, first 2 shown]
.LBB47_503:
	s_or_b32 exec_lo, exec_lo, s4
	v_mov_b32_e32 v4, s39
	s_mov_b32 s4, exec_lo
	s_clause 0x3
	buffer_load_dword v1, v4, s[0:3], 0 offen
	buffer_load_dword v2, v4, s[0:3], 0 offen offset:4
	buffer_load_dword v3, v4, s[0:3], 0 offen offset:8
	;; [unrolled: 1-line block ×3, first 2 shown]
	s_waitcnt vmcnt(0)
	ds_write_b128 v102, v[1:4]
	s_waitcnt lgkmcnt(0)
	s_waitcnt_vscnt null, 0x0
	s_barrier
	buffer_gl0_inv
	v_cmpx_gt_u32_e32 17, v0
	s_cbranch_execz .LBB47_511
; %bb.504:
	ds_read_b128 v[1:4], v102
	v_cmp_ne_u32_e32 vcc_lo, 1, v103
	s_cbranch_vccnz .LBB47_506
; %bb.505:
	s_clause 0x3
	buffer_load_dword v104, v101, s[0:3], 0 offen offset:8
	buffer_load_dword v105, v101, s[0:3], 0 offen offset:12
	buffer_load_dword v108, v101, s[0:3], 0 offen
	buffer_load_dword v109, v101, s[0:3], 0 offen offset:4
	s_waitcnt vmcnt(2) lgkmcnt(0)
	v_mul_f64 v[110:111], v[3:4], v[104:105]
	v_mul_f64 v[104:105], v[1:2], v[104:105]
	s_waitcnt vmcnt(0)
	v_fma_f64 v[1:2], v[1:2], v[108:109], -v[110:111]
	v_fma_f64 v[3:4], v[3:4], v[108:109], v[104:105]
.LBB47_506:
	s_mov_b32 s6, exec_lo
	v_cmpx_ne_u32_e32 16, v0
	s_cbranch_execz .LBB47_510
; %bb.507:
	v_add_nc_u32_e32 v104, 0x310, v107
	v_add3_u32 v105, 0, v107, 16
	v_mov_b32_e32 v106, v0
	s_mov_b32 s8, 0
	.p2align	6
.LBB47_508:                             ; =>This Inner Loop Header: Depth=1
	s_clause 0x3
	buffer_load_dword v112, v105, s[0:3], 0 offen offset:8
	buffer_load_dword v113, v105, s[0:3], 0 offen offset:12
	buffer_load_dword v114, v105, s[0:3], 0 offen
	buffer_load_dword v115, v105, s[0:3], 0 offen offset:4
	ds_read_b128 v[108:111], v104
	v_add_nc_u32_e32 v106, 1, v106
	v_add_nc_u32_e32 v104, 16, v104
	;; [unrolled: 1-line block ×3, first 2 shown]
	v_cmp_lt_u32_e32 vcc_lo, 15, v106
	s_or_b32 s8, vcc_lo, s8
	s_waitcnt vmcnt(2) lgkmcnt(0)
	v_mul_f64 v[116:117], v[110:111], v[112:113]
	v_mul_f64 v[112:113], v[108:109], v[112:113]
	s_waitcnt vmcnt(0)
	v_fma_f64 v[108:109], v[108:109], v[114:115], -v[116:117]
	v_fma_f64 v[110:111], v[110:111], v[114:115], v[112:113]
	v_add_f64 v[1:2], v[1:2], v[108:109]
	v_add_f64 v[3:4], v[3:4], v[110:111]
	s_andn2_b32 exec_lo, exec_lo, s8
	s_cbranch_execnz .LBB47_508
; %bb.509:
	s_or_b32 exec_lo, exec_lo, s8
.LBB47_510:
	s_or_b32 exec_lo, exec_lo, s6
	v_mov_b32_e32 v104, 0
	ds_read_b128 v[108:111], v104 offset:272
	s_waitcnt lgkmcnt(0)
	v_mul_f64 v[104:105], v[3:4], v[110:111]
	v_mul_f64 v[110:111], v[1:2], v[110:111]
	v_fma_f64 v[1:2], v[1:2], v[108:109], -v[104:105]
	v_fma_f64 v[3:4], v[3:4], v[108:109], v[110:111]
	buffer_store_dword v2, off, s[0:3], 0 offset:276
	buffer_store_dword v1, off, s[0:3], 0 offset:272
	;; [unrolled: 1-line block ×4, first 2 shown]
.LBB47_511:
	s_or_b32 exec_lo, exec_lo, s4
	v_mov_b32_e32 v4, s38
	s_mov_b32 s4, exec_lo
	s_clause 0x3
	buffer_load_dword v1, v4, s[0:3], 0 offen
	buffer_load_dword v2, v4, s[0:3], 0 offen offset:4
	buffer_load_dword v3, v4, s[0:3], 0 offen offset:8
	;; [unrolled: 1-line block ×3, first 2 shown]
	s_waitcnt vmcnt(0)
	ds_write_b128 v102, v[1:4]
	s_waitcnt lgkmcnt(0)
	s_waitcnt_vscnt null, 0x0
	s_barrier
	buffer_gl0_inv
	v_cmpx_gt_u32_e32 18, v0
	s_cbranch_execz .LBB47_519
; %bb.512:
	ds_read_b128 v[1:4], v102
	v_cmp_ne_u32_e32 vcc_lo, 1, v103
	s_cbranch_vccnz .LBB47_514
; %bb.513:
	s_clause 0x3
	buffer_load_dword v104, v101, s[0:3], 0 offen offset:8
	buffer_load_dword v105, v101, s[0:3], 0 offen offset:12
	buffer_load_dword v108, v101, s[0:3], 0 offen
	buffer_load_dword v109, v101, s[0:3], 0 offen offset:4
	s_waitcnt vmcnt(2) lgkmcnt(0)
	v_mul_f64 v[110:111], v[3:4], v[104:105]
	v_mul_f64 v[104:105], v[1:2], v[104:105]
	s_waitcnt vmcnt(0)
	v_fma_f64 v[1:2], v[1:2], v[108:109], -v[110:111]
	v_fma_f64 v[3:4], v[3:4], v[108:109], v[104:105]
.LBB47_514:
	s_mov_b32 s6, exec_lo
	v_cmpx_ne_u32_e32 17, v0
	s_cbranch_execz .LBB47_518
; %bb.515:
	v_add_nc_u32_e32 v104, 0x310, v107
	v_add3_u32 v105, 0, v107, 16
	v_mov_b32_e32 v106, v0
	s_mov_b32 s8, 0
	.p2align	6
.LBB47_516:                             ; =>This Inner Loop Header: Depth=1
	s_clause 0x3
	buffer_load_dword v112, v105, s[0:3], 0 offen offset:8
	buffer_load_dword v113, v105, s[0:3], 0 offen offset:12
	buffer_load_dword v114, v105, s[0:3], 0 offen
	buffer_load_dword v115, v105, s[0:3], 0 offen offset:4
	ds_read_b128 v[108:111], v104
	v_add_nc_u32_e32 v106, 1, v106
	v_add_nc_u32_e32 v104, 16, v104
	;; [unrolled: 1-line block ×3, first 2 shown]
	v_cmp_lt_u32_e32 vcc_lo, 16, v106
	s_or_b32 s8, vcc_lo, s8
	s_waitcnt vmcnt(2) lgkmcnt(0)
	v_mul_f64 v[116:117], v[110:111], v[112:113]
	v_mul_f64 v[112:113], v[108:109], v[112:113]
	s_waitcnt vmcnt(0)
	v_fma_f64 v[108:109], v[108:109], v[114:115], -v[116:117]
	v_fma_f64 v[110:111], v[110:111], v[114:115], v[112:113]
	v_add_f64 v[1:2], v[1:2], v[108:109]
	v_add_f64 v[3:4], v[3:4], v[110:111]
	s_andn2_b32 exec_lo, exec_lo, s8
	s_cbranch_execnz .LBB47_516
; %bb.517:
	s_or_b32 exec_lo, exec_lo, s8
.LBB47_518:
	s_or_b32 exec_lo, exec_lo, s6
	v_mov_b32_e32 v104, 0
	ds_read_b128 v[108:111], v104 offset:288
	s_waitcnt lgkmcnt(0)
	v_mul_f64 v[104:105], v[3:4], v[110:111]
	v_mul_f64 v[110:111], v[1:2], v[110:111]
	v_fma_f64 v[1:2], v[1:2], v[108:109], -v[104:105]
	v_fma_f64 v[3:4], v[3:4], v[108:109], v[110:111]
	buffer_store_dword v2, off, s[0:3], 0 offset:292
	buffer_store_dword v1, off, s[0:3], 0 offset:288
	;; [unrolled: 1-line block ×4, first 2 shown]
.LBB47_519:
	s_or_b32 exec_lo, exec_lo, s4
	v_mov_b32_e32 v4, s37
	s_mov_b32 s4, exec_lo
	s_clause 0x3
	buffer_load_dword v1, v4, s[0:3], 0 offen
	buffer_load_dword v2, v4, s[0:3], 0 offen offset:4
	buffer_load_dword v3, v4, s[0:3], 0 offen offset:8
	;; [unrolled: 1-line block ×3, first 2 shown]
	s_waitcnt vmcnt(0)
	ds_write_b128 v102, v[1:4]
	s_waitcnt lgkmcnt(0)
	s_waitcnt_vscnt null, 0x0
	s_barrier
	buffer_gl0_inv
	v_cmpx_gt_u32_e32 19, v0
	s_cbranch_execz .LBB47_527
; %bb.520:
	ds_read_b128 v[1:4], v102
	v_cmp_ne_u32_e32 vcc_lo, 1, v103
	s_cbranch_vccnz .LBB47_522
; %bb.521:
	s_clause 0x3
	buffer_load_dword v104, v101, s[0:3], 0 offen offset:8
	buffer_load_dword v105, v101, s[0:3], 0 offen offset:12
	buffer_load_dword v108, v101, s[0:3], 0 offen
	buffer_load_dword v109, v101, s[0:3], 0 offen offset:4
	s_waitcnt vmcnt(2) lgkmcnt(0)
	v_mul_f64 v[110:111], v[3:4], v[104:105]
	v_mul_f64 v[104:105], v[1:2], v[104:105]
	s_waitcnt vmcnt(0)
	v_fma_f64 v[1:2], v[1:2], v[108:109], -v[110:111]
	v_fma_f64 v[3:4], v[3:4], v[108:109], v[104:105]
.LBB47_522:
	s_mov_b32 s6, exec_lo
	v_cmpx_ne_u32_e32 18, v0
	s_cbranch_execz .LBB47_526
; %bb.523:
	v_add_nc_u32_e32 v104, 0x310, v107
	v_add3_u32 v105, 0, v107, 16
	v_mov_b32_e32 v106, v0
	s_mov_b32 s8, 0
	.p2align	6
.LBB47_524:                             ; =>This Inner Loop Header: Depth=1
	s_clause 0x3
	buffer_load_dword v112, v105, s[0:3], 0 offen offset:8
	buffer_load_dword v113, v105, s[0:3], 0 offen offset:12
	buffer_load_dword v114, v105, s[0:3], 0 offen
	buffer_load_dword v115, v105, s[0:3], 0 offen offset:4
	ds_read_b128 v[108:111], v104
	v_add_nc_u32_e32 v106, 1, v106
	v_add_nc_u32_e32 v104, 16, v104
	;; [unrolled: 1-line block ×3, first 2 shown]
	v_cmp_lt_u32_e32 vcc_lo, 17, v106
	s_or_b32 s8, vcc_lo, s8
	s_waitcnt vmcnt(2) lgkmcnt(0)
	v_mul_f64 v[116:117], v[110:111], v[112:113]
	v_mul_f64 v[112:113], v[108:109], v[112:113]
	s_waitcnt vmcnt(0)
	v_fma_f64 v[108:109], v[108:109], v[114:115], -v[116:117]
	v_fma_f64 v[110:111], v[110:111], v[114:115], v[112:113]
	v_add_f64 v[1:2], v[1:2], v[108:109]
	v_add_f64 v[3:4], v[3:4], v[110:111]
	s_andn2_b32 exec_lo, exec_lo, s8
	s_cbranch_execnz .LBB47_524
; %bb.525:
	s_or_b32 exec_lo, exec_lo, s8
.LBB47_526:
	s_or_b32 exec_lo, exec_lo, s6
	v_mov_b32_e32 v104, 0
	ds_read_b128 v[108:111], v104 offset:304
	s_waitcnt lgkmcnt(0)
	v_mul_f64 v[104:105], v[3:4], v[110:111]
	v_mul_f64 v[110:111], v[1:2], v[110:111]
	v_fma_f64 v[1:2], v[1:2], v[108:109], -v[104:105]
	v_fma_f64 v[3:4], v[3:4], v[108:109], v[110:111]
	buffer_store_dword v2, off, s[0:3], 0 offset:308
	buffer_store_dword v1, off, s[0:3], 0 offset:304
	;; [unrolled: 1-line block ×4, first 2 shown]
.LBB47_527:
	s_or_b32 exec_lo, exec_lo, s4
	v_mov_b32_e32 v4, s36
	s_mov_b32 s4, exec_lo
	s_clause 0x3
	buffer_load_dword v1, v4, s[0:3], 0 offen
	buffer_load_dword v2, v4, s[0:3], 0 offen offset:4
	buffer_load_dword v3, v4, s[0:3], 0 offen offset:8
	;; [unrolled: 1-line block ×3, first 2 shown]
	s_waitcnt vmcnt(0)
	ds_write_b128 v102, v[1:4]
	s_waitcnt lgkmcnt(0)
	s_waitcnt_vscnt null, 0x0
	s_barrier
	buffer_gl0_inv
	v_cmpx_gt_u32_e32 20, v0
	s_cbranch_execz .LBB47_535
; %bb.528:
	ds_read_b128 v[1:4], v102
	v_cmp_ne_u32_e32 vcc_lo, 1, v103
	s_cbranch_vccnz .LBB47_530
; %bb.529:
	s_clause 0x3
	buffer_load_dword v104, v101, s[0:3], 0 offen offset:8
	buffer_load_dword v105, v101, s[0:3], 0 offen offset:12
	buffer_load_dword v108, v101, s[0:3], 0 offen
	buffer_load_dword v109, v101, s[0:3], 0 offen offset:4
	s_waitcnt vmcnt(2) lgkmcnt(0)
	v_mul_f64 v[110:111], v[3:4], v[104:105]
	v_mul_f64 v[104:105], v[1:2], v[104:105]
	s_waitcnt vmcnt(0)
	v_fma_f64 v[1:2], v[1:2], v[108:109], -v[110:111]
	v_fma_f64 v[3:4], v[3:4], v[108:109], v[104:105]
.LBB47_530:
	s_mov_b32 s6, exec_lo
	v_cmpx_ne_u32_e32 19, v0
	s_cbranch_execz .LBB47_534
; %bb.531:
	v_add_nc_u32_e32 v104, 0x310, v107
	v_add3_u32 v105, 0, v107, 16
	v_mov_b32_e32 v106, v0
	s_mov_b32 s8, 0
	.p2align	6
.LBB47_532:                             ; =>This Inner Loop Header: Depth=1
	s_clause 0x3
	buffer_load_dword v112, v105, s[0:3], 0 offen offset:8
	buffer_load_dword v113, v105, s[0:3], 0 offen offset:12
	buffer_load_dword v114, v105, s[0:3], 0 offen
	buffer_load_dword v115, v105, s[0:3], 0 offen offset:4
	ds_read_b128 v[108:111], v104
	v_add_nc_u32_e32 v106, 1, v106
	v_add_nc_u32_e32 v104, 16, v104
	;; [unrolled: 1-line block ×3, first 2 shown]
	v_cmp_lt_u32_e32 vcc_lo, 18, v106
	s_or_b32 s8, vcc_lo, s8
	s_waitcnt vmcnt(2) lgkmcnt(0)
	v_mul_f64 v[116:117], v[110:111], v[112:113]
	v_mul_f64 v[112:113], v[108:109], v[112:113]
	s_waitcnt vmcnt(0)
	v_fma_f64 v[108:109], v[108:109], v[114:115], -v[116:117]
	v_fma_f64 v[110:111], v[110:111], v[114:115], v[112:113]
	v_add_f64 v[1:2], v[1:2], v[108:109]
	v_add_f64 v[3:4], v[3:4], v[110:111]
	s_andn2_b32 exec_lo, exec_lo, s8
	s_cbranch_execnz .LBB47_532
; %bb.533:
	s_or_b32 exec_lo, exec_lo, s8
.LBB47_534:
	s_or_b32 exec_lo, exec_lo, s6
	v_mov_b32_e32 v104, 0
	ds_read_b128 v[108:111], v104 offset:320
	s_waitcnt lgkmcnt(0)
	v_mul_f64 v[104:105], v[3:4], v[110:111]
	v_mul_f64 v[110:111], v[1:2], v[110:111]
	v_fma_f64 v[1:2], v[1:2], v[108:109], -v[104:105]
	v_fma_f64 v[3:4], v[3:4], v[108:109], v[110:111]
	buffer_store_dword v2, off, s[0:3], 0 offset:324
	buffer_store_dword v1, off, s[0:3], 0 offset:320
	;; [unrolled: 1-line block ×4, first 2 shown]
.LBB47_535:
	s_or_b32 exec_lo, exec_lo, s4
	v_mov_b32_e32 v4, s35
	s_mov_b32 s4, exec_lo
	s_clause 0x3
	buffer_load_dword v1, v4, s[0:3], 0 offen
	buffer_load_dword v2, v4, s[0:3], 0 offen offset:4
	buffer_load_dword v3, v4, s[0:3], 0 offen offset:8
	;; [unrolled: 1-line block ×3, first 2 shown]
	s_waitcnt vmcnt(0)
	ds_write_b128 v102, v[1:4]
	s_waitcnt lgkmcnt(0)
	s_waitcnt_vscnt null, 0x0
	s_barrier
	buffer_gl0_inv
	v_cmpx_gt_u32_e32 21, v0
	s_cbranch_execz .LBB47_543
; %bb.536:
	ds_read_b128 v[1:4], v102
	v_cmp_ne_u32_e32 vcc_lo, 1, v103
	s_cbranch_vccnz .LBB47_538
; %bb.537:
	s_clause 0x3
	buffer_load_dword v104, v101, s[0:3], 0 offen offset:8
	buffer_load_dword v105, v101, s[0:3], 0 offen offset:12
	buffer_load_dword v108, v101, s[0:3], 0 offen
	buffer_load_dword v109, v101, s[0:3], 0 offen offset:4
	s_waitcnt vmcnt(2) lgkmcnt(0)
	v_mul_f64 v[110:111], v[3:4], v[104:105]
	v_mul_f64 v[104:105], v[1:2], v[104:105]
	s_waitcnt vmcnt(0)
	v_fma_f64 v[1:2], v[1:2], v[108:109], -v[110:111]
	v_fma_f64 v[3:4], v[3:4], v[108:109], v[104:105]
.LBB47_538:
	s_mov_b32 s6, exec_lo
	v_cmpx_ne_u32_e32 20, v0
	s_cbranch_execz .LBB47_542
; %bb.539:
	v_add_nc_u32_e32 v104, 0x310, v107
	v_add3_u32 v105, 0, v107, 16
	v_mov_b32_e32 v106, v0
	s_mov_b32 s8, 0
	.p2align	6
.LBB47_540:                             ; =>This Inner Loop Header: Depth=1
	s_clause 0x3
	buffer_load_dword v112, v105, s[0:3], 0 offen offset:8
	buffer_load_dword v113, v105, s[0:3], 0 offen offset:12
	buffer_load_dword v114, v105, s[0:3], 0 offen
	buffer_load_dword v115, v105, s[0:3], 0 offen offset:4
	ds_read_b128 v[108:111], v104
	v_add_nc_u32_e32 v106, 1, v106
	v_add_nc_u32_e32 v104, 16, v104
	;; [unrolled: 1-line block ×3, first 2 shown]
	v_cmp_lt_u32_e32 vcc_lo, 19, v106
	s_or_b32 s8, vcc_lo, s8
	s_waitcnt vmcnt(2) lgkmcnt(0)
	v_mul_f64 v[116:117], v[110:111], v[112:113]
	v_mul_f64 v[112:113], v[108:109], v[112:113]
	s_waitcnt vmcnt(0)
	v_fma_f64 v[108:109], v[108:109], v[114:115], -v[116:117]
	v_fma_f64 v[110:111], v[110:111], v[114:115], v[112:113]
	v_add_f64 v[1:2], v[1:2], v[108:109]
	v_add_f64 v[3:4], v[3:4], v[110:111]
	s_andn2_b32 exec_lo, exec_lo, s8
	s_cbranch_execnz .LBB47_540
; %bb.541:
	s_or_b32 exec_lo, exec_lo, s8
.LBB47_542:
	s_or_b32 exec_lo, exec_lo, s6
	v_mov_b32_e32 v104, 0
	ds_read_b128 v[108:111], v104 offset:336
	s_waitcnt lgkmcnt(0)
	v_mul_f64 v[104:105], v[3:4], v[110:111]
	v_mul_f64 v[110:111], v[1:2], v[110:111]
	v_fma_f64 v[1:2], v[1:2], v[108:109], -v[104:105]
	v_fma_f64 v[3:4], v[3:4], v[108:109], v[110:111]
	buffer_store_dword v2, off, s[0:3], 0 offset:340
	buffer_store_dword v1, off, s[0:3], 0 offset:336
	;; [unrolled: 1-line block ×4, first 2 shown]
.LBB47_543:
	s_or_b32 exec_lo, exec_lo, s4
	v_mov_b32_e32 v4, s34
	s_mov_b32 s4, exec_lo
	s_clause 0x3
	buffer_load_dword v1, v4, s[0:3], 0 offen
	buffer_load_dword v2, v4, s[0:3], 0 offen offset:4
	buffer_load_dword v3, v4, s[0:3], 0 offen offset:8
	;; [unrolled: 1-line block ×3, first 2 shown]
	s_waitcnt vmcnt(0)
	ds_write_b128 v102, v[1:4]
	s_waitcnt lgkmcnt(0)
	s_waitcnt_vscnt null, 0x0
	s_barrier
	buffer_gl0_inv
	v_cmpx_gt_u32_e32 22, v0
	s_cbranch_execz .LBB47_551
; %bb.544:
	ds_read_b128 v[1:4], v102
	v_cmp_ne_u32_e32 vcc_lo, 1, v103
	s_cbranch_vccnz .LBB47_546
; %bb.545:
	s_clause 0x3
	buffer_load_dword v104, v101, s[0:3], 0 offen offset:8
	buffer_load_dword v105, v101, s[0:3], 0 offen offset:12
	buffer_load_dword v108, v101, s[0:3], 0 offen
	buffer_load_dword v109, v101, s[0:3], 0 offen offset:4
	s_waitcnt vmcnt(2) lgkmcnt(0)
	v_mul_f64 v[110:111], v[3:4], v[104:105]
	v_mul_f64 v[104:105], v[1:2], v[104:105]
	s_waitcnt vmcnt(0)
	v_fma_f64 v[1:2], v[1:2], v[108:109], -v[110:111]
	v_fma_f64 v[3:4], v[3:4], v[108:109], v[104:105]
.LBB47_546:
	s_mov_b32 s6, exec_lo
	v_cmpx_ne_u32_e32 21, v0
	s_cbranch_execz .LBB47_550
; %bb.547:
	v_add_nc_u32_e32 v104, 0x310, v107
	v_add3_u32 v105, 0, v107, 16
	v_mov_b32_e32 v106, v0
	s_mov_b32 s8, 0
	.p2align	6
.LBB47_548:                             ; =>This Inner Loop Header: Depth=1
	s_clause 0x3
	buffer_load_dword v112, v105, s[0:3], 0 offen offset:8
	buffer_load_dword v113, v105, s[0:3], 0 offen offset:12
	buffer_load_dword v114, v105, s[0:3], 0 offen
	buffer_load_dword v115, v105, s[0:3], 0 offen offset:4
	ds_read_b128 v[108:111], v104
	v_add_nc_u32_e32 v106, 1, v106
	v_add_nc_u32_e32 v104, 16, v104
	;; [unrolled: 1-line block ×3, first 2 shown]
	v_cmp_lt_u32_e32 vcc_lo, 20, v106
	s_or_b32 s8, vcc_lo, s8
	s_waitcnt vmcnt(2) lgkmcnt(0)
	v_mul_f64 v[116:117], v[110:111], v[112:113]
	v_mul_f64 v[112:113], v[108:109], v[112:113]
	s_waitcnt vmcnt(0)
	v_fma_f64 v[108:109], v[108:109], v[114:115], -v[116:117]
	v_fma_f64 v[110:111], v[110:111], v[114:115], v[112:113]
	v_add_f64 v[1:2], v[1:2], v[108:109]
	v_add_f64 v[3:4], v[3:4], v[110:111]
	s_andn2_b32 exec_lo, exec_lo, s8
	s_cbranch_execnz .LBB47_548
; %bb.549:
	s_or_b32 exec_lo, exec_lo, s8
.LBB47_550:
	s_or_b32 exec_lo, exec_lo, s6
	v_mov_b32_e32 v104, 0
	ds_read_b128 v[108:111], v104 offset:352
	s_waitcnt lgkmcnt(0)
	v_mul_f64 v[104:105], v[3:4], v[110:111]
	v_mul_f64 v[110:111], v[1:2], v[110:111]
	v_fma_f64 v[1:2], v[1:2], v[108:109], -v[104:105]
	v_fma_f64 v[3:4], v[3:4], v[108:109], v[110:111]
	buffer_store_dword v2, off, s[0:3], 0 offset:356
	buffer_store_dword v1, off, s[0:3], 0 offset:352
	;; [unrolled: 1-line block ×4, first 2 shown]
.LBB47_551:
	s_or_b32 exec_lo, exec_lo, s4
	v_mov_b32_e32 v4, s33
	s_mov_b32 s4, exec_lo
	s_clause 0x3
	buffer_load_dword v1, v4, s[0:3], 0 offen
	buffer_load_dword v2, v4, s[0:3], 0 offen offset:4
	buffer_load_dword v3, v4, s[0:3], 0 offen offset:8
	;; [unrolled: 1-line block ×3, first 2 shown]
	s_waitcnt vmcnt(0)
	ds_write_b128 v102, v[1:4]
	s_waitcnt lgkmcnt(0)
	s_waitcnt_vscnt null, 0x0
	s_barrier
	buffer_gl0_inv
	v_cmpx_gt_u32_e32 23, v0
	s_cbranch_execz .LBB47_559
; %bb.552:
	ds_read_b128 v[1:4], v102
	v_cmp_ne_u32_e32 vcc_lo, 1, v103
	s_cbranch_vccnz .LBB47_554
; %bb.553:
	s_clause 0x3
	buffer_load_dword v104, v101, s[0:3], 0 offen offset:8
	buffer_load_dword v105, v101, s[0:3], 0 offen offset:12
	buffer_load_dword v108, v101, s[0:3], 0 offen
	buffer_load_dword v109, v101, s[0:3], 0 offen offset:4
	s_waitcnt vmcnt(2) lgkmcnt(0)
	v_mul_f64 v[110:111], v[3:4], v[104:105]
	v_mul_f64 v[104:105], v[1:2], v[104:105]
	s_waitcnt vmcnt(0)
	v_fma_f64 v[1:2], v[1:2], v[108:109], -v[110:111]
	v_fma_f64 v[3:4], v[3:4], v[108:109], v[104:105]
.LBB47_554:
	s_mov_b32 s6, exec_lo
	v_cmpx_ne_u32_e32 22, v0
	s_cbranch_execz .LBB47_558
; %bb.555:
	v_add_nc_u32_e32 v104, 0x310, v107
	v_add3_u32 v105, 0, v107, 16
	v_mov_b32_e32 v106, v0
	s_mov_b32 s8, 0
	.p2align	6
.LBB47_556:                             ; =>This Inner Loop Header: Depth=1
	s_clause 0x3
	buffer_load_dword v112, v105, s[0:3], 0 offen offset:8
	buffer_load_dword v113, v105, s[0:3], 0 offen offset:12
	buffer_load_dword v114, v105, s[0:3], 0 offen
	buffer_load_dword v115, v105, s[0:3], 0 offen offset:4
	ds_read_b128 v[108:111], v104
	v_add_nc_u32_e32 v106, 1, v106
	v_add_nc_u32_e32 v104, 16, v104
	;; [unrolled: 1-line block ×3, first 2 shown]
	v_cmp_lt_u32_e32 vcc_lo, 21, v106
	s_or_b32 s8, vcc_lo, s8
	s_waitcnt vmcnt(2) lgkmcnt(0)
	v_mul_f64 v[116:117], v[110:111], v[112:113]
	v_mul_f64 v[112:113], v[108:109], v[112:113]
	s_waitcnt vmcnt(0)
	v_fma_f64 v[108:109], v[108:109], v[114:115], -v[116:117]
	v_fma_f64 v[110:111], v[110:111], v[114:115], v[112:113]
	v_add_f64 v[1:2], v[1:2], v[108:109]
	v_add_f64 v[3:4], v[3:4], v[110:111]
	s_andn2_b32 exec_lo, exec_lo, s8
	s_cbranch_execnz .LBB47_556
; %bb.557:
	s_or_b32 exec_lo, exec_lo, s8
.LBB47_558:
	s_or_b32 exec_lo, exec_lo, s6
	v_mov_b32_e32 v104, 0
	ds_read_b128 v[108:111], v104 offset:368
	s_waitcnt lgkmcnt(0)
	v_mul_f64 v[104:105], v[3:4], v[110:111]
	v_mul_f64 v[110:111], v[1:2], v[110:111]
	v_fma_f64 v[1:2], v[1:2], v[108:109], -v[104:105]
	v_fma_f64 v[3:4], v[3:4], v[108:109], v[110:111]
	buffer_store_dword v2, off, s[0:3], 0 offset:372
	buffer_store_dword v1, off, s[0:3], 0 offset:368
	;; [unrolled: 1-line block ×4, first 2 shown]
.LBB47_559:
	s_or_b32 exec_lo, exec_lo, s4
	v_mov_b32_e32 v4, s31
	s_mov_b32 s4, exec_lo
	s_clause 0x3
	buffer_load_dword v1, v4, s[0:3], 0 offen
	buffer_load_dword v2, v4, s[0:3], 0 offen offset:4
	buffer_load_dword v3, v4, s[0:3], 0 offen offset:8
	;; [unrolled: 1-line block ×3, first 2 shown]
	s_waitcnt vmcnt(0)
	ds_write_b128 v102, v[1:4]
	s_waitcnt lgkmcnt(0)
	s_waitcnt_vscnt null, 0x0
	s_barrier
	buffer_gl0_inv
	v_cmpx_gt_u32_e32 24, v0
	s_cbranch_execz .LBB47_567
; %bb.560:
	ds_read_b128 v[1:4], v102
	v_cmp_ne_u32_e32 vcc_lo, 1, v103
	s_cbranch_vccnz .LBB47_562
; %bb.561:
	s_clause 0x3
	buffer_load_dword v104, v101, s[0:3], 0 offen offset:8
	buffer_load_dword v105, v101, s[0:3], 0 offen offset:12
	buffer_load_dword v108, v101, s[0:3], 0 offen
	buffer_load_dword v109, v101, s[0:3], 0 offen offset:4
	s_waitcnt vmcnt(2) lgkmcnt(0)
	v_mul_f64 v[110:111], v[3:4], v[104:105]
	v_mul_f64 v[104:105], v[1:2], v[104:105]
	s_waitcnt vmcnt(0)
	v_fma_f64 v[1:2], v[1:2], v[108:109], -v[110:111]
	v_fma_f64 v[3:4], v[3:4], v[108:109], v[104:105]
.LBB47_562:
	s_mov_b32 s6, exec_lo
	v_cmpx_ne_u32_e32 23, v0
	s_cbranch_execz .LBB47_566
; %bb.563:
	v_add_nc_u32_e32 v104, 0x310, v107
	v_add3_u32 v105, 0, v107, 16
	v_mov_b32_e32 v106, v0
	s_mov_b32 s8, 0
	.p2align	6
.LBB47_564:                             ; =>This Inner Loop Header: Depth=1
	s_clause 0x3
	buffer_load_dword v112, v105, s[0:3], 0 offen offset:8
	buffer_load_dword v113, v105, s[0:3], 0 offen offset:12
	buffer_load_dword v114, v105, s[0:3], 0 offen
	buffer_load_dword v115, v105, s[0:3], 0 offen offset:4
	ds_read_b128 v[108:111], v104
	v_add_nc_u32_e32 v106, 1, v106
	v_add_nc_u32_e32 v104, 16, v104
	;; [unrolled: 1-line block ×3, first 2 shown]
	v_cmp_lt_u32_e32 vcc_lo, 22, v106
	s_or_b32 s8, vcc_lo, s8
	s_waitcnt vmcnt(2) lgkmcnt(0)
	v_mul_f64 v[116:117], v[110:111], v[112:113]
	v_mul_f64 v[112:113], v[108:109], v[112:113]
	s_waitcnt vmcnt(0)
	v_fma_f64 v[108:109], v[108:109], v[114:115], -v[116:117]
	v_fma_f64 v[110:111], v[110:111], v[114:115], v[112:113]
	v_add_f64 v[1:2], v[1:2], v[108:109]
	v_add_f64 v[3:4], v[3:4], v[110:111]
	s_andn2_b32 exec_lo, exec_lo, s8
	s_cbranch_execnz .LBB47_564
; %bb.565:
	s_or_b32 exec_lo, exec_lo, s8
.LBB47_566:
	s_or_b32 exec_lo, exec_lo, s6
	v_mov_b32_e32 v104, 0
	ds_read_b128 v[108:111], v104 offset:384
	s_waitcnt lgkmcnt(0)
	v_mul_f64 v[104:105], v[3:4], v[110:111]
	v_mul_f64 v[110:111], v[1:2], v[110:111]
	v_fma_f64 v[1:2], v[1:2], v[108:109], -v[104:105]
	v_fma_f64 v[3:4], v[3:4], v[108:109], v[110:111]
	buffer_store_dword v2, off, s[0:3], 0 offset:388
	buffer_store_dword v1, off, s[0:3], 0 offset:384
	;; [unrolled: 1-line block ×4, first 2 shown]
.LBB47_567:
	s_or_b32 exec_lo, exec_lo, s4
	v_mov_b32_e32 v4, s30
	s_mov_b32 s4, exec_lo
	s_clause 0x3
	buffer_load_dword v1, v4, s[0:3], 0 offen
	buffer_load_dword v2, v4, s[0:3], 0 offen offset:4
	buffer_load_dword v3, v4, s[0:3], 0 offen offset:8
	;; [unrolled: 1-line block ×3, first 2 shown]
	s_waitcnt vmcnt(0)
	ds_write_b128 v102, v[1:4]
	s_waitcnt lgkmcnt(0)
	s_waitcnt_vscnt null, 0x0
	s_barrier
	buffer_gl0_inv
	v_cmpx_gt_u32_e32 25, v0
	s_cbranch_execz .LBB47_575
; %bb.568:
	ds_read_b128 v[1:4], v102
	v_cmp_ne_u32_e32 vcc_lo, 1, v103
	s_cbranch_vccnz .LBB47_570
; %bb.569:
	s_clause 0x3
	buffer_load_dword v104, v101, s[0:3], 0 offen offset:8
	buffer_load_dword v105, v101, s[0:3], 0 offen offset:12
	buffer_load_dword v108, v101, s[0:3], 0 offen
	buffer_load_dword v109, v101, s[0:3], 0 offen offset:4
	s_waitcnt vmcnt(2) lgkmcnt(0)
	v_mul_f64 v[110:111], v[3:4], v[104:105]
	v_mul_f64 v[104:105], v[1:2], v[104:105]
	s_waitcnt vmcnt(0)
	v_fma_f64 v[1:2], v[1:2], v[108:109], -v[110:111]
	v_fma_f64 v[3:4], v[3:4], v[108:109], v[104:105]
.LBB47_570:
	s_mov_b32 s6, exec_lo
	v_cmpx_ne_u32_e32 24, v0
	s_cbranch_execz .LBB47_574
; %bb.571:
	v_add_nc_u32_e32 v104, 0x310, v107
	v_add3_u32 v105, 0, v107, 16
	v_mov_b32_e32 v106, v0
	s_mov_b32 s8, 0
	.p2align	6
.LBB47_572:                             ; =>This Inner Loop Header: Depth=1
	s_clause 0x3
	buffer_load_dword v112, v105, s[0:3], 0 offen offset:8
	buffer_load_dword v113, v105, s[0:3], 0 offen offset:12
	buffer_load_dword v114, v105, s[0:3], 0 offen
	buffer_load_dword v115, v105, s[0:3], 0 offen offset:4
	ds_read_b128 v[108:111], v104
	v_add_nc_u32_e32 v106, 1, v106
	v_add_nc_u32_e32 v104, 16, v104
	;; [unrolled: 1-line block ×3, first 2 shown]
	v_cmp_lt_u32_e32 vcc_lo, 23, v106
	s_or_b32 s8, vcc_lo, s8
	s_waitcnt vmcnt(2) lgkmcnt(0)
	v_mul_f64 v[116:117], v[110:111], v[112:113]
	v_mul_f64 v[112:113], v[108:109], v[112:113]
	s_waitcnt vmcnt(0)
	v_fma_f64 v[108:109], v[108:109], v[114:115], -v[116:117]
	v_fma_f64 v[110:111], v[110:111], v[114:115], v[112:113]
	v_add_f64 v[1:2], v[1:2], v[108:109]
	v_add_f64 v[3:4], v[3:4], v[110:111]
	s_andn2_b32 exec_lo, exec_lo, s8
	s_cbranch_execnz .LBB47_572
; %bb.573:
	s_or_b32 exec_lo, exec_lo, s8
.LBB47_574:
	s_or_b32 exec_lo, exec_lo, s6
	v_mov_b32_e32 v104, 0
	ds_read_b128 v[108:111], v104 offset:400
	s_waitcnt lgkmcnt(0)
	v_mul_f64 v[104:105], v[3:4], v[110:111]
	v_mul_f64 v[110:111], v[1:2], v[110:111]
	v_fma_f64 v[1:2], v[1:2], v[108:109], -v[104:105]
	v_fma_f64 v[3:4], v[3:4], v[108:109], v[110:111]
	buffer_store_dword v2, off, s[0:3], 0 offset:404
	buffer_store_dword v1, off, s[0:3], 0 offset:400
	buffer_store_dword v4, off, s[0:3], 0 offset:412
	buffer_store_dword v3, off, s[0:3], 0 offset:408
.LBB47_575:
	s_or_b32 exec_lo, exec_lo, s4
	v_mov_b32_e32 v4, s29
	s_mov_b32 s4, exec_lo
	s_clause 0x3
	buffer_load_dword v1, v4, s[0:3], 0 offen
	buffer_load_dword v2, v4, s[0:3], 0 offen offset:4
	buffer_load_dword v3, v4, s[0:3], 0 offen offset:8
	;; [unrolled: 1-line block ×3, first 2 shown]
	s_waitcnt vmcnt(0)
	ds_write_b128 v102, v[1:4]
	s_waitcnt lgkmcnt(0)
	s_waitcnt_vscnt null, 0x0
	s_barrier
	buffer_gl0_inv
	v_cmpx_gt_u32_e32 26, v0
	s_cbranch_execz .LBB47_583
; %bb.576:
	ds_read_b128 v[1:4], v102
	v_cmp_ne_u32_e32 vcc_lo, 1, v103
	s_cbranch_vccnz .LBB47_578
; %bb.577:
	s_clause 0x3
	buffer_load_dword v104, v101, s[0:3], 0 offen offset:8
	buffer_load_dword v105, v101, s[0:3], 0 offen offset:12
	buffer_load_dword v108, v101, s[0:3], 0 offen
	buffer_load_dword v109, v101, s[0:3], 0 offen offset:4
	s_waitcnt vmcnt(2) lgkmcnt(0)
	v_mul_f64 v[110:111], v[3:4], v[104:105]
	v_mul_f64 v[104:105], v[1:2], v[104:105]
	s_waitcnt vmcnt(0)
	v_fma_f64 v[1:2], v[1:2], v[108:109], -v[110:111]
	v_fma_f64 v[3:4], v[3:4], v[108:109], v[104:105]
.LBB47_578:
	s_mov_b32 s6, exec_lo
	v_cmpx_ne_u32_e32 25, v0
	s_cbranch_execz .LBB47_582
; %bb.579:
	v_add_nc_u32_e32 v104, 0x310, v107
	v_add3_u32 v105, 0, v107, 16
	v_mov_b32_e32 v106, v0
	s_mov_b32 s8, 0
	.p2align	6
.LBB47_580:                             ; =>This Inner Loop Header: Depth=1
	s_clause 0x3
	buffer_load_dword v112, v105, s[0:3], 0 offen offset:8
	buffer_load_dword v113, v105, s[0:3], 0 offen offset:12
	buffer_load_dword v114, v105, s[0:3], 0 offen
	buffer_load_dword v115, v105, s[0:3], 0 offen offset:4
	ds_read_b128 v[108:111], v104
	v_add_nc_u32_e32 v106, 1, v106
	v_add_nc_u32_e32 v104, 16, v104
	;; [unrolled: 1-line block ×3, first 2 shown]
	v_cmp_lt_u32_e32 vcc_lo, 24, v106
	s_or_b32 s8, vcc_lo, s8
	s_waitcnt vmcnt(2) lgkmcnt(0)
	v_mul_f64 v[116:117], v[110:111], v[112:113]
	v_mul_f64 v[112:113], v[108:109], v[112:113]
	s_waitcnt vmcnt(0)
	v_fma_f64 v[108:109], v[108:109], v[114:115], -v[116:117]
	v_fma_f64 v[110:111], v[110:111], v[114:115], v[112:113]
	v_add_f64 v[1:2], v[1:2], v[108:109]
	v_add_f64 v[3:4], v[3:4], v[110:111]
	s_andn2_b32 exec_lo, exec_lo, s8
	s_cbranch_execnz .LBB47_580
; %bb.581:
	s_or_b32 exec_lo, exec_lo, s8
.LBB47_582:
	s_or_b32 exec_lo, exec_lo, s6
	v_mov_b32_e32 v104, 0
	ds_read_b128 v[108:111], v104 offset:416
	s_waitcnt lgkmcnt(0)
	v_mul_f64 v[104:105], v[3:4], v[110:111]
	v_mul_f64 v[110:111], v[1:2], v[110:111]
	v_fma_f64 v[1:2], v[1:2], v[108:109], -v[104:105]
	v_fma_f64 v[3:4], v[3:4], v[108:109], v[110:111]
	buffer_store_dword v2, off, s[0:3], 0 offset:420
	buffer_store_dword v1, off, s[0:3], 0 offset:416
	;; [unrolled: 1-line block ×4, first 2 shown]
.LBB47_583:
	s_or_b32 exec_lo, exec_lo, s4
	v_mov_b32_e32 v4, s28
	s_mov_b32 s4, exec_lo
	s_clause 0x3
	buffer_load_dword v1, v4, s[0:3], 0 offen
	buffer_load_dword v2, v4, s[0:3], 0 offen offset:4
	buffer_load_dword v3, v4, s[0:3], 0 offen offset:8
	;; [unrolled: 1-line block ×3, first 2 shown]
	s_waitcnt vmcnt(0)
	ds_write_b128 v102, v[1:4]
	s_waitcnt lgkmcnt(0)
	s_waitcnt_vscnt null, 0x0
	s_barrier
	buffer_gl0_inv
	v_cmpx_gt_u32_e32 27, v0
	s_cbranch_execz .LBB47_591
; %bb.584:
	ds_read_b128 v[1:4], v102
	v_cmp_ne_u32_e32 vcc_lo, 1, v103
	s_cbranch_vccnz .LBB47_586
; %bb.585:
	s_clause 0x3
	buffer_load_dword v104, v101, s[0:3], 0 offen offset:8
	buffer_load_dword v105, v101, s[0:3], 0 offen offset:12
	buffer_load_dword v108, v101, s[0:3], 0 offen
	buffer_load_dword v109, v101, s[0:3], 0 offen offset:4
	s_waitcnt vmcnt(2) lgkmcnt(0)
	v_mul_f64 v[110:111], v[3:4], v[104:105]
	v_mul_f64 v[104:105], v[1:2], v[104:105]
	s_waitcnt vmcnt(0)
	v_fma_f64 v[1:2], v[1:2], v[108:109], -v[110:111]
	v_fma_f64 v[3:4], v[3:4], v[108:109], v[104:105]
.LBB47_586:
	s_mov_b32 s6, exec_lo
	v_cmpx_ne_u32_e32 26, v0
	s_cbranch_execz .LBB47_590
; %bb.587:
	v_add_nc_u32_e32 v104, 0x310, v107
	v_add3_u32 v105, 0, v107, 16
	v_mov_b32_e32 v106, v0
	s_mov_b32 s8, 0
	.p2align	6
.LBB47_588:                             ; =>This Inner Loop Header: Depth=1
	s_clause 0x3
	buffer_load_dword v112, v105, s[0:3], 0 offen offset:8
	buffer_load_dword v113, v105, s[0:3], 0 offen offset:12
	buffer_load_dword v114, v105, s[0:3], 0 offen
	buffer_load_dword v115, v105, s[0:3], 0 offen offset:4
	ds_read_b128 v[108:111], v104
	v_add_nc_u32_e32 v106, 1, v106
	v_add_nc_u32_e32 v104, 16, v104
	;; [unrolled: 1-line block ×3, first 2 shown]
	v_cmp_lt_u32_e32 vcc_lo, 25, v106
	s_or_b32 s8, vcc_lo, s8
	s_waitcnt vmcnt(2) lgkmcnt(0)
	v_mul_f64 v[116:117], v[110:111], v[112:113]
	v_mul_f64 v[112:113], v[108:109], v[112:113]
	s_waitcnt vmcnt(0)
	v_fma_f64 v[108:109], v[108:109], v[114:115], -v[116:117]
	v_fma_f64 v[110:111], v[110:111], v[114:115], v[112:113]
	v_add_f64 v[1:2], v[1:2], v[108:109]
	v_add_f64 v[3:4], v[3:4], v[110:111]
	s_andn2_b32 exec_lo, exec_lo, s8
	s_cbranch_execnz .LBB47_588
; %bb.589:
	s_or_b32 exec_lo, exec_lo, s8
.LBB47_590:
	s_or_b32 exec_lo, exec_lo, s6
	v_mov_b32_e32 v104, 0
	ds_read_b128 v[108:111], v104 offset:432
	s_waitcnt lgkmcnt(0)
	v_mul_f64 v[104:105], v[3:4], v[110:111]
	v_mul_f64 v[110:111], v[1:2], v[110:111]
	v_fma_f64 v[1:2], v[1:2], v[108:109], -v[104:105]
	v_fma_f64 v[3:4], v[3:4], v[108:109], v[110:111]
	buffer_store_dword v2, off, s[0:3], 0 offset:436
	buffer_store_dword v1, off, s[0:3], 0 offset:432
	;; [unrolled: 1-line block ×4, first 2 shown]
.LBB47_591:
	s_or_b32 exec_lo, exec_lo, s4
	v_mov_b32_e32 v4, s27
	s_mov_b32 s4, exec_lo
	s_clause 0x3
	buffer_load_dword v1, v4, s[0:3], 0 offen
	buffer_load_dword v2, v4, s[0:3], 0 offen offset:4
	buffer_load_dword v3, v4, s[0:3], 0 offen offset:8
	;; [unrolled: 1-line block ×3, first 2 shown]
	s_waitcnt vmcnt(0)
	ds_write_b128 v102, v[1:4]
	s_waitcnt lgkmcnt(0)
	s_waitcnt_vscnt null, 0x0
	s_barrier
	buffer_gl0_inv
	v_cmpx_gt_u32_e32 28, v0
	s_cbranch_execz .LBB47_599
; %bb.592:
	ds_read_b128 v[1:4], v102
	v_cmp_ne_u32_e32 vcc_lo, 1, v103
	s_cbranch_vccnz .LBB47_594
; %bb.593:
	s_clause 0x3
	buffer_load_dword v104, v101, s[0:3], 0 offen offset:8
	buffer_load_dword v105, v101, s[0:3], 0 offen offset:12
	buffer_load_dword v108, v101, s[0:3], 0 offen
	buffer_load_dword v109, v101, s[0:3], 0 offen offset:4
	s_waitcnt vmcnt(2) lgkmcnt(0)
	v_mul_f64 v[110:111], v[3:4], v[104:105]
	v_mul_f64 v[104:105], v[1:2], v[104:105]
	s_waitcnt vmcnt(0)
	v_fma_f64 v[1:2], v[1:2], v[108:109], -v[110:111]
	v_fma_f64 v[3:4], v[3:4], v[108:109], v[104:105]
.LBB47_594:
	s_mov_b32 s6, exec_lo
	v_cmpx_ne_u32_e32 27, v0
	s_cbranch_execz .LBB47_598
; %bb.595:
	v_add_nc_u32_e32 v104, 0x310, v107
	v_add3_u32 v105, 0, v107, 16
	v_mov_b32_e32 v106, v0
	s_mov_b32 s8, 0
	.p2align	6
.LBB47_596:                             ; =>This Inner Loop Header: Depth=1
	s_clause 0x3
	buffer_load_dword v112, v105, s[0:3], 0 offen offset:8
	buffer_load_dword v113, v105, s[0:3], 0 offen offset:12
	buffer_load_dword v114, v105, s[0:3], 0 offen
	buffer_load_dword v115, v105, s[0:3], 0 offen offset:4
	ds_read_b128 v[108:111], v104
	v_add_nc_u32_e32 v106, 1, v106
	v_add_nc_u32_e32 v104, 16, v104
	;; [unrolled: 1-line block ×3, first 2 shown]
	v_cmp_lt_u32_e32 vcc_lo, 26, v106
	s_or_b32 s8, vcc_lo, s8
	s_waitcnt vmcnt(2) lgkmcnt(0)
	v_mul_f64 v[116:117], v[110:111], v[112:113]
	v_mul_f64 v[112:113], v[108:109], v[112:113]
	s_waitcnt vmcnt(0)
	v_fma_f64 v[108:109], v[108:109], v[114:115], -v[116:117]
	v_fma_f64 v[110:111], v[110:111], v[114:115], v[112:113]
	v_add_f64 v[1:2], v[1:2], v[108:109]
	v_add_f64 v[3:4], v[3:4], v[110:111]
	s_andn2_b32 exec_lo, exec_lo, s8
	s_cbranch_execnz .LBB47_596
; %bb.597:
	s_or_b32 exec_lo, exec_lo, s8
.LBB47_598:
	s_or_b32 exec_lo, exec_lo, s6
	v_mov_b32_e32 v104, 0
	ds_read_b128 v[108:111], v104 offset:448
	s_waitcnt lgkmcnt(0)
	v_mul_f64 v[104:105], v[3:4], v[110:111]
	v_mul_f64 v[110:111], v[1:2], v[110:111]
	v_fma_f64 v[1:2], v[1:2], v[108:109], -v[104:105]
	v_fma_f64 v[3:4], v[3:4], v[108:109], v[110:111]
	buffer_store_dword v2, off, s[0:3], 0 offset:452
	buffer_store_dword v1, off, s[0:3], 0 offset:448
	;; [unrolled: 1-line block ×4, first 2 shown]
.LBB47_599:
	s_or_b32 exec_lo, exec_lo, s4
	v_mov_b32_e32 v4, s26
	s_mov_b32 s4, exec_lo
	s_clause 0x3
	buffer_load_dword v1, v4, s[0:3], 0 offen
	buffer_load_dword v2, v4, s[0:3], 0 offen offset:4
	buffer_load_dword v3, v4, s[0:3], 0 offen offset:8
	;; [unrolled: 1-line block ×3, first 2 shown]
	s_waitcnt vmcnt(0)
	ds_write_b128 v102, v[1:4]
	s_waitcnt lgkmcnt(0)
	s_waitcnt_vscnt null, 0x0
	s_barrier
	buffer_gl0_inv
	v_cmpx_gt_u32_e32 29, v0
	s_cbranch_execz .LBB47_607
; %bb.600:
	ds_read_b128 v[1:4], v102
	v_cmp_ne_u32_e32 vcc_lo, 1, v103
	s_cbranch_vccnz .LBB47_602
; %bb.601:
	s_clause 0x3
	buffer_load_dword v104, v101, s[0:3], 0 offen offset:8
	buffer_load_dword v105, v101, s[0:3], 0 offen offset:12
	buffer_load_dword v108, v101, s[0:3], 0 offen
	buffer_load_dword v109, v101, s[0:3], 0 offen offset:4
	s_waitcnt vmcnt(2) lgkmcnt(0)
	v_mul_f64 v[110:111], v[3:4], v[104:105]
	v_mul_f64 v[104:105], v[1:2], v[104:105]
	s_waitcnt vmcnt(0)
	v_fma_f64 v[1:2], v[1:2], v[108:109], -v[110:111]
	v_fma_f64 v[3:4], v[3:4], v[108:109], v[104:105]
.LBB47_602:
	s_mov_b32 s6, exec_lo
	v_cmpx_ne_u32_e32 28, v0
	s_cbranch_execz .LBB47_606
; %bb.603:
	v_add_nc_u32_e32 v104, 0x310, v107
	v_add3_u32 v105, 0, v107, 16
	v_mov_b32_e32 v106, v0
	s_mov_b32 s8, 0
	.p2align	6
.LBB47_604:                             ; =>This Inner Loop Header: Depth=1
	s_clause 0x3
	buffer_load_dword v112, v105, s[0:3], 0 offen offset:8
	buffer_load_dword v113, v105, s[0:3], 0 offen offset:12
	buffer_load_dword v114, v105, s[0:3], 0 offen
	buffer_load_dword v115, v105, s[0:3], 0 offen offset:4
	ds_read_b128 v[108:111], v104
	v_add_nc_u32_e32 v106, 1, v106
	v_add_nc_u32_e32 v104, 16, v104
	;; [unrolled: 1-line block ×3, first 2 shown]
	v_cmp_lt_u32_e32 vcc_lo, 27, v106
	s_or_b32 s8, vcc_lo, s8
	s_waitcnt vmcnt(2) lgkmcnt(0)
	v_mul_f64 v[116:117], v[110:111], v[112:113]
	v_mul_f64 v[112:113], v[108:109], v[112:113]
	s_waitcnt vmcnt(0)
	v_fma_f64 v[108:109], v[108:109], v[114:115], -v[116:117]
	v_fma_f64 v[110:111], v[110:111], v[114:115], v[112:113]
	v_add_f64 v[1:2], v[1:2], v[108:109]
	v_add_f64 v[3:4], v[3:4], v[110:111]
	s_andn2_b32 exec_lo, exec_lo, s8
	s_cbranch_execnz .LBB47_604
; %bb.605:
	s_or_b32 exec_lo, exec_lo, s8
.LBB47_606:
	s_or_b32 exec_lo, exec_lo, s6
	v_mov_b32_e32 v104, 0
	ds_read_b128 v[108:111], v104 offset:464
	s_waitcnt lgkmcnt(0)
	v_mul_f64 v[104:105], v[3:4], v[110:111]
	v_mul_f64 v[110:111], v[1:2], v[110:111]
	v_fma_f64 v[1:2], v[1:2], v[108:109], -v[104:105]
	v_fma_f64 v[3:4], v[3:4], v[108:109], v[110:111]
	buffer_store_dword v2, off, s[0:3], 0 offset:468
	buffer_store_dword v1, off, s[0:3], 0 offset:464
	;; [unrolled: 1-line block ×4, first 2 shown]
.LBB47_607:
	s_or_b32 exec_lo, exec_lo, s4
	v_mov_b32_e32 v4, s25
	s_mov_b32 s4, exec_lo
	s_clause 0x3
	buffer_load_dword v1, v4, s[0:3], 0 offen
	buffer_load_dword v2, v4, s[0:3], 0 offen offset:4
	buffer_load_dword v3, v4, s[0:3], 0 offen offset:8
	;; [unrolled: 1-line block ×3, first 2 shown]
	s_waitcnt vmcnt(0)
	ds_write_b128 v102, v[1:4]
	s_waitcnt lgkmcnt(0)
	s_waitcnt_vscnt null, 0x0
	s_barrier
	buffer_gl0_inv
	v_cmpx_gt_u32_e32 30, v0
	s_cbranch_execz .LBB47_615
; %bb.608:
	ds_read_b128 v[1:4], v102
	v_cmp_ne_u32_e32 vcc_lo, 1, v103
	s_cbranch_vccnz .LBB47_610
; %bb.609:
	s_clause 0x3
	buffer_load_dword v104, v101, s[0:3], 0 offen offset:8
	buffer_load_dword v105, v101, s[0:3], 0 offen offset:12
	buffer_load_dword v108, v101, s[0:3], 0 offen
	buffer_load_dword v109, v101, s[0:3], 0 offen offset:4
	s_waitcnt vmcnt(2) lgkmcnt(0)
	v_mul_f64 v[110:111], v[3:4], v[104:105]
	v_mul_f64 v[104:105], v[1:2], v[104:105]
	s_waitcnt vmcnt(0)
	v_fma_f64 v[1:2], v[1:2], v[108:109], -v[110:111]
	v_fma_f64 v[3:4], v[3:4], v[108:109], v[104:105]
.LBB47_610:
	s_mov_b32 s6, exec_lo
	v_cmpx_ne_u32_e32 29, v0
	s_cbranch_execz .LBB47_614
; %bb.611:
	v_add_nc_u32_e32 v104, 0x310, v107
	v_add3_u32 v105, 0, v107, 16
	v_mov_b32_e32 v106, v0
	s_mov_b32 s8, 0
	.p2align	6
.LBB47_612:                             ; =>This Inner Loop Header: Depth=1
	s_clause 0x3
	buffer_load_dword v112, v105, s[0:3], 0 offen offset:8
	buffer_load_dword v113, v105, s[0:3], 0 offen offset:12
	buffer_load_dword v114, v105, s[0:3], 0 offen
	buffer_load_dword v115, v105, s[0:3], 0 offen offset:4
	ds_read_b128 v[108:111], v104
	v_add_nc_u32_e32 v106, 1, v106
	v_add_nc_u32_e32 v104, 16, v104
	;; [unrolled: 1-line block ×3, first 2 shown]
	v_cmp_lt_u32_e32 vcc_lo, 28, v106
	s_or_b32 s8, vcc_lo, s8
	s_waitcnt vmcnt(2) lgkmcnt(0)
	v_mul_f64 v[116:117], v[110:111], v[112:113]
	v_mul_f64 v[112:113], v[108:109], v[112:113]
	s_waitcnt vmcnt(0)
	v_fma_f64 v[108:109], v[108:109], v[114:115], -v[116:117]
	v_fma_f64 v[110:111], v[110:111], v[114:115], v[112:113]
	v_add_f64 v[1:2], v[1:2], v[108:109]
	v_add_f64 v[3:4], v[3:4], v[110:111]
	s_andn2_b32 exec_lo, exec_lo, s8
	s_cbranch_execnz .LBB47_612
; %bb.613:
	s_or_b32 exec_lo, exec_lo, s8
.LBB47_614:
	s_or_b32 exec_lo, exec_lo, s6
	v_mov_b32_e32 v104, 0
	ds_read_b128 v[108:111], v104 offset:480
	s_waitcnt lgkmcnt(0)
	v_mul_f64 v[104:105], v[3:4], v[110:111]
	v_mul_f64 v[110:111], v[1:2], v[110:111]
	v_fma_f64 v[1:2], v[1:2], v[108:109], -v[104:105]
	v_fma_f64 v[3:4], v[3:4], v[108:109], v[110:111]
	buffer_store_dword v2, off, s[0:3], 0 offset:484
	buffer_store_dword v1, off, s[0:3], 0 offset:480
	;; [unrolled: 1-line block ×4, first 2 shown]
.LBB47_615:
	s_or_b32 exec_lo, exec_lo, s4
	v_mov_b32_e32 v4, s24
	s_mov_b32 s4, exec_lo
	s_clause 0x3
	buffer_load_dword v1, v4, s[0:3], 0 offen
	buffer_load_dword v2, v4, s[0:3], 0 offen offset:4
	buffer_load_dword v3, v4, s[0:3], 0 offen offset:8
	;; [unrolled: 1-line block ×3, first 2 shown]
	s_waitcnt vmcnt(0)
	ds_write_b128 v102, v[1:4]
	s_waitcnt lgkmcnt(0)
	s_waitcnt_vscnt null, 0x0
	s_barrier
	buffer_gl0_inv
	v_cmpx_gt_u32_e32 31, v0
	s_cbranch_execz .LBB47_623
; %bb.616:
	ds_read_b128 v[1:4], v102
	v_cmp_ne_u32_e32 vcc_lo, 1, v103
	s_cbranch_vccnz .LBB47_618
; %bb.617:
	s_clause 0x3
	buffer_load_dword v104, v101, s[0:3], 0 offen offset:8
	buffer_load_dword v105, v101, s[0:3], 0 offen offset:12
	buffer_load_dword v108, v101, s[0:3], 0 offen
	buffer_load_dword v109, v101, s[0:3], 0 offen offset:4
	s_waitcnt vmcnt(2) lgkmcnt(0)
	v_mul_f64 v[110:111], v[3:4], v[104:105]
	v_mul_f64 v[104:105], v[1:2], v[104:105]
	s_waitcnt vmcnt(0)
	v_fma_f64 v[1:2], v[1:2], v[108:109], -v[110:111]
	v_fma_f64 v[3:4], v[3:4], v[108:109], v[104:105]
.LBB47_618:
	s_mov_b32 s6, exec_lo
	v_cmpx_ne_u32_e32 30, v0
	s_cbranch_execz .LBB47_622
; %bb.619:
	v_add_nc_u32_e32 v104, 0x310, v107
	v_add3_u32 v105, 0, v107, 16
	v_mov_b32_e32 v106, v0
	s_mov_b32 s8, 0
	.p2align	6
.LBB47_620:                             ; =>This Inner Loop Header: Depth=1
	s_clause 0x3
	buffer_load_dword v112, v105, s[0:3], 0 offen offset:8
	buffer_load_dword v113, v105, s[0:3], 0 offen offset:12
	buffer_load_dword v114, v105, s[0:3], 0 offen
	buffer_load_dword v115, v105, s[0:3], 0 offen offset:4
	ds_read_b128 v[108:111], v104
	v_add_nc_u32_e32 v106, 1, v106
	v_add_nc_u32_e32 v104, 16, v104
	;; [unrolled: 1-line block ×3, first 2 shown]
	v_cmp_lt_u32_e32 vcc_lo, 29, v106
	s_or_b32 s8, vcc_lo, s8
	s_waitcnt vmcnt(2) lgkmcnt(0)
	v_mul_f64 v[116:117], v[110:111], v[112:113]
	v_mul_f64 v[112:113], v[108:109], v[112:113]
	s_waitcnt vmcnt(0)
	v_fma_f64 v[108:109], v[108:109], v[114:115], -v[116:117]
	v_fma_f64 v[110:111], v[110:111], v[114:115], v[112:113]
	v_add_f64 v[1:2], v[1:2], v[108:109]
	v_add_f64 v[3:4], v[3:4], v[110:111]
	s_andn2_b32 exec_lo, exec_lo, s8
	s_cbranch_execnz .LBB47_620
; %bb.621:
	s_or_b32 exec_lo, exec_lo, s8
.LBB47_622:
	s_or_b32 exec_lo, exec_lo, s6
	v_mov_b32_e32 v104, 0
	ds_read_b128 v[108:111], v104 offset:496
	s_waitcnt lgkmcnt(0)
	v_mul_f64 v[104:105], v[3:4], v[110:111]
	v_mul_f64 v[110:111], v[1:2], v[110:111]
	v_fma_f64 v[1:2], v[1:2], v[108:109], -v[104:105]
	v_fma_f64 v[3:4], v[3:4], v[108:109], v[110:111]
	buffer_store_dword v2, off, s[0:3], 0 offset:500
	buffer_store_dword v1, off, s[0:3], 0 offset:496
	;; [unrolled: 1-line block ×4, first 2 shown]
.LBB47_623:
	s_or_b32 exec_lo, exec_lo, s4
	v_mov_b32_e32 v4, s23
	s_mov_b32 s4, exec_lo
	s_clause 0x3
	buffer_load_dword v1, v4, s[0:3], 0 offen
	buffer_load_dword v2, v4, s[0:3], 0 offen offset:4
	buffer_load_dword v3, v4, s[0:3], 0 offen offset:8
	;; [unrolled: 1-line block ×3, first 2 shown]
	s_waitcnt vmcnt(0)
	ds_write_b128 v102, v[1:4]
	s_waitcnt lgkmcnt(0)
	s_waitcnt_vscnt null, 0x0
	s_barrier
	buffer_gl0_inv
	v_cmpx_gt_u32_e32 32, v0
	s_cbranch_execz .LBB47_631
; %bb.624:
	ds_read_b128 v[1:4], v102
	v_cmp_ne_u32_e32 vcc_lo, 1, v103
	s_cbranch_vccnz .LBB47_626
; %bb.625:
	s_clause 0x3
	buffer_load_dword v104, v101, s[0:3], 0 offen offset:8
	buffer_load_dword v105, v101, s[0:3], 0 offen offset:12
	buffer_load_dword v108, v101, s[0:3], 0 offen
	buffer_load_dword v109, v101, s[0:3], 0 offen offset:4
	s_waitcnt vmcnt(2) lgkmcnt(0)
	v_mul_f64 v[110:111], v[3:4], v[104:105]
	v_mul_f64 v[104:105], v[1:2], v[104:105]
	s_waitcnt vmcnt(0)
	v_fma_f64 v[1:2], v[1:2], v[108:109], -v[110:111]
	v_fma_f64 v[3:4], v[3:4], v[108:109], v[104:105]
.LBB47_626:
	s_mov_b32 s6, exec_lo
	v_cmpx_ne_u32_e32 31, v0
	s_cbranch_execz .LBB47_630
; %bb.627:
	v_add_nc_u32_e32 v104, 0x310, v107
	v_add3_u32 v105, 0, v107, 16
	v_mov_b32_e32 v106, v0
	s_mov_b32 s8, 0
	.p2align	6
.LBB47_628:                             ; =>This Inner Loop Header: Depth=1
	s_clause 0x3
	buffer_load_dword v112, v105, s[0:3], 0 offen offset:8
	buffer_load_dword v113, v105, s[0:3], 0 offen offset:12
	buffer_load_dword v114, v105, s[0:3], 0 offen
	buffer_load_dword v115, v105, s[0:3], 0 offen offset:4
	ds_read_b128 v[108:111], v104
	v_add_nc_u32_e32 v106, 1, v106
	v_add_nc_u32_e32 v104, 16, v104
	;; [unrolled: 1-line block ×3, first 2 shown]
	v_cmp_lt_u32_e32 vcc_lo, 30, v106
	s_or_b32 s8, vcc_lo, s8
	s_waitcnt vmcnt(2) lgkmcnt(0)
	v_mul_f64 v[116:117], v[110:111], v[112:113]
	v_mul_f64 v[112:113], v[108:109], v[112:113]
	s_waitcnt vmcnt(0)
	v_fma_f64 v[108:109], v[108:109], v[114:115], -v[116:117]
	v_fma_f64 v[110:111], v[110:111], v[114:115], v[112:113]
	v_add_f64 v[1:2], v[1:2], v[108:109]
	v_add_f64 v[3:4], v[3:4], v[110:111]
	s_andn2_b32 exec_lo, exec_lo, s8
	s_cbranch_execnz .LBB47_628
; %bb.629:
	s_or_b32 exec_lo, exec_lo, s8
.LBB47_630:
	s_or_b32 exec_lo, exec_lo, s6
	v_mov_b32_e32 v104, 0
	ds_read_b128 v[108:111], v104 offset:512
	s_waitcnt lgkmcnt(0)
	v_mul_f64 v[104:105], v[3:4], v[110:111]
	v_mul_f64 v[110:111], v[1:2], v[110:111]
	v_fma_f64 v[1:2], v[1:2], v[108:109], -v[104:105]
	v_fma_f64 v[3:4], v[3:4], v[108:109], v[110:111]
	buffer_store_dword v2, off, s[0:3], 0 offset:516
	buffer_store_dword v1, off, s[0:3], 0 offset:512
	;; [unrolled: 1-line block ×4, first 2 shown]
.LBB47_631:
	s_or_b32 exec_lo, exec_lo, s4
	v_mov_b32_e32 v4, s22
	s_mov_b32 s4, exec_lo
	s_clause 0x3
	buffer_load_dword v1, v4, s[0:3], 0 offen
	buffer_load_dword v2, v4, s[0:3], 0 offen offset:4
	buffer_load_dword v3, v4, s[0:3], 0 offen offset:8
	;; [unrolled: 1-line block ×3, first 2 shown]
	s_waitcnt vmcnt(0)
	ds_write_b128 v102, v[1:4]
	s_waitcnt lgkmcnt(0)
	s_waitcnt_vscnt null, 0x0
	s_barrier
	buffer_gl0_inv
	v_cmpx_gt_u32_e32 33, v0
	s_cbranch_execz .LBB47_639
; %bb.632:
	ds_read_b128 v[1:4], v102
	v_cmp_ne_u32_e32 vcc_lo, 1, v103
	s_cbranch_vccnz .LBB47_634
; %bb.633:
	s_clause 0x3
	buffer_load_dword v104, v101, s[0:3], 0 offen offset:8
	buffer_load_dword v105, v101, s[0:3], 0 offen offset:12
	buffer_load_dword v108, v101, s[0:3], 0 offen
	buffer_load_dword v109, v101, s[0:3], 0 offen offset:4
	s_waitcnt vmcnt(2) lgkmcnt(0)
	v_mul_f64 v[110:111], v[3:4], v[104:105]
	v_mul_f64 v[104:105], v[1:2], v[104:105]
	s_waitcnt vmcnt(0)
	v_fma_f64 v[1:2], v[1:2], v[108:109], -v[110:111]
	v_fma_f64 v[3:4], v[3:4], v[108:109], v[104:105]
.LBB47_634:
	s_mov_b32 s6, exec_lo
	v_cmpx_ne_u32_e32 32, v0
	s_cbranch_execz .LBB47_638
; %bb.635:
	v_add_nc_u32_e32 v104, 0x310, v107
	v_add3_u32 v105, 0, v107, 16
	v_mov_b32_e32 v106, v0
	s_mov_b32 s8, 0
	.p2align	6
.LBB47_636:                             ; =>This Inner Loop Header: Depth=1
	s_clause 0x3
	buffer_load_dword v112, v105, s[0:3], 0 offen offset:8
	buffer_load_dword v113, v105, s[0:3], 0 offen offset:12
	buffer_load_dword v114, v105, s[0:3], 0 offen
	buffer_load_dword v115, v105, s[0:3], 0 offen offset:4
	ds_read_b128 v[108:111], v104
	v_add_nc_u32_e32 v106, 1, v106
	v_add_nc_u32_e32 v104, 16, v104
	v_add_nc_u32_e32 v105, 16, v105
	v_cmp_lt_u32_e32 vcc_lo, 31, v106
	s_or_b32 s8, vcc_lo, s8
	s_waitcnt vmcnt(2) lgkmcnt(0)
	v_mul_f64 v[116:117], v[110:111], v[112:113]
	v_mul_f64 v[112:113], v[108:109], v[112:113]
	s_waitcnt vmcnt(0)
	v_fma_f64 v[108:109], v[108:109], v[114:115], -v[116:117]
	v_fma_f64 v[110:111], v[110:111], v[114:115], v[112:113]
	v_add_f64 v[1:2], v[1:2], v[108:109]
	v_add_f64 v[3:4], v[3:4], v[110:111]
	s_andn2_b32 exec_lo, exec_lo, s8
	s_cbranch_execnz .LBB47_636
; %bb.637:
	s_or_b32 exec_lo, exec_lo, s8
.LBB47_638:
	s_or_b32 exec_lo, exec_lo, s6
	v_mov_b32_e32 v104, 0
	ds_read_b128 v[108:111], v104 offset:528
	s_waitcnt lgkmcnt(0)
	v_mul_f64 v[104:105], v[3:4], v[110:111]
	v_mul_f64 v[110:111], v[1:2], v[110:111]
	v_fma_f64 v[1:2], v[1:2], v[108:109], -v[104:105]
	v_fma_f64 v[3:4], v[3:4], v[108:109], v[110:111]
	buffer_store_dword v2, off, s[0:3], 0 offset:532
	buffer_store_dword v1, off, s[0:3], 0 offset:528
	;; [unrolled: 1-line block ×4, first 2 shown]
.LBB47_639:
	s_or_b32 exec_lo, exec_lo, s4
	v_mov_b32_e32 v4, s21
	s_mov_b32 s4, exec_lo
	s_clause 0x3
	buffer_load_dword v1, v4, s[0:3], 0 offen
	buffer_load_dword v2, v4, s[0:3], 0 offen offset:4
	buffer_load_dword v3, v4, s[0:3], 0 offen offset:8
	;; [unrolled: 1-line block ×3, first 2 shown]
	s_waitcnt vmcnt(0)
	ds_write_b128 v102, v[1:4]
	s_waitcnt lgkmcnt(0)
	s_waitcnt_vscnt null, 0x0
	s_barrier
	buffer_gl0_inv
	v_cmpx_gt_u32_e32 34, v0
	s_cbranch_execz .LBB47_647
; %bb.640:
	ds_read_b128 v[1:4], v102
	v_cmp_ne_u32_e32 vcc_lo, 1, v103
	s_cbranch_vccnz .LBB47_642
; %bb.641:
	s_clause 0x3
	buffer_load_dword v104, v101, s[0:3], 0 offen offset:8
	buffer_load_dword v105, v101, s[0:3], 0 offen offset:12
	buffer_load_dword v108, v101, s[0:3], 0 offen
	buffer_load_dword v109, v101, s[0:3], 0 offen offset:4
	s_waitcnt vmcnt(2) lgkmcnt(0)
	v_mul_f64 v[110:111], v[3:4], v[104:105]
	v_mul_f64 v[104:105], v[1:2], v[104:105]
	s_waitcnt vmcnt(0)
	v_fma_f64 v[1:2], v[1:2], v[108:109], -v[110:111]
	v_fma_f64 v[3:4], v[3:4], v[108:109], v[104:105]
.LBB47_642:
	s_mov_b32 s6, exec_lo
	v_cmpx_ne_u32_e32 33, v0
	s_cbranch_execz .LBB47_646
; %bb.643:
	v_add_nc_u32_e32 v104, 0x310, v107
	v_add3_u32 v105, 0, v107, 16
	v_mov_b32_e32 v106, v0
	s_mov_b32 s8, 0
	.p2align	6
.LBB47_644:                             ; =>This Inner Loop Header: Depth=1
	s_clause 0x3
	buffer_load_dword v112, v105, s[0:3], 0 offen offset:8
	buffer_load_dword v113, v105, s[0:3], 0 offen offset:12
	buffer_load_dword v114, v105, s[0:3], 0 offen
	buffer_load_dword v115, v105, s[0:3], 0 offen offset:4
	ds_read_b128 v[108:111], v104
	v_add_nc_u32_e32 v106, 1, v106
	v_add_nc_u32_e32 v104, 16, v104
	;; [unrolled: 1-line block ×3, first 2 shown]
	v_cmp_lt_u32_e32 vcc_lo, 32, v106
	s_or_b32 s8, vcc_lo, s8
	s_waitcnt vmcnt(2) lgkmcnt(0)
	v_mul_f64 v[116:117], v[110:111], v[112:113]
	v_mul_f64 v[112:113], v[108:109], v[112:113]
	s_waitcnt vmcnt(0)
	v_fma_f64 v[108:109], v[108:109], v[114:115], -v[116:117]
	v_fma_f64 v[110:111], v[110:111], v[114:115], v[112:113]
	v_add_f64 v[1:2], v[1:2], v[108:109]
	v_add_f64 v[3:4], v[3:4], v[110:111]
	s_andn2_b32 exec_lo, exec_lo, s8
	s_cbranch_execnz .LBB47_644
; %bb.645:
	s_or_b32 exec_lo, exec_lo, s8
.LBB47_646:
	s_or_b32 exec_lo, exec_lo, s6
	v_mov_b32_e32 v104, 0
	ds_read_b128 v[108:111], v104 offset:544
	s_waitcnt lgkmcnt(0)
	v_mul_f64 v[104:105], v[3:4], v[110:111]
	v_mul_f64 v[110:111], v[1:2], v[110:111]
	v_fma_f64 v[1:2], v[1:2], v[108:109], -v[104:105]
	v_fma_f64 v[3:4], v[3:4], v[108:109], v[110:111]
	buffer_store_dword v2, off, s[0:3], 0 offset:548
	buffer_store_dword v1, off, s[0:3], 0 offset:544
	;; [unrolled: 1-line block ×4, first 2 shown]
.LBB47_647:
	s_or_b32 exec_lo, exec_lo, s4
	v_mov_b32_e32 v4, s20
	s_mov_b32 s4, exec_lo
	s_clause 0x3
	buffer_load_dword v1, v4, s[0:3], 0 offen
	buffer_load_dword v2, v4, s[0:3], 0 offen offset:4
	buffer_load_dword v3, v4, s[0:3], 0 offen offset:8
	;; [unrolled: 1-line block ×3, first 2 shown]
	s_waitcnt vmcnt(0)
	ds_write_b128 v102, v[1:4]
	s_waitcnt lgkmcnt(0)
	s_waitcnt_vscnt null, 0x0
	s_barrier
	buffer_gl0_inv
	v_cmpx_gt_u32_e32 35, v0
	s_cbranch_execz .LBB47_655
; %bb.648:
	ds_read_b128 v[1:4], v102
	v_cmp_ne_u32_e32 vcc_lo, 1, v103
	s_cbranch_vccnz .LBB47_650
; %bb.649:
	s_clause 0x3
	buffer_load_dword v104, v101, s[0:3], 0 offen offset:8
	buffer_load_dword v105, v101, s[0:3], 0 offen offset:12
	buffer_load_dword v108, v101, s[0:3], 0 offen
	buffer_load_dword v109, v101, s[0:3], 0 offen offset:4
	s_waitcnt vmcnt(2) lgkmcnt(0)
	v_mul_f64 v[110:111], v[3:4], v[104:105]
	v_mul_f64 v[104:105], v[1:2], v[104:105]
	s_waitcnt vmcnt(0)
	v_fma_f64 v[1:2], v[1:2], v[108:109], -v[110:111]
	v_fma_f64 v[3:4], v[3:4], v[108:109], v[104:105]
.LBB47_650:
	s_mov_b32 s6, exec_lo
	v_cmpx_ne_u32_e32 34, v0
	s_cbranch_execz .LBB47_654
; %bb.651:
	v_add_nc_u32_e32 v104, 0x310, v107
	v_add3_u32 v105, 0, v107, 16
	v_mov_b32_e32 v106, v0
	s_mov_b32 s8, 0
	.p2align	6
.LBB47_652:                             ; =>This Inner Loop Header: Depth=1
	s_clause 0x3
	buffer_load_dword v112, v105, s[0:3], 0 offen offset:8
	buffer_load_dword v113, v105, s[0:3], 0 offen offset:12
	buffer_load_dword v114, v105, s[0:3], 0 offen
	buffer_load_dword v115, v105, s[0:3], 0 offen offset:4
	ds_read_b128 v[108:111], v104
	v_add_nc_u32_e32 v106, 1, v106
	v_add_nc_u32_e32 v104, 16, v104
	;; [unrolled: 1-line block ×3, first 2 shown]
	v_cmp_lt_u32_e32 vcc_lo, 33, v106
	s_or_b32 s8, vcc_lo, s8
	s_waitcnt vmcnt(2) lgkmcnt(0)
	v_mul_f64 v[116:117], v[110:111], v[112:113]
	v_mul_f64 v[112:113], v[108:109], v[112:113]
	s_waitcnt vmcnt(0)
	v_fma_f64 v[108:109], v[108:109], v[114:115], -v[116:117]
	v_fma_f64 v[110:111], v[110:111], v[114:115], v[112:113]
	v_add_f64 v[1:2], v[1:2], v[108:109]
	v_add_f64 v[3:4], v[3:4], v[110:111]
	s_andn2_b32 exec_lo, exec_lo, s8
	s_cbranch_execnz .LBB47_652
; %bb.653:
	s_or_b32 exec_lo, exec_lo, s8
.LBB47_654:
	s_or_b32 exec_lo, exec_lo, s6
	v_mov_b32_e32 v104, 0
	ds_read_b128 v[108:111], v104 offset:560
	s_waitcnt lgkmcnt(0)
	v_mul_f64 v[104:105], v[3:4], v[110:111]
	v_mul_f64 v[110:111], v[1:2], v[110:111]
	v_fma_f64 v[1:2], v[1:2], v[108:109], -v[104:105]
	v_fma_f64 v[3:4], v[3:4], v[108:109], v[110:111]
	buffer_store_dword v2, off, s[0:3], 0 offset:564
	buffer_store_dword v1, off, s[0:3], 0 offset:560
	;; [unrolled: 1-line block ×4, first 2 shown]
.LBB47_655:
	s_or_b32 exec_lo, exec_lo, s4
	v_mov_b32_e32 v4, s19
	s_mov_b32 s4, exec_lo
	s_clause 0x3
	buffer_load_dword v1, v4, s[0:3], 0 offen
	buffer_load_dword v2, v4, s[0:3], 0 offen offset:4
	buffer_load_dword v3, v4, s[0:3], 0 offen offset:8
	;; [unrolled: 1-line block ×3, first 2 shown]
	s_waitcnt vmcnt(0)
	ds_write_b128 v102, v[1:4]
	s_waitcnt lgkmcnt(0)
	s_waitcnt_vscnt null, 0x0
	s_barrier
	buffer_gl0_inv
	v_cmpx_gt_u32_e32 36, v0
	s_cbranch_execz .LBB47_663
; %bb.656:
	ds_read_b128 v[1:4], v102
	v_cmp_ne_u32_e32 vcc_lo, 1, v103
	s_cbranch_vccnz .LBB47_658
; %bb.657:
	s_clause 0x3
	buffer_load_dword v104, v101, s[0:3], 0 offen offset:8
	buffer_load_dword v105, v101, s[0:3], 0 offen offset:12
	buffer_load_dword v108, v101, s[0:3], 0 offen
	buffer_load_dword v109, v101, s[0:3], 0 offen offset:4
	s_waitcnt vmcnt(2) lgkmcnt(0)
	v_mul_f64 v[110:111], v[3:4], v[104:105]
	v_mul_f64 v[104:105], v[1:2], v[104:105]
	s_waitcnt vmcnt(0)
	v_fma_f64 v[1:2], v[1:2], v[108:109], -v[110:111]
	v_fma_f64 v[3:4], v[3:4], v[108:109], v[104:105]
.LBB47_658:
	s_mov_b32 s6, exec_lo
	v_cmpx_ne_u32_e32 35, v0
	s_cbranch_execz .LBB47_662
; %bb.659:
	v_add_nc_u32_e32 v104, 0x310, v107
	v_add3_u32 v105, 0, v107, 16
	v_mov_b32_e32 v106, v0
	s_mov_b32 s8, 0
	.p2align	6
.LBB47_660:                             ; =>This Inner Loop Header: Depth=1
	s_clause 0x3
	buffer_load_dword v112, v105, s[0:3], 0 offen offset:8
	buffer_load_dword v113, v105, s[0:3], 0 offen offset:12
	buffer_load_dword v114, v105, s[0:3], 0 offen
	buffer_load_dword v115, v105, s[0:3], 0 offen offset:4
	ds_read_b128 v[108:111], v104
	v_add_nc_u32_e32 v106, 1, v106
	v_add_nc_u32_e32 v104, 16, v104
	;; [unrolled: 1-line block ×3, first 2 shown]
	v_cmp_lt_u32_e32 vcc_lo, 34, v106
	s_or_b32 s8, vcc_lo, s8
	s_waitcnt vmcnt(2) lgkmcnt(0)
	v_mul_f64 v[116:117], v[110:111], v[112:113]
	v_mul_f64 v[112:113], v[108:109], v[112:113]
	s_waitcnt vmcnt(0)
	v_fma_f64 v[108:109], v[108:109], v[114:115], -v[116:117]
	v_fma_f64 v[110:111], v[110:111], v[114:115], v[112:113]
	v_add_f64 v[1:2], v[1:2], v[108:109]
	v_add_f64 v[3:4], v[3:4], v[110:111]
	s_andn2_b32 exec_lo, exec_lo, s8
	s_cbranch_execnz .LBB47_660
; %bb.661:
	s_or_b32 exec_lo, exec_lo, s8
.LBB47_662:
	s_or_b32 exec_lo, exec_lo, s6
	v_mov_b32_e32 v104, 0
	ds_read_b128 v[108:111], v104 offset:576
	s_waitcnt lgkmcnt(0)
	v_mul_f64 v[104:105], v[3:4], v[110:111]
	v_mul_f64 v[110:111], v[1:2], v[110:111]
	v_fma_f64 v[1:2], v[1:2], v[108:109], -v[104:105]
	v_fma_f64 v[3:4], v[3:4], v[108:109], v[110:111]
	buffer_store_dword v2, off, s[0:3], 0 offset:580
	buffer_store_dword v1, off, s[0:3], 0 offset:576
	;; [unrolled: 1-line block ×4, first 2 shown]
.LBB47_663:
	s_or_b32 exec_lo, exec_lo, s4
	v_mov_b32_e32 v4, s18
	s_mov_b32 s4, exec_lo
	s_clause 0x3
	buffer_load_dword v1, v4, s[0:3], 0 offen
	buffer_load_dword v2, v4, s[0:3], 0 offen offset:4
	buffer_load_dword v3, v4, s[0:3], 0 offen offset:8
	;; [unrolled: 1-line block ×3, first 2 shown]
	s_waitcnt vmcnt(0)
	ds_write_b128 v102, v[1:4]
	s_waitcnt lgkmcnt(0)
	s_waitcnt_vscnt null, 0x0
	s_barrier
	buffer_gl0_inv
	v_cmpx_gt_u32_e32 37, v0
	s_cbranch_execz .LBB47_671
; %bb.664:
	ds_read_b128 v[1:4], v102
	v_cmp_ne_u32_e32 vcc_lo, 1, v103
	s_cbranch_vccnz .LBB47_666
; %bb.665:
	s_clause 0x3
	buffer_load_dword v104, v101, s[0:3], 0 offen offset:8
	buffer_load_dword v105, v101, s[0:3], 0 offen offset:12
	buffer_load_dword v108, v101, s[0:3], 0 offen
	buffer_load_dword v109, v101, s[0:3], 0 offen offset:4
	s_waitcnt vmcnt(2) lgkmcnt(0)
	v_mul_f64 v[110:111], v[3:4], v[104:105]
	v_mul_f64 v[104:105], v[1:2], v[104:105]
	s_waitcnt vmcnt(0)
	v_fma_f64 v[1:2], v[1:2], v[108:109], -v[110:111]
	v_fma_f64 v[3:4], v[3:4], v[108:109], v[104:105]
.LBB47_666:
	s_mov_b32 s6, exec_lo
	v_cmpx_ne_u32_e32 36, v0
	s_cbranch_execz .LBB47_670
; %bb.667:
	v_add_nc_u32_e32 v104, 0x310, v107
	v_add3_u32 v105, 0, v107, 16
	v_mov_b32_e32 v106, v0
	s_mov_b32 s8, 0
	.p2align	6
.LBB47_668:                             ; =>This Inner Loop Header: Depth=1
	s_clause 0x3
	buffer_load_dword v112, v105, s[0:3], 0 offen offset:8
	buffer_load_dword v113, v105, s[0:3], 0 offen offset:12
	buffer_load_dword v114, v105, s[0:3], 0 offen
	buffer_load_dword v115, v105, s[0:3], 0 offen offset:4
	ds_read_b128 v[108:111], v104
	v_add_nc_u32_e32 v106, 1, v106
	v_add_nc_u32_e32 v104, 16, v104
	;; [unrolled: 1-line block ×3, first 2 shown]
	v_cmp_lt_u32_e32 vcc_lo, 35, v106
	s_or_b32 s8, vcc_lo, s8
	s_waitcnt vmcnt(2) lgkmcnt(0)
	v_mul_f64 v[116:117], v[110:111], v[112:113]
	v_mul_f64 v[112:113], v[108:109], v[112:113]
	s_waitcnt vmcnt(0)
	v_fma_f64 v[108:109], v[108:109], v[114:115], -v[116:117]
	v_fma_f64 v[110:111], v[110:111], v[114:115], v[112:113]
	v_add_f64 v[1:2], v[1:2], v[108:109]
	v_add_f64 v[3:4], v[3:4], v[110:111]
	s_andn2_b32 exec_lo, exec_lo, s8
	s_cbranch_execnz .LBB47_668
; %bb.669:
	s_or_b32 exec_lo, exec_lo, s8
.LBB47_670:
	s_or_b32 exec_lo, exec_lo, s6
	v_mov_b32_e32 v104, 0
	ds_read_b128 v[108:111], v104 offset:592
	s_waitcnt lgkmcnt(0)
	v_mul_f64 v[104:105], v[3:4], v[110:111]
	v_mul_f64 v[110:111], v[1:2], v[110:111]
	v_fma_f64 v[1:2], v[1:2], v[108:109], -v[104:105]
	v_fma_f64 v[3:4], v[3:4], v[108:109], v[110:111]
	buffer_store_dword v2, off, s[0:3], 0 offset:596
	buffer_store_dword v1, off, s[0:3], 0 offset:592
	;; [unrolled: 1-line block ×4, first 2 shown]
.LBB47_671:
	s_or_b32 exec_lo, exec_lo, s4
	v_mov_b32_e32 v4, s17
	s_mov_b32 s4, exec_lo
	s_clause 0x3
	buffer_load_dword v1, v4, s[0:3], 0 offen
	buffer_load_dword v2, v4, s[0:3], 0 offen offset:4
	buffer_load_dword v3, v4, s[0:3], 0 offen offset:8
	buffer_load_dword v4, v4, s[0:3], 0 offen offset:12
	s_waitcnt vmcnt(0)
	ds_write_b128 v102, v[1:4]
	s_waitcnt lgkmcnt(0)
	s_waitcnt_vscnt null, 0x0
	s_barrier
	buffer_gl0_inv
	v_cmpx_gt_u32_e32 38, v0
	s_cbranch_execz .LBB47_679
; %bb.672:
	ds_read_b128 v[1:4], v102
	v_cmp_ne_u32_e32 vcc_lo, 1, v103
	s_cbranch_vccnz .LBB47_674
; %bb.673:
	s_clause 0x3
	buffer_load_dword v104, v101, s[0:3], 0 offen offset:8
	buffer_load_dword v105, v101, s[0:3], 0 offen offset:12
	buffer_load_dword v108, v101, s[0:3], 0 offen
	buffer_load_dword v109, v101, s[0:3], 0 offen offset:4
	s_waitcnt vmcnt(2) lgkmcnt(0)
	v_mul_f64 v[110:111], v[3:4], v[104:105]
	v_mul_f64 v[104:105], v[1:2], v[104:105]
	s_waitcnt vmcnt(0)
	v_fma_f64 v[1:2], v[1:2], v[108:109], -v[110:111]
	v_fma_f64 v[3:4], v[3:4], v[108:109], v[104:105]
.LBB47_674:
	s_mov_b32 s6, exec_lo
	v_cmpx_ne_u32_e32 37, v0
	s_cbranch_execz .LBB47_678
; %bb.675:
	v_add_nc_u32_e32 v104, 0x310, v107
	v_add3_u32 v105, 0, v107, 16
	v_mov_b32_e32 v106, v0
	s_mov_b32 s8, 0
	.p2align	6
.LBB47_676:                             ; =>This Inner Loop Header: Depth=1
	s_clause 0x3
	buffer_load_dword v112, v105, s[0:3], 0 offen offset:8
	buffer_load_dword v113, v105, s[0:3], 0 offen offset:12
	buffer_load_dword v114, v105, s[0:3], 0 offen
	buffer_load_dword v115, v105, s[0:3], 0 offen offset:4
	ds_read_b128 v[108:111], v104
	v_add_nc_u32_e32 v106, 1, v106
	v_add_nc_u32_e32 v104, 16, v104
	;; [unrolled: 1-line block ×3, first 2 shown]
	v_cmp_lt_u32_e32 vcc_lo, 36, v106
	s_or_b32 s8, vcc_lo, s8
	s_waitcnt vmcnt(2) lgkmcnt(0)
	v_mul_f64 v[116:117], v[110:111], v[112:113]
	v_mul_f64 v[112:113], v[108:109], v[112:113]
	s_waitcnt vmcnt(0)
	v_fma_f64 v[108:109], v[108:109], v[114:115], -v[116:117]
	v_fma_f64 v[110:111], v[110:111], v[114:115], v[112:113]
	v_add_f64 v[1:2], v[1:2], v[108:109]
	v_add_f64 v[3:4], v[3:4], v[110:111]
	s_andn2_b32 exec_lo, exec_lo, s8
	s_cbranch_execnz .LBB47_676
; %bb.677:
	s_or_b32 exec_lo, exec_lo, s8
.LBB47_678:
	s_or_b32 exec_lo, exec_lo, s6
	v_mov_b32_e32 v104, 0
	ds_read_b128 v[108:111], v104 offset:608
	s_waitcnt lgkmcnt(0)
	v_mul_f64 v[104:105], v[3:4], v[110:111]
	v_mul_f64 v[110:111], v[1:2], v[110:111]
	v_fma_f64 v[1:2], v[1:2], v[108:109], -v[104:105]
	v_fma_f64 v[3:4], v[3:4], v[108:109], v[110:111]
	buffer_store_dword v2, off, s[0:3], 0 offset:612
	buffer_store_dword v1, off, s[0:3], 0 offset:608
	;; [unrolled: 1-line block ×4, first 2 shown]
.LBB47_679:
	s_or_b32 exec_lo, exec_lo, s4
	v_mov_b32_e32 v4, s16
	s_mov_b32 s4, exec_lo
	s_clause 0x3
	buffer_load_dword v1, v4, s[0:3], 0 offen
	buffer_load_dword v2, v4, s[0:3], 0 offen offset:4
	buffer_load_dword v3, v4, s[0:3], 0 offen offset:8
	;; [unrolled: 1-line block ×3, first 2 shown]
	s_waitcnt vmcnt(0)
	ds_write_b128 v102, v[1:4]
	s_waitcnt lgkmcnt(0)
	s_waitcnt_vscnt null, 0x0
	s_barrier
	buffer_gl0_inv
	v_cmpx_gt_u32_e32 39, v0
	s_cbranch_execz .LBB47_687
; %bb.680:
	ds_read_b128 v[1:4], v102
	v_cmp_ne_u32_e32 vcc_lo, 1, v103
	s_cbranch_vccnz .LBB47_682
; %bb.681:
	s_clause 0x3
	buffer_load_dword v104, v101, s[0:3], 0 offen offset:8
	buffer_load_dword v105, v101, s[0:3], 0 offen offset:12
	buffer_load_dword v108, v101, s[0:3], 0 offen
	buffer_load_dword v109, v101, s[0:3], 0 offen offset:4
	s_waitcnt vmcnt(2) lgkmcnt(0)
	v_mul_f64 v[110:111], v[3:4], v[104:105]
	v_mul_f64 v[104:105], v[1:2], v[104:105]
	s_waitcnt vmcnt(0)
	v_fma_f64 v[1:2], v[1:2], v[108:109], -v[110:111]
	v_fma_f64 v[3:4], v[3:4], v[108:109], v[104:105]
.LBB47_682:
	s_mov_b32 s6, exec_lo
	v_cmpx_ne_u32_e32 38, v0
	s_cbranch_execz .LBB47_686
; %bb.683:
	v_add_nc_u32_e32 v104, 0x310, v107
	v_add3_u32 v105, 0, v107, 16
	v_mov_b32_e32 v106, v0
	s_mov_b32 s8, 0
	.p2align	6
.LBB47_684:                             ; =>This Inner Loop Header: Depth=1
	s_clause 0x3
	buffer_load_dword v112, v105, s[0:3], 0 offen offset:8
	buffer_load_dword v113, v105, s[0:3], 0 offen offset:12
	buffer_load_dword v114, v105, s[0:3], 0 offen
	buffer_load_dword v115, v105, s[0:3], 0 offen offset:4
	ds_read_b128 v[108:111], v104
	v_add_nc_u32_e32 v106, 1, v106
	v_add_nc_u32_e32 v104, 16, v104
	;; [unrolled: 1-line block ×3, first 2 shown]
	v_cmp_lt_u32_e32 vcc_lo, 37, v106
	s_or_b32 s8, vcc_lo, s8
	s_waitcnt vmcnt(2) lgkmcnt(0)
	v_mul_f64 v[116:117], v[110:111], v[112:113]
	v_mul_f64 v[112:113], v[108:109], v[112:113]
	s_waitcnt vmcnt(0)
	v_fma_f64 v[108:109], v[108:109], v[114:115], -v[116:117]
	v_fma_f64 v[110:111], v[110:111], v[114:115], v[112:113]
	v_add_f64 v[1:2], v[1:2], v[108:109]
	v_add_f64 v[3:4], v[3:4], v[110:111]
	s_andn2_b32 exec_lo, exec_lo, s8
	s_cbranch_execnz .LBB47_684
; %bb.685:
	s_or_b32 exec_lo, exec_lo, s8
.LBB47_686:
	s_or_b32 exec_lo, exec_lo, s6
	v_mov_b32_e32 v104, 0
	ds_read_b128 v[108:111], v104 offset:624
	s_waitcnt lgkmcnt(0)
	v_mul_f64 v[104:105], v[3:4], v[110:111]
	v_mul_f64 v[110:111], v[1:2], v[110:111]
	v_fma_f64 v[1:2], v[1:2], v[108:109], -v[104:105]
	v_fma_f64 v[3:4], v[3:4], v[108:109], v[110:111]
	buffer_store_dword v2, off, s[0:3], 0 offset:628
	buffer_store_dword v1, off, s[0:3], 0 offset:624
	;; [unrolled: 1-line block ×4, first 2 shown]
.LBB47_687:
	s_or_b32 exec_lo, exec_lo, s4
	v_mov_b32_e32 v4, s15
	s_mov_b32 s4, exec_lo
	s_clause 0x3
	buffer_load_dword v1, v4, s[0:3], 0 offen
	buffer_load_dword v2, v4, s[0:3], 0 offen offset:4
	buffer_load_dword v3, v4, s[0:3], 0 offen offset:8
	;; [unrolled: 1-line block ×3, first 2 shown]
	s_waitcnt vmcnt(0)
	ds_write_b128 v102, v[1:4]
	s_waitcnt lgkmcnt(0)
	s_waitcnt_vscnt null, 0x0
	s_barrier
	buffer_gl0_inv
	v_cmpx_gt_u32_e32 40, v0
	s_cbranch_execz .LBB47_695
; %bb.688:
	ds_read_b128 v[1:4], v102
	v_cmp_ne_u32_e32 vcc_lo, 1, v103
	s_cbranch_vccnz .LBB47_690
; %bb.689:
	s_clause 0x3
	buffer_load_dword v104, v101, s[0:3], 0 offen offset:8
	buffer_load_dword v105, v101, s[0:3], 0 offen offset:12
	buffer_load_dword v108, v101, s[0:3], 0 offen
	buffer_load_dword v109, v101, s[0:3], 0 offen offset:4
	s_waitcnt vmcnt(2) lgkmcnt(0)
	v_mul_f64 v[110:111], v[3:4], v[104:105]
	v_mul_f64 v[104:105], v[1:2], v[104:105]
	s_waitcnt vmcnt(0)
	v_fma_f64 v[1:2], v[1:2], v[108:109], -v[110:111]
	v_fma_f64 v[3:4], v[3:4], v[108:109], v[104:105]
.LBB47_690:
	s_mov_b32 s6, exec_lo
	v_cmpx_ne_u32_e32 39, v0
	s_cbranch_execz .LBB47_694
; %bb.691:
	v_add_nc_u32_e32 v104, 0x310, v107
	v_add3_u32 v105, 0, v107, 16
	v_mov_b32_e32 v106, v0
	s_mov_b32 s8, 0
	.p2align	6
.LBB47_692:                             ; =>This Inner Loop Header: Depth=1
	s_clause 0x3
	buffer_load_dword v112, v105, s[0:3], 0 offen offset:8
	buffer_load_dword v113, v105, s[0:3], 0 offen offset:12
	buffer_load_dword v114, v105, s[0:3], 0 offen
	buffer_load_dword v115, v105, s[0:3], 0 offen offset:4
	ds_read_b128 v[108:111], v104
	v_add_nc_u32_e32 v106, 1, v106
	v_add_nc_u32_e32 v104, 16, v104
	;; [unrolled: 1-line block ×3, first 2 shown]
	v_cmp_lt_u32_e32 vcc_lo, 38, v106
	s_or_b32 s8, vcc_lo, s8
	s_waitcnt vmcnt(2) lgkmcnt(0)
	v_mul_f64 v[116:117], v[110:111], v[112:113]
	v_mul_f64 v[112:113], v[108:109], v[112:113]
	s_waitcnt vmcnt(0)
	v_fma_f64 v[108:109], v[108:109], v[114:115], -v[116:117]
	v_fma_f64 v[110:111], v[110:111], v[114:115], v[112:113]
	v_add_f64 v[1:2], v[1:2], v[108:109]
	v_add_f64 v[3:4], v[3:4], v[110:111]
	s_andn2_b32 exec_lo, exec_lo, s8
	s_cbranch_execnz .LBB47_692
; %bb.693:
	s_or_b32 exec_lo, exec_lo, s8
.LBB47_694:
	s_or_b32 exec_lo, exec_lo, s6
	v_mov_b32_e32 v104, 0
	ds_read_b128 v[108:111], v104 offset:640
	s_waitcnt lgkmcnt(0)
	v_mul_f64 v[104:105], v[3:4], v[110:111]
	v_mul_f64 v[110:111], v[1:2], v[110:111]
	v_fma_f64 v[1:2], v[1:2], v[108:109], -v[104:105]
	v_fma_f64 v[3:4], v[3:4], v[108:109], v[110:111]
	buffer_store_dword v2, off, s[0:3], 0 offset:644
	buffer_store_dword v1, off, s[0:3], 0 offset:640
	;; [unrolled: 1-line block ×4, first 2 shown]
.LBB47_695:
	s_or_b32 exec_lo, exec_lo, s4
	v_mov_b32_e32 v4, s14
	s_mov_b32 s4, exec_lo
	s_clause 0x3
	buffer_load_dword v1, v4, s[0:3], 0 offen
	buffer_load_dword v2, v4, s[0:3], 0 offen offset:4
	buffer_load_dword v3, v4, s[0:3], 0 offen offset:8
	;; [unrolled: 1-line block ×3, first 2 shown]
	s_waitcnt vmcnt(0)
	ds_write_b128 v102, v[1:4]
	s_waitcnt lgkmcnt(0)
	s_waitcnt_vscnt null, 0x0
	s_barrier
	buffer_gl0_inv
	v_cmpx_gt_u32_e32 41, v0
	s_cbranch_execz .LBB47_703
; %bb.696:
	ds_read_b128 v[1:4], v102
	v_cmp_ne_u32_e32 vcc_lo, 1, v103
	s_cbranch_vccnz .LBB47_698
; %bb.697:
	s_clause 0x3
	buffer_load_dword v104, v101, s[0:3], 0 offen offset:8
	buffer_load_dword v105, v101, s[0:3], 0 offen offset:12
	buffer_load_dword v108, v101, s[0:3], 0 offen
	buffer_load_dword v109, v101, s[0:3], 0 offen offset:4
	s_waitcnt vmcnt(2) lgkmcnt(0)
	v_mul_f64 v[110:111], v[3:4], v[104:105]
	v_mul_f64 v[104:105], v[1:2], v[104:105]
	s_waitcnt vmcnt(0)
	v_fma_f64 v[1:2], v[1:2], v[108:109], -v[110:111]
	v_fma_f64 v[3:4], v[3:4], v[108:109], v[104:105]
.LBB47_698:
	s_mov_b32 s6, exec_lo
	v_cmpx_ne_u32_e32 40, v0
	s_cbranch_execz .LBB47_702
; %bb.699:
	v_add_nc_u32_e32 v104, 0x310, v107
	v_add3_u32 v105, 0, v107, 16
	v_mov_b32_e32 v106, v0
	s_mov_b32 s8, 0
	.p2align	6
.LBB47_700:                             ; =>This Inner Loop Header: Depth=1
	s_clause 0x3
	buffer_load_dword v112, v105, s[0:3], 0 offen offset:8
	buffer_load_dword v113, v105, s[0:3], 0 offen offset:12
	buffer_load_dword v114, v105, s[0:3], 0 offen
	buffer_load_dword v115, v105, s[0:3], 0 offen offset:4
	ds_read_b128 v[108:111], v104
	v_add_nc_u32_e32 v106, 1, v106
	v_add_nc_u32_e32 v104, 16, v104
	v_add_nc_u32_e32 v105, 16, v105
	v_cmp_lt_u32_e32 vcc_lo, 39, v106
	s_or_b32 s8, vcc_lo, s8
	s_waitcnt vmcnt(2) lgkmcnt(0)
	v_mul_f64 v[116:117], v[110:111], v[112:113]
	v_mul_f64 v[112:113], v[108:109], v[112:113]
	s_waitcnt vmcnt(0)
	v_fma_f64 v[108:109], v[108:109], v[114:115], -v[116:117]
	v_fma_f64 v[110:111], v[110:111], v[114:115], v[112:113]
	v_add_f64 v[1:2], v[1:2], v[108:109]
	v_add_f64 v[3:4], v[3:4], v[110:111]
	s_andn2_b32 exec_lo, exec_lo, s8
	s_cbranch_execnz .LBB47_700
; %bb.701:
	s_or_b32 exec_lo, exec_lo, s8
.LBB47_702:
	s_or_b32 exec_lo, exec_lo, s6
	v_mov_b32_e32 v104, 0
	ds_read_b128 v[108:111], v104 offset:656
	s_waitcnt lgkmcnt(0)
	v_mul_f64 v[104:105], v[3:4], v[110:111]
	v_mul_f64 v[110:111], v[1:2], v[110:111]
	v_fma_f64 v[1:2], v[1:2], v[108:109], -v[104:105]
	v_fma_f64 v[3:4], v[3:4], v[108:109], v[110:111]
	buffer_store_dword v2, off, s[0:3], 0 offset:660
	buffer_store_dword v1, off, s[0:3], 0 offset:656
	;; [unrolled: 1-line block ×4, first 2 shown]
.LBB47_703:
	s_or_b32 exec_lo, exec_lo, s4
	v_mov_b32_e32 v4, s13
	s_mov_b32 s4, exec_lo
	s_clause 0x3
	buffer_load_dword v1, v4, s[0:3], 0 offen
	buffer_load_dword v2, v4, s[0:3], 0 offen offset:4
	buffer_load_dword v3, v4, s[0:3], 0 offen offset:8
	;; [unrolled: 1-line block ×3, first 2 shown]
	s_waitcnt vmcnt(0)
	ds_write_b128 v102, v[1:4]
	s_waitcnt lgkmcnt(0)
	s_waitcnt_vscnt null, 0x0
	s_barrier
	buffer_gl0_inv
	v_cmpx_gt_u32_e32 42, v0
	s_cbranch_execz .LBB47_711
; %bb.704:
	ds_read_b128 v[1:4], v102
	v_cmp_ne_u32_e32 vcc_lo, 1, v103
	s_cbranch_vccnz .LBB47_706
; %bb.705:
	s_clause 0x3
	buffer_load_dword v104, v101, s[0:3], 0 offen offset:8
	buffer_load_dword v105, v101, s[0:3], 0 offen offset:12
	buffer_load_dword v108, v101, s[0:3], 0 offen
	buffer_load_dword v109, v101, s[0:3], 0 offen offset:4
	s_waitcnt vmcnt(2) lgkmcnt(0)
	v_mul_f64 v[110:111], v[3:4], v[104:105]
	v_mul_f64 v[104:105], v[1:2], v[104:105]
	s_waitcnt vmcnt(0)
	v_fma_f64 v[1:2], v[1:2], v[108:109], -v[110:111]
	v_fma_f64 v[3:4], v[3:4], v[108:109], v[104:105]
.LBB47_706:
	s_mov_b32 s6, exec_lo
	v_cmpx_ne_u32_e32 41, v0
	s_cbranch_execz .LBB47_710
; %bb.707:
	v_add_nc_u32_e32 v104, 0x310, v107
	v_add3_u32 v105, 0, v107, 16
	v_mov_b32_e32 v106, v0
	s_mov_b32 s8, 0
	.p2align	6
.LBB47_708:                             ; =>This Inner Loop Header: Depth=1
	s_clause 0x3
	buffer_load_dword v112, v105, s[0:3], 0 offen offset:8
	buffer_load_dword v113, v105, s[0:3], 0 offen offset:12
	buffer_load_dword v114, v105, s[0:3], 0 offen
	buffer_load_dword v115, v105, s[0:3], 0 offen offset:4
	ds_read_b128 v[108:111], v104
	v_add_nc_u32_e32 v106, 1, v106
	v_add_nc_u32_e32 v104, 16, v104
	v_add_nc_u32_e32 v105, 16, v105
	v_cmp_lt_u32_e32 vcc_lo, 40, v106
	s_or_b32 s8, vcc_lo, s8
	s_waitcnt vmcnt(2) lgkmcnt(0)
	v_mul_f64 v[116:117], v[110:111], v[112:113]
	v_mul_f64 v[112:113], v[108:109], v[112:113]
	s_waitcnt vmcnt(0)
	v_fma_f64 v[108:109], v[108:109], v[114:115], -v[116:117]
	v_fma_f64 v[110:111], v[110:111], v[114:115], v[112:113]
	v_add_f64 v[1:2], v[1:2], v[108:109]
	v_add_f64 v[3:4], v[3:4], v[110:111]
	s_andn2_b32 exec_lo, exec_lo, s8
	s_cbranch_execnz .LBB47_708
; %bb.709:
	s_or_b32 exec_lo, exec_lo, s8
.LBB47_710:
	s_or_b32 exec_lo, exec_lo, s6
	v_mov_b32_e32 v104, 0
	ds_read_b128 v[108:111], v104 offset:672
	s_waitcnt lgkmcnt(0)
	v_mul_f64 v[104:105], v[3:4], v[110:111]
	v_mul_f64 v[110:111], v[1:2], v[110:111]
	v_fma_f64 v[1:2], v[1:2], v[108:109], -v[104:105]
	v_fma_f64 v[3:4], v[3:4], v[108:109], v[110:111]
	buffer_store_dword v2, off, s[0:3], 0 offset:676
	buffer_store_dword v1, off, s[0:3], 0 offset:672
	;; [unrolled: 1-line block ×4, first 2 shown]
.LBB47_711:
	s_or_b32 exec_lo, exec_lo, s4
	v_mov_b32_e32 v4, s12
	s_mov_b32 s4, exec_lo
	s_clause 0x3
	buffer_load_dword v1, v4, s[0:3], 0 offen
	buffer_load_dword v2, v4, s[0:3], 0 offen offset:4
	buffer_load_dword v3, v4, s[0:3], 0 offen offset:8
	buffer_load_dword v4, v4, s[0:3], 0 offen offset:12
	s_waitcnt vmcnt(0)
	ds_write_b128 v102, v[1:4]
	s_waitcnt lgkmcnt(0)
	s_waitcnt_vscnt null, 0x0
	s_barrier
	buffer_gl0_inv
	v_cmpx_gt_u32_e32 43, v0
	s_cbranch_execz .LBB47_719
; %bb.712:
	ds_read_b128 v[1:4], v102
	v_cmp_ne_u32_e32 vcc_lo, 1, v103
	s_cbranch_vccnz .LBB47_714
; %bb.713:
	s_clause 0x3
	buffer_load_dword v104, v101, s[0:3], 0 offen offset:8
	buffer_load_dword v105, v101, s[0:3], 0 offen offset:12
	buffer_load_dword v108, v101, s[0:3], 0 offen
	buffer_load_dword v109, v101, s[0:3], 0 offen offset:4
	s_waitcnt vmcnt(2) lgkmcnt(0)
	v_mul_f64 v[110:111], v[3:4], v[104:105]
	v_mul_f64 v[104:105], v[1:2], v[104:105]
	s_waitcnt vmcnt(0)
	v_fma_f64 v[1:2], v[1:2], v[108:109], -v[110:111]
	v_fma_f64 v[3:4], v[3:4], v[108:109], v[104:105]
.LBB47_714:
	s_mov_b32 s6, exec_lo
	v_cmpx_ne_u32_e32 42, v0
	s_cbranch_execz .LBB47_718
; %bb.715:
	v_add_nc_u32_e32 v104, 0x310, v107
	v_add3_u32 v105, 0, v107, 16
	v_mov_b32_e32 v106, v0
	s_mov_b32 s8, 0
	.p2align	6
.LBB47_716:                             ; =>This Inner Loop Header: Depth=1
	s_clause 0x3
	buffer_load_dword v112, v105, s[0:3], 0 offen offset:8
	buffer_load_dword v113, v105, s[0:3], 0 offen offset:12
	buffer_load_dword v114, v105, s[0:3], 0 offen
	buffer_load_dword v115, v105, s[0:3], 0 offen offset:4
	ds_read_b128 v[108:111], v104
	v_add_nc_u32_e32 v106, 1, v106
	v_add_nc_u32_e32 v104, 16, v104
	v_add_nc_u32_e32 v105, 16, v105
	v_cmp_lt_u32_e32 vcc_lo, 41, v106
	s_or_b32 s8, vcc_lo, s8
	s_waitcnt vmcnt(2) lgkmcnt(0)
	v_mul_f64 v[116:117], v[110:111], v[112:113]
	v_mul_f64 v[112:113], v[108:109], v[112:113]
	s_waitcnt vmcnt(0)
	v_fma_f64 v[108:109], v[108:109], v[114:115], -v[116:117]
	v_fma_f64 v[110:111], v[110:111], v[114:115], v[112:113]
	v_add_f64 v[1:2], v[1:2], v[108:109]
	v_add_f64 v[3:4], v[3:4], v[110:111]
	s_andn2_b32 exec_lo, exec_lo, s8
	s_cbranch_execnz .LBB47_716
; %bb.717:
	s_or_b32 exec_lo, exec_lo, s8
.LBB47_718:
	s_or_b32 exec_lo, exec_lo, s6
	v_mov_b32_e32 v104, 0
	ds_read_b128 v[108:111], v104 offset:688
	s_waitcnt lgkmcnt(0)
	v_mul_f64 v[104:105], v[3:4], v[110:111]
	v_mul_f64 v[110:111], v[1:2], v[110:111]
	v_fma_f64 v[1:2], v[1:2], v[108:109], -v[104:105]
	v_fma_f64 v[3:4], v[3:4], v[108:109], v[110:111]
	buffer_store_dword v2, off, s[0:3], 0 offset:692
	buffer_store_dword v1, off, s[0:3], 0 offset:688
	;; [unrolled: 1-line block ×4, first 2 shown]
.LBB47_719:
	s_or_b32 exec_lo, exec_lo, s4
	v_mov_b32_e32 v4, s11
	s_mov_b32 s4, exec_lo
	s_clause 0x3
	buffer_load_dword v1, v4, s[0:3], 0 offen
	buffer_load_dword v2, v4, s[0:3], 0 offen offset:4
	buffer_load_dword v3, v4, s[0:3], 0 offen offset:8
	;; [unrolled: 1-line block ×3, first 2 shown]
	s_waitcnt vmcnt(0)
	ds_write_b128 v102, v[1:4]
	s_waitcnt lgkmcnt(0)
	s_waitcnt_vscnt null, 0x0
	s_barrier
	buffer_gl0_inv
	v_cmpx_gt_u32_e32 44, v0
	s_cbranch_execz .LBB47_727
; %bb.720:
	ds_read_b128 v[1:4], v102
	v_cmp_ne_u32_e32 vcc_lo, 1, v103
	s_cbranch_vccnz .LBB47_722
; %bb.721:
	s_clause 0x3
	buffer_load_dword v104, v101, s[0:3], 0 offen offset:8
	buffer_load_dword v105, v101, s[0:3], 0 offen offset:12
	buffer_load_dword v108, v101, s[0:3], 0 offen
	buffer_load_dword v109, v101, s[0:3], 0 offen offset:4
	s_waitcnt vmcnt(2) lgkmcnt(0)
	v_mul_f64 v[110:111], v[3:4], v[104:105]
	v_mul_f64 v[104:105], v[1:2], v[104:105]
	s_waitcnt vmcnt(0)
	v_fma_f64 v[1:2], v[1:2], v[108:109], -v[110:111]
	v_fma_f64 v[3:4], v[3:4], v[108:109], v[104:105]
.LBB47_722:
	s_mov_b32 s6, exec_lo
	v_cmpx_ne_u32_e32 43, v0
	s_cbranch_execz .LBB47_726
; %bb.723:
	v_add_nc_u32_e32 v104, 0x310, v107
	v_add3_u32 v105, 0, v107, 16
	v_mov_b32_e32 v106, v0
	s_mov_b32 s8, 0
	.p2align	6
.LBB47_724:                             ; =>This Inner Loop Header: Depth=1
	s_clause 0x3
	buffer_load_dword v112, v105, s[0:3], 0 offen offset:8
	buffer_load_dword v113, v105, s[0:3], 0 offen offset:12
	buffer_load_dword v114, v105, s[0:3], 0 offen
	buffer_load_dword v115, v105, s[0:3], 0 offen offset:4
	ds_read_b128 v[108:111], v104
	v_add_nc_u32_e32 v106, 1, v106
	v_add_nc_u32_e32 v104, 16, v104
	;; [unrolled: 1-line block ×3, first 2 shown]
	v_cmp_lt_u32_e32 vcc_lo, 42, v106
	s_or_b32 s8, vcc_lo, s8
	s_waitcnt vmcnt(2) lgkmcnt(0)
	v_mul_f64 v[116:117], v[110:111], v[112:113]
	v_mul_f64 v[112:113], v[108:109], v[112:113]
	s_waitcnt vmcnt(0)
	v_fma_f64 v[108:109], v[108:109], v[114:115], -v[116:117]
	v_fma_f64 v[110:111], v[110:111], v[114:115], v[112:113]
	v_add_f64 v[1:2], v[1:2], v[108:109]
	v_add_f64 v[3:4], v[3:4], v[110:111]
	s_andn2_b32 exec_lo, exec_lo, s8
	s_cbranch_execnz .LBB47_724
; %bb.725:
	s_or_b32 exec_lo, exec_lo, s8
.LBB47_726:
	s_or_b32 exec_lo, exec_lo, s6
	v_mov_b32_e32 v104, 0
	ds_read_b128 v[108:111], v104 offset:704
	s_waitcnt lgkmcnt(0)
	v_mul_f64 v[104:105], v[3:4], v[110:111]
	v_mul_f64 v[110:111], v[1:2], v[110:111]
	v_fma_f64 v[1:2], v[1:2], v[108:109], -v[104:105]
	v_fma_f64 v[3:4], v[3:4], v[108:109], v[110:111]
	buffer_store_dword v2, off, s[0:3], 0 offset:708
	buffer_store_dword v1, off, s[0:3], 0 offset:704
	;; [unrolled: 1-line block ×4, first 2 shown]
.LBB47_727:
	s_or_b32 exec_lo, exec_lo, s4
	v_mov_b32_e32 v4, s10
	s_mov_b32 s4, exec_lo
	s_clause 0x3
	buffer_load_dword v1, v4, s[0:3], 0 offen
	buffer_load_dword v2, v4, s[0:3], 0 offen offset:4
	buffer_load_dword v3, v4, s[0:3], 0 offen offset:8
	;; [unrolled: 1-line block ×3, first 2 shown]
	s_waitcnt vmcnt(0)
	ds_write_b128 v102, v[1:4]
	s_waitcnt lgkmcnt(0)
	s_waitcnt_vscnt null, 0x0
	s_barrier
	buffer_gl0_inv
	v_cmpx_gt_u32_e32 45, v0
	s_cbranch_execz .LBB47_735
; %bb.728:
	ds_read_b128 v[1:4], v102
	v_cmp_ne_u32_e32 vcc_lo, 1, v103
	s_cbranch_vccnz .LBB47_730
; %bb.729:
	s_clause 0x3
	buffer_load_dword v104, v101, s[0:3], 0 offen offset:8
	buffer_load_dword v105, v101, s[0:3], 0 offen offset:12
	buffer_load_dword v108, v101, s[0:3], 0 offen
	buffer_load_dword v109, v101, s[0:3], 0 offen offset:4
	s_waitcnt vmcnt(2) lgkmcnt(0)
	v_mul_f64 v[110:111], v[3:4], v[104:105]
	v_mul_f64 v[104:105], v[1:2], v[104:105]
	s_waitcnt vmcnt(0)
	v_fma_f64 v[1:2], v[1:2], v[108:109], -v[110:111]
	v_fma_f64 v[3:4], v[3:4], v[108:109], v[104:105]
.LBB47_730:
	s_mov_b32 s6, exec_lo
	v_cmpx_ne_u32_e32 44, v0
	s_cbranch_execz .LBB47_734
; %bb.731:
	v_add_nc_u32_e32 v104, 0x310, v107
	v_add3_u32 v105, 0, v107, 16
	v_mov_b32_e32 v106, v0
	s_mov_b32 s8, 0
	.p2align	6
.LBB47_732:                             ; =>This Inner Loop Header: Depth=1
	s_clause 0x3
	buffer_load_dword v112, v105, s[0:3], 0 offen offset:8
	buffer_load_dword v113, v105, s[0:3], 0 offen offset:12
	buffer_load_dword v114, v105, s[0:3], 0 offen
	buffer_load_dword v115, v105, s[0:3], 0 offen offset:4
	ds_read_b128 v[108:111], v104
	v_add_nc_u32_e32 v106, 1, v106
	v_add_nc_u32_e32 v104, 16, v104
	v_add_nc_u32_e32 v105, 16, v105
	v_cmp_lt_u32_e32 vcc_lo, 43, v106
	s_or_b32 s8, vcc_lo, s8
	s_waitcnt vmcnt(2) lgkmcnt(0)
	v_mul_f64 v[116:117], v[110:111], v[112:113]
	v_mul_f64 v[112:113], v[108:109], v[112:113]
	s_waitcnt vmcnt(0)
	v_fma_f64 v[108:109], v[108:109], v[114:115], -v[116:117]
	v_fma_f64 v[110:111], v[110:111], v[114:115], v[112:113]
	v_add_f64 v[1:2], v[1:2], v[108:109]
	v_add_f64 v[3:4], v[3:4], v[110:111]
	s_andn2_b32 exec_lo, exec_lo, s8
	s_cbranch_execnz .LBB47_732
; %bb.733:
	s_or_b32 exec_lo, exec_lo, s8
.LBB47_734:
	s_or_b32 exec_lo, exec_lo, s6
	v_mov_b32_e32 v104, 0
	ds_read_b128 v[108:111], v104 offset:720
	s_waitcnt lgkmcnt(0)
	v_mul_f64 v[104:105], v[3:4], v[110:111]
	v_mul_f64 v[110:111], v[1:2], v[110:111]
	v_fma_f64 v[1:2], v[1:2], v[108:109], -v[104:105]
	v_fma_f64 v[3:4], v[3:4], v[108:109], v[110:111]
	buffer_store_dword v2, off, s[0:3], 0 offset:724
	buffer_store_dword v1, off, s[0:3], 0 offset:720
	;; [unrolled: 1-line block ×4, first 2 shown]
.LBB47_735:
	s_or_b32 exec_lo, exec_lo, s4
	v_mov_b32_e32 v4, s9
	v_cmp_gt_u32_e64 s4, 46, v0
	s_clause 0x3
	buffer_load_dword v1, v4, s[0:3], 0 offen
	buffer_load_dword v2, v4, s[0:3], 0 offen offset:4
	buffer_load_dword v3, v4, s[0:3], 0 offen offset:8
	;; [unrolled: 1-line block ×3, first 2 shown]
	s_waitcnt vmcnt(0)
	ds_write_b128 v102, v[1:4]
	s_waitcnt lgkmcnt(0)
	s_waitcnt_vscnt null, 0x0
	s_barrier
	buffer_gl0_inv
	s_and_saveexec_b32 s6, s4
	s_cbranch_execz .LBB47_743
; %bb.736:
	ds_read_b128 v[1:4], v102
	v_cmp_ne_u32_e32 vcc_lo, 1, v103
	s_cbranch_vccnz .LBB47_738
; %bb.737:
	s_clause 0x3
	buffer_load_dword v104, v101, s[0:3], 0 offen offset:8
	buffer_load_dword v105, v101, s[0:3], 0 offen offset:12
	buffer_load_dword v108, v101, s[0:3], 0 offen
	buffer_load_dword v109, v101, s[0:3], 0 offen offset:4
	s_waitcnt vmcnt(2) lgkmcnt(0)
	v_mul_f64 v[110:111], v[3:4], v[104:105]
	v_mul_f64 v[104:105], v[1:2], v[104:105]
	s_waitcnt vmcnt(0)
	v_fma_f64 v[1:2], v[1:2], v[108:109], -v[110:111]
	v_fma_f64 v[3:4], v[3:4], v[108:109], v[104:105]
.LBB47_738:
	s_mov_b32 s8, exec_lo
	v_cmpx_ne_u32_e32 45, v0
	s_cbranch_execz .LBB47_742
; %bb.739:
	v_add_nc_u32_e32 v104, 0x310, v107
	v_add3_u32 v105, 0, v107, 16
	v_mov_b32_e32 v106, v0
	s_mov_b32 s56, 0
	.p2align	6
.LBB47_740:                             ; =>This Inner Loop Header: Depth=1
	s_clause 0x3
	buffer_load_dword v112, v105, s[0:3], 0 offen offset:8
	buffer_load_dword v113, v105, s[0:3], 0 offen offset:12
	buffer_load_dword v114, v105, s[0:3], 0 offen
	buffer_load_dword v115, v105, s[0:3], 0 offen offset:4
	ds_read_b128 v[108:111], v104
	v_add_nc_u32_e32 v106, 1, v106
	v_add_nc_u32_e32 v104, 16, v104
	;; [unrolled: 1-line block ×3, first 2 shown]
	v_cmp_lt_u32_e32 vcc_lo, 44, v106
	s_or_b32 s56, vcc_lo, s56
	s_waitcnt vmcnt(2) lgkmcnt(0)
	v_mul_f64 v[116:117], v[110:111], v[112:113]
	v_mul_f64 v[112:113], v[108:109], v[112:113]
	s_waitcnt vmcnt(0)
	v_fma_f64 v[108:109], v[108:109], v[114:115], -v[116:117]
	v_fma_f64 v[110:111], v[110:111], v[114:115], v[112:113]
	v_add_f64 v[1:2], v[1:2], v[108:109]
	v_add_f64 v[3:4], v[3:4], v[110:111]
	s_andn2_b32 exec_lo, exec_lo, s56
	s_cbranch_execnz .LBB47_740
; %bb.741:
	s_or_b32 exec_lo, exec_lo, s56
.LBB47_742:
	s_or_b32 exec_lo, exec_lo, s8
	v_mov_b32_e32 v104, 0
	ds_read_b128 v[108:111], v104 offset:736
	s_waitcnt lgkmcnt(0)
	v_mul_f64 v[104:105], v[3:4], v[110:111]
	v_mul_f64 v[110:111], v[1:2], v[110:111]
	v_fma_f64 v[1:2], v[1:2], v[108:109], -v[104:105]
	v_fma_f64 v[3:4], v[3:4], v[108:109], v[110:111]
	buffer_store_dword v2, off, s[0:3], 0 offset:740
	buffer_store_dword v1, off, s[0:3], 0 offset:736
	;; [unrolled: 1-line block ×4, first 2 shown]
.LBB47_743:
	s_or_b32 exec_lo, exec_lo, s6
	v_mov_b32_e32 v4, s7
	s_mov_b32 s6, exec_lo
                                        ; implicit-def: $sgpr57
	s_clause 0x3
	buffer_load_dword v1, v4, s[0:3], 0 offen
	buffer_load_dword v2, v4, s[0:3], 0 offen offset:4
	buffer_load_dword v3, v4, s[0:3], 0 offen offset:8
	;; [unrolled: 1-line block ×3, first 2 shown]
	s_waitcnt vmcnt(0)
	ds_write_b128 v102, v[1:4]
	s_waitcnt lgkmcnt(0)
	s_waitcnt_vscnt null, 0x0
	s_barrier
	buffer_gl0_inv
                                        ; implicit-def: $vgpr1_vgpr2
	v_cmpx_ne_u32_e32 47, v0
	s_cbranch_execz .LBB47_751
; %bb.744:
	ds_read_b128 v[1:4], v102
	v_cmp_ne_u32_e32 vcc_lo, 1, v103
	s_cbranch_vccnz .LBB47_746
; %bb.745:
	s_clause 0x3
	buffer_load_dword v102, v101, s[0:3], 0 offen offset:8
	buffer_load_dword v103, v101, s[0:3], 0 offen offset:12
	buffer_load_dword v104, v101, s[0:3], 0 offen
	buffer_load_dword v105, v101, s[0:3], 0 offen offset:4
	s_waitcnt vmcnt(2) lgkmcnt(0)
	v_mul_f64 v[108:109], v[3:4], v[102:103]
	v_mul_f64 v[101:102], v[1:2], v[102:103]
	s_waitcnt vmcnt(0)
	v_fma_f64 v[1:2], v[1:2], v[104:105], -v[108:109]
	v_fma_f64 v[3:4], v[3:4], v[104:105], v[101:102]
.LBB47_746:
	s_and_saveexec_b32 s8, s4
	s_cbranch_execz .LBB47_750
; %bb.747:
	v_add_nc_u32_e32 v101, 0x310, v107
	v_add3_u32 v102, 0, v107, 16
	s_mov_b32 s4, 0
	.p2align	6
.LBB47_748:                             ; =>This Inner Loop Header: Depth=1
	s_clause 0x3
	buffer_load_dword v107, v102, s[0:3], 0 offen offset:8
	buffer_load_dword v108, v102, s[0:3], 0 offen offset:12
	buffer_load_dword v109, v102, s[0:3], 0 offen
	buffer_load_dword v110, v102, s[0:3], 0 offen offset:4
	ds_read_b128 v[103:106], v101
	v_add_nc_u32_e32 v0, 1, v0
	v_add_nc_u32_e32 v101, 16, v101
	;; [unrolled: 1-line block ×3, first 2 shown]
	v_cmp_lt_u32_e32 vcc_lo, 45, v0
	s_or_b32 s4, vcc_lo, s4
	s_waitcnt vmcnt(2) lgkmcnt(0)
	v_mul_f64 v[111:112], v[105:106], v[107:108]
	v_mul_f64 v[107:108], v[103:104], v[107:108]
	s_waitcnt vmcnt(0)
	v_fma_f64 v[103:104], v[103:104], v[109:110], -v[111:112]
	v_fma_f64 v[105:106], v[105:106], v[109:110], v[107:108]
	v_add_f64 v[1:2], v[1:2], v[103:104]
	v_add_f64 v[3:4], v[3:4], v[105:106]
	s_andn2_b32 exec_lo, exec_lo, s4
	s_cbranch_execnz .LBB47_748
; %bb.749:
	s_or_b32 exec_lo, exec_lo, s4
.LBB47_750:
	s_or_b32 exec_lo, exec_lo, s8
	v_mov_b32_e32 v0, 0
	s_movk_i32 s57, 0x2f8
	s_or_b32 s5, s5, exec_lo
	ds_read_b128 v[101:104], v0 offset:752
	s_waitcnt lgkmcnt(0)
	v_mul_f64 v[105:106], v[3:4], v[103:104]
	v_mul_f64 v[103:104], v[1:2], v[103:104]
	v_fma_f64 v[105:106], v[1:2], v[101:102], -v[105:106]
	v_fma_f64 v[1:2], v[3:4], v[101:102], v[103:104]
	buffer_store_dword v106, off, s[0:3], 0 offset:756
	buffer_store_dword v105, off, s[0:3], 0 offset:752
.LBB47_751:
	s_or_b32 exec_lo, exec_lo, s6
.LBB47_752:
	s_and_saveexec_b32 s4, s5
	s_cbranch_execz .LBB47_754
; %bb.753:
	v_mov_b32_e32 v0, s57
	buffer_store_dword v2, v0, s[0:3], 0 offen offset:4
	buffer_store_dword v1, v0, s[0:3], 0 offen
.LBB47_754:
	s_or_b32 exec_lo, exec_lo, s4
	v_mov_b32_e32 v3, s55
	v_mov_b32_e32 v108, s52
	;; [unrolled: 1-line block ×6, first 2 shown]
	s_clause 0x1b
	buffer_load_dword v0, v3, s[0:3], 0 offen
	buffer_load_dword v1, v3, s[0:3], 0 offen offset:4
	buffer_load_dword v2, v3, s[0:3], 0 offen offset:8
	buffer_load_dword v3, v3, s[0:3], 0 offen offset:12
	buffer_load_dword v101, v104, s[0:3], 0 offen
	buffer_load_dword v102, v104, s[0:3], 0 offen offset:4
	buffer_load_dword v103, v104, s[0:3], 0 offen offset:8
	buffer_load_dword v104, v104, s[0:3], 0 offen offset:12
	;; [unrolled: 4-line block ×6, first 2 shown]
	buffer_load_dword v121, off, s[0:3], 0
	buffer_load_dword v122, off, s[0:3], 0 offset:4
	buffer_load_dword v123, off, s[0:3], 0 offset:8
	;; [unrolled: 1-line block ×3, first 2 shown]
	v_mov_b32_e32 v4, s49
	v_mov_b32_e32 v138, s17
	;; [unrolled: 1-line block ×8, first 2 shown]
	s_waitcnt vmcnt(0)
	global_store_dwordx4 v[47:48], v[121:124], off
	s_clause 0x3
	buffer_load_dword v121, v4, s[0:3], 0 offen
	buffer_load_dword v122, v4, s[0:3], 0 offen offset:4
	buffer_load_dword v123, v4, s[0:3], 0 offen offset:8
	;; [unrolled: 1-line block ×3, first 2 shown]
	v_mov_b32_e32 v4, s48
	global_store_dwordx4 v[41:42], v[117:120], off
	s_clause 0x3
	buffer_load_dword v117, v4, s[0:3], 0 offen
	buffer_load_dword v118, v4, s[0:3], 0 offen offset:4
	buffer_load_dword v119, v4, s[0:3], 0 offen offset:8
	;; [unrolled: 1-line block ×3, first 2 shown]
	v_mov_b32_e32 v4, s47
	s_clause 0x3
	buffer_load_dword v125, v4, s[0:3], 0 offen
	buffer_load_dword v126, v4, s[0:3], 0 offen offset:4
	buffer_load_dword v127, v4, s[0:3], 0 offen offset:8
	;; [unrolled: 1-line block ×3, first 2 shown]
	global_store_dwordx4 v[75:76], v[0:3], off
	v_mov_b32_e32 v3, s46
	s_clause 0x3
	buffer_load_dword v0, v3, s[0:3], 0 offen
	buffer_load_dword v1, v3, s[0:3], 0 offen offset:4
	buffer_load_dword v2, v3, s[0:3], 0 offen offset:8
	;; [unrolled: 1-line block ×3, first 2 shown]
	v_mov_b32_e32 v4, s45
	global_store_dwordx4 v[77:78], v[101:104], off
	s_clause 0x3
	buffer_load_dword v75, v4, s[0:3], 0 offen
	buffer_load_dword v76, v4, s[0:3], 0 offen offset:4
	buffer_load_dword v77, v4, s[0:3], 0 offen offset:8
	;; [unrolled: 1-line block ×3, first 2 shown]
	v_mov_b32_e32 v4, s44
	s_clause 0x3
	buffer_load_dword v101, v4, s[0:3], 0 offen
	buffer_load_dword v102, v4, s[0:3], 0 offen offset:4
	buffer_load_dword v103, v4, s[0:3], 0 offen offset:8
	;; [unrolled: 1-line block ×3, first 2 shown]
	v_mov_b32_e32 v4, s43
	global_store_dwordx4 v[71:72], v[105:108], off
	s_clause 0x3
	buffer_load_dword v105, v4, s[0:3], 0 offen
	buffer_load_dword v106, v4, s[0:3], 0 offen offset:4
	buffer_load_dword v107, v4, s[0:3], 0 offen offset:8
	;; [unrolled: 1-line block ×3, first 2 shown]
	v_mov_b32_e32 v4, s42
	v_mov_b32_e32 v41, s41
	global_store_dwordx4 v[61:62], v[109:112], off
	s_clause 0x3
	buffer_load_dword v109, v4, s[0:3], 0 offen
	buffer_load_dword v110, v4, s[0:3], 0 offen offset:4
	buffer_load_dword v111, v4, s[0:3], 0 offen offset:8
	buffer_load_dword v112, v4, s[0:3], 0 offen offset:12
	v_mov_b32_e32 v4, s40
	global_store_dwordx4 v[53:54], v[113:116], off
	s_clause 0x3
	buffer_load_dword v113, v41, s[0:3], 0 offen
	buffer_load_dword v114, v41, s[0:3], 0 offen offset:4
	buffer_load_dword v115, v41, s[0:3], 0 offen offset:8
	;; [unrolled: 1-line block ×3, first 2 shown]
	v_mov_b32_e32 v41, s39
	s_clause 0x3
	buffer_load_dword v129, v4, s[0:3], 0 offen
	buffer_load_dword v130, v4, s[0:3], 0 offen offset:4
	buffer_load_dword v131, v4, s[0:3], 0 offen offset:8
	;; [unrolled: 1-line block ×3, first 2 shown]
	v_mov_b32_e32 v4, s38
	v_mov_b32_e32 v47, s31
	v_mov_b32_e32 v72, s19
	v_mov_b32_e32 v71, s22
	s_waitcnt vmcnt(36)
	global_store_dwordx4 v[63:64], v[121:124], off
	s_clause 0x7
	buffer_load_dword v61, v41, s[0:3], 0 offen
	buffer_load_dword v62, v41, s[0:3], 0 offen offset:4
	buffer_load_dword v63, v41, s[0:3], 0 offen offset:8
	;; [unrolled: 1-line block ×3, first 2 shown]
	buffer_load_dword v121, v4, s[0:3], 0 offen
	buffer_load_dword v122, v4, s[0:3], 0 offen offset:4
	buffer_load_dword v123, v4, s[0:3], 0 offen offset:8
	;; [unrolled: 1-line block ×3, first 2 shown]
	v_mov_b32_e32 v4, s37
	v_mov_b32_e32 v41, s35
	s_waitcnt vmcnt(40)
	global_store_dwordx4 v[65:66], v[117:120], off
	s_clause 0x3
	buffer_load_dword v117, v4, s[0:3], 0 offen
	buffer_load_dword v118, v4, s[0:3], 0 offen offset:4
	buffer_load_dword v119, v4, s[0:3], 0 offen offset:8
	;; [unrolled: 1-line block ×3, first 2 shown]
	v_mov_b32_e32 v4, s36
	v_mov_b32_e32 v66, s23
	v_mov_b32_e32 v65, s24
	s_waitcnt vmcnt(40)
	global_store_dwordx4 v[57:58], v[125:128], off
	s_clause 0x7
	buffer_load_dword v125, v4, s[0:3], 0 offen
	buffer_load_dword v126, v4, s[0:3], 0 offen offset:4
	buffer_load_dword v127, v4, s[0:3], 0 offen offset:8
	;; [unrolled: 1-line block ×3, first 2 shown]
	buffer_load_dword v133, v41, s[0:3], 0 offen
	buffer_load_dword v134, v41, s[0:3], 0 offen offset:4
	buffer_load_dword v135, v41, s[0:3], 0 offen offset:8
	;; [unrolled: 1-line block ×3, first 2 shown]
	v_mov_b32_e32 v4, s33
	s_waitcnt vmcnt(44)
	global_store_dwordx4 v[55:56], v[0:3], off
	v_mov_b32_e32 v3, s34
	s_clause 0x3
	buffer_load_dword v0, v3, s[0:3], 0 offen
	buffer_load_dword v1, v3, s[0:3], 0 offen offset:4
	buffer_load_dword v2, v3, s[0:3], 0 offen offset:8
	;; [unrolled: 1-line block ×3, first 2 shown]
	s_waitcnt vmcnt(44)
	global_store_dwordx4 v[43:44], v[75:78], off
	s_clause 0x7
	buffer_load_dword v41, v4, s[0:3], 0 offen
	buffer_load_dword v42, v4, s[0:3], 0 offen offset:4
	buffer_load_dword v43, v4, s[0:3], 0 offen offset:8
	;; [unrolled: 1-line block ×3, first 2 shown]
	buffer_load_dword v53, v47, s[0:3], 0 offen
	buffer_load_dword v54, v47, s[0:3], 0 offen offset:4
	buffer_load_dword v55, v47, s[0:3], 0 offen offset:8
	;; [unrolled: 1-line block ×3, first 2 shown]
	v_mov_b32_e32 v4, s30
	s_waitcnt vmcnt(48)
	global_store_dwordx4 v[49:50], v[101:104], off
	s_clause 0x3
	buffer_load_dword v47, v4, s[0:3], 0 offen
	buffer_load_dword v48, v4, s[0:3], 0 offen offset:4
	buffer_load_dword v49, v4, s[0:3], 0 offen offset:8
	;; [unrolled: 1-line block ×3, first 2 shown]
	v_mov_b32_e32 v4, s29
	s_waitcnt vmcnt(48)
	global_store_dwordx4 v[59:60], v[105:108], off
	s_clause 0x3
	buffer_load_dword v57, v4, s[0:3], 0 offen
	buffer_load_dword v58, v4, s[0:3], 0 offen offset:4
	buffer_load_dword v59, v4, s[0:3], 0 offen offset:8
	;; [unrolled: 1-line block ×3, first 2 shown]
	v_mov_b32_e32 v4, s28
	s_clause 0x3
	buffer_load_dword v75, v4, s[0:3], 0 offen
	buffer_load_dword v76, v4, s[0:3], 0 offen offset:4
	buffer_load_dword v77, v4, s[0:3], 0 offen offset:8
	;; [unrolled: 1-line block ×3, first 2 shown]
	v_mov_b32_e32 v4, s27
	s_waitcnt vmcnt(52)
	global_store_dwordx4 v[51:52], v[109:112], off
	v_mov_b32_e32 v52, s25
	s_waitcnt vmcnt(48)
	global_store_dwordx4 v[33:34], v[113:116], off
	v_mov_b32_e32 v33, s21
	v_mov_b32_e32 v51, s26
	s_waitcnt vmcnt(44)
	global_store_dwordx4 v[19:20], v[129:132], off
	v_mov_b32_e32 v129, s15
	v_mov_b32_e32 v34, s20
	;; [unrolled: 1-line block ×5, first 2 shown]
	s_waitcnt vmcnt(40)
	global_store_dwordx4 v[11:12], v[61:64], off
	s_waitcnt vmcnt(36)
	global_store_dwordx4 v[7:8], v[121:124], off
	s_clause 0x7
	buffer_load_dword v61, v4, s[0:3], 0 offen
	buffer_load_dword v62, v4, s[0:3], 0 offen offset:4
	buffer_load_dword v63, v4, s[0:3], 0 offen offset:8
	buffer_load_dword v64, v4, s[0:3], 0 offen offset:12
	buffer_load_dword v101, v51, s[0:3], 0 offen
	buffer_load_dword v102, v51, s[0:3], 0 offen offset:4
	buffer_load_dword v103, v51, s[0:3], 0 offen offset:8
	buffer_load_dword v104, v51, s[0:3], 0 offen offset:12
	s_waitcnt vmcnt(40)
	global_store_dwordx4 v[15:16], v[117:120], off
	s_clause 0x7
	buffer_load_dword v105, v52, s[0:3], 0 offen
	buffer_load_dword v106, v52, s[0:3], 0 offen offset:4
	buffer_load_dword v107, v52, s[0:3], 0 offen offset:8
	buffer_load_dword v108, v52, s[0:3], 0 offen offset:12
	buffer_load_dword v109, v65, s[0:3], 0 offen
	buffer_load_dword v110, v65, s[0:3], 0 offen offset:4
	buffer_load_dword v111, v65, s[0:3], 0 offen offset:8
	buffer_load_dword v112, v65, s[0:3], 0 offen offset:12
	;; [unrolled: 11-line block ×9, first 2 shown]
	global_store_dwordx4 v[29:30], v[75:78], off
	s_clause 0x7
	buffer_load_dword v27, v142, s[0:3], 0 offen
	buffer_load_dword v28, v142, s[0:3], 0 offen offset:4
	buffer_load_dword v29, v142, s[0:3], 0 offen offset:8
	;; [unrolled: 1-line block ×3, first 2 shown]
	buffer_load_dword v75, v143, s[0:3], 0 offen
	buffer_load_dword v76, v143, s[0:3], 0 offen offset:4
	buffer_load_dword v77, v143, s[0:3], 0 offen offset:8
	;; [unrolled: 1-line block ×3, first 2 shown]
	s_waitcnt vmcnt(62)
	global_store_dwordx4 v[31:32], v[61:64], off
	global_store_dwordx4 v[35:36], v[101:104], off
	;; [unrolled: 1-line block ×4, first 2 shown]
	s_waitcnt vmcnt(60)
	global_store_dwordx4 v[45:46], v[11:14], off
	s_waitcnt vmcnt(56)
	global_store_dwordx4 v[67:68], v[113:116], off
	;; [unrolled: 2-line block ×16, first 2 shown]
.LBB47_755:
	s_endpgm
	.section	.rodata,"a",@progbits
	.p2align	6, 0x0
	.amdhsa_kernel _ZN9rocsolver6v33100L18trti2_kernel_smallILi48E19rocblas_complex_numIdEPS3_EEv13rocblas_fill_17rocblas_diagonal_T1_iil
		.amdhsa_group_segment_fixed_size 1536
		.amdhsa_private_segment_fixed_size 784
		.amdhsa_kernarg_size 32
		.amdhsa_user_sgpr_count 6
		.amdhsa_user_sgpr_private_segment_buffer 1
		.amdhsa_user_sgpr_dispatch_ptr 0
		.amdhsa_user_sgpr_queue_ptr 0
		.amdhsa_user_sgpr_kernarg_segment_ptr 1
		.amdhsa_user_sgpr_dispatch_id 0
		.amdhsa_user_sgpr_flat_scratch_init 0
		.amdhsa_user_sgpr_private_segment_size 0
		.amdhsa_wavefront_size32 1
		.amdhsa_uses_dynamic_stack 0
		.amdhsa_system_sgpr_private_segment_wavefront_offset 1
		.amdhsa_system_sgpr_workgroup_id_x 1
		.amdhsa_system_sgpr_workgroup_id_y 0
		.amdhsa_system_sgpr_workgroup_id_z 0
		.amdhsa_system_sgpr_workgroup_info 0
		.amdhsa_system_vgpr_workitem_id 0
		.amdhsa_next_free_vgpr 144
		.amdhsa_next_free_sgpr 77
		.amdhsa_reserve_vcc 1
		.amdhsa_reserve_flat_scratch 0
		.amdhsa_float_round_mode_32 0
		.amdhsa_float_round_mode_16_64 0
		.amdhsa_float_denorm_mode_32 3
		.amdhsa_float_denorm_mode_16_64 3
		.amdhsa_dx10_clamp 1
		.amdhsa_ieee_mode 1
		.amdhsa_fp16_overflow 0
		.amdhsa_workgroup_processor_mode 1
		.amdhsa_memory_ordered 1
		.amdhsa_forward_progress 1
		.amdhsa_shared_vgpr_count 0
		.amdhsa_exception_fp_ieee_invalid_op 0
		.amdhsa_exception_fp_denorm_src 0
		.amdhsa_exception_fp_ieee_div_zero 0
		.amdhsa_exception_fp_ieee_overflow 0
		.amdhsa_exception_fp_ieee_underflow 0
		.amdhsa_exception_fp_ieee_inexact 0
		.amdhsa_exception_int_div_zero 0
	.end_amdhsa_kernel
	.section	.text._ZN9rocsolver6v33100L18trti2_kernel_smallILi48E19rocblas_complex_numIdEPS3_EEv13rocblas_fill_17rocblas_diagonal_T1_iil,"axG",@progbits,_ZN9rocsolver6v33100L18trti2_kernel_smallILi48E19rocblas_complex_numIdEPS3_EEv13rocblas_fill_17rocblas_diagonal_T1_iil,comdat
.Lfunc_end47:
	.size	_ZN9rocsolver6v33100L18trti2_kernel_smallILi48E19rocblas_complex_numIdEPS3_EEv13rocblas_fill_17rocblas_diagonal_T1_iil, .Lfunc_end47-_ZN9rocsolver6v33100L18trti2_kernel_smallILi48E19rocblas_complex_numIdEPS3_EEv13rocblas_fill_17rocblas_diagonal_T1_iil
                                        ; -- End function
	.set _ZN9rocsolver6v33100L18trti2_kernel_smallILi48E19rocblas_complex_numIdEPS3_EEv13rocblas_fill_17rocblas_diagonal_T1_iil.num_vgpr, 144
	.set _ZN9rocsolver6v33100L18trti2_kernel_smallILi48E19rocblas_complex_numIdEPS3_EEv13rocblas_fill_17rocblas_diagonal_T1_iil.num_agpr, 0
	.set _ZN9rocsolver6v33100L18trti2_kernel_smallILi48E19rocblas_complex_numIdEPS3_EEv13rocblas_fill_17rocblas_diagonal_T1_iil.numbered_sgpr, 77
	.set _ZN9rocsolver6v33100L18trti2_kernel_smallILi48E19rocblas_complex_numIdEPS3_EEv13rocblas_fill_17rocblas_diagonal_T1_iil.num_named_barrier, 0
	.set _ZN9rocsolver6v33100L18trti2_kernel_smallILi48E19rocblas_complex_numIdEPS3_EEv13rocblas_fill_17rocblas_diagonal_T1_iil.private_seg_size, 784
	.set _ZN9rocsolver6v33100L18trti2_kernel_smallILi48E19rocblas_complex_numIdEPS3_EEv13rocblas_fill_17rocblas_diagonal_T1_iil.uses_vcc, 1
	.set _ZN9rocsolver6v33100L18trti2_kernel_smallILi48E19rocblas_complex_numIdEPS3_EEv13rocblas_fill_17rocblas_diagonal_T1_iil.uses_flat_scratch, 0
	.set _ZN9rocsolver6v33100L18trti2_kernel_smallILi48E19rocblas_complex_numIdEPS3_EEv13rocblas_fill_17rocblas_diagonal_T1_iil.has_dyn_sized_stack, 0
	.set _ZN9rocsolver6v33100L18trti2_kernel_smallILi48E19rocblas_complex_numIdEPS3_EEv13rocblas_fill_17rocblas_diagonal_T1_iil.has_recursion, 0
	.set _ZN9rocsolver6v33100L18trti2_kernel_smallILi48E19rocblas_complex_numIdEPS3_EEv13rocblas_fill_17rocblas_diagonal_T1_iil.has_indirect_call, 0
	.section	.AMDGPU.csdata,"",@progbits
; Kernel info:
; codeLenInByte = 48768
; TotalNumSgprs: 79
; NumVgprs: 144
; ScratchSize: 784
; MemoryBound: 0
; FloatMode: 240
; IeeeMode: 1
; LDSByteSize: 1536 bytes/workgroup (compile time only)
; SGPRBlocks: 0
; VGPRBlocks: 17
; NumSGPRsForWavesPerEU: 79
; NumVGPRsForWavesPerEU: 144
; Occupancy: 7
; WaveLimiterHint : 0
; COMPUTE_PGM_RSRC2:SCRATCH_EN: 1
; COMPUTE_PGM_RSRC2:USER_SGPR: 6
; COMPUTE_PGM_RSRC2:TRAP_HANDLER: 0
; COMPUTE_PGM_RSRC2:TGID_X_EN: 1
; COMPUTE_PGM_RSRC2:TGID_Y_EN: 0
; COMPUTE_PGM_RSRC2:TGID_Z_EN: 0
; COMPUTE_PGM_RSRC2:TIDIG_COMP_CNT: 0
	.section	.text._ZN9rocsolver6v33100L18trti2_kernel_smallILi49E19rocblas_complex_numIdEPS3_EEv13rocblas_fill_17rocblas_diagonal_T1_iil,"axG",@progbits,_ZN9rocsolver6v33100L18trti2_kernel_smallILi49E19rocblas_complex_numIdEPS3_EEv13rocblas_fill_17rocblas_diagonal_T1_iil,comdat
	.globl	_ZN9rocsolver6v33100L18trti2_kernel_smallILi49E19rocblas_complex_numIdEPS3_EEv13rocblas_fill_17rocblas_diagonal_T1_iil ; -- Begin function _ZN9rocsolver6v33100L18trti2_kernel_smallILi49E19rocblas_complex_numIdEPS3_EEv13rocblas_fill_17rocblas_diagonal_T1_iil
	.p2align	8
	.type	_ZN9rocsolver6v33100L18trti2_kernel_smallILi49E19rocblas_complex_numIdEPS3_EEv13rocblas_fill_17rocblas_diagonal_T1_iil,@function
_ZN9rocsolver6v33100L18trti2_kernel_smallILi49E19rocblas_complex_numIdEPS3_EEv13rocblas_fill_17rocblas_diagonal_T1_iil: ; @_ZN9rocsolver6v33100L18trti2_kernel_smallILi49E19rocblas_complex_numIdEPS3_EEv13rocblas_fill_17rocblas_diagonal_T1_iil
; %bb.0:
	s_add_u32 s0, s0, s7
	s_addc_u32 s1, s1, 0
	s_mov_b32 s7, exec_lo
	v_cmpx_gt_u32_e32 49, v0
	s_cbranch_execz .LBB48_771
; %bb.1:
	s_load_dwordx8 s[8:15], s[4:5], 0x0
	s_ashr_i32 s4, s6, 31
	v_lshlrev_b32_e32 v109, 4, v0
	s_movk_i32 s17, 0x100
	s_movk_i32 s18, 0x110
	;; [unrolled: 1-line block ×17, first 2 shown]
	s_waitcnt lgkmcnt(0)
	s_mul_hi_u32 s5, s14, s6
	s_mul_i32 s16, s14, s4
	s_mul_i32 s15, s15, s6
	s_add_i32 s5, s5, s16
	s_mul_i32 s4, s14, s6
	s_add_i32 s5, s5, s15
	v_add3_u32 v1, s13, s13, v0
	s_lshl_b64 s[4:5], s[4:5], 4
	s_ashr_i32 s7, s12, 31
	s_mov_b32 s6, s12
	s_add_u32 s10, s10, s4
	s_addc_u32 s11, s11, s5
	s_lshl_b64 s[4:5], s[6:7], 4
	v_add_nc_u32_e32 v11, s13, v1
	s_add_u32 s4, s10, s4
	s_addc_u32 s5, s11, s5
	v_add_co_u32 v7, s6, s4, v109
	s_mov_b32 s14, s13
	s_ashr_i32 s15, s13, 31
	v_add_nc_u32_e32 v13, s13, v11
	v_add_co_ci_u32_e64 v8, null, s5, 0, s6
	v_ashrrev_i32_e32 v2, 31, v1
	s_lshl_b64 s[6:7], s[14:15], 4
	v_ashrrev_i32_e32 v12, 31, v11
	v_add_co_u32 v9, vcc_lo, v7, s6
	v_add_co_ci_u32_e64 v10, null, s7, v8, vcc_lo
	v_ashrrev_i32_e32 v14, 31, v13
	v_lshlrev_b64 v[5:6], 4, v[1:2]
	v_lshlrev_b64 v[11:12], 4, v[11:12]
	s_clause 0x1
	global_load_dwordx4 v[1:4], v109, s[4:5]
	global_load_dwordx4 v[23:26], v[9:10], off
	v_lshlrev_b64 v[14:15], 4, v[13:14]
	s_cmpk_lg_i32 s9, 0x84
	v_add_co_u32 v5, vcc_lo, s4, v5
	v_add_co_ci_u32_e64 v6, null, s5, v6, vcc_lo
	v_add_co_u32 v69, vcc_lo, s4, v11
	v_add_co_ci_u32_e64 v70, null, s5, v12, vcc_lo
	;; [unrolled: 2-line block ×3, first 2 shown]
	s_clause 0x2
	global_load_dwordx4 v[31:34], v[5:6], off
	global_load_dwordx4 v[41:44], v[69:70], off
	;; [unrolled: 1-line block ×3, first 2 shown]
	v_add_nc_u32_e32 v11, s13, v13
	s_movk_i32 s6, 0x70
	s_movk_i32 s7, 0x80
	;; [unrolled: 1-line block ×4, first 2 shown]
	v_ashrrev_i32_e32 v12, 31, v11
	s_movk_i32 s12, 0xb0
	s_movk_i32 s14, 0xd0
	;; [unrolled: 1-line block ×4, first 2 shown]
	v_lshlrev_b64 v[12:13], 4, v[11:12]
	v_add_nc_u32_e32 v11, s13, v11
	s_movk_i32 s62, 0x210
	s_movk_i32 s63, 0x220
	s_movk_i32 s64, 0x230
	s_movk_i32 s65, 0x240
	v_add_co_u32 v67, vcc_lo, s4, v12
	v_ashrrev_i32_e32 v12, 31, v11
	v_add_co_ci_u32_e64 v68, null, s5, v13, vcc_lo
	v_add_nc_u32_e32 v13, s13, v11
	s_movk_i32 s66, 0x250
	v_lshlrev_b64 v[11:12], 4, v[11:12]
	global_load_dwordx4 v[71:74], v[67:68], off
	s_movk_i32 s67, 0x260
	v_add_nc_u32_e32 v15, s13, v13
	v_ashrrev_i32_e32 v14, 31, v13
	s_movk_i32 s68, 0x270
	v_add_co_u32 v63, vcc_lo, s4, v11
	v_add_nc_u32_e32 v11, s13, v15
	v_ashrrev_i32_e32 v16, 31, v15
	v_add_co_ci_u32_e64 v64, null, s5, v12, vcc_lo
	v_lshlrev_b64 v[13:14], 4, v[13:14]
	v_ashrrev_i32_e32 v12, 31, v11
	v_add_nc_u32_e32 v17, s13, v11
	v_lshlrev_b64 v[15:16], 4, v[15:16]
	global_load_dwordx4 v[75:78], v[63:64], off
	s_movk_i32 s69, 0x280
	v_lshlrev_b64 v[11:12], 4, v[11:12]
	v_add_co_u32 v57, vcc_lo, s4, v13
	v_add_nc_u32_e32 v13, s13, v17
	v_ashrrev_i32_e32 v18, 31, v17
	v_add_co_ci_u32_e64 v58, null, s5, v14, vcc_lo
	v_add_co_u32 v51, vcc_lo, s4, v15
	v_add_co_ci_u32_e64 v52, null, s5, v16, vcc_lo
	v_add_nc_u32_e32 v15, s13, v13
	v_add_co_u32 v53, vcc_lo, s4, v11
	v_add_co_ci_u32_e64 v54, null, s5, v12, vcc_lo
	v_lshlrev_b64 v[11:12], 4, v[17:18]
	v_ashrrev_i32_e32 v14, 31, v13
	v_ashrrev_i32_e32 v16, 31, v15
	v_add_nc_u32_e32 v17, s13, v15
	s_clause 0x1
	global_load_dwordx4 v[79:82], v[57:58], off
	global_load_dwordx4 v[87:90], v[53:54], off
	v_lshlrev_b64 v[13:14], 4, v[13:14]
	v_add_co_u32 v49, vcc_lo, s4, v11
	v_add_co_ci_u32_e64 v50, null, s5, v12, vcc_lo
	v_lshlrev_b64 v[11:12], 4, v[15:16]
	v_add_nc_u32_e32 v15, s13, v17
	v_ashrrev_i32_e32 v18, 31, v17
	v_add_co_u32 v47, vcc_lo, s4, v13
	v_add_co_ci_u32_e64 v48, null, s5, v14, vcc_lo
	v_add_nc_u32_e32 v13, s13, v15
	v_add_co_u32 v39, vcc_lo, s4, v11
	v_ashrrev_i32_e32 v16, 31, v15
	v_add_co_ci_u32_e64 v40, null, s5, v12, vcc_lo
	v_lshlrev_b64 v[11:12], 4, v[17:18]
	v_ashrrev_i32_e32 v14, 31, v13
	v_add_nc_u32_e32 v17, s13, v13
	v_lshlrev_b64 v[15:16], 4, v[15:16]
	s_clause 0x1
	global_load_dwordx4 v[83:86], v[51:52], off
	global_load_dwordx4 v[91:94], v[49:50], off
	v_add_co_u32 v45, vcc_lo, s4, v11
	v_add_co_ci_u32_e64 v46, null, s5, v12, vcc_lo
	v_lshlrev_b64 v[11:12], 4, v[13:14]
	v_ashrrev_i32_e32 v18, 31, v17
	v_add_nc_u32_e32 v13, s13, v17
	v_add_co_u32 v37, vcc_lo, s4, v15
	v_add_co_ci_u32_e64 v38, null, s5, v16, vcc_lo
	v_lshlrev_b64 v[15:16], 4, v[17:18]
	v_ashrrev_i32_e32 v14, 31, v13
	v_add_nc_u32_e32 v17, s13, v13
	v_add_co_u32 v35, vcc_lo, s4, v11
	v_add_co_ci_u32_e64 v36, null, s5, v12, vcc_lo
	v_lshlrev_b64 v[11:12], 4, v[13:14]
	v_add_nc_u32_e32 v13, s13, v17
	v_ashrrev_i32_e32 v18, 31, v17
	v_add_co_u32 v29, vcc_lo, s4, v15
	v_add_co_ci_u32_e64 v30, null, s5, v16, vcc_lo
	v_add_nc_u32_e32 v19, s13, v13
	v_lshlrev_b64 v[15:16], 4, v[17:18]
	v_ashrrev_i32_e32 v14, 31, v13
	v_add_co_u32 v21, vcc_lo, s4, v11
	v_ashrrev_i32_e32 v20, 31, v19
	v_add_nc_u32_e32 v27, s13, v19
	v_add_co_ci_u32_e64 v22, null, s5, v12, vcc_lo
	v_lshlrev_b64 v[11:12], 4, v[13:14]
	v_add_co_u32 v17, vcc_lo, s4, v15
	s_clause 0x1
	global_load_dwordx4 v[95:98], v[47:48], off
	global_load_dwordx4 v[99:102], v[39:40], off
	v_add_co_ci_u32_e64 v18, null, s5, v16, vcc_lo
	v_lshlrev_b64 v[15:16], 4, v[19:20]
	v_add_nc_u32_e32 v55, s13, v27
	s_clause 0x1
	global_load_dwordx4 v[103:106], v[45:46], off
	global_load_dwordx4 v[110:113], v[37:38], off
	v_ashrrev_i32_e32 v28, 31, v27
	v_add_co_u32 v13, vcc_lo, s4, v11
	v_add_co_ci_u32_e64 v14, null, s5, v12, vcc_lo
	v_ashrrev_i32_e32 v56, 31, v55
	v_add_co_u32 v11, vcc_lo, s4, v15
	v_add_co_ci_u32_e64 v12, null, s5, v16, vcc_lo
	v_lshlrev_b64 v[15:16], 4, v[27:28]
	s_clause 0x3
	global_load_dwordx4 v[114:117], v[35:36], off
	global_load_dwordx4 v[118:121], v[29:30], off
	;; [unrolled: 1-line block ×4, first 2 shown]
	s_movk_i32 s70, 0x290
	s_movk_i32 s71, 0x2a0
	v_add_co_u32 v19, vcc_lo, s4, v15
	v_add_co_ci_u32_e64 v20, null, s5, v16, vcc_lo
	s_movk_i32 s72, 0x2b0
	s_movk_i32 s73, 0x2c0
	;; [unrolled: 1-line block ×5, first 2 shown]
	s_cselect_b32 s56, -1, 0
	s_cmpk_eq_i32 s9, 0x84
	s_movk_i32 s77, 0x300
	s_waitcnt vmcnt(18)
	buffer_store_dword v4, off, s[0:3], 0 offset:12
	buffer_store_dword v3, off, s[0:3], 0 offset:8
	;; [unrolled: 1-line block ×3, first 2 shown]
	buffer_store_dword v1, off, s[0:3], 0
	global_load_dwordx4 v[1:4], v[13:14], off
	s_waitcnt vmcnt(18)
	buffer_store_dword v26, off, s[0:3], 0 offset:28
	buffer_store_dword v25, off, s[0:3], 0 offset:24
	;; [unrolled: 1-line block ×4, first 2 shown]
	v_lshlrev_b64 v[23:24], 4, v[55:56]
	s_waitcnt vmcnt(17)
	buffer_store_dword v34, off, s[0:3], 0 offset:44
	buffer_store_dword v33, off, s[0:3], 0 offset:40
	;; [unrolled: 1-line block ×4, first 2 shown]
	v_add_co_u32 v15, vcc_lo, s4, v23
	v_add_co_ci_u32_e64 v16, null, s5, v24, vcc_lo
	global_load_dwordx4 v[130:133], v[11:12], off
	s_waitcnt vmcnt(17)
	buffer_store_dword v44, off, s[0:3], 0 offset:60
	buffer_store_dword v43, off, s[0:3], 0 offset:56
	;; [unrolled: 1-line block ×4, first 2 shown]
	global_load_dwordx4 v[134:137], v[19:20], off
	s_waitcnt vmcnt(17)
	buffer_store_dword v62, off, s[0:3], 0 offset:76
	buffer_store_dword v61, off, s[0:3], 0 offset:72
	;; [unrolled: 1-line block ×4, first 2 shown]
	global_load_dwordx4 v[138:141], v[15:16], off
	v_add_nc_u32_e32 v23, s13, v55
	s_waitcnt vmcnt(17)
	buffer_store_dword v74, off, s[0:3], 0 offset:92
	buffer_store_dword v73, off, s[0:3], 0 offset:88
	;; [unrolled: 1-line block ×4, first 2 shown]
	v_add_nc_u32_e32 v25, s13, v23
	v_ashrrev_i32_e32 v24, 31, v23
	s_waitcnt vmcnt(16)
	buffer_store_dword v78, off, s[0:3], 0 offset:108
	buffer_store_dword v77, off, s[0:3], 0 offset:104
	;; [unrolled: 1-line block ×4, first 2 shown]
	v_add_nc_u32_e32 v27, s13, v25
	v_ashrrev_i32_e32 v26, 31, v25
	v_lshlrev_b64 v[23:24], 4, v[23:24]
	s_waitcnt vmcnt(15)
	buffer_store_dword v82, off, s[0:3], 0 offset:124
	buffer_store_dword v81, off, s[0:3], 0 offset:120
	;; [unrolled: 1-line block ×4, first 2 shown]
	s_waitcnt vmcnt(13)
	buffer_store_dword v86, off, s[0:3], 0 offset:140
	buffer_store_dword v85, off, s[0:3], 0 offset:136
	;; [unrolled: 1-line block ×4, first 2 shown]
	v_add_nc_u32_e32 v31, s13, v27
	v_ashrrev_i32_e32 v28, 31, v27
	v_lshlrev_b64 v[25:26], 4, v[25:26]
	v_add_co_u32 v23, vcc_lo, s4, v23
	v_add_nc_u32_e32 v41, s13, v31
	v_ashrrev_i32_e32 v32, 31, v31
	v_lshlrev_b64 v[33:34], 4, v[27:28]
	v_add_co_ci_u32_e64 v24, null, s5, v24, vcc_lo
	v_ashrrev_i32_e32 v42, 31, v41
	v_add_nc_u32_e32 v43, s13, v41
	v_add_co_u32 v27, vcc_lo, s4, v25
	v_lshlrev_b64 v[31:32], 4, v[31:32]
	v_add_co_ci_u32_e64 v28, null, s5, v26, vcc_lo
	v_lshlrev_b64 v[41:42], 4, v[41:42]
	v_add_nc_u32_e32 v55, s13, v43
	v_add_co_u32 v25, vcc_lo, s4, v33
	s_clause 0x1
	global_load_dwordx4 v[75:78], v[23:24], off
	global_load_dwordx4 v[79:82], v[27:28], off
	v_add_co_ci_u32_e64 v26, null, s5, v34, vcc_lo
	v_add_co_u32 v33, vcc_lo, s4, v31
	v_add_co_ci_u32_e64 v34, null, s5, v32, vcc_lo
	v_add_co_u32 v31, vcc_lo, s4, v41
	v_add_nc_u32_e32 v41, s13, v55
	v_ashrrev_i32_e32 v44, 31, v43
	v_ashrrev_i32_e32 v56, 31, v55
	v_add_co_ci_u32_e64 v32, null, s5, v42, vcc_lo
	v_add_nc_u32_e32 v59, s13, v41
	v_lshlrev_b64 v[43:44], 4, v[43:44]
	v_ashrrev_i32_e32 v42, 31, v41
	buffer_store_dword v87, off, s[0:3], 0 offset:144
	buffer_store_dword v88, off, s[0:3], 0 offset:148
	;; [unrolled: 1-line block ×4, first 2 shown]
	s_waitcnt vmcnt(14)
	buffer_store_dword v91, off, s[0:3], 0 offset:160
	buffer_store_dword v92, off, s[0:3], 0 offset:164
	;; [unrolled: 1-line block ×4, first 2 shown]
	s_waitcnt vmcnt(13)
	buffer_store_dword v95, off, s[0:3], 0 offset:176
	buffer_store_dword v96, off, s[0:3], 0 offset:180
	;; [unrolled: 1-line block ×4, first 2 shown]
	v_add_nc_u32_e32 v71, s13, v59
	s_clause 0x1
	global_load_dwordx4 v[83:86], v[25:26], off
	global_load_dwordx4 v[87:90], v[33:34], off
	v_lshlrev_b64 v[55:56], 4, v[55:56]
	v_add_co_u32 v43, vcc_lo, s4, v43
	v_add_nc_u32_e32 v73, s13, v71
	v_add_co_ci_u32_e64 v44, null, s5, v44, vcc_lo
	v_lshlrev_b64 v[61:62], 4, v[41:42]
	v_ashrrev_i32_e32 v60, 31, v59
	v_add_nc_u32_e32 v107, s13, v73
	s_waitcnt vmcnt(14)
	buffer_store_dword v102, off, s[0:3], 0 offset:204
	buffer_store_dword v101, off, s[0:3], 0 offset:200
	buffer_store_dword v100, off, s[0:3], 0 offset:196
	buffer_store_dword v99, off, s[0:3], 0 offset:192
	s_waitcnt vmcnt(13)
	buffer_store_dword v106, off, s[0:3], 0 offset:220
	buffer_store_dword v105, off, s[0:3], 0 offset:216
	buffer_store_dword v104, off, s[0:3], 0 offset:212
	buffer_store_dword v103, off, s[0:3], 0 offset:208
	;; [unrolled: 5-line block ×3, first 2 shown]
	v_ashrrev_i32_e32 v72, 31, v71
	v_add_co_u32 v41, vcc_lo, s4, v55
	s_clause 0x1
	global_load_dwordx4 v[91:94], v[31:32], off
	global_load_dwordx4 v[95:98], v[43:44], off
	v_ashrrev_i32_e32 v74, 31, v73
	v_add_co_ci_u32_e64 v42, null, s5, v56, vcc_lo
	v_lshlrev_b64 v[59:60], 4, v[59:60]
	v_add_co_u32 v55, vcc_lo, s4, v61
	v_ashrrev_i32_e32 v108, 31, v107
	v_add_co_ci_u32_e64 v56, null, s5, v62, vcc_lo
	v_lshlrev_b64 v[61:62], 4, v[71:72]
	v_lshlrev_b64 v[71:72], 4, v[73:74]
	s_waitcnt vmcnt(13)
	buffer_store_dword v117, off, s[0:3], 0 offset:252
	buffer_store_dword v116, off, s[0:3], 0 offset:248
	buffer_store_dword v115, off, s[0:3], 0 offset:244
	buffer_store_dword v114, off, s[0:3], 0 offset:240
	s_waitcnt vmcnt(12)
	buffer_store_dword v121, off, s[0:3], 0 offset:268
	buffer_store_dword v120, off, s[0:3], 0 offset:264
	buffer_store_dword v119, off, s[0:3], 0 offset:260
	buffer_store_dword v118, off, s[0:3], 0 offset:256
	;; [unrolled: 5-line block ×3, first 2 shown]
	v_add_co_u32 v59, vcc_lo, s4, v59
	s_clause 0x1
	global_load_dwordx4 v[99:102], v[41:42], off
	global_load_dwordx4 v[103:106], v[55:56], off
	v_lshlrev_b64 v[73:74], 4, v[107:108]
	v_add_co_ci_u32_e64 v60, null, s5, v60, vcc_lo
	v_add_co_u32 v61, vcc_lo, s4, v61
	v_add_co_ci_u32_e64 v62, null, s5, v62, vcc_lo
	v_add_co_u32 v71, vcc_lo, s4, v71
	;; [unrolled: 2-line block ×3, first 2 shown]
	v_add_co_ci_u32_e64 v74, null, s5, v74, vcc_lo
	v_add_nc_u32_e32 v107, s13, v107
	s_waitcnt vmcnt(12)
	buffer_store_dword v129, off, s[0:3], 0 offset:300
	buffer_store_dword v128, off, s[0:3], 0 offset:296
	;; [unrolled: 1-line block ×4, first 2 shown]
	s_waitcnt vmcnt(11)
	buffer_store_dword v4, off, s[0:3], 0 offset:316
	buffer_store_dword v3, off, s[0:3], 0 offset:312
	;; [unrolled: 1-line block ×4, first 2 shown]
	s_clause 0x1
	global_load_dwordx4 v[1:4], v[59:60], off
	global_load_dwordx4 v[110:113], v[61:62], off
	s_waitcnt vmcnt(12)
	buffer_store_dword v133, off, s[0:3], 0 offset:332
	buffer_store_dword v132, off, s[0:3], 0 offset:328
	;; [unrolled: 1-line block ×4, first 2 shown]
	s_waitcnt vmcnt(11)
	buffer_store_dword v137, off, s[0:3], 0 offset:348
	buffer_store_dword v136, off, s[0:3], 0 offset:344
	;; [unrolled: 1-line block ×4, first 2 shown]
	global_load_dwordx4 v[114:117], v[71:72], off
	s_waitcnt vmcnt(11)
	buffer_store_dword v141, off, s[0:3], 0 offset:364
	buffer_store_dword v140, off, s[0:3], 0 offset:360
	;; [unrolled: 1-line block ×4, first 2 shown]
	global_load_dwordx4 v[118:121], v[73:74], off
	v_add_nc_u32_e32 v122, s13, v107
	v_ashrrev_i32_e32 v108, 31, v107
	s_waitcnt vmcnt(11)
	buffer_store_dword v78, off, s[0:3], 0 offset:380
	buffer_store_dword v77, off, s[0:3], 0 offset:376
	buffer_store_dword v76, off, s[0:3], 0 offset:372
	buffer_store_dword v75, off, s[0:3], 0 offset:368
	v_add_nc_u32_e32 v77, s13, v122
	v_lshlrev_b64 v[75:76], 4, v[107:108]
	v_ashrrev_i32_e32 v123, 31, v122
	s_waitcnt vmcnt(10)
	buffer_store_dword v82, off, s[0:3], 0 offset:396
	buffer_store_dword v81, off, s[0:3], 0 offset:392
	buffer_store_dword v80, off, s[0:3], 0 offset:388
	buffer_store_dword v79, off, s[0:3], 0 offset:384
	s_waitcnt vmcnt(9)
	buffer_store_dword v86, off, s[0:3], 0 offset:412
	buffer_store_dword v85, off, s[0:3], 0 offset:408
	buffer_store_dword v84, off, s[0:3], 0 offset:404
	buffer_store_dword v83, off, s[0:3], 0 offset:400
	;; [unrolled: 5-line block ×3, first 2 shown]
	v_add_nc_u32_e32 v107, s13, v77
	v_ashrrev_i32_e32 v78, 31, v77
	v_lshlrev_b64 v[122:123], 4, v[122:123]
	v_add_co_u32 v75, vcc_lo, s4, v75
	v_add_nc_u32_e32 v81, s13, v107
	v_lshlrev_b64 v[124:125], 4, v[77:78]
	v_ashrrev_i32_e32 v108, 31, v107
	v_add_co_ci_u32_e64 v76, null, s5, v76, vcc_lo
	v_add_nc_u32_e32 v130, s13, v81
	v_add_co_u32 v77, vcc_lo, s4, v122
	v_add_co_ci_u32_e64 v78, null, s5, v123, vcc_lo
	v_add_nc_u32_e32 v87, s13, v130
	v_lshlrev_b64 v[107:108], 4, v[107:108]
	v_ashrrev_i32_e32 v82, 31, v81
	v_add_co_u32 v79, vcc_lo, s4, v124
	v_add_co_ci_u32_e64 v80, null, s5, v125, vcc_lo
	s_clause 0x1
	global_load_dwordx4 v[122:125], v[75:76], off
	global_load_dwordx4 v[126:129], v[77:78], off
	s_waitcnt vmcnt(9)
	buffer_store_dword v94, off, s[0:3], 0 offset:444
	buffer_store_dword v93, off, s[0:3], 0 offset:440
	;; [unrolled: 1-line block ×4, first 2 shown]
	v_add_nc_u32_e32 v91, s13, v87
	v_ashrrev_i32_e32 v131, 31, v130
	v_lshlrev_b64 v[83:84], 4, v[81:82]
	v_add_co_u32 v81, vcc_lo, s4, v107
	v_ashrrev_i32_e32 v88, 31, v87
	v_add_co_ci_u32_e64 v82, null, s5, v108, vcc_lo
	v_ashrrev_i32_e32 v92, 31, v91
	v_lshlrev_b64 v[85:86], 4, v[130:131]
	s_waitcnt vmcnt(8)
	buffer_store_dword v98, off, s[0:3], 0 offset:460
	buffer_store_dword v97, off, s[0:3], 0 offset:456
	buffer_store_dword v96, off, s[0:3], 0 offset:452
	buffer_store_dword v95, off, s[0:3], 0 offset:448
	s_waitcnt vmcnt(7)
	buffer_store_dword v102, off, s[0:3], 0 offset:476
	buffer_store_dword v101, off, s[0:3], 0 offset:472
	;; [unrolled: 1-line block ×4, first 2 shown]
	v_lshlrev_b64 v[87:88], 4, v[87:88]
	s_clause 0x1
	global_load_dwordx4 v[99:102], v[79:80], off
	global_load_dwordx4 v[130:133], v[81:82], off
	v_add_co_u32 v83, vcc_lo, s4, v83
	v_lshlrev_b64 v[89:90], 4, v[91:92]
	v_add_co_ci_u32_e64 v84, null, s5, v84, vcc_lo
	v_add_co_u32 v85, vcc_lo, s4, v85
	v_add_co_ci_u32_e64 v86, null, s5, v86, vcc_lo
	v_add_co_u32 v87, vcc_lo, s4, v87
	;; [unrolled: 2-line block ×3, first 2 shown]
	v_add_co_ci_u32_e64 v90, null, s5, v90, vcc_lo
	s_waitcnt vmcnt(8)
	buffer_store_dword v106, off, s[0:3], 0 offset:492
	buffer_store_dword v105, off, s[0:3], 0 offset:488
	;; [unrolled: 1-line block ×4, first 2 shown]
	v_add_nc_u32_e32 v91, s13, v91
	s_waitcnt vmcnt(7)
	buffer_store_dword v4, off, s[0:3], 0 offset:508
	buffer_store_dword v3, off, s[0:3], 0 offset:504
	;; [unrolled: 1-line block ×4, first 2 shown]
	s_waitcnt vmcnt(6)
	buffer_store_dword v113, off, s[0:3], 0 offset:524
	buffer_store_dword v112, off, s[0:3], 0 offset:520
	buffer_store_dword v111, off, s[0:3], 0 offset:516
	buffer_store_dword v110, off, s[0:3], 0 offset:512
	s_clause 0x1
	global_load_dwordx4 v[1:4], v[83:84], off
	global_load_dwordx4 v[103:106], v[85:86], off
	s_waitcnt vmcnt(7)
	buffer_store_dword v117, off, s[0:3], 0 offset:540
	buffer_store_dword v116, off, s[0:3], 0 offset:536
	buffer_store_dword v115, off, s[0:3], 0 offset:532
	buffer_store_dword v114, off, s[0:3], 0 offset:528
	global_load_dwordx4 v[110:113], v[87:88], off
	s_waitcnt vmcnt(7)
	buffer_store_dword v121, off, s[0:3], 0 offset:556
	buffer_store_dword v120, off, s[0:3], 0 offset:552
	buffer_store_dword v119, off, s[0:3], 0 offset:548
	buffer_store_dword v118, off, s[0:3], 0 offset:544
	global_load_dwordx4 v[114:117], v[89:90], off
	v_add_nc_u32_e32 v93, s13, v91
	v_ashrrev_i32_e32 v92, 31, v91
	s_waitcnt vmcnt(7)
	buffer_store_dword v125, off, s[0:3], 0 offset:572
	buffer_store_dword v124, off, s[0:3], 0 offset:568
	;; [unrolled: 1-line block ×4, first 2 shown]
	v_add_nc_u32_e32 v95, s13, v93
	v_ashrrev_i32_e32 v94, 31, v93
	v_lshlrev_b64 v[91:92], 4, v[91:92]
	s_waitcnt vmcnt(6)
	buffer_store_dword v129, off, s[0:3], 0 offset:588
	buffer_store_dword v128, off, s[0:3], 0 offset:584
	buffer_store_dword v127, off, s[0:3], 0 offset:580
	buffer_store_dword v126, off, s[0:3], 0 offset:576
	s_waitcnt vmcnt(5)
	buffer_store_dword v102, off, s[0:3], 0 offset:604
	buffer_store_dword v101, off, s[0:3], 0 offset:600
	buffer_store_dword v100, off, s[0:3], 0 offset:596
	buffer_store_dword v99, off, s[0:3], 0 offset:592
	;; [unrolled: 5-line block ×3, first 2 shown]
	v_add_nc_u32_e32 v97, s13, v95
	v_ashrrev_i32_e32 v96, 31, v95
	v_lshlrev_b64 v[93:94], 4, v[93:94]
	v_add_co_u32 v91, vcc_lo, s4, v91
	v_add_nc_u32_e32 v107, s13, v97
	v_ashrrev_i32_e32 v98, 31, v97
	v_lshlrev_b64 v[95:96], 4, v[95:96]
	v_add_co_ci_u32_e64 v92, null, s5, v92, vcc_lo
	v_add_nc_u32_e32 v126, s13, v107
	v_ashrrev_i32_e32 v108, 31, v107
	v_lshlrev_b64 v[97:98], 4, v[97:98]
	v_add_co_u32 v93, vcc_lo, s4, v93
	v_ashrrev_i32_e32 v127, 31, v126
	v_lshlrev_b64 v[99:100], 4, v[107:108]
	v_add_co_ci_u32_e64 v94, null, s5, v94, vcc_lo
	v_add_co_u32 v95, vcc_lo, s4, v95
	v_lshlrev_b64 v[107:108], 4, v[126:127]
	v_add_co_ci_u32_e64 v96, null, s5, v96, vcc_lo
	v_add_co_u32 v97, vcc_lo, s4, v97
	v_add_co_ci_u32_e64 v98, null, s5, v98, vcc_lo
	v_add_co_u32 v101, vcc_lo, s4, v99
	;; [unrolled: 2-line block ×3, first 2 shown]
	v_add_co_ci_u32_e64 v100, null, s5, v108, vcc_lo
	s_clause 0x1
	global_load_dwordx4 v[118:121], v[91:92], off
	global_load_dwordx4 v[122:125], v[93:94], off
	s_movk_i32 s4, 0x50
	s_movk_i32 s5, 0x60
	;; [unrolled: 1-line block ×3, first 2 shown]
	s_waitcnt vmcnt(5)
	buffer_store_dword v4, off, s[0:3], 0 offset:636
	buffer_store_dword v3, off, s[0:3], 0 offset:632
	buffer_store_dword v2, off, s[0:3], 0 offset:628
	buffer_store_dword v1, off, s[0:3], 0 offset:624
	s_waitcnt vmcnt(4)
	buffer_store_dword v106, off, s[0:3], 0 offset:652
	buffer_store_dword v105, off, s[0:3], 0 offset:648
	buffer_store_dword v104, off, s[0:3], 0 offset:644
	buffer_store_dword v103, off, s[0:3], 0 offset:640
	;; [unrolled: 5-line block ×3, first 2 shown]
	s_waitcnt vmcnt(2)
	buffer_store_dword v117, off, s[0:3], 0 offset:684
	s_clause 0x2
	global_load_dwordx4 v[1:4], v[95:96], off
	global_load_dwordx4 v[103:106], v[97:98], off
	;; [unrolled: 1-line block ×3, first 2 shown]
	buffer_store_dword v116, off, s[0:3], 0 offset:680
	buffer_store_dword v115, off, s[0:3], 0 offset:676
	;; [unrolled: 1-line block ×3, first 2 shown]
	global_load_dwordx4 v[114:117], v[99:100], off
	s_waitcnt vmcnt(5)
	buffer_store_dword v121, off, s[0:3], 0 offset:700
	buffer_store_dword v120, off, s[0:3], 0 offset:696
	buffer_store_dword v119, off, s[0:3], 0 offset:692
	buffer_store_dword v118, off, s[0:3], 0 offset:688
	s_waitcnt vmcnt(4)
	buffer_store_dword v125, off, s[0:3], 0 offset:716
	buffer_store_dword v124, off, s[0:3], 0 offset:712
	buffer_store_dword v123, off, s[0:3], 0 offset:708
	buffer_store_dword v122, off, s[0:3], 0 offset:704
	;; [unrolled: 5-line block ×6, first 2 shown]
	s_cbranch_scc1 .LBB48_7
; %bb.2:
	v_lshl_add_u32 v110, v0, 4, 0
                                        ; implicit-def: $vgpr105_vgpr106
                                        ; implicit-def: $vgpr3_vgpr4
	s_clause 0x3
	buffer_load_dword v103, v110, s[0:3], 0 offen
	buffer_load_dword v104, v110, s[0:3], 0 offen offset:4
	buffer_load_dword v107, v110, s[0:3], 0 offen offset:8
	;; [unrolled: 1-line block ×3, first 2 shown]
	s_waitcnt vmcnt(0)
	v_cmp_ngt_f64_e64 s9, |v[103:104]|, |v[107:108]|
	s_and_saveexec_b32 s29, s9
	s_xor_b32 s9, exec_lo, s29
	s_cbranch_execz .LBB48_4
; %bb.3:
	v_div_scale_f64 v[1:2], null, v[107:108], v[107:108], v[103:104]
	v_div_scale_f64 v[111:112], vcc_lo, v[103:104], v[107:108], v[103:104]
	v_rcp_f64_e32 v[3:4], v[1:2]
	v_fma_f64 v[105:106], -v[1:2], v[3:4], 1.0
	v_fma_f64 v[3:4], v[3:4], v[105:106], v[3:4]
	v_fma_f64 v[105:106], -v[1:2], v[3:4], 1.0
	v_fma_f64 v[3:4], v[3:4], v[105:106], v[3:4]
	v_mul_f64 v[105:106], v[111:112], v[3:4]
	v_fma_f64 v[1:2], -v[1:2], v[105:106], v[111:112]
	v_div_fmas_f64 v[1:2], v[1:2], v[3:4], v[105:106]
	v_div_fixup_f64 v[1:2], v[1:2], v[107:108], v[103:104]
	v_fma_f64 v[3:4], v[103:104], v[1:2], v[107:108]
	v_div_scale_f64 v[103:104], null, v[3:4], v[3:4], 1.0
	v_div_scale_f64 v[111:112], vcc_lo, 1.0, v[3:4], 1.0
	v_rcp_f64_e32 v[105:106], v[103:104]
	v_fma_f64 v[107:108], -v[103:104], v[105:106], 1.0
	v_fma_f64 v[105:106], v[105:106], v[107:108], v[105:106]
	v_fma_f64 v[107:108], -v[103:104], v[105:106], 1.0
	v_fma_f64 v[105:106], v[105:106], v[107:108], v[105:106]
	v_mul_f64 v[107:108], v[111:112], v[105:106]
	v_fma_f64 v[103:104], -v[103:104], v[107:108], v[111:112]
	v_div_fmas_f64 v[103:104], v[103:104], v[105:106], v[107:108]
                                        ; implicit-def: $vgpr107_vgpr108
	v_div_fixup_f64 v[3:4], v[103:104], v[3:4], 1.0
                                        ; implicit-def: $vgpr103_vgpr104
	v_mul_f64 v[105:106], v[1:2], v[3:4]
	v_xor_b32_e32 v4, 0x80000000, v4
	v_xor_b32_e32 v2, 0x80000000, v106
	v_mov_b32_e32 v1, v105
.LBB48_4:
	s_andn2_saveexec_b32 s9, s9
	s_cbranch_execz .LBB48_6
; %bb.5:
	v_div_scale_f64 v[1:2], null, v[103:104], v[103:104], v[107:108]
	v_div_scale_f64 v[111:112], vcc_lo, v[107:108], v[103:104], v[107:108]
	v_rcp_f64_e32 v[3:4], v[1:2]
	v_fma_f64 v[105:106], -v[1:2], v[3:4], 1.0
	v_fma_f64 v[3:4], v[3:4], v[105:106], v[3:4]
	v_fma_f64 v[105:106], -v[1:2], v[3:4], 1.0
	v_fma_f64 v[3:4], v[3:4], v[105:106], v[3:4]
	v_mul_f64 v[105:106], v[111:112], v[3:4]
	v_fma_f64 v[1:2], -v[1:2], v[105:106], v[111:112]
	v_div_fmas_f64 v[1:2], v[1:2], v[3:4], v[105:106]
	v_div_fixup_f64 v[1:2], v[1:2], v[103:104], v[107:108]
	v_fma_f64 v[3:4], v[107:108], v[1:2], v[103:104]
	v_div_scale_f64 v[103:104], null, v[3:4], v[3:4], 1.0
	v_rcp_f64_e32 v[105:106], v[103:104]
	v_fma_f64 v[107:108], -v[103:104], v[105:106], 1.0
	v_fma_f64 v[105:106], v[105:106], v[107:108], v[105:106]
	v_fma_f64 v[107:108], -v[103:104], v[105:106], 1.0
	v_fma_f64 v[105:106], v[105:106], v[107:108], v[105:106]
	v_div_scale_f64 v[107:108], vcc_lo, 1.0, v[3:4], 1.0
	v_mul_f64 v[111:112], v[107:108], v[105:106]
	v_fma_f64 v[103:104], -v[103:104], v[111:112], v[107:108]
	v_div_fmas_f64 v[103:104], v[103:104], v[105:106], v[111:112]
	v_div_fixup_f64 v[105:106], v[103:104], v[3:4], 1.0
	v_mul_f64 v[3:4], v[1:2], -v[105:106]
	v_xor_b32_e32 v2, 0x80000000, v106
	v_mov_b32_e32 v1, v105
.LBB48_6:
	s_or_b32 exec_lo, exec_lo, s9
	buffer_store_dword v4, v110, s[0:3], 0 offen offset:12
	v_xor_b32_e32 v4, 0x80000000, v4
	buffer_store_dword v106, v110, s[0:3], 0 offen offset:4
	buffer_store_dword v105, v110, s[0:3], 0 offen
	buffer_store_dword v3, v110, s[0:3], 0 offen offset:8
	s_branch .LBB48_8
.LBB48_7:
	v_mov_b32_e32 v1, 0
	v_mov_b32_e32 v3, 0
	;; [unrolled: 1-line block ×4, first 2 shown]
.LBB48_8:
	v_add_nc_u32_e32 v104, 0x310, v109
	v_mov_b32_e32 v103, v109
	s_mov_b32 s55, 16
	s_mov_b32 s54, 32
	;; [unrolled: 1-line block ×47, first 2 shown]
	s_cmpk_eq_i32 s8, 0x79
	ds_write_b128 v109, v[1:4]
	s_cbranch_scc1 .LBB48_388
; %bb.9:
	v_mov_b32_e32 v4, s7
	v_cmp_eq_u32_e64 s4, 48, v0
	s_clause 0x3
	buffer_load_dword v1, v4, s[0:3], 0 offen
	buffer_load_dword v2, v4, s[0:3], 0 offen offset:4
	buffer_load_dword v3, v4, s[0:3], 0 offen offset:8
	;; [unrolled: 1-line block ×3, first 2 shown]
	s_waitcnt vmcnt(0)
	ds_write_b128 v104, v[1:4]
	s_waitcnt lgkmcnt(0)
	s_waitcnt_vscnt null, 0x0
	s_barrier
	buffer_gl0_inv
	s_and_saveexec_b32 s5, s4
	s_cbranch_execz .LBB48_13
; %bb.10:
	ds_read_b128 v[1:4], v104
	s_andn2_b32 vcc_lo, exec_lo, s56
	s_cbranch_vccnz .LBB48_12
; %bb.11:
	s_clause 0x3
	buffer_load_dword v105, v103, s[0:3], 0 offen offset:8
	buffer_load_dword v106, v103, s[0:3], 0 offen offset:12
	buffer_load_dword v107, v103, s[0:3], 0 offen
	buffer_load_dword v108, v103, s[0:3], 0 offen offset:4
	s_waitcnt vmcnt(2) lgkmcnt(0)
	v_mul_f64 v[110:111], v[3:4], v[105:106]
	v_mul_f64 v[105:106], v[1:2], v[105:106]
	s_waitcnt vmcnt(0)
	v_fma_f64 v[1:2], v[1:2], v[107:108], -v[110:111]
	v_fma_f64 v[3:4], v[3:4], v[107:108], v[105:106]
.LBB48_12:
	v_mov_b32_e32 v105, 0
	ds_read_b128 v[105:108], v105 offset:752
	s_waitcnt lgkmcnt(0)
	v_mul_f64 v[110:111], v[3:4], v[107:108]
	v_mul_f64 v[107:108], v[1:2], v[107:108]
	v_fma_f64 v[1:2], v[1:2], v[105:106], -v[110:111]
	v_fma_f64 v[3:4], v[3:4], v[105:106], v[107:108]
	buffer_store_dword v2, off, s[0:3], 0 offset:756
	buffer_store_dword v1, off, s[0:3], 0 offset:752
	;; [unrolled: 1-line block ×4, first 2 shown]
.LBB48_13:
	s_or_b32 exec_lo, exec_lo, s5
	v_mov_b32_e32 v4, s9
	v_cmp_lt_u32_e64 s5, 46, v0
	s_clause 0x3
	buffer_load_dword v1, v4, s[0:3], 0 offen
	buffer_load_dword v2, v4, s[0:3], 0 offen offset:4
	buffer_load_dword v3, v4, s[0:3], 0 offen offset:8
	;; [unrolled: 1-line block ×3, first 2 shown]
	s_waitcnt vmcnt(0)
	ds_write_b128 v104, v[1:4]
	s_waitcnt lgkmcnt(0)
	s_waitcnt_vscnt null, 0x0
	s_barrier
	buffer_gl0_inv
	s_and_saveexec_b32 s8, s5
	s_cbranch_execz .LBB48_19
; %bb.14:
	ds_read_b128 v[1:4], v104
	s_andn2_b32 vcc_lo, exec_lo, s56
	s_cbranch_vccnz .LBB48_16
; %bb.15:
	s_clause 0x3
	buffer_load_dword v105, v103, s[0:3], 0 offen offset:8
	buffer_load_dword v106, v103, s[0:3], 0 offen offset:12
	buffer_load_dword v107, v103, s[0:3], 0 offen
	buffer_load_dword v108, v103, s[0:3], 0 offen offset:4
	s_waitcnt vmcnt(2) lgkmcnt(0)
	v_mul_f64 v[110:111], v[3:4], v[105:106]
	v_mul_f64 v[105:106], v[1:2], v[105:106]
	s_waitcnt vmcnt(0)
	v_fma_f64 v[1:2], v[1:2], v[107:108], -v[110:111]
	v_fma_f64 v[3:4], v[3:4], v[107:108], v[105:106]
.LBB48_16:
	s_and_saveexec_b32 s57, s4
	s_cbranch_execz .LBB48_18
; %bb.17:
	s_clause 0x3
	buffer_load_dword v110, off, s[0:3], 0 offset:760
	buffer_load_dword v111, off, s[0:3], 0 offset:764
	buffer_load_dword v112, off, s[0:3], 0 offset:752
	buffer_load_dword v113, off, s[0:3], 0 offset:756
	v_mov_b32_e32 v105, 0
	ds_read_b128 v[105:108], v105 offset:1536
	s_waitcnt vmcnt(2) lgkmcnt(0)
	v_mul_f64 v[114:115], v[105:106], v[110:111]
	v_mul_f64 v[110:111], v[107:108], v[110:111]
	s_waitcnt vmcnt(0)
	v_fma_f64 v[107:108], v[107:108], v[112:113], v[114:115]
	v_fma_f64 v[105:106], v[105:106], v[112:113], -v[110:111]
	v_add_f64 v[3:4], v[3:4], v[107:108]
	v_add_f64 v[1:2], v[1:2], v[105:106]
.LBB48_18:
	s_or_b32 exec_lo, exec_lo, s57
	v_mov_b32_e32 v105, 0
	ds_read_b128 v[105:108], v105 offset:736
	s_waitcnt lgkmcnt(0)
	v_mul_f64 v[110:111], v[3:4], v[107:108]
	v_mul_f64 v[107:108], v[1:2], v[107:108]
	v_fma_f64 v[1:2], v[1:2], v[105:106], -v[110:111]
	v_fma_f64 v[3:4], v[3:4], v[105:106], v[107:108]
	buffer_store_dword v2, off, s[0:3], 0 offset:740
	buffer_store_dword v1, off, s[0:3], 0 offset:736
	;; [unrolled: 1-line block ×4, first 2 shown]
.LBB48_19:
	s_or_b32 exec_lo, exec_lo, s8
	v_mov_b32_e32 v4, s10
	v_cmp_lt_u32_e64 s4, 45, v0
	s_clause 0x3
	buffer_load_dword v1, v4, s[0:3], 0 offen
	buffer_load_dword v2, v4, s[0:3], 0 offen offset:4
	buffer_load_dword v3, v4, s[0:3], 0 offen offset:8
	;; [unrolled: 1-line block ×3, first 2 shown]
	s_waitcnt vmcnt(0)
	ds_write_b128 v104, v[1:4]
	s_waitcnt lgkmcnt(0)
	s_waitcnt_vscnt null, 0x0
	s_barrier
	buffer_gl0_inv
	s_and_saveexec_b32 s8, s4
	s_cbranch_execz .LBB48_27
; %bb.20:
	ds_read_b128 v[1:4], v104
	s_andn2_b32 vcc_lo, exec_lo, s56
	s_cbranch_vccnz .LBB48_22
; %bb.21:
	s_clause 0x3
	buffer_load_dword v105, v103, s[0:3], 0 offen offset:8
	buffer_load_dword v106, v103, s[0:3], 0 offen offset:12
	buffer_load_dword v107, v103, s[0:3], 0 offen
	buffer_load_dword v108, v103, s[0:3], 0 offen offset:4
	s_waitcnt vmcnt(2) lgkmcnt(0)
	v_mul_f64 v[110:111], v[3:4], v[105:106]
	v_mul_f64 v[105:106], v[1:2], v[105:106]
	s_waitcnt vmcnt(0)
	v_fma_f64 v[1:2], v[1:2], v[107:108], -v[110:111]
	v_fma_f64 v[3:4], v[3:4], v[107:108], v[105:106]
.LBB48_22:
	s_and_saveexec_b32 s57, s5
	s_cbranch_execz .LBB48_26
; %bb.23:
	v_subrev_nc_u32_e32 v105, 46, v0
	s_movk_i32 s58, 0x5f0
	s_mov_b32 s5, 0
	s_mov_b32 s59, s9
	.p2align	6
.LBB48_24:                              ; =>This Inner Loop Header: Depth=1
	v_mov_b32_e32 v108, s59
	v_add_nc_u32_e32 v105, -1, v105
	s_add_i32 s59, s59, 16
	s_clause 0x3
	buffer_load_dword v106, v108, s[0:3], 0 offen offset:8
	buffer_load_dword v107, v108, s[0:3], 0 offen offset:12
	buffer_load_dword v114, v108, s[0:3], 0 offen
	buffer_load_dword v115, v108, s[0:3], 0 offen offset:4
	v_mov_b32_e32 v108, s58
	v_cmp_eq_u32_e32 vcc_lo, 0, v105
	s_add_i32 s58, s58, 16
	ds_read_b128 v[110:113], v108
	s_or_b32 s5, vcc_lo, s5
	s_waitcnt vmcnt(2) lgkmcnt(0)
	v_mul_f64 v[116:117], v[112:113], v[106:107]
	v_mul_f64 v[106:107], v[110:111], v[106:107]
	s_waitcnt vmcnt(0)
	v_fma_f64 v[110:111], v[110:111], v[114:115], -v[116:117]
	v_fma_f64 v[106:107], v[112:113], v[114:115], v[106:107]
	v_add_f64 v[1:2], v[1:2], v[110:111]
	v_add_f64 v[3:4], v[3:4], v[106:107]
	s_andn2_b32 exec_lo, exec_lo, s5
	s_cbranch_execnz .LBB48_24
; %bb.25:
	s_or_b32 exec_lo, exec_lo, s5
.LBB48_26:
	s_or_b32 exec_lo, exec_lo, s57
	v_mov_b32_e32 v105, 0
	ds_read_b128 v[105:108], v105 offset:720
	s_waitcnt lgkmcnt(0)
	v_mul_f64 v[110:111], v[3:4], v[107:108]
	v_mul_f64 v[107:108], v[1:2], v[107:108]
	v_fma_f64 v[1:2], v[1:2], v[105:106], -v[110:111]
	v_fma_f64 v[3:4], v[3:4], v[105:106], v[107:108]
	buffer_store_dword v2, off, s[0:3], 0 offset:724
	buffer_store_dword v1, off, s[0:3], 0 offset:720
	;; [unrolled: 1-line block ×4, first 2 shown]
.LBB48_27:
	s_or_b32 exec_lo, exec_lo, s8
	v_mov_b32_e32 v4, s11
	v_cmp_lt_u32_e64 s5, 44, v0
	s_clause 0x3
	buffer_load_dword v1, v4, s[0:3], 0 offen
	buffer_load_dword v2, v4, s[0:3], 0 offen offset:4
	buffer_load_dword v3, v4, s[0:3], 0 offen offset:8
	;; [unrolled: 1-line block ×3, first 2 shown]
	s_waitcnt vmcnt(0)
	ds_write_b128 v104, v[1:4]
	s_waitcnt lgkmcnt(0)
	s_waitcnt_vscnt null, 0x0
	s_barrier
	buffer_gl0_inv
	s_and_saveexec_b32 s8, s5
	s_cbranch_execz .LBB48_35
; %bb.28:
	ds_read_b128 v[1:4], v104
	s_andn2_b32 vcc_lo, exec_lo, s56
	s_cbranch_vccnz .LBB48_30
; %bb.29:
	s_clause 0x3
	buffer_load_dword v105, v103, s[0:3], 0 offen offset:8
	buffer_load_dword v106, v103, s[0:3], 0 offen offset:12
	buffer_load_dword v107, v103, s[0:3], 0 offen
	buffer_load_dword v108, v103, s[0:3], 0 offen offset:4
	s_waitcnt vmcnt(2) lgkmcnt(0)
	v_mul_f64 v[110:111], v[3:4], v[105:106]
	v_mul_f64 v[105:106], v[1:2], v[105:106]
	s_waitcnt vmcnt(0)
	v_fma_f64 v[1:2], v[1:2], v[107:108], -v[110:111]
	v_fma_f64 v[3:4], v[3:4], v[107:108], v[105:106]
.LBB48_30:
	s_and_saveexec_b32 s57, s4
	s_cbranch_execz .LBB48_34
; %bb.31:
	v_subrev_nc_u32_e32 v105, 45, v0
	s_movk_i32 s58, 0x5e0
	s_mov_b32 s4, 0
	s_mov_b32 s59, s10
	.p2align	6
.LBB48_32:                              ; =>This Inner Loop Header: Depth=1
	v_mov_b32_e32 v108, s59
	v_add_nc_u32_e32 v105, -1, v105
	s_add_i32 s59, s59, 16
	s_clause 0x3
	buffer_load_dword v106, v108, s[0:3], 0 offen offset:8
	buffer_load_dword v107, v108, s[0:3], 0 offen offset:12
	buffer_load_dword v114, v108, s[0:3], 0 offen
	buffer_load_dword v115, v108, s[0:3], 0 offen offset:4
	v_mov_b32_e32 v108, s58
	v_cmp_eq_u32_e32 vcc_lo, 0, v105
	s_add_i32 s58, s58, 16
	ds_read_b128 v[110:113], v108
	s_or_b32 s4, vcc_lo, s4
	s_waitcnt vmcnt(2) lgkmcnt(0)
	v_mul_f64 v[116:117], v[112:113], v[106:107]
	v_mul_f64 v[106:107], v[110:111], v[106:107]
	s_waitcnt vmcnt(0)
	v_fma_f64 v[110:111], v[110:111], v[114:115], -v[116:117]
	v_fma_f64 v[106:107], v[112:113], v[114:115], v[106:107]
	v_add_f64 v[1:2], v[1:2], v[110:111]
	v_add_f64 v[3:4], v[3:4], v[106:107]
	s_andn2_b32 exec_lo, exec_lo, s4
	s_cbranch_execnz .LBB48_32
; %bb.33:
	s_or_b32 exec_lo, exec_lo, s4
.LBB48_34:
	s_or_b32 exec_lo, exec_lo, s57
	v_mov_b32_e32 v105, 0
	ds_read_b128 v[105:108], v105 offset:704
	s_waitcnt lgkmcnt(0)
	v_mul_f64 v[110:111], v[3:4], v[107:108]
	v_mul_f64 v[107:108], v[1:2], v[107:108]
	v_fma_f64 v[1:2], v[1:2], v[105:106], -v[110:111]
	v_fma_f64 v[3:4], v[3:4], v[105:106], v[107:108]
	buffer_store_dword v2, off, s[0:3], 0 offset:708
	buffer_store_dword v1, off, s[0:3], 0 offset:704
	;; [unrolled: 1-line block ×4, first 2 shown]
.LBB48_35:
	s_or_b32 exec_lo, exec_lo, s8
	v_mov_b32_e32 v4, s12
	v_cmp_lt_u32_e64 s4, 43, v0
	s_clause 0x3
	buffer_load_dword v1, v4, s[0:3], 0 offen
	buffer_load_dword v2, v4, s[0:3], 0 offen offset:4
	buffer_load_dword v3, v4, s[0:3], 0 offen offset:8
	;; [unrolled: 1-line block ×3, first 2 shown]
	s_waitcnt vmcnt(0)
	ds_write_b128 v104, v[1:4]
	s_waitcnt lgkmcnt(0)
	s_waitcnt_vscnt null, 0x0
	s_barrier
	buffer_gl0_inv
	s_and_saveexec_b32 s8, s4
	s_cbranch_execz .LBB48_43
; %bb.36:
	ds_read_b128 v[1:4], v104
	s_andn2_b32 vcc_lo, exec_lo, s56
	s_cbranch_vccnz .LBB48_38
; %bb.37:
	s_clause 0x3
	buffer_load_dword v105, v103, s[0:3], 0 offen offset:8
	buffer_load_dword v106, v103, s[0:3], 0 offen offset:12
	buffer_load_dword v107, v103, s[0:3], 0 offen
	buffer_load_dword v108, v103, s[0:3], 0 offen offset:4
	s_waitcnt vmcnt(2) lgkmcnt(0)
	v_mul_f64 v[110:111], v[3:4], v[105:106]
	v_mul_f64 v[105:106], v[1:2], v[105:106]
	s_waitcnt vmcnt(0)
	v_fma_f64 v[1:2], v[1:2], v[107:108], -v[110:111]
	v_fma_f64 v[3:4], v[3:4], v[107:108], v[105:106]
.LBB48_38:
	s_and_saveexec_b32 s57, s5
	s_cbranch_execz .LBB48_42
; %bb.39:
	v_subrev_nc_u32_e32 v105, 44, v0
	s_movk_i32 s58, 0x5d0
	s_mov_b32 s5, 0
	s_mov_b32 s59, s11
	.p2align	6
.LBB48_40:                              ; =>This Inner Loop Header: Depth=1
	v_mov_b32_e32 v108, s59
	v_add_nc_u32_e32 v105, -1, v105
	s_add_i32 s59, s59, 16
	s_clause 0x3
	buffer_load_dword v106, v108, s[0:3], 0 offen offset:8
	buffer_load_dword v107, v108, s[0:3], 0 offen offset:12
	buffer_load_dword v114, v108, s[0:3], 0 offen
	buffer_load_dword v115, v108, s[0:3], 0 offen offset:4
	v_mov_b32_e32 v108, s58
	v_cmp_eq_u32_e32 vcc_lo, 0, v105
	s_add_i32 s58, s58, 16
	ds_read_b128 v[110:113], v108
	s_or_b32 s5, vcc_lo, s5
	s_waitcnt vmcnt(2) lgkmcnt(0)
	v_mul_f64 v[116:117], v[112:113], v[106:107]
	v_mul_f64 v[106:107], v[110:111], v[106:107]
	s_waitcnt vmcnt(0)
	v_fma_f64 v[110:111], v[110:111], v[114:115], -v[116:117]
	v_fma_f64 v[106:107], v[112:113], v[114:115], v[106:107]
	v_add_f64 v[1:2], v[1:2], v[110:111]
	v_add_f64 v[3:4], v[3:4], v[106:107]
	s_andn2_b32 exec_lo, exec_lo, s5
	s_cbranch_execnz .LBB48_40
; %bb.41:
	s_or_b32 exec_lo, exec_lo, s5
.LBB48_42:
	s_or_b32 exec_lo, exec_lo, s57
	v_mov_b32_e32 v105, 0
	ds_read_b128 v[105:108], v105 offset:688
	s_waitcnt lgkmcnt(0)
	v_mul_f64 v[110:111], v[3:4], v[107:108]
	v_mul_f64 v[107:108], v[1:2], v[107:108]
	v_fma_f64 v[1:2], v[1:2], v[105:106], -v[110:111]
	v_fma_f64 v[3:4], v[3:4], v[105:106], v[107:108]
	buffer_store_dword v2, off, s[0:3], 0 offset:692
	buffer_store_dword v1, off, s[0:3], 0 offset:688
	;; [unrolled: 1-line block ×4, first 2 shown]
.LBB48_43:
	s_or_b32 exec_lo, exec_lo, s8
	v_mov_b32_e32 v4, s13
	v_cmp_lt_u32_e64 s5, 42, v0
	s_clause 0x3
	buffer_load_dword v1, v4, s[0:3], 0 offen
	buffer_load_dword v2, v4, s[0:3], 0 offen offset:4
	buffer_load_dword v3, v4, s[0:3], 0 offen offset:8
	;; [unrolled: 1-line block ×3, first 2 shown]
	s_waitcnt vmcnt(0)
	ds_write_b128 v104, v[1:4]
	s_waitcnt lgkmcnt(0)
	s_waitcnt_vscnt null, 0x0
	s_barrier
	buffer_gl0_inv
	s_and_saveexec_b32 s8, s5
	s_cbranch_execz .LBB48_51
; %bb.44:
	ds_read_b128 v[1:4], v104
	s_andn2_b32 vcc_lo, exec_lo, s56
	s_cbranch_vccnz .LBB48_46
; %bb.45:
	s_clause 0x3
	buffer_load_dword v105, v103, s[0:3], 0 offen offset:8
	buffer_load_dword v106, v103, s[0:3], 0 offen offset:12
	buffer_load_dword v107, v103, s[0:3], 0 offen
	buffer_load_dword v108, v103, s[0:3], 0 offen offset:4
	s_waitcnt vmcnt(2) lgkmcnt(0)
	v_mul_f64 v[110:111], v[3:4], v[105:106]
	v_mul_f64 v[105:106], v[1:2], v[105:106]
	s_waitcnt vmcnt(0)
	v_fma_f64 v[1:2], v[1:2], v[107:108], -v[110:111]
	v_fma_f64 v[3:4], v[3:4], v[107:108], v[105:106]
.LBB48_46:
	s_and_saveexec_b32 s57, s4
	s_cbranch_execz .LBB48_50
; %bb.47:
	v_subrev_nc_u32_e32 v105, 43, v0
	s_movk_i32 s58, 0x5c0
	s_mov_b32 s4, 0
	s_mov_b32 s59, s12
	.p2align	6
.LBB48_48:                              ; =>This Inner Loop Header: Depth=1
	v_mov_b32_e32 v108, s59
	v_add_nc_u32_e32 v105, -1, v105
	s_add_i32 s59, s59, 16
	s_clause 0x3
	buffer_load_dword v106, v108, s[0:3], 0 offen offset:8
	buffer_load_dword v107, v108, s[0:3], 0 offen offset:12
	buffer_load_dword v114, v108, s[0:3], 0 offen
	buffer_load_dword v115, v108, s[0:3], 0 offen offset:4
	v_mov_b32_e32 v108, s58
	v_cmp_eq_u32_e32 vcc_lo, 0, v105
	s_add_i32 s58, s58, 16
	ds_read_b128 v[110:113], v108
	s_or_b32 s4, vcc_lo, s4
	s_waitcnt vmcnt(2) lgkmcnt(0)
	v_mul_f64 v[116:117], v[112:113], v[106:107]
	v_mul_f64 v[106:107], v[110:111], v[106:107]
	s_waitcnt vmcnt(0)
	v_fma_f64 v[110:111], v[110:111], v[114:115], -v[116:117]
	v_fma_f64 v[106:107], v[112:113], v[114:115], v[106:107]
	v_add_f64 v[1:2], v[1:2], v[110:111]
	v_add_f64 v[3:4], v[3:4], v[106:107]
	s_andn2_b32 exec_lo, exec_lo, s4
	s_cbranch_execnz .LBB48_48
; %bb.49:
	s_or_b32 exec_lo, exec_lo, s4
.LBB48_50:
	s_or_b32 exec_lo, exec_lo, s57
	v_mov_b32_e32 v105, 0
	ds_read_b128 v[105:108], v105 offset:672
	s_waitcnt lgkmcnt(0)
	v_mul_f64 v[110:111], v[3:4], v[107:108]
	v_mul_f64 v[107:108], v[1:2], v[107:108]
	v_fma_f64 v[1:2], v[1:2], v[105:106], -v[110:111]
	v_fma_f64 v[3:4], v[3:4], v[105:106], v[107:108]
	buffer_store_dword v2, off, s[0:3], 0 offset:676
	buffer_store_dword v1, off, s[0:3], 0 offset:672
	;; [unrolled: 1-line block ×4, first 2 shown]
.LBB48_51:
	s_or_b32 exec_lo, exec_lo, s8
	v_mov_b32_e32 v4, s14
	v_cmp_lt_u32_e64 s4, 41, v0
	s_clause 0x3
	buffer_load_dword v1, v4, s[0:3], 0 offen
	buffer_load_dword v2, v4, s[0:3], 0 offen offset:4
	buffer_load_dword v3, v4, s[0:3], 0 offen offset:8
	;; [unrolled: 1-line block ×3, first 2 shown]
	s_waitcnt vmcnt(0)
	ds_write_b128 v104, v[1:4]
	s_waitcnt lgkmcnt(0)
	s_waitcnt_vscnt null, 0x0
	s_barrier
	buffer_gl0_inv
	s_and_saveexec_b32 s8, s4
	s_cbranch_execz .LBB48_59
; %bb.52:
	ds_read_b128 v[1:4], v104
	s_andn2_b32 vcc_lo, exec_lo, s56
	s_cbranch_vccnz .LBB48_54
; %bb.53:
	s_clause 0x3
	buffer_load_dword v105, v103, s[0:3], 0 offen offset:8
	buffer_load_dword v106, v103, s[0:3], 0 offen offset:12
	buffer_load_dword v107, v103, s[0:3], 0 offen
	buffer_load_dword v108, v103, s[0:3], 0 offen offset:4
	s_waitcnt vmcnt(2) lgkmcnt(0)
	v_mul_f64 v[110:111], v[3:4], v[105:106]
	v_mul_f64 v[105:106], v[1:2], v[105:106]
	s_waitcnt vmcnt(0)
	v_fma_f64 v[1:2], v[1:2], v[107:108], -v[110:111]
	v_fma_f64 v[3:4], v[3:4], v[107:108], v[105:106]
.LBB48_54:
	s_and_saveexec_b32 s57, s5
	s_cbranch_execz .LBB48_58
; %bb.55:
	v_subrev_nc_u32_e32 v105, 42, v0
	s_movk_i32 s58, 0x5b0
	s_mov_b32 s5, 0
	s_mov_b32 s59, s13
	.p2align	6
.LBB48_56:                              ; =>This Inner Loop Header: Depth=1
	v_mov_b32_e32 v108, s59
	v_add_nc_u32_e32 v105, -1, v105
	s_add_i32 s59, s59, 16
	s_clause 0x3
	buffer_load_dword v106, v108, s[0:3], 0 offen offset:8
	buffer_load_dword v107, v108, s[0:3], 0 offen offset:12
	buffer_load_dword v114, v108, s[0:3], 0 offen
	buffer_load_dword v115, v108, s[0:3], 0 offen offset:4
	v_mov_b32_e32 v108, s58
	v_cmp_eq_u32_e32 vcc_lo, 0, v105
	s_add_i32 s58, s58, 16
	ds_read_b128 v[110:113], v108
	s_or_b32 s5, vcc_lo, s5
	s_waitcnt vmcnt(2) lgkmcnt(0)
	v_mul_f64 v[116:117], v[112:113], v[106:107]
	v_mul_f64 v[106:107], v[110:111], v[106:107]
	s_waitcnt vmcnt(0)
	v_fma_f64 v[110:111], v[110:111], v[114:115], -v[116:117]
	v_fma_f64 v[106:107], v[112:113], v[114:115], v[106:107]
	v_add_f64 v[1:2], v[1:2], v[110:111]
	v_add_f64 v[3:4], v[3:4], v[106:107]
	s_andn2_b32 exec_lo, exec_lo, s5
	s_cbranch_execnz .LBB48_56
; %bb.57:
	s_or_b32 exec_lo, exec_lo, s5
.LBB48_58:
	s_or_b32 exec_lo, exec_lo, s57
	v_mov_b32_e32 v105, 0
	ds_read_b128 v[105:108], v105 offset:656
	s_waitcnt lgkmcnt(0)
	v_mul_f64 v[110:111], v[3:4], v[107:108]
	v_mul_f64 v[107:108], v[1:2], v[107:108]
	v_fma_f64 v[1:2], v[1:2], v[105:106], -v[110:111]
	v_fma_f64 v[3:4], v[3:4], v[105:106], v[107:108]
	buffer_store_dword v2, off, s[0:3], 0 offset:660
	buffer_store_dword v1, off, s[0:3], 0 offset:656
	buffer_store_dword v4, off, s[0:3], 0 offset:668
	buffer_store_dword v3, off, s[0:3], 0 offset:664
.LBB48_59:
	s_or_b32 exec_lo, exec_lo, s8
	v_mov_b32_e32 v4, s15
	v_cmp_lt_u32_e64 s5, 40, v0
	s_clause 0x3
	buffer_load_dword v1, v4, s[0:3], 0 offen
	buffer_load_dword v2, v4, s[0:3], 0 offen offset:4
	buffer_load_dword v3, v4, s[0:3], 0 offen offset:8
	;; [unrolled: 1-line block ×3, first 2 shown]
	s_waitcnt vmcnt(0)
	ds_write_b128 v104, v[1:4]
	s_waitcnt lgkmcnt(0)
	s_waitcnt_vscnt null, 0x0
	s_barrier
	buffer_gl0_inv
	s_and_saveexec_b32 s8, s5
	s_cbranch_execz .LBB48_67
; %bb.60:
	ds_read_b128 v[1:4], v104
	s_andn2_b32 vcc_lo, exec_lo, s56
	s_cbranch_vccnz .LBB48_62
; %bb.61:
	s_clause 0x3
	buffer_load_dword v105, v103, s[0:3], 0 offen offset:8
	buffer_load_dword v106, v103, s[0:3], 0 offen offset:12
	buffer_load_dword v107, v103, s[0:3], 0 offen
	buffer_load_dword v108, v103, s[0:3], 0 offen offset:4
	s_waitcnt vmcnt(2) lgkmcnt(0)
	v_mul_f64 v[110:111], v[3:4], v[105:106]
	v_mul_f64 v[105:106], v[1:2], v[105:106]
	s_waitcnt vmcnt(0)
	v_fma_f64 v[1:2], v[1:2], v[107:108], -v[110:111]
	v_fma_f64 v[3:4], v[3:4], v[107:108], v[105:106]
.LBB48_62:
	s_and_saveexec_b32 s57, s4
	s_cbranch_execz .LBB48_66
; %bb.63:
	v_subrev_nc_u32_e32 v105, 41, v0
	s_movk_i32 s58, 0x5a0
	s_mov_b32 s4, 0
	s_mov_b32 s59, s14
	.p2align	6
.LBB48_64:                              ; =>This Inner Loop Header: Depth=1
	v_mov_b32_e32 v108, s59
	v_add_nc_u32_e32 v105, -1, v105
	s_add_i32 s59, s59, 16
	s_clause 0x3
	buffer_load_dword v106, v108, s[0:3], 0 offen offset:8
	buffer_load_dword v107, v108, s[0:3], 0 offen offset:12
	buffer_load_dword v114, v108, s[0:3], 0 offen
	buffer_load_dword v115, v108, s[0:3], 0 offen offset:4
	v_mov_b32_e32 v108, s58
	v_cmp_eq_u32_e32 vcc_lo, 0, v105
	s_add_i32 s58, s58, 16
	ds_read_b128 v[110:113], v108
	s_or_b32 s4, vcc_lo, s4
	s_waitcnt vmcnt(2) lgkmcnt(0)
	v_mul_f64 v[116:117], v[112:113], v[106:107]
	v_mul_f64 v[106:107], v[110:111], v[106:107]
	s_waitcnt vmcnt(0)
	v_fma_f64 v[110:111], v[110:111], v[114:115], -v[116:117]
	v_fma_f64 v[106:107], v[112:113], v[114:115], v[106:107]
	v_add_f64 v[1:2], v[1:2], v[110:111]
	v_add_f64 v[3:4], v[3:4], v[106:107]
	s_andn2_b32 exec_lo, exec_lo, s4
	s_cbranch_execnz .LBB48_64
; %bb.65:
	s_or_b32 exec_lo, exec_lo, s4
.LBB48_66:
	s_or_b32 exec_lo, exec_lo, s57
	v_mov_b32_e32 v105, 0
	ds_read_b128 v[105:108], v105 offset:640
	s_waitcnt lgkmcnt(0)
	v_mul_f64 v[110:111], v[3:4], v[107:108]
	v_mul_f64 v[107:108], v[1:2], v[107:108]
	v_fma_f64 v[1:2], v[1:2], v[105:106], -v[110:111]
	v_fma_f64 v[3:4], v[3:4], v[105:106], v[107:108]
	buffer_store_dword v2, off, s[0:3], 0 offset:644
	buffer_store_dword v1, off, s[0:3], 0 offset:640
	;; [unrolled: 1-line block ×4, first 2 shown]
.LBB48_67:
	s_or_b32 exec_lo, exec_lo, s8
	v_mov_b32_e32 v4, s16
	v_cmp_lt_u32_e64 s4, 39, v0
	s_clause 0x3
	buffer_load_dword v1, v4, s[0:3], 0 offen
	buffer_load_dword v2, v4, s[0:3], 0 offen offset:4
	buffer_load_dword v3, v4, s[0:3], 0 offen offset:8
	;; [unrolled: 1-line block ×3, first 2 shown]
	s_waitcnt vmcnt(0)
	ds_write_b128 v104, v[1:4]
	s_waitcnt lgkmcnt(0)
	s_waitcnt_vscnt null, 0x0
	s_barrier
	buffer_gl0_inv
	s_and_saveexec_b32 s8, s4
	s_cbranch_execz .LBB48_75
; %bb.68:
	ds_read_b128 v[1:4], v104
	s_andn2_b32 vcc_lo, exec_lo, s56
	s_cbranch_vccnz .LBB48_70
; %bb.69:
	s_clause 0x3
	buffer_load_dword v105, v103, s[0:3], 0 offen offset:8
	buffer_load_dword v106, v103, s[0:3], 0 offen offset:12
	buffer_load_dword v107, v103, s[0:3], 0 offen
	buffer_load_dword v108, v103, s[0:3], 0 offen offset:4
	s_waitcnt vmcnt(2) lgkmcnt(0)
	v_mul_f64 v[110:111], v[3:4], v[105:106]
	v_mul_f64 v[105:106], v[1:2], v[105:106]
	s_waitcnt vmcnt(0)
	v_fma_f64 v[1:2], v[1:2], v[107:108], -v[110:111]
	v_fma_f64 v[3:4], v[3:4], v[107:108], v[105:106]
.LBB48_70:
	s_and_saveexec_b32 s57, s5
	s_cbranch_execz .LBB48_74
; %bb.71:
	v_subrev_nc_u32_e32 v105, 40, v0
	s_movk_i32 s58, 0x590
	s_mov_b32 s5, 0
	s_mov_b32 s59, s15
	.p2align	6
.LBB48_72:                              ; =>This Inner Loop Header: Depth=1
	v_mov_b32_e32 v108, s59
	v_add_nc_u32_e32 v105, -1, v105
	s_add_i32 s59, s59, 16
	s_clause 0x3
	buffer_load_dword v106, v108, s[0:3], 0 offen offset:8
	buffer_load_dword v107, v108, s[0:3], 0 offen offset:12
	buffer_load_dword v114, v108, s[0:3], 0 offen
	buffer_load_dword v115, v108, s[0:3], 0 offen offset:4
	v_mov_b32_e32 v108, s58
	v_cmp_eq_u32_e32 vcc_lo, 0, v105
	s_add_i32 s58, s58, 16
	ds_read_b128 v[110:113], v108
	s_or_b32 s5, vcc_lo, s5
	s_waitcnt vmcnt(2) lgkmcnt(0)
	v_mul_f64 v[116:117], v[112:113], v[106:107]
	v_mul_f64 v[106:107], v[110:111], v[106:107]
	s_waitcnt vmcnt(0)
	v_fma_f64 v[110:111], v[110:111], v[114:115], -v[116:117]
	v_fma_f64 v[106:107], v[112:113], v[114:115], v[106:107]
	v_add_f64 v[1:2], v[1:2], v[110:111]
	v_add_f64 v[3:4], v[3:4], v[106:107]
	s_andn2_b32 exec_lo, exec_lo, s5
	s_cbranch_execnz .LBB48_72
; %bb.73:
	s_or_b32 exec_lo, exec_lo, s5
.LBB48_74:
	s_or_b32 exec_lo, exec_lo, s57
	v_mov_b32_e32 v105, 0
	ds_read_b128 v[105:108], v105 offset:624
	s_waitcnt lgkmcnt(0)
	v_mul_f64 v[110:111], v[3:4], v[107:108]
	v_mul_f64 v[107:108], v[1:2], v[107:108]
	v_fma_f64 v[1:2], v[1:2], v[105:106], -v[110:111]
	v_fma_f64 v[3:4], v[3:4], v[105:106], v[107:108]
	buffer_store_dword v2, off, s[0:3], 0 offset:628
	buffer_store_dword v1, off, s[0:3], 0 offset:624
	;; [unrolled: 1-line block ×4, first 2 shown]
.LBB48_75:
	s_or_b32 exec_lo, exec_lo, s8
	v_mov_b32_e32 v4, s17
	v_cmp_lt_u32_e64 s5, 38, v0
	s_clause 0x3
	buffer_load_dword v1, v4, s[0:3], 0 offen
	buffer_load_dword v2, v4, s[0:3], 0 offen offset:4
	buffer_load_dword v3, v4, s[0:3], 0 offen offset:8
	;; [unrolled: 1-line block ×3, first 2 shown]
	s_waitcnt vmcnt(0)
	ds_write_b128 v104, v[1:4]
	s_waitcnt lgkmcnt(0)
	s_waitcnt_vscnt null, 0x0
	s_barrier
	buffer_gl0_inv
	s_and_saveexec_b32 s8, s5
	s_cbranch_execz .LBB48_83
; %bb.76:
	ds_read_b128 v[1:4], v104
	s_andn2_b32 vcc_lo, exec_lo, s56
	s_cbranch_vccnz .LBB48_78
; %bb.77:
	s_clause 0x3
	buffer_load_dword v105, v103, s[0:3], 0 offen offset:8
	buffer_load_dword v106, v103, s[0:3], 0 offen offset:12
	buffer_load_dword v107, v103, s[0:3], 0 offen
	buffer_load_dword v108, v103, s[0:3], 0 offen offset:4
	s_waitcnt vmcnt(2) lgkmcnt(0)
	v_mul_f64 v[110:111], v[3:4], v[105:106]
	v_mul_f64 v[105:106], v[1:2], v[105:106]
	s_waitcnt vmcnt(0)
	v_fma_f64 v[1:2], v[1:2], v[107:108], -v[110:111]
	v_fma_f64 v[3:4], v[3:4], v[107:108], v[105:106]
.LBB48_78:
	s_and_saveexec_b32 s57, s4
	s_cbranch_execz .LBB48_82
; %bb.79:
	v_subrev_nc_u32_e32 v105, 39, v0
	s_movk_i32 s58, 0x580
	s_mov_b32 s4, 0
	s_mov_b32 s59, s16
	.p2align	6
.LBB48_80:                              ; =>This Inner Loop Header: Depth=1
	v_mov_b32_e32 v108, s59
	v_add_nc_u32_e32 v105, -1, v105
	s_add_i32 s59, s59, 16
	s_clause 0x3
	buffer_load_dword v106, v108, s[0:3], 0 offen offset:8
	buffer_load_dword v107, v108, s[0:3], 0 offen offset:12
	buffer_load_dword v114, v108, s[0:3], 0 offen
	buffer_load_dword v115, v108, s[0:3], 0 offen offset:4
	v_mov_b32_e32 v108, s58
	v_cmp_eq_u32_e32 vcc_lo, 0, v105
	s_add_i32 s58, s58, 16
	ds_read_b128 v[110:113], v108
	s_or_b32 s4, vcc_lo, s4
	s_waitcnt vmcnt(2) lgkmcnt(0)
	v_mul_f64 v[116:117], v[112:113], v[106:107]
	v_mul_f64 v[106:107], v[110:111], v[106:107]
	s_waitcnt vmcnt(0)
	v_fma_f64 v[110:111], v[110:111], v[114:115], -v[116:117]
	v_fma_f64 v[106:107], v[112:113], v[114:115], v[106:107]
	v_add_f64 v[1:2], v[1:2], v[110:111]
	v_add_f64 v[3:4], v[3:4], v[106:107]
	s_andn2_b32 exec_lo, exec_lo, s4
	s_cbranch_execnz .LBB48_80
; %bb.81:
	s_or_b32 exec_lo, exec_lo, s4
.LBB48_82:
	s_or_b32 exec_lo, exec_lo, s57
	v_mov_b32_e32 v105, 0
	ds_read_b128 v[105:108], v105 offset:608
	s_waitcnt lgkmcnt(0)
	v_mul_f64 v[110:111], v[3:4], v[107:108]
	v_mul_f64 v[107:108], v[1:2], v[107:108]
	v_fma_f64 v[1:2], v[1:2], v[105:106], -v[110:111]
	v_fma_f64 v[3:4], v[3:4], v[105:106], v[107:108]
	buffer_store_dword v2, off, s[0:3], 0 offset:612
	buffer_store_dword v1, off, s[0:3], 0 offset:608
	;; [unrolled: 1-line block ×4, first 2 shown]
.LBB48_83:
	s_or_b32 exec_lo, exec_lo, s8
	v_mov_b32_e32 v4, s18
	v_cmp_lt_u32_e64 s4, 37, v0
	s_clause 0x3
	buffer_load_dword v1, v4, s[0:3], 0 offen
	buffer_load_dword v2, v4, s[0:3], 0 offen offset:4
	buffer_load_dword v3, v4, s[0:3], 0 offen offset:8
	;; [unrolled: 1-line block ×3, first 2 shown]
	s_waitcnt vmcnt(0)
	ds_write_b128 v104, v[1:4]
	s_waitcnt lgkmcnt(0)
	s_waitcnt_vscnt null, 0x0
	s_barrier
	buffer_gl0_inv
	s_and_saveexec_b32 s8, s4
	s_cbranch_execz .LBB48_91
; %bb.84:
	ds_read_b128 v[1:4], v104
	s_andn2_b32 vcc_lo, exec_lo, s56
	s_cbranch_vccnz .LBB48_86
; %bb.85:
	s_clause 0x3
	buffer_load_dword v105, v103, s[0:3], 0 offen offset:8
	buffer_load_dword v106, v103, s[0:3], 0 offen offset:12
	buffer_load_dword v107, v103, s[0:3], 0 offen
	buffer_load_dword v108, v103, s[0:3], 0 offen offset:4
	s_waitcnt vmcnt(2) lgkmcnt(0)
	v_mul_f64 v[110:111], v[3:4], v[105:106]
	v_mul_f64 v[105:106], v[1:2], v[105:106]
	s_waitcnt vmcnt(0)
	v_fma_f64 v[1:2], v[1:2], v[107:108], -v[110:111]
	v_fma_f64 v[3:4], v[3:4], v[107:108], v[105:106]
.LBB48_86:
	s_and_saveexec_b32 s57, s5
	s_cbranch_execz .LBB48_90
; %bb.87:
	v_subrev_nc_u32_e32 v105, 38, v0
	s_movk_i32 s58, 0x570
	s_mov_b32 s5, 0
	s_mov_b32 s59, s17
	.p2align	6
.LBB48_88:                              ; =>This Inner Loop Header: Depth=1
	v_mov_b32_e32 v108, s59
	v_add_nc_u32_e32 v105, -1, v105
	s_add_i32 s59, s59, 16
	s_clause 0x3
	buffer_load_dword v106, v108, s[0:3], 0 offen offset:8
	buffer_load_dword v107, v108, s[0:3], 0 offen offset:12
	buffer_load_dword v114, v108, s[0:3], 0 offen
	buffer_load_dword v115, v108, s[0:3], 0 offen offset:4
	v_mov_b32_e32 v108, s58
	v_cmp_eq_u32_e32 vcc_lo, 0, v105
	s_add_i32 s58, s58, 16
	ds_read_b128 v[110:113], v108
	s_or_b32 s5, vcc_lo, s5
	s_waitcnt vmcnt(2) lgkmcnt(0)
	v_mul_f64 v[116:117], v[112:113], v[106:107]
	v_mul_f64 v[106:107], v[110:111], v[106:107]
	s_waitcnt vmcnt(0)
	v_fma_f64 v[110:111], v[110:111], v[114:115], -v[116:117]
	v_fma_f64 v[106:107], v[112:113], v[114:115], v[106:107]
	v_add_f64 v[1:2], v[1:2], v[110:111]
	v_add_f64 v[3:4], v[3:4], v[106:107]
	s_andn2_b32 exec_lo, exec_lo, s5
	s_cbranch_execnz .LBB48_88
; %bb.89:
	s_or_b32 exec_lo, exec_lo, s5
.LBB48_90:
	s_or_b32 exec_lo, exec_lo, s57
	v_mov_b32_e32 v105, 0
	ds_read_b128 v[105:108], v105 offset:592
	s_waitcnt lgkmcnt(0)
	v_mul_f64 v[110:111], v[3:4], v[107:108]
	v_mul_f64 v[107:108], v[1:2], v[107:108]
	v_fma_f64 v[1:2], v[1:2], v[105:106], -v[110:111]
	v_fma_f64 v[3:4], v[3:4], v[105:106], v[107:108]
	buffer_store_dword v2, off, s[0:3], 0 offset:596
	buffer_store_dword v1, off, s[0:3], 0 offset:592
	;; [unrolled: 1-line block ×4, first 2 shown]
.LBB48_91:
	s_or_b32 exec_lo, exec_lo, s8
	v_mov_b32_e32 v4, s19
	v_cmp_lt_u32_e64 s5, 36, v0
	s_clause 0x3
	buffer_load_dword v1, v4, s[0:3], 0 offen
	buffer_load_dword v2, v4, s[0:3], 0 offen offset:4
	buffer_load_dword v3, v4, s[0:3], 0 offen offset:8
	;; [unrolled: 1-line block ×3, first 2 shown]
	s_waitcnt vmcnt(0)
	ds_write_b128 v104, v[1:4]
	s_waitcnt lgkmcnt(0)
	s_waitcnt_vscnt null, 0x0
	s_barrier
	buffer_gl0_inv
	s_and_saveexec_b32 s8, s5
	s_cbranch_execz .LBB48_99
; %bb.92:
	ds_read_b128 v[1:4], v104
	s_andn2_b32 vcc_lo, exec_lo, s56
	s_cbranch_vccnz .LBB48_94
; %bb.93:
	s_clause 0x3
	buffer_load_dword v105, v103, s[0:3], 0 offen offset:8
	buffer_load_dword v106, v103, s[0:3], 0 offen offset:12
	buffer_load_dword v107, v103, s[0:3], 0 offen
	buffer_load_dword v108, v103, s[0:3], 0 offen offset:4
	s_waitcnt vmcnt(2) lgkmcnt(0)
	v_mul_f64 v[110:111], v[3:4], v[105:106]
	v_mul_f64 v[105:106], v[1:2], v[105:106]
	s_waitcnt vmcnt(0)
	v_fma_f64 v[1:2], v[1:2], v[107:108], -v[110:111]
	v_fma_f64 v[3:4], v[3:4], v[107:108], v[105:106]
.LBB48_94:
	s_and_saveexec_b32 s57, s4
	s_cbranch_execz .LBB48_98
; %bb.95:
	v_subrev_nc_u32_e32 v105, 37, v0
	s_movk_i32 s58, 0x560
	s_mov_b32 s4, 0
	s_mov_b32 s59, s18
	.p2align	6
.LBB48_96:                              ; =>This Inner Loop Header: Depth=1
	v_mov_b32_e32 v108, s59
	v_add_nc_u32_e32 v105, -1, v105
	s_add_i32 s59, s59, 16
	s_clause 0x3
	buffer_load_dword v106, v108, s[0:3], 0 offen offset:8
	buffer_load_dword v107, v108, s[0:3], 0 offen offset:12
	buffer_load_dword v114, v108, s[0:3], 0 offen
	buffer_load_dword v115, v108, s[0:3], 0 offen offset:4
	v_mov_b32_e32 v108, s58
	v_cmp_eq_u32_e32 vcc_lo, 0, v105
	s_add_i32 s58, s58, 16
	ds_read_b128 v[110:113], v108
	s_or_b32 s4, vcc_lo, s4
	s_waitcnt vmcnt(2) lgkmcnt(0)
	v_mul_f64 v[116:117], v[112:113], v[106:107]
	v_mul_f64 v[106:107], v[110:111], v[106:107]
	s_waitcnt vmcnt(0)
	v_fma_f64 v[110:111], v[110:111], v[114:115], -v[116:117]
	v_fma_f64 v[106:107], v[112:113], v[114:115], v[106:107]
	v_add_f64 v[1:2], v[1:2], v[110:111]
	v_add_f64 v[3:4], v[3:4], v[106:107]
	s_andn2_b32 exec_lo, exec_lo, s4
	s_cbranch_execnz .LBB48_96
; %bb.97:
	s_or_b32 exec_lo, exec_lo, s4
.LBB48_98:
	s_or_b32 exec_lo, exec_lo, s57
	v_mov_b32_e32 v105, 0
	ds_read_b128 v[105:108], v105 offset:576
	s_waitcnt lgkmcnt(0)
	v_mul_f64 v[110:111], v[3:4], v[107:108]
	v_mul_f64 v[107:108], v[1:2], v[107:108]
	v_fma_f64 v[1:2], v[1:2], v[105:106], -v[110:111]
	v_fma_f64 v[3:4], v[3:4], v[105:106], v[107:108]
	buffer_store_dword v2, off, s[0:3], 0 offset:580
	buffer_store_dword v1, off, s[0:3], 0 offset:576
	;; [unrolled: 1-line block ×4, first 2 shown]
.LBB48_99:
	s_or_b32 exec_lo, exec_lo, s8
	v_mov_b32_e32 v4, s20
	v_cmp_lt_u32_e64 s4, 35, v0
	s_clause 0x3
	buffer_load_dword v1, v4, s[0:3], 0 offen
	buffer_load_dword v2, v4, s[0:3], 0 offen offset:4
	buffer_load_dword v3, v4, s[0:3], 0 offen offset:8
	;; [unrolled: 1-line block ×3, first 2 shown]
	s_waitcnt vmcnt(0)
	ds_write_b128 v104, v[1:4]
	s_waitcnt lgkmcnt(0)
	s_waitcnt_vscnt null, 0x0
	s_barrier
	buffer_gl0_inv
	s_and_saveexec_b32 s8, s4
	s_cbranch_execz .LBB48_107
; %bb.100:
	ds_read_b128 v[1:4], v104
	s_andn2_b32 vcc_lo, exec_lo, s56
	s_cbranch_vccnz .LBB48_102
; %bb.101:
	s_clause 0x3
	buffer_load_dword v105, v103, s[0:3], 0 offen offset:8
	buffer_load_dword v106, v103, s[0:3], 0 offen offset:12
	buffer_load_dword v107, v103, s[0:3], 0 offen
	buffer_load_dword v108, v103, s[0:3], 0 offen offset:4
	s_waitcnt vmcnt(2) lgkmcnt(0)
	v_mul_f64 v[110:111], v[3:4], v[105:106]
	v_mul_f64 v[105:106], v[1:2], v[105:106]
	s_waitcnt vmcnt(0)
	v_fma_f64 v[1:2], v[1:2], v[107:108], -v[110:111]
	v_fma_f64 v[3:4], v[3:4], v[107:108], v[105:106]
.LBB48_102:
	s_and_saveexec_b32 s57, s5
	s_cbranch_execz .LBB48_106
; %bb.103:
	v_subrev_nc_u32_e32 v105, 36, v0
	s_movk_i32 s58, 0x550
	s_mov_b32 s5, 0
	s_mov_b32 s59, s19
	.p2align	6
.LBB48_104:                             ; =>This Inner Loop Header: Depth=1
	v_mov_b32_e32 v108, s59
	v_add_nc_u32_e32 v105, -1, v105
	s_add_i32 s59, s59, 16
	s_clause 0x3
	buffer_load_dword v106, v108, s[0:3], 0 offen offset:8
	buffer_load_dword v107, v108, s[0:3], 0 offen offset:12
	buffer_load_dword v114, v108, s[0:3], 0 offen
	buffer_load_dword v115, v108, s[0:3], 0 offen offset:4
	v_mov_b32_e32 v108, s58
	v_cmp_eq_u32_e32 vcc_lo, 0, v105
	s_add_i32 s58, s58, 16
	ds_read_b128 v[110:113], v108
	s_or_b32 s5, vcc_lo, s5
	s_waitcnt vmcnt(2) lgkmcnt(0)
	v_mul_f64 v[116:117], v[112:113], v[106:107]
	v_mul_f64 v[106:107], v[110:111], v[106:107]
	s_waitcnt vmcnt(0)
	v_fma_f64 v[110:111], v[110:111], v[114:115], -v[116:117]
	v_fma_f64 v[106:107], v[112:113], v[114:115], v[106:107]
	v_add_f64 v[1:2], v[1:2], v[110:111]
	v_add_f64 v[3:4], v[3:4], v[106:107]
	s_andn2_b32 exec_lo, exec_lo, s5
	s_cbranch_execnz .LBB48_104
; %bb.105:
	s_or_b32 exec_lo, exec_lo, s5
.LBB48_106:
	s_or_b32 exec_lo, exec_lo, s57
	v_mov_b32_e32 v105, 0
	ds_read_b128 v[105:108], v105 offset:560
	s_waitcnt lgkmcnt(0)
	v_mul_f64 v[110:111], v[3:4], v[107:108]
	v_mul_f64 v[107:108], v[1:2], v[107:108]
	v_fma_f64 v[1:2], v[1:2], v[105:106], -v[110:111]
	v_fma_f64 v[3:4], v[3:4], v[105:106], v[107:108]
	buffer_store_dword v2, off, s[0:3], 0 offset:564
	buffer_store_dword v1, off, s[0:3], 0 offset:560
	;; [unrolled: 1-line block ×4, first 2 shown]
.LBB48_107:
	s_or_b32 exec_lo, exec_lo, s8
	v_mov_b32_e32 v4, s21
	v_cmp_lt_u32_e64 s5, 34, v0
	s_clause 0x3
	buffer_load_dword v1, v4, s[0:3], 0 offen
	buffer_load_dword v2, v4, s[0:3], 0 offen offset:4
	buffer_load_dword v3, v4, s[0:3], 0 offen offset:8
	;; [unrolled: 1-line block ×3, first 2 shown]
	s_waitcnt vmcnt(0)
	ds_write_b128 v104, v[1:4]
	s_waitcnt lgkmcnt(0)
	s_waitcnt_vscnt null, 0x0
	s_barrier
	buffer_gl0_inv
	s_and_saveexec_b32 s8, s5
	s_cbranch_execz .LBB48_115
; %bb.108:
	ds_read_b128 v[1:4], v104
	s_andn2_b32 vcc_lo, exec_lo, s56
	s_cbranch_vccnz .LBB48_110
; %bb.109:
	s_clause 0x3
	buffer_load_dword v105, v103, s[0:3], 0 offen offset:8
	buffer_load_dword v106, v103, s[0:3], 0 offen offset:12
	buffer_load_dword v107, v103, s[0:3], 0 offen
	buffer_load_dword v108, v103, s[0:3], 0 offen offset:4
	s_waitcnt vmcnt(2) lgkmcnt(0)
	v_mul_f64 v[110:111], v[3:4], v[105:106]
	v_mul_f64 v[105:106], v[1:2], v[105:106]
	s_waitcnt vmcnt(0)
	v_fma_f64 v[1:2], v[1:2], v[107:108], -v[110:111]
	v_fma_f64 v[3:4], v[3:4], v[107:108], v[105:106]
.LBB48_110:
	s_and_saveexec_b32 s57, s4
	s_cbranch_execz .LBB48_114
; %bb.111:
	v_subrev_nc_u32_e32 v105, 35, v0
	s_movk_i32 s58, 0x540
	s_mov_b32 s4, 0
	s_mov_b32 s59, s20
	.p2align	6
.LBB48_112:                             ; =>This Inner Loop Header: Depth=1
	v_mov_b32_e32 v108, s59
	v_add_nc_u32_e32 v105, -1, v105
	s_add_i32 s59, s59, 16
	s_clause 0x3
	buffer_load_dword v106, v108, s[0:3], 0 offen offset:8
	buffer_load_dword v107, v108, s[0:3], 0 offen offset:12
	buffer_load_dword v114, v108, s[0:3], 0 offen
	buffer_load_dword v115, v108, s[0:3], 0 offen offset:4
	v_mov_b32_e32 v108, s58
	v_cmp_eq_u32_e32 vcc_lo, 0, v105
	s_add_i32 s58, s58, 16
	ds_read_b128 v[110:113], v108
	s_or_b32 s4, vcc_lo, s4
	s_waitcnt vmcnt(2) lgkmcnt(0)
	v_mul_f64 v[116:117], v[112:113], v[106:107]
	v_mul_f64 v[106:107], v[110:111], v[106:107]
	s_waitcnt vmcnt(0)
	v_fma_f64 v[110:111], v[110:111], v[114:115], -v[116:117]
	v_fma_f64 v[106:107], v[112:113], v[114:115], v[106:107]
	v_add_f64 v[1:2], v[1:2], v[110:111]
	v_add_f64 v[3:4], v[3:4], v[106:107]
	s_andn2_b32 exec_lo, exec_lo, s4
	s_cbranch_execnz .LBB48_112
; %bb.113:
	s_or_b32 exec_lo, exec_lo, s4
.LBB48_114:
	s_or_b32 exec_lo, exec_lo, s57
	v_mov_b32_e32 v105, 0
	ds_read_b128 v[105:108], v105 offset:544
	s_waitcnt lgkmcnt(0)
	v_mul_f64 v[110:111], v[3:4], v[107:108]
	v_mul_f64 v[107:108], v[1:2], v[107:108]
	v_fma_f64 v[1:2], v[1:2], v[105:106], -v[110:111]
	v_fma_f64 v[3:4], v[3:4], v[105:106], v[107:108]
	buffer_store_dword v2, off, s[0:3], 0 offset:548
	buffer_store_dword v1, off, s[0:3], 0 offset:544
	;; [unrolled: 1-line block ×4, first 2 shown]
.LBB48_115:
	s_or_b32 exec_lo, exec_lo, s8
	v_mov_b32_e32 v4, s22
	v_cmp_lt_u32_e64 s4, 33, v0
	s_clause 0x3
	buffer_load_dword v1, v4, s[0:3], 0 offen
	buffer_load_dword v2, v4, s[0:3], 0 offen offset:4
	buffer_load_dword v3, v4, s[0:3], 0 offen offset:8
	;; [unrolled: 1-line block ×3, first 2 shown]
	s_waitcnt vmcnt(0)
	ds_write_b128 v104, v[1:4]
	s_waitcnt lgkmcnt(0)
	s_waitcnt_vscnt null, 0x0
	s_barrier
	buffer_gl0_inv
	s_and_saveexec_b32 s8, s4
	s_cbranch_execz .LBB48_123
; %bb.116:
	ds_read_b128 v[1:4], v104
	s_andn2_b32 vcc_lo, exec_lo, s56
	s_cbranch_vccnz .LBB48_118
; %bb.117:
	s_clause 0x3
	buffer_load_dword v105, v103, s[0:3], 0 offen offset:8
	buffer_load_dword v106, v103, s[0:3], 0 offen offset:12
	buffer_load_dword v107, v103, s[0:3], 0 offen
	buffer_load_dword v108, v103, s[0:3], 0 offen offset:4
	s_waitcnt vmcnt(2) lgkmcnt(0)
	v_mul_f64 v[110:111], v[3:4], v[105:106]
	v_mul_f64 v[105:106], v[1:2], v[105:106]
	s_waitcnt vmcnt(0)
	v_fma_f64 v[1:2], v[1:2], v[107:108], -v[110:111]
	v_fma_f64 v[3:4], v[3:4], v[107:108], v[105:106]
.LBB48_118:
	s_and_saveexec_b32 s57, s5
	s_cbranch_execz .LBB48_122
; %bb.119:
	v_subrev_nc_u32_e32 v105, 34, v0
	s_movk_i32 s58, 0x530
	s_mov_b32 s5, 0
	s_mov_b32 s59, s21
	.p2align	6
.LBB48_120:                             ; =>This Inner Loop Header: Depth=1
	v_mov_b32_e32 v108, s59
	v_add_nc_u32_e32 v105, -1, v105
	s_add_i32 s59, s59, 16
	s_clause 0x3
	buffer_load_dword v106, v108, s[0:3], 0 offen offset:8
	buffer_load_dword v107, v108, s[0:3], 0 offen offset:12
	buffer_load_dword v114, v108, s[0:3], 0 offen
	buffer_load_dword v115, v108, s[0:3], 0 offen offset:4
	v_mov_b32_e32 v108, s58
	v_cmp_eq_u32_e32 vcc_lo, 0, v105
	s_add_i32 s58, s58, 16
	ds_read_b128 v[110:113], v108
	s_or_b32 s5, vcc_lo, s5
	s_waitcnt vmcnt(2) lgkmcnt(0)
	v_mul_f64 v[116:117], v[112:113], v[106:107]
	v_mul_f64 v[106:107], v[110:111], v[106:107]
	s_waitcnt vmcnt(0)
	v_fma_f64 v[110:111], v[110:111], v[114:115], -v[116:117]
	v_fma_f64 v[106:107], v[112:113], v[114:115], v[106:107]
	v_add_f64 v[1:2], v[1:2], v[110:111]
	v_add_f64 v[3:4], v[3:4], v[106:107]
	s_andn2_b32 exec_lo, exec_lo, s5
	s_cbranch_execnz .LBB48_120
; %bb.121:
	s_or_b32 exec_lo, exec_lo, s5
.LBB48_122:
	s_or_b32 exec_lo, exec_lo, s57
	v_mov_b32_e32 v105, 0
	ds_read_b128 v[105:108], v105 offset:528
	s_waitcnt lgkmcnt(0)
	v_mul_f64 v[110:111], v[3:4], v[107:108]
	v_mul_f64 v[107:108], v[1:2], v[107:108]
	v_fma_f64 v[1:2], v[1:2], v[105:106], -v[110:111]
	v_fma_f64 v[3:4], v[3:4], v[105:106], v[107:108]
	buffer_store_dword v2, off, s[0:3], 0 offset:532
	buffer_store_dword v1, off, s[0:3], 0 offset:528
	;; [unrolled: 1-line block ×4, first 2 shown]
.LBB48_123:
	s_or_b32 exec_lo, exec_lo, s8
	v_mov_b32_e32 v4, s23
	v_cmp_lt_u32_e64 s5, 32, v0
	s_clause 0x3
	buffer_load_dword v1, v4, s[0:3], 0 offen
	buffer_load_dword v2, v4, s[0:3], 0 offen offset:4
	buffer_load_dword v3, v4, s[0:3], 0 offen offset:8
	;; [unrolled: 1-line block ×3, first 2 shown]
	s_waitcnt vmcnt(0)
	ds_write_b128 v104, v[1:4]
	s_waitcnt lgkmcnt(0)
	s_waitcnt_vscnt null, 0x0
	s_barrier
	buffer_gl0_inv
	s_and_saveexec_b32 s8, s5
	s_cbranch_execz .LBB48_131
; %bb.124:
	ds_read_b128 v[1:4], v104
	s_andn2_b32 vcc_lo, exec_lo, s56
	s_cbranch_vccnz .LBB48_126
; %bb.125:
	s_clause 0x3
	buffer_load_dword v105, v103, s[0:3], 0 offen offset:8
	buffer_load_dword v106, v103, s[0:3], 0 offen offset:12
	buffer_load_dword v107, v103, s[0:3], 0 offen
	buffer_load_dword v108, v103, s[0:3], 0 offen offset:4
	s_waitcnt vmcnt(2) lgkmcnt(0)
	v_mul_f64 v[110:111], v[3:4], v[105:106]
	v_mul_f64 v[105:106], v[1:2], v[105:106]
	s_waitcnt vmcnt(0)
	v_fma_f64 v[1:2], v[1:2], v[107:108], -v[110:111]
	v_fma_f64 v[3:4], v[3:4], v[107:108], v[105:106]
.LBB48_126:
	s_and_saveexec_b32 s57, s4
	s_cbranch_execz .LBB48_130
; %bb.127:
	v_subrev_nc_u32_e32 v105, 33, v0
	s_movk_i32 s58, 0x520
	s_mov_b32 s4, 0
	s_mov_b32 s59, s22
	.p2align	6
.LBB48_128:                             ; =>This Inner Loop Header: Depth=1
	v_mov_b32_e32 v108, s59
	v_add_nc_u32_e32 v105, -1, v105
	s_add_i32 s59, s59, 16
	s_clause 0x3
	buffer_load_dword v106, v108, s[0:3], 0 offen offset:8
	buffer_load_dword v107, v108, s[0:3], 0 offen offset:12
	buffer_load_dword v114, v108, s[0:3], 0 offen
	buffer_load_dword v115, v108, s[0:3], 0 offen offset:4
	v_mov_b32_e32 v108, s58
	v_cmp_eq_u32_e32 vcc_lo, 0, v105
	s_add_i32 s58, s58, 16
	ds_read_b128 v[110:113], v108
	s_or_b32 s4, vcc_lo, s4
	s_waitcnt vmcnt(2) lgkmcnt(0)
	v_mul_f64 v[116:117], v[112:113], v[106:107]
	v_mul_f64 v[106:107], v[110:111], v[106:107]
	s_waitcnt vmcnt(0)
	v_fma_f64 v[110:111], v[110:111], v[114:115], -v[116:117]
	v_fma_f64 v[106:107], v[112:113], v[114:115], v[106:107]
	v_add_f64 v[1:2], v[1:2], v[110:111]
	v_add_f64 v[3:4], v[3:4], v[106:107]
	s_andn2_b32 exec_lo, exec_lo, s4
	s_cbranch_execnz .LBB48_128
; %bb.129:
	s_or_b32 exec_lo, exec_lo, s4
.LBB48_130:
	s_or_b32 exec_lo, exec_lo, s57
	v_mov_b32_e32 v105, 0
	ds_read_b128 v[105:108], v105 offset:512
	s_waitcnt lgkmcnt(0)
	v_mul_f64 v[110:111], v[3:4], v[107:108]
	v_mul_f64 v[107:108], v[1:2], v[107:108]
	v_fma_f64 v[1:2], v[1:2], v[105:106], -v[110:111]
	v_fma_f64 v[3:4], v[3:4], v[105:106], v[107:108]
	buffer_store_dword v2, off, s[0:3], 0 offset:516
	buffer_store_dword v1, off, s[0:3], 0 offset:512
	;; [unrolled: 1-line block ×4, first 2 shown]
.LBB48_131:
	s_or_b32 exec_lo, exec_lo, s8
	v_mov_b32_e32 v4, s24
	v_cmp_lt_u32_e64 s4, 31, v0
	s_clause 0x3
	buffer_load_dword v1, v4, s[0:3], 0 offen
	buffer_load_dword v2, v4, s[0:3], 0 offen offset:4
	buffer_load_dword v3, v4, s[0:3], 0 offen offset:8
	;; [unrolled: 1-line block ×3, first 2 shown]
	s_waitcnt vmcnt(0)
	ds_write_b128 v104, v[1:4]
	s_waitcnt lgkmcnt(0)
	s_waitcnt_vscnt null, 0x0
	s_barrier
	buffer_gl0_inv
	s_and_saveexec_b32 s8, s4
	s_cbranch_execz .LBB48_139
; %bb.132:
	ds_read_b128 v[1:4], v104
	s_andn2_b32 vcc_lo, exec_lo, s56
	s_cbranch_vccnz .LBB48_134
; %bb.133:
	s_clause 0x3
	buffer_load_dword v105, v103, s[0:3], 0 offen offset:8
	buffer_load_dword v106, v103, s[0:3], 0 offen offset:12
	buffer_load_dword v107, v103, s[0:3], 0 offen
	buffer_load_dword v108, v103, s[0:3], 0 offen offset:4
	s_waitcnt vmcnt(2) lgkmcnt(0)
	v_mul_f64 v[110:111], v[3:4], v[105:106]
	v_mul_f64 v[105:106], v[1:2], v[105:106]
	s_waitcnt vmcnt(0)
	v_fma_f64 v[1:2], v[1:2], v[107:108], -v[110:111]
	v_fma_f64 v[3:4], v[3:4], v[107:108], v[105:106]
.LBB48_134:
	s_and_saveexec_b32 s57, s5
	s_cbranch_execz .LBB48_138
; %bb.135:
	v_subrev_nc_u32_e32 v105, 32, v0
	s_movk_i32 s58, 0x510
	s_mov_b32 s5, 0
	s_mov_b32 s59, s23
	.p2align	6
.LBB48_136:                             ; =>This Inner Loop Header: Depth=1
	v_mov_b32_e32 v108, s59
	v_add_nc_u32_e32 v105, -1, v105
	s_add_i32 s59, s59, 16
	s_clause 0x3
	buffer_load_dword v106, v108, s[0:3], 0 offen offset:8
	buffer_load_dword v107, v108, s[0:3], 0 offen offset:12
	buffer_load_dword v114, v108, s[0:3], 0 offen
	buffer_load_dword v115, v108, s[0:3], 0 offen offset:4
	v_mov_b32_e32 v108, s58
	v_cmp_eq_u32_e32 vcc_lo, 0, v105
	s_add_i32 s58, s58, 16
	ds_read_b128 v[110:113], v108
	s_or_b32 s5, vcc_lo, s5
	s_waitcnt vmcnt(2) lgkmcnt(0)
	v_mul_f64 v[116:117], v[112:113], v[106:107]
	v_mul_f64 v[106:107], v[110:111], v[106:107]
	s_waitcnt vmcnt(0)
	v_fma_f64 v[110:111], v[110:111], v[114:115], -v[116:117]
	v_fma_f64 v[106:107], v[112:113], v[114:115], v[106:107]
	v_add_f64 v[1:2], v[1:2], v[110:111]
	v_add_f64 v[3:4], v[3:4], v[106:107]
	s_andn2_b32 exec_lo, exec_lo, s5
	s_cbranch_execnz .LBB48_136
; %bb.137:
	s_or_b32 exec_lo, exec_lo, s5
.LBB48_138:
	s_or_b32 exec_lo, exec_lo, s57
	v_mov_b32_e32 v105, 0
	ds_read_b128 v[105:108], v105 offset:496
	s_waitcnt lgkmcnt(0)
	v_mul_f64 v[110:111], v[3:4], v[107:108]
	v_mul_f64 v[107:108], v[1:2], v[107:108]
	v_fma_f64 v[1:2], v[1:2], v[105:106], -v[110:111]
	v_fma_f64 v[3:4], v[3:4], v[105:106], v[107:108]
	buffer_store_dword v2, off, s[0:3], 0 offset:500
	buffer_store_dword v1, off, s[0:3], 0 offset:496
	;; [unrolled: 1-line block ×4, first 2 shown]
.LBB48_139:
	s_or_b32 exec_lo, exec_lo, s8
	v_mov_b32_e32 v4, s25
	v_cmp_lt_u32_e64 s5, 30, v0
	s_clause 0x3
	buffer_load_dword v1, v4, s[0:3], 0 offen
	buffer_load_dword v2, v4, s[0:3], 0 offen offset:4
	buffer_load_dword v3, v4, s[0:3], 0 offen offset:8
	buffer_load_dword v4, v4, s[0:3], 0 offen offset:12
	s_waitcnt vmcnt(0)
	ds_write_b128 v104, v[1:4]
	s_waitcnt lgkmcnt(0)
	s_waitcnt_vscnt null, 0x0
	s_barrier
	buffer_gl0_inv
	s_and_saveexec_b32 s8, s5
	s_cbranch_execz .LBB48_147
; %bb.140:
	ds_read_b128 v[1:4], v104
	s_andn2_b32 vcc_lo, exec_lo, s56
	s_cbranch_vccnz .LBB48_142
; %bb.141:
	s_clause 0x3
	buffer_load_dword v105, v103, s[0:3], 0 offen offset:8
	buffer_load_dword v106, v103, s[0:3], 0 offen offset:12
	buffer_load_dword v107, v103, s[0:3], 0 offen
	buffer_load_dword v108, v103, s[0:3], 0 offen offset:4
	s_waitcnt vmcnt(2) lgkmcnt(0)
	v_mul_f64 v[110:111], v[3:4], v[105:106]
	v_mul_f64 v[105:106], v[1:2], v[105:106]
	s_waitcnt vmcnt(0)
	v_fma_f64 v[1:2], v[1:2], v[107:108], -v[110:111]
	v_fma_f64 v[3:4], v[3:4], v[107:108], v[105:106]
.LBB48_142:
	s_and_saveexec_b32 s57, s4
	s_cbranch_execz .LBB48_146
; %bb.143:
	v_subrev_nc_u32_e32 v105, 31, v0
	s_movk_i32 s58, 0x500
	s_mov_b32 s4, 0
	s_mov_b32 s59, s24
	.p2align	6
.LBB48_144:                             ; =>This Inner Loop Header: Depth=1
	v_mov_b32_e32 v108, s59
	v_add_nc_u32_e32 v105, -1, v105
	s_add_i32 s59, s59, 16
	s_clause 0x3
	buffer_load_dword v106, v108, s[0:3], 0 offen offset:8
	buffer_load_dword v107, v108, s[0:3], 0 offen offset:12
	buffer_load_dword v114, v108, s[0:3], 0 offen
	buffer_load_dword v115, v108, s[0:3], 0 offen offset:4
	v_mov_b32_e32 v108, s58
	v_cmp_eq_u32_e32 vcc_lo, 0, v105
	s_add_i32 s58, s58, 16
	ds_read_b128 v[110:113], v108
	s_or_b32 s4, vcc_lo, s4
	s_waitcnt vmcnt(2) lgkmcnt(0)
	v_mul_f64 v[116:117], v[112:113], v[106:107]
	v_mul_f64 v[106:107], v[110:111], v[106:107]
	s_waitcnt vmcnt(0)
	v_fma_f64 v[110:111], v[110:111], v[114:115], -v[116:117]
	v_fma_f64 v[106:107], v[112:113], v[114:115], v[106:107]
	v_add_f64 v[1:2], v[1:2], v[110:111]
	v_add_f64 v[3:4], v[3:4], v[106:107]
	s_andn2_b32 exec_lo, exec_lo, s4
	s_cbranch_execnz .LBB48_144
; %bb.145:
	s_or_b32 exec_lo, exec_lo, s4
.LBB48_146:
	s_or_b32 exec_lo, exec_lo, s57
	v_mov_b32_e32 v105, 0
	ds_read_b128 v[105:108], v105 offset:480
	s_waitcnt lgkmcnt(0)
	v_mul_f64 v[110:111], v[3:4], v[107:108]
	v_mul_f64 v[107:108], v[1:2], v[107:108]
	v_fma_f64 v[1:2], v[1:2], v[105:106], -v[110:111]
	v_fma_f64 v[3:4], v[3:4], v[105:106], v[107:108]
	buffer_store_dword v2, off, s[0:3], 0 offset:484
	buffer_store_dword v1, off, s[0:3], 0 offset:480
	;; [unrolled: 1-line block ×4, first 2 shown]
.LBB48_147:
	s_or_b32 exec_lo, exec_lo, s8
	v_mov_b32_e32 v4, s26
	v_cmp_lt_u32_e64 s4, 29, v0
	s_clause 0x3
	buffer_load_dword v1, v4, s[0:3], 0 offen
	buffer_load_dword v2, v4, s[0:3], 0 offen offset:4
	buffer_load_dword v3, v4, s[0:3], 0 offen offset:8
	;; [unrolled: 1-line block ×3, first 2 shown]
	s_waitcnt vmcnt(0)
	ds_write_b128 v104, v[1:4]
	s_waitcnt lgkmcnt(0)
	s_waitcnt_vscnt null, 0x0
	s_barrier
	buffer_gl0_inv
	s_and_saveexec_b32 s8, s4
	s_cbranch_execz .LBB48_155
; %bb.148:
	ds_read_b128 v[1:4], v104
	s_andn2_b32 vcc_lo, exec_lo, s56
	s_cbranch_vccnz .LBB48_150
; %bb.149:
	s_clause 0x3
	buffer_load_dword v105, v103, s[0:3], 0 offen offset:8
	buffer_load_dword v106, v103, s[0:3], 0 offen offset:12
	buffer_load_dword v107, v103, s[0:3], 0 offen
	buffer_load_dword v108, v103, s[0:3], 0 offen offset:4
	s_waitcnt vmcnt(2) lgkmcnt(0)
	v_mul_f64 v[110:111], v[3:4], v[105:106]
	v_mul_f64 v[105:106], v[1:2], v[105:106]
	s_waitcnt vmcnt(0)
	v_fma_f64 v[1:2], v[1:2], v[107:108], -v[110:111]
	v_fma_f64 v[3:4], v[3:4], v[107:108], v[105:106]
.LBB48_150:
	s_and_saveexec_b32 s57, s5
	s_cbranch_execz .LBB48_154
; %bb.151:
	v_subrev_nc_u32_e32 v105, 30, v0
	s_movk_i32 s58, 0x4f0
	s_mov_b32 s5, 0
	s_mov_b32 s59, s25
	.p2align	6
.LBB48_152:                             ; =>This Inner Loop Header: Depth=1
	v_mov_b32_e32 v108, s59
	v_add_nc_u32_e32 v105, -1, v105
	s_add_i32 s59, s59, 16
	s_clause 0x3
	buffer_load_dword v106, v108, s[0:3], 0 offen offset:8
	buffer_load_dword v107, v108, s[0:3], 0 offen offset:12
	buffer_load_dword v114, v108, s[0:3], 0 offen
	buffer_load_dword v115, v108, s[0:3], 0 offen offset:4
	v_mov_b32_e32 v108, s58
	v_cmp_eq_u32_e32 vcc_lo, 0, v105
	s_add_i32 s58, s58, 16
	ds_read_b128 v[110:113], v108
	s_or_b32 s5, vcc_lo, s5
	s_waitcnt vmcnt(2) lgkmcnt(0)
	v_mul_f64 v[116:117], v[112:113], v[106:107]
	v_mul_f64 v[106:107], v[110:111], v[106:107]
	s_waitcnt vmcnt(0)
	v_fma_f64 v[110:111], v[110:111], v[114:115], -v[116:117]
	v_fma_f64 v[106:107], v[112:113], v[114:115], v[106:107]
	v_add_f64 v[1:2], v[1:2], v[110:111]
	v_add_f64 v[3:4], v[3:4], v[106:107]
	s_andn2_b32 exec_lo, exec_lo, s5
	s_cbranch_execnz .LBB48_152
; %bb.153:
	s_or_b32 exec_lo, exec_lo, s5
.LBB48_154:
	s_or_b32 exec_lo, exec_lo, s57
	v_mov_b32_e32 v105, 0
	ds_read_b128 v[105:108], v105 offset:464
	s_waitcnt lgkmcnt(0)
	v_mul_f64 v[110:111], v[3:4], v[107:108]
	v_mul_f64 v[107:108], v[1:2], v[107:108]
	v_fma_f64 v[1:2], v[1:2], v[105:106], -v[110:111]
	v_fma_f64 v[3:4], v[3:4], v[105:106], v[107:108]
	buffer_store_dword v2, off, s[0:3], 0 offset:468
	buffer_store_dword v1, off, s[0:3], 0 offset:464
	;; [unrolled: 1-line block ×4, first 2 shown]
.LBB48_155:
	s_or_b32 exec_lo, exec_lo, s8
	v_mov_b32_e32 v4, s27
	v_cmp_lt_u32_e64 s5, 28, v0
	s_clause 0x3
	buffer_load_dword v1, v4, s[0:3], 0 offen
	buffer_load_dword v2, v4, s[0:3], 0 offen offset:4
	buffer_load_dword v3, v4, s[0:3], 0 offen offset:8
	;; [unrolled: 1-line block ×3, first 2 shown]
	s_waitcnt vmcnt(0)
	ds_write_b128 v104, v[1:4]
	s_waitcnt lgkmcnt(0)
	s_waitcnt_vscnt null, 0x0
	s_barrier
	buffer_gl0_inv
	s_and_saveexec_b32 s8, s5
	s_cbranch_execz .LBB48_163
; %bb.156:
	ds_read_b128 v[1:4], v104
	s_andn2_b32 vcc_lo, exec_lo, s56
	s_cbranch_vccnz .LBB48_158
; %bb.157:
	s_clause 0x3
	buffer_load_dword v105, v103, s[0:3], 0 offen offset:8
	buffer_load_dword v106, v103, s[0:3], 0 offen offset:12
	buffer_load_dword v107, v103, s[0:3], 0 offen
	buffer_load_dword v108, v103, s[0:3], 0 offen offset:4
	s_waitcnt vmcnt(2) lgkmcnt(0)
	v_mul_f64 v[110:111], v[3:4], v[105:106]
	v_mul_f64 v[105:106], v[1:2], v[105:106]
	s_waitcnt vmcnt(0)
	v_fma_f64 v[1:2], v[1:2], v[107:108], -v[110:111]
	v_fma_f64 v[3:4], v[3:4], v[107:108], v[105:106]
.LBB48_158:
	s_and_saveexec_b32 s57, s4
	s_cbranch_execz .LBB48_162
; %bb.159:
	v_subrev_nc_u32_e32 v105, 29, v0
	s_movk_i32 s58, 0x4e0
	s_mov_b32 s4, 0
	s_mov_b32 s59, s26
	.p2align	6
.LBB48_160:                             ; =>This Inner Loop Header: Depth=1
	v_mov_b32_e32 v108, s59
	v_add_nc_u32_e32 v105, -1, v105
	s_add_i32 s59, s59, 16
	s_clause 0x3
	buffer_load_dword v106, v108, s[0:3], 0 offen offset:8
	buffer_load_dword v107, v108, s[0:3], 0 offen offset:12
	buffer_load_dword v114, v108, s[0:3], 0 offen
	buffer_load_dword v115, v108, s[0:3], 0 offen offset:4
	v_mov_b32_e32 v108, s58
	v_cmp_eq_u32_e32 vcc_lo, 0, v105
	s_add_i32 s58, s58, 16
	ds_read_b128 v[110:113], v108
	s_or_b32 s4, vcc_lo, s4
	s_waitcnt vmcnt(2) lgkmcnt(0)
	v_mul_f64 v[116:117], v[112:113], v[106:107]
	v_mul_f64 v[106:107], v[110:111], v[106:107]
	s_waitcnt vmcnt(0)
	v_fma_f64 v[110:111], v[110:111], v[114:115], -v[116:117]
	v_fma_f64 v[106:107], v[112:113], v[114:115], v[106:107]
	v_add_f64 v[1:2], v[1:2], v[110:111]
	v_add_f64 v[3:4], v[3:4], v[106:107]
	s_andn2_b32 exec_lo, exec_lo, s4
	s_cbranch_execnz .LBB48_160
; %bb.161:
	s_or_b32 exec_lo, exec_lo, s4
.LBB48_162:
	s_or_b32 exec_lo, exec_lo, s57
	v_mov_b32_e32 v105, 0
	ds_read_b128 v[105:108], v105 offset:448
	s_waitcnt lgkmcnt(0)
	v_mul_f64 v[110:111], v[3:4], v[107:108]
	v_mul_f64 v[107:108], v[1:2], v[107:108]
	v_fma_f64 v[1:2], v[1:2], v[105:106], -v[110:111]
	v_fma_f64 v[3:4], v[3:4], v[105:106], v[107:108]
	buffer_store_dword v2, off, s[0:3], 0 offset:452
	buffer_store_dword v1, off, s[0:3], 0 offset:448
	;; [unrolled: 1-line block ×4, first 2 shown]
.LBB48_163:
	s_or_b32 exec_lo, exec_lo, s8
	v_mov_b32_e32 v4, s28
	v_cmp_lt_u32_e64 s4, 27, v0
	s_clause 0x3
	buffer_load_dword v1, v4, s[0:3], 0 offen
	buffer_load_dword v2, v4, s[0:3], 0 offen offset:4
	buffer_load_dword v3, v4, s[0:3], 0 offen offset:8
	;; [unrolled: 1-line block ×3, first 2 shown]
	s_waitcnt vmcnt(0)
	ds_write_b128 v104, v[1:4]
	s_waitcnt lgkmcnt(0)
	s_waitcnt_vscnt null, 0x0
	s_barrier
	buffer_gl0_inv
	s_and_saveexec_b32 s8, s4
	s_cbranch_execz .LBB48_171
; %bb.164:
	ds_read_b128 v[1:4], v104
	s_andn2_b32 vcc_lo, exec_lo, s56
	s_cbranch_vccnz .LBB48_166
; %bb.165:
	s_clause 0x3
	buffer_load_dword v105, v103, s[0:3], 0 offen offset:8
	buffer_load_dword v106, v103, s[0:3], 0 offen offset:12
	buffer_load_dword v107, v103, s[0:3], 0 offen
	buffer_load_dword v108, v103, s[0:3], 0 offen offset:4
	s_waitcnt vmcnt(2) lgkmcnt(0)
	v_mul_f64 v[110:111], v[3:4], v[105:106]
	v_mul_f64 v[105:106], v[1:2], v[105:106]
	s_waitcnt vmcnt(0)
	v_fma_f64 v[1:2], v[1:2], v[107:108], -v[110:111]
	v_fma_f64 v[3:4], v[3:4], v[107:108], v[105:106]
.LBB48_166:
	s_and_saveexec_b32 s57, s5
	s_cbranch_execz .LBB48_170
; %bb.167:
	v_subrev_nc_u32_e32 v105, 28, v0
	s_movk_i32 s58, 0x4d0
	s_mov_b32 s5, 0
	s_mov_b32 s59, s27
	.p2align	6
.LBB48_168:                             ; =>This Inner Loop Header: Depth=1
	v_mov_b32_e32 v108, s59
	v_add_nc_u32_e32 v105, -1, v105
	s_add_i32 s59, s59, 16
	s_clause 0x3
	buffer_load_dword v106, v108, s[0:3], 0 offen offset:8
	buffer_load_dword v107, v108, s[0:3], 0 offen offset:12
	buffer_load_dword v114, v108, s[0:3], 0 offen
	buffer_load_dword v115, v108, s[0:3], 0 offen offset:4
	v_mov_b32_e32 v108, s58
	v_cmp_eq_u32_e32 vcc_lo, 0, v105
	s_add_i32 s58, s58, 16
	ds_read_b128 v[110:113], v108
	s_or_b32 s5, vcc_lo, s5
	s_waitcnt vmcnt(2) lgkmcnt(0)
	v_mul_f64 v[116:117], v[112:113], v[106:107]
	v_mul_f64 v[106:107], v[110:111], v[106:107]
	s_waitcnt vmcnt(0)
	v_fma_f64 v[110:111], v[110:111], v[114:115], -v[116:117]
	v_fma_f64 v[106:107], v[112:113], v[114:115], v[106:107]
	v_add_f64 v[1:2], v[1:2], v[110:111]
	v_add_f64 v[3:4], v[3:4], v[106:107]
	s_andn2_b32 exec_lo, exec_lo, s5
	s_cbranch_execnz .LBB48_168
; %bb.169:
	s_or_b32 exec_lo, exec_lo, s5
.LBB48_170:
	s_or_b32 exec_lo, exec_lo, s57
	v_mov_b32_e32 v105, 0
	ds_read_b128 v[105:108], v105 offset:432
	s_waitcnt lgkmcnt(0)
	v_mul_f64 v[110:111], v[3:4], v[107:108]
	v_mul_f64 v[107:108], v[1:2], v[107:108]
	v_fma_f64 v[1:2], v[1:2], v[105:106], -v[110:111]
	v_fma_f64 v[3:4], v[3:4], v[105:106], v[107:108]
	buffer_store_dword v2, off, s[0:3], 0 offset:436
	buffer_store_dword v1, off, s[0:3], 0 offset:432
	buffer_store_dword v4, off, s[0:3], 0 offset:444
	buffer_store_dword v3, off, s[0:3], 0 offset:440
.LBB48_171:
	s_or_b32 exec_lo, exec_lo, s8
	v_mov_b32_e32 v4, s29
	v_cmp_lt_u32_e64 s5, 26, v0
	s_clause 0x3
	buffer_load_dword v1, v4, s[0:3], 0 offen
	buffer_load_dword v2, v4, s[0:3], 0 offen offset:4
	buffer_load_dword v3, v4, s[0:3], 0 offen offset:8
	;; [unrolled: 1-line block ×3, first 2 shown]
	s_waitcnt vmcnt(0)
	ds_write_b128 v104, v[1:4]
	s_waitcnt lgkmcnt(0)
	s_waitcnt_vscnt null, 0x0
	s_barrier
	buffer_gl0_inv
	s_and_saveexec_b32 s8, s5
	s_cbranch_execz .LBB48_179
; %bb.172:
	ds_read_b128 v[1:4], v104
	s_andn2_b32 vcc_lo, exec_lo, s56
	s_cbranch_vccnz .LBB48_174
; %bb.173:
	s_clause 0x3
	buffer_load_dword v105, v103, s[0:3], 0 offen offset:8
	buffer_load_dword v106, v103, s[0:3], 0 offen offset:12
	buffer_load_dword v107, v103, s[0:3], 0 offen
	buffer_load_dword v108, v103, s[0:3], 0 offen offset:4
	s_waitcnt vmcnt(2) lgkmcnt(0)
	v_mul_f64 v[110:111], v[3:4], v[105:106]
	v_mul_f64 v[105:106], v[1:2], v[105:106]
	s_waitcnt vmcnt(0)
	v_fma_f64 v[1:2], v[1:2], v[107:108], -v[110:111]
	v_fma_f64 v[3:4], v[3:4], v[107:108], v[105:106]
.LBB48_174:
	s_and_saveexec_b32 s57, s4
	s_cbranch_execz .LBB48_178
; %bb.175:
	v_subrev_nc_u32_e32 v105, 27, v0
	s_movk_i32 s58, 0x4c0
	s_mov_b32 s4, 0
	s_mov_b32 s59, s28
	.p2align	6
.LBB48_176:                             ; =>This Inner Loop Header: Depth=1
	v_mov_b32_e32 v108, s59
	v_add_nc_u32_e32 v105, -1, v105
	s_add_i32 s59, s59, 16
	s_clause 0x3
	buffer_load_dword v106, v108, s[0:3], 0 offen offset:8
	buffer_load_dword v107, v108, s[0:3], 0 offen offset:12
	buffer_load_dword v114, v108, s[0:3], 0 offen
	buffer_load_dword v115, v108, s[0:3], 0 offen offset:4
	v_mov_b32_e32 v108, s58
	v_cmp_eq_u32_e32 vcc_lo, 0, v105
	s_add_i32 s58, s58, 16
	ds_read_b128 v[110:113], v108
	s_or_b32 s4, vcc_lo, s4
	s_waitcnt vmcnt(2) lgkmcnt(0)
	v_mul_f64 v[116:117], v[112:113], v[106:107]
	v_mul_f64 v[106:107], v[110:111], v[106:107]
	s_waitcnt vmcnt(0)
	v_fma_f64 v[110:111], v[110:111], v[114:115], -v[116:117]
	v_fma_f64 v[106:107], v[112:113], v[114:115], v[106:107]
	v_add_f64 v[1:2], v[1:2], v[110:111]
	v_add_f64 v[3:4], v[3:4], v[106:107]
	s_andn2_b32 exec_lo, exec_lo, s4
	s_cbranch_execnz .LBB48_176
; %bb.177:
	s_or_b32 exec_lo, exec_lo, s4
.LBB48_178:
	s_or_b32 exec_lo, exec_lo, s57
	v_mov_b32_e32 v105, 0
	ds_read_b128 v[105:108], v105 offset:416
	s_waitcnt lgkmcnt(0)
	v_mul_f64 v[110:111], v[3:4], v[107:108]
	v_mul_f64 v[107:108], v[1:2], v[107:108]
	v_fma_f64 v[1:2], v[1:2], v[105:106], -v[110:111]
	v_fma_f64 v[3:4], v[3:4], v[105:106], v[107:108]
	buffer_store_dword v2, off, s[0:3], 0 offset:420
	buffer_store_dword v1, off, s[0:3], 0 offset:416
	;; [unrolled: 1-line block ×4, first 2 shown]
.LBB48_179:
	s_or_b32 exec_lo, exec_lo, s8
	v_mov_b32_e32 v4, s30
	v_cmp_lt_u32_e64 s4, 25, v0
	s_clause 0x3
	buffer_load_dword v1, v4, s[0:3], 0 offen
	buffer_load_dword v2, v4, s[0:3], 0 offen offset:4
	buffer_load_dword v3, v4, s[0:3], 0 offen offset:8
	;; [unrolled: 1-line block ×3, first 2 shown]
	s_waitcnt vmcnt(0)
	ds_write_b128 v104, v[1:4]
	s_waitcnt lgkmcnt(0)
	s_waitcnt_vscnt null, 0x0
	s_barrier
	buffer_gl0_inv
	s_and_saveexec_b32 s8, s4
	s_cbranch_execz .LBB48_187
; %bb.180:
	ds_read_b128 v[1:4], v104
	s_andn2_b32 vcc_lo, exec_lo, s56
	s_cbranch_vccnz .LBB48_182
; %bb.181:
	s_clause 0x3
	buffer_load_dword v105, v103, s[0:3], 0 offen offset:8
	buffer_load_dword v106, v103, s[0:3], 0 offen offset:12
	buffer_load_dword v107, v103, s[0:3], 0 offen
	buffer_load_dword v108, v103, s[0:3], 0 offen offset:4
	s_waitcnt vmcnt(2) lgkmcnt(0)
	v_mul_f64 v[110:111], v[3:4], v[105:106]
	v_mul_f64 v[105:106], v[1:2], v[105:106]
	s_waitcnt vmcnt(0)
	v_fma_f64 v[1:2], v[1:2], v[107:108], -v[110:111]
	v_fma_f64 v[3:4], v[3:4], v[107:108], v[105:106]
.LBB48_182:
	s_and_saveexec_b32 s57, s5
	s_cbranch_execz .LBB48_186
; %bb.183:
	v_subrev_nc_u32_e32 v105, 26, v0
	s_movk_i32 s58, 0x4b0
	s_mov_b32 s5, 0
	s_mov_b32 s59, s29
	.p2align	6
.LBB48_184:                             ; =>This Inner Loop Header: Depth=1
	v_mov_b32_e32 v108, s59
	v_add_nc_u32_e32 v105, -1, v105
	s_add_i32 s59, s59, 16
	s_clause 0x3
	buffer_load_dword v106, v108, s[0:3], 0 offen offset:8
	buffer_load_dword v107, v108, s[0:3], 0 offen offset:12
	buffer_load_dword v114, v108, s[0:3], 0 offen
	buffer_load_dword v115, v108, s[0:3], 0 offen offset:4
	v_mov_b32_e32 v108, s58
	v_cmp_eq_u32_e32 vcc_lo, 0, v105
	s_add_i32 s58, s58, 16
	ds_read_b128 v[110:113], v108
	s_or_b32 s5, vcc_lo, s5
	s_waitcnt vmcnt(2) lgkmcnt(0)
	v_mul_f64 v[116:117], v[112:113], v[106:107]
	v_mul_f64 v[106:107], v[110:111], v[106:107]
	s_waitcnt vmcnt(0)
	v_fma_f64 v[110:111], v[110:111], v[114:115], -v[116:117]
	v_fma_f64 v[106:107], v[112:113], v[114:115], v[106:107]
	v_add_f64 v[1:2], v[1:2], v[110:111]
	v_add_f64 v[3:4], v[3:4], v[106:107]
	s_andn2_b32 exec_lo, exec_lo, s5
	s_cbranch_execnz .LBB48_184
; %bb.185:
	s_or_b32 exec_lo, exec_lo, s5
.LBB48_186:
	s_or_b32 exec_lo, exec_lo, s57
	v_mov_b32_e32 v105, 0
	ds_read_b128 v[105:108], v105 offset:400
	s_waitcnt lgkmcnt(0)
	v_mul_f64 v[110:111], v[3:4], v[107:108]
	v_mul_f64 v[107:108], v[1:2], v[107:108]
	v_fma_f64 v[1:2], v[1:2], v[105:106], -v[110:111]
	v_fma_f64 v[3:4], v[3:4], v[105:106], v[107:108]
	buffer_store_dword v2, off, s[0:3], 0 offset:404
	buffer_store_dword v1, off, s[0:3], 0 offset:400
	;; [unrolled: 1-line block ×4, first 2 shown]
.LBB48_187:
	s_or_b32 exec_lo, exec_lo, s8
	v_mov_b32_e32 v4, s31
	v_cmp_lt_u32_e64 s5, 24, v0
	s_clause 0x3
	buffer_load_dword v1, v4, s[0:3], 0 offen
	buffer_load_dword v2, v4, s[0:3], 0 offen offset:4
	buffer_load_dword v3, v4, s[0:3], 0 offen offset:8
	;; [unrolled: 1-line block ×3, first 2 shown]
	s_waitcnt vmcnt(0)
	ds_write_b128 v104, v[1:4]
	s_waitcnt lgkmcnt(0)
	s_waitcnt_vscnt null, 0x0
	s_barrier
	buffer_gl0_inv
	s_and_saveexec_b32 s8, s5
	s_cbranch_execz .LBB48_195
; %bb.188:
	ds_read_b128 v[1:4], v104
	s_andn2_b32 vcc_lo, exec_lo, s56
	s_cbranch_vccnz .LBB48_190
; %bb.189:
	s_clause 0x3
	buffer_load_dword v105, v103, s[0:3], 0 offen offset:8
	buffer_load_dword v106, v103, s[0:3], 0 offen offset:12
	buffer_load_dword v107, v103, s[0:3], 0 offen
	buffer_load_dword v108, v103, s[0:3], 0 offen offset:4
	s_waitcnt vmcnt(2) lgkmcnt(0)
	v_mul_f64 v[110:111], v[3:4], v[105:106]
	v_mul_f64 v[105:106], v[1:2], v[105:106]
	s_waitcnt vmcnt(0)
	v_fma_f64 v[1:2], v[1:2], v[107:108], -v[110:111]
	v_fma_f64 v[3:4], v[3:4], v[107:108], v[105:106]
.LBB48_190:
	s_and_saveexec_b32 s57, s4
	s_cbranch_execz .LBB48_194
; %bb.191:
	v_subrev_nc_u32_e32 v105, 25, v0
	s_movk_i32 s58, 0x4a0
	s_mov_b32 s4, 0
	s_mov_b32 s59, s30
	.p2align	6
.LBB48_192:                             ; =>This Inner Loop Header: Depth=1
	v_mov_b32_e32 v108, s59
	v_add_nc_u32_e32 v105, -1, v105
	s_add_i32 s59, s59, 16
	s_clause 0x3
	buffer_load_dword v106, v108, s[0:3], 0 offen offset:8
	buffer_load_dword v107, v108, s[0:3], 0 offen offset:12
	buffer_load_dword v114, v108, s[0:3], 0 offen
	buffer_load_dword v115, v108, s[0:3], 0 offen offset:4
	v_mov_b32_e32 v108, s58
	v_cmp_eq_u32_e32 vcc_lo, 0, v105
	s_add_i32 s58, s58, 16
	ds_read_b128 v[110:113], v108
	s_or_b32 s4, vcc_lo, s4
	s_waitcnt vmcnt(2) lgkmcnt(0)
	v_mul_f64 v[116:117], v[112:113], v[106:107]
	v_mul_f64 v[106:107], v[110:111], v[106:107]
	s_waitcnt vmcnt(0)
	v_fma_f64 v[110:111], v[110:111], v[114:115], -v[116:117]
	v_fma_f64 v[106:107], v[112:113], v[114:115], v[106:107]
	v_add_f64 v[1:2], v[1:2], v[110:111]
	v_add_f64 v[3:4], v[3:4], v[106:107]
	s_andn2_b32 exec_lo, exec_lo, s4
	s_cbranch_execnz .LBB48_192
; %bb.193:
	s_or_b32 exec_lo, exec_lo, s4
.LBB48_194:
	s_or_b32 exec_lo, exec_lo, s57
	v_mov_b32_e32 v105, 0
	ds_read_b128 v[105:108], v105 offset:384
	s_waitcnt lgkmcnt(0)
	v_mul_f64 v[110:111], v[3:4], v[107:108]
	v_mul_f64 v[107:108], v[1:2], v[107:108]
	v_fma_f64 v[1:2], v[1:2], v[105:106], -v[110:111]
	v_fma_f64 v[3:4], v[3:4], v[105:106], v[107:108]
	buffer_store_dword v2, off, s[0:3], 0 offset:388
	buffer_store_dword v1, off, s[0:3], 0 offset:384
	;; [unrolled: 1-line block ×4, first 2 shown]
.LBB48_195:
	s_or_b32 exec_lo, exec_lo, s8
	v_mov_b32_e32 v4, s33
	v_cmp_lt_u32_e64 s4, 23, v0
	s_clause 0x3
	buffer_load_dword v1, v4, s[0:3], 0 offen
	buffer_load_dword v2, v4, s[0:3], 0 offen offset:4
	buffer_load_dword v3, v4, s[0:3], 0 offen offset:8
	;; [unrolled: 1-line block ×3, first 2 shown]
	s_waitcnt vmcnt(0)
	ds_write_b128 v104, v[1:4]
	s_waitcnt lgkmcnt(0)
	s_waitcnt_vscnt null, 0x0
	s_barrier
	buffer_gl0_inv
	s_and_saveexec_b32 s8, s4
	s_cbranch_execz .LBB48_203
; %bb.196:
	ds_read_b128 v[1:4], v104
	s_andn2_b32 vcc_lo, exec_lo, s56
	s_cbranch_vccnz .LBB48_198
; %bb.197:
	s_clause 0x3
	buffer_load_dword v105, v103, s[0:3], 0 offen offset:8
	buffer_load_dword v106, v103, s[0:3], 0 offen offset:12
	buffer_load_dword v107, v103, s[0:3], 0 offen
	buffer_load_dword v108, v103, s[0:3], 0 offen offset:4
	s_waitcnt vmcnt(2) lgkmcnt(0)
	v_mul_f64 v[110:111], v[3:4], v[105:106]
	v_mul_f64 v[105:106], v[1:2], v[105:106]
	s_waitcnt vmcnt(0)
	v_fma_f64 v[1:2], v[1:2], v[107:108], -v[110:111]
	v_fma_f64 v[3:4], v[3:4], v[107:108], v[105:106]
.LBB48_198:
	s_and_saveexec_b32 s57, s5
	s_cbranch_execz .LBB48_202
; %bb.199:
	v_subrev_nc_u32_e32 v105, 24, v0
	s_movk_i32 s58, 0x490
	s_mov_b32 s5, 0
	s_mov_b32 s59, s31
	.p2align	6
.LBB48_200:                             ; =>This Inner Loop Header: Depth=1
	v_mov_b32_e32 v108, s59
	v_add_nc_u32_e32 v105, -1, v105
	s_add_i32 s59, s59, 16
	s_clause 0x3
	buffer_load_dword v106, v108, s[0:3], 0 offen offset:8
	buffer_load_dword v107, v108, s[0:3], 0 offen offset:12
	buffer_load_dword v114, v108, s[0:3], 0 offen
	buffer_load_dword v115, v108, s[0:3], 0 offen offset:4
	v_mov_b32_e32 v108, s58
	v_cmp_eq_u32_e32 vcc_lo, 0, v105
	s_add_i32 s58, s58, 16
	ds_read_b128 v[110:113], v108
	s_or_b32 s5, vcc_lo, s5
	s_waitcnt vmcnt(2) lgkmcnt(0)
	v_mul_f64 v[116:117], v[112:113], v[106:107]
	v_mul_f64 v[106:107], v[110:111], v[106:107]
	s_waitcnt vmcnt(0)
	v_fma_f64 v[110:111], v[110:111], v[114:115], -v[116:117]
	v_fma_f64 v[106:107], v[112:113], v[114:115], v[106:107]
	v_add_f64 v[1:2], v[1:2], v[110:111]
	v_add_f64 v[3:4], v[3:4], v[106:107]
	s_andn2_b32 exec_lo, exec_lo, s5
	s_cbranch_execnz .LBB48_200
; %bb.201:
	s_or_b32 exec_lo, exec_lo, s5
.LBB48_202:
	s_or_b32 exec_lo, exec_lo, s57
	v_mov_b32_e32 v105, 0
	ds_read_b128 v[105:108], v105 offset:368
	s_waitcnt lgkmcnt(0)
	v_mul_f64 v[110:111], v[3:4], v[107:108]
	v_mul_f64 v[107:108], v[1:2], v[107:108]
	v_fma_f64 v[1:2], v[1:2], v[105:106], -v[110:111]
	v_fma_f64 v[3:4], v[3:4], v[105:106], v[107:108]
	buffer_store_dword v2, off, s[0:3], 0 offset:372
	buffer_store_dword v1, off, s[0:3], 0 offset:368
	;; [unrolled: 1-line block ×4, first 2 shown]
.LBB48_203:
	s_or_b32 exec_lo, exec_lo, s8
	v_mov_b32_e32 v4, s34
	v_cmp_lt_u32_e64 s5, 22, v0
	s_clause 0x3
	buffer_load_dword v1, v4, s[0:3], 0 offen
	buffer_load_dword v2, v4, s[0:3], 0 offen offset:4
	buffer_load_dword v3, v4, s[0:3], 0 offen offset:8
	;; [unrolled: 1-line block ×3, first 2 shown]
	s_waitcnt vmcnt(0)
	ds_write_b128 v104, v[1:4]
	s_waitcnt lgkmcnt(0)
	s_waitcnt_vscnt null, 0x0
	s_barrier
	buffer_gl0_inv
	s_and_saveexec_b32 s8, s5
	s_cbranch_execz .LBB48_211
; %bb.204:
	ds_read_b128 v[1:4], v104
	s_andn2_b32 vcc_lo, exec_lo, s56
	s_cbranch_vccnz .LBB48_206
; %bb.205:
	s_clause 0x3
	buffer_load_dword v105, v103, s[0:3], 0 offen offset:8
	buffer_load_dword v106, v103, s[0:3], 0 offen offset:12
	buffer_load_dword v107, v103, s[0:3], 0 offen
	buffer_load_dword v108, v103, s[0:3], 0 offen offset:4
	s_waitcnt vmcnt(2) lgkmcnt(0)
	v_mul_f64 v[110:111], v[3:4], v[105:106]
	v_mul_f64 v[105:106], v[1:2], v[105:106]
	s_waitcnt vmcnt(0)
	v_fma_f64 v[1:2], v[1:2], v[107:108], -v[110:111]
	v_fma_f64 v[3:4], v[3:4], v[107:108], v[105:106]
.LBB48_206:
	s_and_saveexec_b32 s57, s4
	s_cbranch_execz .LBB48_210
; %bb.207:
	v_subrev_nc_u32_e32 v105, 23, v0
	s_movk_i32 s58, 0x480
	s_mov_b32 s4, 0
	s_mov_b32 s59, s33
	.p2align	6
.LBB48_208:                             ; =>This Inner Loop Header: Depth=1
	v_mov_b32_e32 v108, s59
	v_add_nc_u32_e32 v105, -1, v105
	s_add_i32 s59, s59, 16
	s_clause 0x3
	buffer_load_dword v106, v108, s[0:3], 0 offen offset:8
	buffer_load_dword v107, v108, s[0:3], 0 offen offset:12
	buffer_load_dword v114, v108, s[0:3], 0 offen
	buffer_load_dword v115, v108, s[0:3], 0 offen offset:4
	v_mov_b32_e32 v108, s58
	v_cmp_eq_u32_e32 vcc_lo, 0, v105
	s_add_i32 s58, s58, 16
	ds_read_b128 v[110:113], v108
	s_or_b32 s4, vcc_lo, s4
	s_waitcnt vmcnt(2) lgkmcnt(0)
	v_mul_f64 v[116:117], v[112:113], v[106:107]
	v_mul_f64 v[106:107], v[110:111], v[106:107]
	s_waitcnt vmcnt(0)
	v_fma_f64 v[110:111], v[110:111], v[114:115], -v[116:117]
	v_fma_f64 v[106:107], v[112:113], v[114:115], v[106:107]
	v_add_f64 v[1:2], v[1:2], v[110:111]
	v_add_f64 v[3:4], v[3:4], v[106:107]
	s_andn2_b32 exec_lo, exec_lo, s4
	s_cbranch_execnz .LBB48_208
; %bb.209:
	s_or_b32 exec_lo, exec_lo, s4
.LBB48_210:
	s_or_b32 exec_lo, exec_lo, s57
	v_mov_b32_e32 v105, 0
	ds_read_b128 v[105:108], v105 offset:352
	s_waitcnt lgkmcnt(0)
	v_mul_f64 v[110:111], v[3:4], v[107:108]
	v_mul_f64 v[107:108], v[1:2], v[107:108]
	v_fma_f64 v[1:2], v[1:2], v[105:106], -v[110:111]
	v_fma_f64 v[3:4], v[3:4], v[105:106], v[107:108]
	buffer_store_dword v2, off, s[0:3], 0 offset:356
	buffer_store_dword v1, off, s[0:3], 0 offset:352
	;; [unrolled: 1-line block ×4, first 2 shown]
.LBB48_211:
	s_or_b32 exec_lo, exec_lo, s8
	v_mov_b32_e32 v4, s35
	v_cmp_lt_u32_e64 s4, 21, v0
	s_clause 0x3
	buffer_load_dword v1, v4, s[0:3], 0 offen
	buffer_load_dword v2, v4, s[0:3], 0 offen offset:4
	buffer_load_dword v3, v4, s[0:3], 0 offen offset:8
	;; [unrolled: 1-line block ×3, first 2 shown]
	s_waitcnt vmcnt(0)
	ds_write_b128 v104, v[1:4]
	s_waitcnt lgkmcnt(0)
	s_waitcnt_vscnt null, 0x0
	s_barrier
	buffer_gl0_inv
	s_and_saveexec_b32 s8, s4
	s_cbranch_execz .LBB48_219
; %bb.212:
	ds_read_b128 v[1:4], v104
	s_andn2_b32 vcc_lo, exec_lo, s56
	s_cbranch_vccnz .LBB48_214
; %bb.213:
	s_clause 0x3
	buffer_load_dword v105, v103, s[0:3], 0 offen offset:8
	buffer_load_dword v106, v103, s[0:3], 0 offen offset:12
	buffer_load_dword v107, v103, s[0:3], 0 offen
	buffer_load_dword v108, v103, s[0:3], 0 offen offset:4
	s_waitcnt vmcnt(2) lgkmcnt(0)
	v_mul_f64 v[110:111], v[3:4], v[105:106]
	v_mul_f64 v[105:106], v[1:2], v[105:106]
	s_waitcnt vmcnt(0)
	v_fma_f64 v[1:2], v[1:2], v[107:108], -v[110:111]
	v_fma_f64 v[3:4], v[3:4], v[107:108], v[105:106]
.LBB48_214:
	s_and_saveexec_b32 s57, s5
	s_cbranch_execz .LBB48_218
; %bb.215:
	v_subrev_nc_u32_e32 v105, 22, v0
	s_movk_i32 s58, 0x470
	s_mov_b32 s5, 0
	s_mov_b32 s59, s34
	.p2align	6
.LBB48_216:                             ; =>This Inner Loop Header: Depth=1
	v_mov_b32_e32 v108, s59
	v_add_nc_u32_e32 v105, -1, v105
	s_add_i32 s59, s59, 16
	s_clause 0x3
	buffer_load_dword v106, v108, s[0:3], 0 offen offset:8
	buffer_load_dword v107, v108, s[0:3], 0 offen offset:12
	buffer_load_dword v114, v108, s[0:3], 0 offen
	buffer_load_dword v115, v108, s[0:3], 0 offen offset:4
	v_mov_b32_e32 v108, s58
	v_cmp_eq_u32_e32 vcc_lo, 0, v105
	s_add_i32 s58, s58, 16
	ds_read_b128 v[110:113], v108
	s_or_b32 s5, vcc_lo, s5
	s_waitcnt vmcnt(2) lgkmcnt(0)
	v_mul_f64 v[116:117], v[112:113], v[106:107]
	v_mul_f64 v[106:107], v[110:111], v[106:107]
	s_waitcnt vmcnt(0)
	v_fma_f64 v[110:111], v[110:111], v[114:115], -v[116:117]
	v_fma_f64 v[106:107], v[112:113], v[114:115], v[106:107]
	v_add_f64 v[1:2], v[1:2], v[110:111]
	v_add_f64 v[3:4], v[3:4], v[106:107]
	s_andn2_b32 exec_lo, exec_lo, s5
	s_cbranch_execnz .LBB48_216
; %bb.217:
	s_or_b32 exec_lo, exec_lo, s5
.LBB48_218:
	s_or_b32 exec_lo, exec_lo, s57
	v_mov_b32_e32 v105, 0
	ds_read_b128 v[105:108], v105 offset:336
	s_waitcnt lgkmcnt(0)
	v_mul_f64 v[110:111], v[3:4], v[107:108]
	v_mul_f64 v[107:108], v[1:2], v[107:108]
	v_fma_f64 v[1:2], v[1:2], v[105:106], -v[110:111]
	v_fma_f64 v[3:4], v[3:4], v[105:106], v[107:108]
	buffer_store_dword v2, off, s[0:3], 0 offset:340
	buffer_store_dword v1, off, s[0:3], 0 offset:336
	;; [unrolled: 1-line block ×4, first 2 shown]
.LBB48_219:
	s_or_b32 exec_lo, exec_lo, s8
	v_mov_b32_e32 v4, s36
	v_cmp_lt_u32_e64 s5, 20, v0
	s_clause 0x3
	buffer_load_dword v1, v4, s[0:3], 0 offen
	buffer_load_dword v2, v4, s[0:3], 0 offen offset:4
	buffer_load_dword v3, v4, s[0:3], 0 offen offset:8
	;; [unrolled: 1-line block ×3, first 2 shown]
	s_waitcnt vmcnt(0)
	ds_write_b128 v104, v[1:4]
	s_waitcnt lgkmcnt(0)
	s_waitcnt_vscnt null, 0x0
	s_barrier
	buffer_gl0_inv
	s_and_saveexec_b32 s8, s5
	s_cbranch_execz .LBB48_227
; %bb.220:
	ds_read_b128 v[1:4], v104
	s_andn2_b32 vcc_lo, exec_lo, s56
	s_cbranch_vccnz .LBB48_222
; %bb.221:
	s_clause 0x3
	buffer_load_dword v105, v103, s[0:3], 0 offen offset:8
	buffer_load_dword v106, v103, s[0:3], 0 offen offset:12
	buffer_load_dword v107, v103, s[0:3], 0 offen
	buffer_load_dword v108, v103, s[0:3], 0 offen offset:4
	s_waitcnt vmcnt(2) lgkmcnt(0)
	v_mul_f64 v[110:111], v[3:4], v[105:106]
	v_mul_f64 v[105:106], v[1:2], v[105:106]
	s_waitcnt vmcnt(0)
	v_fma_f64 v[1:2], v[1:2], v[107:108], -v[110:111]
	v_fma_f64 v[3:4], v[3:4], v[107:108], v[105:106]
.LBB48_222:
	s_and_saveexec_b32 s57, s4
	s_cbranch_execz .LBB48_226
; %bb.223:
	v_subrev_nc_u32_e32 v105, 21, v0
	s_movk_i32 s58, 0x460
	s_mov_b32 s4, 0
	s_mov_b32 s59, s35
	.p2align	6
.LBB48_224:                             ; =>This Inner Loop Header: Depth=1
	v_mov_b32_e32 v108, s59
	v_add_nc_u32_e32 v105, -1, v105
	s_add_i32 s59, s59, 16
	s_clause 0x3
	buffer_load_dword v106, v108, s[0:3], 0 offen offset:8
	buffer_load_dword v107, v108, s[0:3], 0 offen offset:12
	buffer_load_dword v114, v108, s[0:3], 0 offen
	buffer_load_dword v115, v108, s[0:3], 0 offen offset:4
	v_mov_b32_e32 v108, s58
	v_cmp_eq_u32_e32 vcc_lo, 0, v105
	s_add_i32 s58, s58, 16
	ds_read_b128 v[110:113], v108
	s_or_b32 s4, vcc_lo, s4
	s_waitcnt vmcnt(2) lgkmcnt(0)
	v_mul_f64 v[116:117], v[112:113], v[106:107]
	v_mul_f64 v[106:107], v[110:111], v[106:107]
	s_waitcnt vmcnt(0)
	v_fma_f64 v[110:111], v[110:111], v[114:115], -v[116:117]
	v_fma_f64 v[106:107], v[112:113], v[114:115], v[106:107]
	v_add_f64 v[1:2], v[1:2], v[110:111]
	v_add_f64 v[3:4], v[3:4], v[106:107]
	s_andn2_b32 exec_lo, exec_lo, s4
	s_cbranch_execnz .LBB48_224
; %bb.225:
	s_or_b32 exec_lo, exec_lo, s4
.LBB48_226:
	s_or_b32 exec_lo, exec_lo, s57
	v_mov_b32_e32 v105, 0
	ds_read_b128 v[105:108], v105 offset:320
	s_waitcnt lgkmcnt(0)
	v_mul_f64 v[110:111], v[3:4], v[107:108]
	v_mul_f64 v[107:108], v[1:2], v[107:108]
	v_fma_f64 v[1:2], v[1:2], v[105:106], -v[110:111]
	v_fma_f64 v[3:4], v[3:4], v[105:106], v[107:108]
	buffer_store_dword v2, off, s[0:3], 0 offset:324
	buffer_store_dword v1, off, s[0:3], 0 offset:320
	;; [unrolled: 1-line block ×4, first 2 shown]
.LBB48_227:
	s_or_b32 exec_lo, exec_lo, s8
	v_mov_b32_e32 v4, s37
	v_cmp_lt_u32_e64 s4, 19, v0
	s_clause 0x3
	buffer_load_dword v1, v4, s[0:3], 0 offen
	buffer_load_dword v2, v4, s[0:3], 0 offen offset:4
	buffer_load_dword v3, v4, s[0:3], 0 offen offset:8
	;; [unrolled: 1-line block ×3, first 2 shown]
	s_waitcnt vmcnt(0)
	ds_write_b128 v104, v[1:4]
	s_waitcnt lgkmcnt(0)
	s_waitcnt_vscnt null, 0x0
	s_barrier
	buffer_gl0_inv
	s_and_saveexec_b32 s8, s4
	s_cbranch_execz .LBB48_235
; %bb.228:
	ds_read_b128 v[1:4], v104
	s_andn2_b32 vcc_lo, exec_lo, s56
	s_cbranch_vccnz .LBB48_230
; %bb.229:
	s_clause 0x3
	buffer_load_dword v105, v103, s[0:3], 0 offen offset:8
	buffer_load_dword v106, v103, s[0:3], 0 offen offset:12
	buffer_load_dword v107, v103, s[0:3], 0 offen
	buffer_load_dword v108, v103, s[0:3], 0 offen offset:4
	s_waitcnt vmcnt(2) lgkmcnt(0)
	v_mul_f64 v[110:111], v[3:4], v[105:106]
	v_mul_f64 v[105:106], v[1:2], v[105:106]
	s_waitcnt vmcnt(0)
	v_fma_f64 v[1:2], v[1:2], v[107:108], -v[110:111]
	v_fma_f64 v[3:4], v[3:4], v[107:108], v[105:106]
.LBB48_230:
	s_and_saveexec_b32 s57, s5
	s_cbranch_execz .LBB48_234
; %bb.231:
	v_subrev_nc_u32_e32 v105, 20, v0
	s_movk_i32 s58, 0x450
	s_mov_b32 s5, 0
	s_mov_b32 s59, s36
	.p2align	6
.LBB48_232:                             ; =>This Inner Loop Header: Depth=1
	v_mov_b32_e32 v108, s59
	v_add_nc_u32_e32 v105, -1, v105
	s_add_i32 s59, s59, 16
	s_clause 0x3
	buffer_load_dword v106, v108, s[0:3], 0 offen offset:8
	buffer_load_dword v107, v108, s[0:3], 0 offen offset:12
	buffer_load_dword v114, v108, s[0:3], 0 offen
	buffer_load_dword v115, v108, s[0:3], 0 offen offset:4
	v_mov_b32_e32 v108, s58
	v_cmp_eq_u32_e32 vcc_lo, 0, v105
	s_add_i32 s58, s58, 16
	ds_read_b128 v[110:113], v108
	s_or_b32 s5, vcc_lo, s5
	s_waitcnt vmcnt(2) lgkmcnt(0)
	v_mul_f64 v[116:117], v[112:113], v[106:107]
	v_mul_f64 v[106:107], v[110:111], v[106:107]
	s_waitcnt vmcnt(0)
	v_fma_f64 v[110:111], v[110:111], v[114:115], -v[116:117]
	v_fma_f64 v[106:107], v[112:113], v[114:115], v[106:107]
	v_add_f64 v[1:2], v[1:2], v[110:111]
	v_add_f64 v[3:4], v[3:4], v[106:107]
	s_andn2_b32 exec_lo, exec_lo, s5
	s_cbranch_execnz .LBB48_232
; %bb.233:
	s_or_b32 exec_lo, exec_lo, s5
.LBB48_234:
	s_or_b32 exec_lo, exec_lo, s57
	v_mov_b32_e32 v105, 0
	ds_read_b128 v[105:108], v105 offset:304
	s_waitcnt lgkmcnt(0)
	v_mul_f64 v[110:111], v[3:4], v[107:108]
	v_mul_f64 v[107:108], v[1:2], v[107:108]
	v_fma_f64 v[1:2], v[1:2], v[105:106], -v[110:111]
	v_fma_f64 v[3:4], v[3:4], v[105:106], v[107:108]
	buffer_store_dword v2, off, s[0:3], 0 offset:308
	buffer_store_dword v1, off, s[0:3], 0 offset:304
	;; [unrolled: 1-line block ×4, first 2 shown]
.LBB48_235:
	s_or_b32 exec_lo, exec_lo, s8
	v_mov_b32_e32 v4, s38
	v_cmp_lt_u32_e64 s5, 18, v0
	s_clause 0x3
	buffer_load_dword v1, v4, s[0:3], 0 offen
	buffer_load_dword v2, v4, s[0:3], 0 offen offset:4
	buffer_load_dword v3, v4, s[0:3], 0 offen offset:8
	;; [unrolled: 1-line block ×3, first 2 shown]
	s_waitcnt vmcnt(0)
	ds_write_b128 v104, v[1:4]
	s_waitcnt lgkmcnt(0)
	s_waitcnt_vscnt null, 0x0
	s_barrier
	buffer_gl0_inv
	s_and_saveexec_b32 s8, s5
	s_cbranch_execz .LBB48_243
; %bb.236:
	ds_read_b128 v[1:4], v104
	s_andn2_b32 vcc_lo, exec_lo, s56
	s_cbranch_vccnz .LBB48_238
; %bb.237:
	s_clause 0x3
	buffer_load_dword v105, v103, s[0:3], 0 offen offset:8
	buffer_load_dword v106, v103, s[0:3], 0 offen offset:12
	buffer_load_dword v107, v103, s[0:3], 0 offen
	buffer_load_dword v108, v103, s[0:3], 0 offen offset:4
	s_waitcnt vmcnt(2) lgkmcnt(0)
	v_mul_f64 v[110:111], v[3:4], v[105:106]
	v_mul_f64 v[105:106], v[1:2], v[105:106]
	s_waitcnt vmcnt(0)
	v_fma_f64 v[1:2], v[1:2], v[107:108], -v[110:111]
	v_fma_f64 v[3:4], v[3:4], v[107:108], v[105:106]
.LBB48_238:
	s_and_saveexec_b32 s57, s4
	s_cbranch_execz .LBB48_242
; %bb.239:
	v_subrev_nc_u32_e32 v105, 19, v0
	s_movk_i32 s58, 0x440
	s_mov_b32 s4, 0
	s_mov_b32 s59, s37
	.p2align	6
.LBB48_240:                             ; =>This Inner Loop Header: Depth=1
	v_mov_b32_e32 v108, s59
	v_add_nc_u32_e32 v105, -1, v105
	s_add_i32 s59, s59, 16
	s_clause 0x3
	buffer_load_dword v106, v108, s[0:3], 0 offen offset:8
	buffer_load_dword v107, v108, s[0:3], 0 offen offset:12
	buffer_load_dword v114, v108, s[0:3], 0 offen
	buffer_load_dword v115, v108, s[0:3], 0 offen offset:4
	v_mov_b32_e32 v108, s58
	v_cmp_eq_u32_e32 vcc_lo, 0, v105
	s_add_i32 s58, s58, 16
	ds_read_b128 v[110:113], v108
	s_or_b32 s4, vcc_lo, s4
	s_waitcnt vmcnt(2) lgkmcnt(0)
	v_mul_f64 v[116:117], v[112:113], v[106:107]
	v_mul_f64 v[106:107], v[110:111], v[106:107]
	s_waitcnt vmcnt(0)
	v_fma_f64 v[110:111], v[110:111], v[114:115], -v[116:117]
	v_fma_f64 v[106:107], v[112:113], v[114:115], v[106:107]
	v_add_f64 v[1:2], v[1:2], v[110:111]
	v_add_f64 v[3:4], v[3:4], v[106:107]
	s_andn2_b32 exec_lo, exec_lo, s4
	s_cbranch_execnz .LBB48_240
; %bb.241:
	s_or_b32 exec_lo, exec_lo, s4
.LBB48_242:
	s_or_b32 exec_lo, exec_lo, s57
	v_mov_b32_e32 v105, 0
	ds_read_b128 v[105:108], v105 offset:288
	s_waitcnt lgkmcnt(0)
	v_mul_f64 v[110:111], v[3:4], v[107:108]
	v_mul_f64 v[107:108], v[1:2], v[107:108]
	v_fma_f64 v[1:2], v[1:2], v[105:106], -v[110:111]
	v_fma_f64 v[3:4], v[3:4], v[105:106], v[107:108]
	buffer_store_dword v2, off, s[0:3], 0 offset:292
	buffer_store_dword v1, off, s[0:3], 0 offset:288
	;; [unrolled: 1-line block ×4, first 2 shown]
.LBB48_243:
	s_or_b32 exec_lo, exec_lo, s8
	v_mov_b32_e32 v4, s39
	v_cmp_lt_u32_e64 s4, 17, v0
	s_clause 0x3
	buffer_load_dword v1, v4, s[0:3], 0 offen
	buffer_load_dword v2, v4, s[0:3], 0 offen offset:4
	buffer_load_dword v3, v4, s[0:3], 0 offen offset:8
	;; [unrolled: 1-line block ×3, first 2 shown]
	s_waitcnt vmcnt(0)
	ds_write_b128 v104, v[1:4]
	s_waitcnt lgkmcnt(0)
	s_waitcnt_vscnt null, 0x0
	s_barrier
	buffer_gl0_inv
	s_and_saveexec_b32 s8, s4
	s_cbranch_execz .LBB48_251
; %bb.244:
	ds_read_b128 v[1:4], v104
	s_andn2_b32 vcc_lo, exec_lo, s56
	s_cbranch_vccnz .LBB48_246
; %bb.245:
	s_clause 0x3
	buffer_load_dword v105, v103, s[0:3], 0 offen offset:8
	buffer_load_dword v106, v103, s[0:3], 0 offen offset:12
	buffer_load_dword v107, v103, s[0:3], 0 offen
	buffer_load_dword v108, v103, s[0:3], 0 offen offset:4
	s_waitcnt vmcnt(2) lgkmcnt(0)
	v_mul_f64 v[110:111], v[3:4], v[105:106]
	v_mul_f64 v[105:106], v[1:2], v[105:106]
	s_waitcnt vmcnt(0)
	v_fma_f64 v[1:2], v[1:2], v[107:108], -v[110:111]
	v_fma_f64 v[3:4], v[3:4], v[107:108], v[105:106]
.LBB48_246:
	s_and_saveexec_b32 s57, s5
	s_cbranch_execz .LBB48_250
; %bb.247:
	v_subrev_nc_u32_e32 v105, 18, v0
	s_movk_i32 s58, 0x430
	s_mov_b32 s5, 0
	s_mov_b32 s59, s38
	.p2align	6
.LBB48_248:                             ; =>This Inner Loop Header: Depth=1
	v_mov_b32_e32 v108, s59
	v_add_nc_u32_e32 v105, -1, v105
	s_add_i32 s59, s59, 16
	s_clause 0x3
	buffer_load_dword v106, v108, s[0:3], 0 offen offset:8
	buffer_load_dword v107, v108, s[0:3], 0 offen offset:12
	buffer_load_dword v114, v108, s[0:3], 0 offen
	buffer_load_dword v115, v108, s[0:3], 0 offen offset:4
	v_mov_b32_e32 v108, s58
	v_cmp_eq_u32_e32 vcc_lo, 0, v105
	s_add_i32 s58, s58, 16
	ds_read_b128 v[110:113], v108
	s_or_b32 s5, vcc_lo, s5
	s_waitcnt vmcnt(2) lgkmcnt(0)
	v_mul_f64 v[116:117], v[112:113], v[106:107]
	v_mul_f64 v[106:107], v[110:111], v[106:107]
	s_waitcnt vmcnt(0)
	v_fma_f64 v[110:111], v[110:111], v[114:115], -v[116:117]
	v_fma_f64 v[106:107], v[112:113], v[114:115], v[106:107]
	v_add_f64 v[1:2], v[1:2], v[110:111]
	v_add_f64 v[3:4], v[3:4], v[106:107]
	s_andn2_b32 exec_lo, exec_lo, s5
	s_cbranch_execnz .LBB48_248
; %bb.249:
	s_or_b32 exec_lo, exec_lo, s5
.LBB48_250:
	s_or_b32 exec_lo, exec_lo, s57
	v_mov_b32_e32 v105, 0
	ds_read_b128 v[105:108], v105 offset:272
	s_waitcnt lgkmcnt(0)
	v_mul_f64 v[110:111], v[3:4], v[107:108]
	v_mul_f64 v[107:108], v[1:2], v[107:108]
	v_fma_f64 v[1:2], v[1:2], v[105:106], -v[110:111]
	v_fma_f64 v[3:4], v[3:4], v[105:106], v[107:108]
	buffer_store_dword v2, off, s[0:3], 0 offset:276
	buffer_store_dword v1, off, s[0:3], 0 offset:272
	;; [unrolled: 1-line block ×4, first 2 shown]
.LBB48_251:
	s_or_b32 exec_lo, exec_lo, s8
	v_mov_b32_e32 v4, s40
	v_cmp_lt_u32_e64 s5, 16, v0
	s_clause 0x3
	buffer_load_dword v1, v4, s[0:3], 0 offen
	buffer_load_dword v2, v4, s[0:3], 0 offen offset:4
	buffer_load_dword v3, v4, s[0:3], 0 offen offset:8
	;; [unrolled: 1-line block ×3, first 2 shown]
	s_waitcnt vmcnt(0)
	ds_write_b128 v104, v[1:4]
	s_waitcnt lgkmcnt(0)
	s_waitcnt_vscnt null, 0x0
	s_barrier
	buffer_gl0_inv
	s_and_saveexec_b32 s8, s5
	s_cbranch_execz .LBB48_259
; %bb.252:
	ds_read_b128 v[1:4], v104
	s_andn2_b32 vcc_lo, exec_lo, s56
	s_cbranch_vccnz .LBB48_254
; %bb.253:
	s_clause 0x3
	buffer_load_dword v105, v103, s[0:3], 0 offen offset:8
	buffer_load_dword v106, v103, s[0:3], 0 offen offset:12
	buffer_load_dword v107, v103, s[0:3], 0 offen
	buffer_load_dword v108, v103, s[0:3], 0 offen offset:4
	s_waitcnt vmcnt(2) lgkmcnt(0)
	v_mul_f64 v[110:111], v[3:4], v[105:106]
	v_mul_f64 v[105:106], v[1:2], v[105:106]
	s_waitcnt vmcnt(0)
	v_fma_f64 v[1:2], v[1:2], v[107:108], -v[110:111]
	v_fma_f64 v[3:4], v[3:4], v[107:108], v[105:106]
.LBB48_254:
	s_and_saveexec_b32 s57, s4
	s_cbranch_execz .LBB48_258
; %bb.255:
	v_subrev_nc_u32_e32 v105, 17, v0
	s_movk_i32 s58, 0x420
	s_mov_b32 s4, 0
	s_mov_b32 s59, s39
	.p2align	6
.LBB48_256:                             ; =>This Inner Loop Header: Depth=1
	v_mov_b32_e32 v108, s59
	v_add_nc_u32_e32 v105, -1, v105
	s_add_i32 s59, s59, 16
	s_clause 0x3
	buffer_load_dword v106, v108, s[0:3], 0 offen offset:8
	buffer_load_dword v107, v108, s[0:3], 0 offen offset:12
	buffer_load_dword v114, v108, s[0:3], 0 offen
	buffer_load_dword v115, v108, s[0:3], 0 offen offset:4
	v_mov_b32_e32 v108, s58
	v_cmp_eq_u32_e32 vcc_lo, 0, v105
	s_add_i32 s58, s58, 16
	ds_read_b128 v[110:113], v108
	s_or_b32 s4, vcc_lo, s4
	s_waitcnt vmcnt(2) lgkmcnt(0)
	v_mul_f64 v[116:117], v[112:113], v[106:107]
	v_mul_f64 v[106:107], v[110:111], v[106:107]
	s_waitcnt vmcnt(0)
	v_fma_f64 v[110:111], v[110:111], v[114:115], -v[116:117]
	v_fma_f64 v[106:107], v[112:113], v[114:115], v[106:107]
	v_add_f64 v[1:2], v[1:2], v[110:111]
	v_add_f64 v[3:4], v[3:4], v[106:107]
	s_andn2_b32 exec_lo, exec_lo, s4
	s_cbranch_execnz .LBB48_256
; %bb.257:
	s_or_b32 exec_lo, exec_lo, s4
.LBB48_258:
	s_or_b32 exec_lo, exec_lo, s57
	v_mov_b32_e32 v105, 0
	ds_read_b128 v[105:108], v105 offset:256
	s_waitcnt lgkmcnt(0)
	v_mul_f64 v[110:111], v[3:4], v[107:108]
	v_mul_f64 v[107:108], v[1:2], v[107:108]
	v_fma_f64 v[1:2], v[1:2], v[105:106], -v[110:111]
	v_fma_f64 v[3:4], v[3:4], v[105:106], v[107:108]
	buffer_store_dword v2, off, s[0:3], 0 offset:260
	buffer_store_dword v1, off, s[0:3], 0 offset:256
	;; [unrolled: 1-line block ×4, first 2 shown]
.LBB48_259:
	s_or_b32 exec_lo, exec_lo, s8
	v_mov_b32_e32 v4, s41
	v_cmp_lt_u32_e64 s4, 15, v0
	s_clause 0x3
	buffer_load_dword v1, v4, s[0:3], 0 offen
	buffer_load_dword v2, v4, s[0:3], 0 offen offset:4
	buffer_load_dword v3, v4, s[0:3], 0 offen offset:8
	;; [unrolled: 1-line block ×3, first 2 shown]
	s_waitcnt vmcnt(0)
	ds_write_b128 v104, v[1:4]
	s_waitcnt lgkmcnt(0)
	s_waitcnt_vscnt null, 0x0
	s_barrier
	buffer_gl0_inv
	s_and_saveexec_b32 s8, s4
	s_cbranch_execz .LBB48_267
; %bb.260:
	ds_read_b128 v[1:4], v104
	s_andn2_b32 vcc_lo, exec_lo, s56
	s_cbranch_vccnz .LBB48_262
; %bb.261:
	s_clause 0x3
	buffer_load_dword v105, v103, s[0:3], 0 offen offset:8
	buffer_load_dword v106, v103, s[0:3], 0 offen offset:12
	buffer_load_dword v107, v103, s[0:3], 0 offen
	buffer_load_dword v108, v103, s[0:3], 0 offen offset:4
	s_waitcnt vmcnt(2) lgkmcnt(0)
	v_mul_f64 v[110:111], v[3:4], v[105:106]
	v_mul_f64 v[105:106], v[1:2], v[105:106]
	s_waitcnt vmcnt(0)
	v_fma_f64 v[1:2], v[1:2], v[107:108], -v[110:111]
	v_fma_f64 v[3:4], v[3:4], v[107:108], v[105:106]
.LBB48_262:
	s_and_saveexec_b32 s57, s5
	s_cbranch_execz .LBB48_266
; %bb.263:
	v_add_nc_u32_e32 v105, -16, v0
	s_movk_i32 s58, 0x410
	s_mov_b32 s5, 0
	s_mov_b32 s59, s40
	.p2align	6
.LBB48_264:                             ; =>This Inner Loop Header: Depth=1
	v_mov_b32_e32 v108, s59
	v_add_nc_u32_e32 v105, -1, v105
	s_add_i32 s59, s59, 16
	s_clause 0x3
	buffer_load_dword v106, v108, s[0:3], 0 offen offset:8
	buffer_load_dword v107, v108, s[0:3], 0 offen offset:12
	buffer_load_dword v114, v108, s[0:3], 0 offen
	buffer_load_dword v115, v108, s[0:3], 0 offen offset:4
	v_mov_b32_e32 v108, s58
	v_cmp_eq_u32_e32 vcc_lo, 0, v105
	s_add_i32 s58, s58, 16
	ds_read_b128 v[110:113], v108
	s_or_b32 s5, vcc_lo, s5
	s_waitcnt vmcnt(2) lgkmcnt(0)
	v_mul_f64 v[116:117], v[112:113], v[106:107]
	v_mul_f64 v[106:107], v[110:111], v[106:107]
	s_waitcnt vmcnt(0)
	v_fma_f64 v[110:111], v[110:111], v[114:115], -v[116:117]
	v_fma_f64 v[106:107], v[112:113], v[114:115], v[106:107]
	v_add_f64 v[1:2], v[1:2], v[110:111]
	v_add_f64 v[3:4], v[3:4], v[106:107]
	s_andn2_b32 exec_lo, exec_lo, s5
	s_cbranch_execnz .LBB48_264
; %bb.265:
	s_or_b32 exec_lo, exec_lo, s5
.LBB48_266:
	s_or_b32 exec_lo, exec_lo, s57
	v_mov_b32_e32 v105, 0
	ds_read_b128 v[105:108], v105 offset:240
	s_waitcnt lgkmcnt(0)
	v_mul_f64 v[110:111], v[3:4], v[107:108]
	v_mul_f64 v[107:108], v[1:2], v[107:108]
	v_fma_f64 v[1:2], v[1:2], v[105:106], -v[110:111]
	v_fma_f64 v[3:4], v[3:4], v[105:106], v[107:108]
	buffer_store_dword v2, off, s[0:3], 0 offset:244
	buffer_store_dword v1, off, s[0:3], 0 offset:240
	buffer_store_dword v4, off, s[0:3], 0 offset:252
	buffer_store_dword v3, off, s[0:3], 0 offset:248
.LBB48_267:
	s_or_b32 exec_lo, exec_lo, s8
	v_mov_b32_e32 v4, s42
	v_cmp_lt_u32_e64 s5, 14, v0
	s_clause 0x3
	buffer_load_dword v1, v4, s[0:3], 0 offen
	buffer_load_dword v2, v4, s[0:3], 0 offen offset:4
	buffer_load_dword v3, v4, s[0:3], 0 offen offset:8
	;; [unrolled: 1-line block ×3, first 2 shown]
	s_waitcnt vmcnt(0)
	ds_write_b128 v104, v[1:4]
	s_waitcnt lgkmcnt(0)
	s_waitcnt_vscnt null, 0x0
	s_barrier
	buffer_gl0_inv
	s_and_saveexec_b32 s8, s5
	s_cbranch_execz .LBB48_275
; %bb.268:
	ds_read_b128 v[1:4], v104
	s_andn2_b32 vcc_lo, exec_lo, s56
	s_cbranch_vccnz .LBB48_270
; %bb.269:
	s_clause 0x3
	buffer_load_dword v105, v103, s[0:3], 0 offen offset:8
	buffer_load_dword v106, v103, s[0:3], 0 offen offset:12
	buffer_load_dword v107, v103, s[0:3], 0 offen
	buffer_load_dword v108, v103, s[0:3], 0 offen offset:4
	s_waitcnt vmcnt(2) lgkmcnt(0)
	v_mul_f64 v[110:111], v[3:4], v[105:106]
	v_mul_f64 v[105:106], v[1:2], v[105:106]
	s_waitcnt vmcnt(0)
	v_fma_f64 v[1:2], v[1:2], v[107:108], -v[110:111]
	v_fma_f64 v[3:4], v[3:4], v[107:108], v[105:106]
.LBB48_270:
	s_and_saveexec_b32 s57, s4
	s_cbranch_execz .LBB48_274
; %bb.271:
	v_add_nc_u32_e32 v105, -15, v0
	s_movk_i32 s58, 0x400
	s_mov_b32 s4, 0
	s_mov_b32 s59, s41
	.p2align	6
.LBB48_272:                             ; =>This Inner Loop Header: Depth=1
	v_mov_b32_e32 v108, s59
	v_add_nc_u32_e32 v105, -1, v105
	s_add_i32 s59, s59, 16
	s_clause 0x3
	buffer_load_dword v106, v108, s[0:3], 0 offen offset:8
	buffer_load_dword v107, v108, s[0:3], 0 offen offset:12
	buffer_load_dword v114, v108, s[0:3], 0 offen
	buffer_load_dword v115, v108, s[0:3], 0 offen offset:4
	v_mov_b32_e32 v108, s58
	v_cmp_eq_u32_e32 vcc_lo, 0, v105
	s_add_i32 s58, s58, 16
	ds_read_b128 v[110:113], v108
	s_or_b32 s4, vcc_lo, s4
	s_waitcnt vmcnt(2) lgkmcnt(0)
	v_mul_f64 v[116:117], v[112:113], v[106:107]
	v_mul_f64 v[106:107], v[110:111], v[106:107]
	s_waitcnt vmcnt(0)
	v_fma_f64 v[110:111], v[110:111], v[114:115], -v[116:117]
	v_fma_f64 v[106:107], v[112:113], v[114:115], v[106:107]
	v_add_f64 v[1:2], v[1:2], v[110:111]
	v_add_f64 v[3:4], v[3:4], v[106:107]
	s_andn2_b32 exec_lo, exec_lo, s4
	s_cbranch_execnz .LBB48_272
; %bb.273:
	s_or_b32 exec_lo, exec_lo, s4
.LBB48_274:
	s_or_b32 exec_lo, exec_lo, s57
	v_mov_b32_e32 v105, 0
	ds_read_b128 v[105:108], v105 offset:224
	s_waitcnt lgkmcnt(0)
	v_mul_f64 v[110:111], v[3:4], v[107:108]
	v_mul_f64 v[107:108], v[1:2], v[107:108]
	v_fma_f64 v[1:2], v[1:2], v[105:106], -v[110:111]
	v_fma_f64 v[3:4], v[3:4], v[105:106], v[107:108]
	buffer_store_dword v2, off, s[0:3], 0 offset:228
	buffer_store_dword v1, off, s[0:3], 0 offset:224
	;; [unrolled: 1-line block ×4, first 2 shown]
.LBB48_275:
	s_or_b32 exec_lo, exec_lo, s8
	v_mov_b32_e32 v4, s43
	v_cmp_lt_u32_e64 s4, 13, v0
	s_clause 0x3
	buffer_load_dword v1, v4, s[0:3], 0 offen
	buffer_load_dword v2, v4, s[0:3], 0 offen offset:4
	buffer_load_dword v3, v4, s[0:3], 0 offen offset:8
	;; [unrolled: 1-line block ×3, first 2 shown]
	s_waitcnt vmcnt(0)
	ds_write_b128 v104, v[1:4]
	s_waitcnt lgkmcnt(0)
	s_waitcnt_vscnt null, 0x0
	s_barrier
	buffer_gl0_inv
	s_and_saveexec_b32 s8, s4
	s_cbranch_execz .LBB48_283
; %bb.276:
	ds_read_b128 v[1:4], v104
	s_andn2_b32 vcc_lo, exec_lo, s56
	s_cbranch_vccnz .LBB48_278
; %bb.277:
	s_clause 0x3
	buffer_load_dword v105, v103, s[0:3], 0 offen offset:8
	buffer_load_dword v106, v103, s[0:3], 0 offen offset:12
	buffer_load_dword v107, v103, s[0:3], 0 offen
	buffer_load_dword v108, v103, s[0:3], 0 offen offset:4
	s_waitcnt vmcnt(2) lgkmcnt(0)
	v_mul_f64 v[110:111], v[3:4], v[105:106]
	v_mul_f64 v[105:106], v[1:2], v[105:106]
	s_waitcnt vmcnt(0)
	v_fma_f64 v[1:2], v[1:2], v[107:108], -v[110:111]
	v_fma_f64 v[3:4], v[3:4], v[107:108], v[105:106]
.LBB48_278:
	s_and_saveexec_b32 s57, s5
	s_cbranch_execz .LBB48_282
; %bb.279:
	v_add_nc_u32_e32 v105, -14, v0
	s_movk_i32 s58, 0x3f0
	s_mov_b32 s5, 0
	s_mov_b32 s59, s42
	.p2align	6
.LBB48_280:                             ; =>This Inner Loop Header: Depth=1
	v_mov_b32_e32 v108, s59
	v_add_nc_u32_e32 v105, -1, v105
	s_add_i32 s59, s59, 16
	s_clause 0x3
	buffer_load_dword v106, v108, s[0:3], 0 offen offset:8
	buffer_load_dword v107, v108, s[0:3], 0 offen offset:12
	buffer_load_dword v114, v108, s[0:3], 0 offen
	buffer_load_dword v115, v108, s[0:3], 0 offen offset:4
	v_mov_b32_e32 v108, s58
	v_cmp_eq_u32_e32 vcc_lo, 0, v105
	s_add_i32 s58, s58, 16
	ds_read_b128 v[110:113], v108
	s_or_b32 s5, vcc_lo, s5
	s_waitcnt vmcnt(2) lgkmcnt(0)
	v_mul_f64 v[116:117], v[112:113], v[106:107]
	v_mul_f64 v[106:107], v[110:111], v[106:107]
	s_waitcnt vmcnt(0)
	v_fma_f64 v[110:111], v[110:111], v[114:115], -v[116:117]
	v_fma_f64 v[106:107], v[112:113], v[114:115], v[106:107]
	v_add_f64 v[1:2], v[1:2], v[110:111]
	v_add_f64 v[3:4], v[3:4], v[106:107]
	s_andn2_b32 exec_lo, exec_lo, s5
	s_cbranch_execnz .LBB48_280
; %bb.281:
	s_or_b32 exec_lo, exec_lo, s5
.LBB48_282:
	s_or_b32 exec_lo, exec_lo, s57
	v_mov_b32_e32 v105, 0
	ds_read_b128 v[105:108], v105 offset:208
	s_waitcnt lgkmcnt(0)
	v_mul_f64 v[110:111], v[3:4], v[107:108]
	v_mul_f64 v[107:108], v[1:2], v[107:108]
	v_fma_f64 v[1:2], v[1:2], v[105:106], -v[110:111]
	v_fma_f64 v[3:4], v[3:4], v[105:106], v[107:108]
	buffer_store_dword v2, off, s[0:3], 0 offset:212
	buffer_store_dword v1, off, s[0:3], 0 offset:208
	;; [unrolled: 1-line block ×4, first 2 shown]
.LBB48_283:
	s_or_b32 exec_lo, exec_lo, s8
	v_mov_b32_e32 v4, s44
	v_cmp_lt_u32_e64 s5, 12, v0
	s_clause 0x3
	buffer_load_dword v1, v4, s[0:3], 0 offen
	buffer_load_dword v2, v4, s[0:3], 0 offen offset:4
	buffer_load_dword v3, v4, s[0:3], 0 offen offset:8
	buffer_load_dword v4, v4, s[0:3], 0 offen offset:12
	s_waitcnt vmcnt(0)
	ds_write_b128 v104, v[1:4]
	s_waitcnt lgkmcnt(0)
	s_waitcnt_vscnt null, 0x0
	s_barrier
	buffer_gl0_inv
	s_and_saveexec_b32 s8, s5
	s_cbranch_execz .LBB48_291
; %bb.284:
	ds_read_b128 v[1:4], v104
	s_andn2_b32 vcc_lo, exec_lo, s56
	s_cbranch_vccnz .LBB48_286
; %bb.285:
	s_clause 0x3
	buffer_load_dword v105, v103, s[0:3], 0 offen offset:8
	buffer_load_dword v106, v103, s[0:3], 0 offen offset:12
	buffer_load_dword v107, v103, s[0:3], 0 offen
	buffer_load_dword v108, v103, s[0:3], 0 offen offset:4
	s_waitcnt vmcnt(2) lgkmcnt(0)
	v_mul_f64 v[110:111], v[3:4], v[105:106]
	v_mul_f64 v[105:106], v[1:2], v[105:106]
	s_waitcnt vmcnt(0)
	v_fma_f64 v[1:2], v[1:2], v[107:108], -v[110:111]
	v_fma_f64 v[3:4], v[3:4], v[107:108], v[105:106]
.LBB48_286:
	s_and_saveexec_b32 s57, s4
	s_cbranch_execz .LBB48_290
; %bb.287:
	v_add_nc_u32_e32 v105, -13, v0
	s_movk_i32 s58, 0x3e0
	s_mov_b32 s4, 0
	s_mov_b32 s59, s43
	.p2align	6
.LBB48_288:                             ; =>This Inner Loop Header: Depth=1
	v_mov_b32_e32 v108, s59
	v_add_nc_u32_e32 v105, -1, v105
	s_add_i32 s59, s59, 16
	s_clause 0x3
	buffer_load_dword v106, v108, s[0:3], 0 offen offset:8
	buffer_load_dword v107, v108, s[0:3], 0 offen offset:12
	buffer_load_dword v114, v108, s[0:3], 0 offen
	buffer_load_dword v115, v108, s[0:3], 0 offen offset:4
	v_mov_b32_e32 v108, s58
	v_cmp_eq_u32_e32 vcc_lo, 0, v105
	s_add_i32 s58, s58, 16
	ds_read_b128 v[110:113], v108
	s_or_b32 s4, vcc_lo, s4
	s_waitcnt vmcnt(2) lgkmcnt(0)
	v_mul_f64 v[116:117], v[112:113], v[106:107]
	v_mul_f64 v[106:107], v[110:111], v[106:107]
	s_waitcnt vmcnt(0)
	v_fma_f64 v[110:111], v[110:111], v[114:115], -v[116:117]
	v_fma_f64 v[106:107], v[112:113], v[114:115], v[106:107]
	v_add_f64 v[1:2], v[1:2], v[110:111]
	v_add_f64 v[3:4], v[3:4], v[106:107]
	s_andn2_b32 exec_lo, exec_lo, s4
	s_cbranch_execnz .LBB48_288
; %bb.289:
	s_or_b32 exec_lo, exec_lo, s4
.LBB48_290:
	s_or_b32 exec_lo, exec_lo, s57
	v_mov_b32_e32 v105, 0
	ds_read_b128 v[105:108], v105 offset:192
	s_waitcnt lgkmcnt(0)
	v_mul_f64 v[110:111], v[3:4], v[107:108]
	v_mul_f64 v[107:108], v[1:2], v[107:108]
	v_fma_f64 v[1:2], v[1:2], v[105:106], -v[110:111]
	v_fma_f64 v[3:4], v[3:4], v[105:106], v[107:108]
	buffer_store_dword v2, off, s[0:3], 0 offset:196
	buffer_store_dword v1, off, s[0:3], 0 offset:192
	;; [unrolled: 1-line block ×4, first 2 shown]
.LBB48_291:
	s_or_b32 exec_lo, exec_lo, s8
	v_mov_b32_e32 v4, s45
	v_cmp_lt_u32_e64 s4, 11, v0
	s_clause 0x3
	buffer_load_dword v1, v4, s[0:3], 0 offen
	buffer_load_dword v2, v4, s[0:3], 0 offen offset:4
	buffer_load_dword v3, v4, s[0:3], 0 offen offset:8
	;; [unrolled: 1-line block ×3, first 2 shown]
	s_waitcnt vmcnt(0)
	ds_write_b128 v104, v[1:4]
	s_waitcnt lgkmcnt(0)
	s_waitcnt_vscnt null, 0x0
	s_barrier
	buffer_gl0_inv
	s_and_saveexec_b32 s8, s4
	s_cbranch_execz .LBB48_299
; %bb.292:
	ds_read_b128 v[1:4], v104
	s_andn2_b32 vcc_lo, exec_lo, s56
	s_cbranch_vccnz .LBB48_294
; %bb.293:
	s_clause 0x3
	buffer_load_dword v105, v103, s[0:3], 0 offen offset:8
	buffer_load_dword v106, v103, s[0:3], 0 offen offset:12
	buffer_load_dword v107, v103, s[0:3], 0 offen
	buffer_load_dword v108, v103, s[0:3], 0 offen offset:4
	s_waitcnt vmcnt(2) lgkmcnt(0)
	v_mul_f64 v[110:111], v[3:4], v[105:106]
	v_mul_f64 v[105:106], v[1:2], v[105:106]
	s_waitcnt vmcnt(0)
	v_fma_f64 v[1:2], v[1:2], v[107:108], -v[110:111]
	v_fma_f64 v[3:4], v[3:4], v[107:108], v[105:106]
.LBB48_294:
	s_and_saveexec_b32 s57, s5
	s_cbranch_execz .LBB48_298
; %bb.295:
	v_add_nc_u32_e32 v105, -12, v0
	s_movk_i32 s58, 0x3d0
	s_mov_b32 s5, 0
	s_mov_b32 s59, s44
	.p2align	6
.LBB48_296:                             ; =>This Inner Loop Header: Depth=1
	v_mov_b32_e32 v108, s59
	v_add_nc_u32_e32 v105, -1, v105
	s_add_i32 s59, s59, 16
	s_clause 0x3
	buffer_load_dword v106, v108, s[0:3], 0 offen offset:8
	buffer_load_dword v107, v108, s[0:3], 0 offen offset:12
	buffer_load_dword v114, v108, s[0:3], 0 offen
	buffer_load_dword v115, v108, s[0:3], 0 offen offset:4
	v_mov_b32_e32 v108, s58
	v_cmp_eq_u32_e32 vcc_lo, 0, v105
	s_add_i32 s58, s58, 16
	ds_read_b128 v[110:113], v108
	s_or_b32 s5, vcc_lo, s5
	s_waitcnt vmcnt(2) lgkmcnt(0)
	v_mul_f64 v[116:117], v[112:113], v[106:107]
	v_mul_f64 v[106:107], v[110:111], v[106:107]
	s_waitcnt vmcnt(0)
	v_fma_f64 v[110:111], v[110:111], v[114:115], -v[116:117]
	v_fma_f64 v[106:107], v[112:113], v[114:115], v[106:107]
	v_add_f64 v[1:2], v[1:2], v[110:111]
	v_add_f64 v[3:4], v[3:4], v[106:107]
	s_andn2_b32 exec_lo, exec_lo, s5
	s_cbranch_execnz .LBB48_296
; %bb.297:
	s_or_b32 exec_lo, exec_lo, s5
.LBB48_298:
	s_or_b32 exec_lo, exec_lo, s57
	v_mov_b32_e32 v105, 0
	ds_read_b128 v[105:108], v105 offset:176
	s_waitcnt lgkmcnt(0)
	v_mul_f64 v[110:111], v[3:4], v[107:108]
	v_mul_f64 v[107:108], v[1:2], v[107:108]
	v_fma_f64 v[1:2], v[1:2], v[105:106], -v[110:111]
	v_fma_f64 v[3:4], v[3:4], v[105:106], v[107:108]
	buffer_store_dword v2, off, s[0:3], 0 offset:180
	buffer_store_dword v1, off, s[0:3], 0 offset:176
	;; [unrolled: 1-line block ×4, first 2 shown]
.LBB48_299:
	s_or_b32 exec_lo, exec_lo, s8
	v_mov_b32_e32 v4, s46
	v_cmp_lt_u32_e64 s5, 10, v0
	s_clause 0x3
	buffer_load_dword v1, v4, s[0:3], 0 offen
	buffer_load_dword v2, v4, s[0:3], 0 offen offset:4
	buffer_load_dword v3, v4, s[0:3], 0 offen offset:8
	;; [unrolled: 1-line block ×3, first 2 shown]
	s_waitcnt vmcnt(0)
	ds_write_b128 v104, v[1:4]
	s_waitcnt lgkmcnt(0)
	s_waitcnt_vscnt null, 0x0
	s_barrier
	buffer_gl0_inv
	s_and_saveexec_b32 s8, s5
	s_cbranch_execz .LBB48_307
; %bb.300:
	ds_read_b128 v[1:4], v104
	s_andn2_b32 vcc_lo, exec_lo, s56
	s_cbranch_vccnz .LBB48_302
; %bb.301:
	s_clause 0x3
	buffer_load_dword v105, v103, s[0:3], 0 offen offset:8
	buffer_load_dword v106, v103, s[0:3], 0 offen offset:12
	buffer_load_dword v107, v103, s[0:3], 0 offen
	buffer_load_dword v108, v103, s[0:3], 0 offen offset:4
	s_waitcnt vmcnt(2) lgkmcnt(0)
	v_mul_f64 v[110:111], v[3:4], v[105:106]
	v_mul_f64 v[105:106], v[1:2], v[105:106]
	s_waitcnt vmcnt(0)
	v_fma_f64 v[1:2], v[1:2], v[107:108], -v[110:111]
	v_fma_f64 v[3:4], v[3:4], v[107:108], v[105:106]
.LBB48_302:
	s_and_saveexec_b32 s57, s4
	s_cbranch_execz .LBB48_306
; %bb.303:
	v_add_nc_u32_e32 v105, -11, v0
	s_movk_i32 s58, 0x3c0
	s_mov_b32 s4, 0
	s_mov_b32 s59, s45
	.p2align	6
.LBB48_304:                             ; =>This Inner Loop Header: Depth=1
	v_mov_b32_e32 v108, s59
	v_add_nc_u32_e32 v105, -1, v105
	s_add_i32 s59, s59, 16
	s_clause 0x3
	buffer_load_dword v106, v108, s[0:3], 0 offen offset:8
	buffer_load_dword v107, v108, s[0:3], 0 offen offset:12
	buffer_load_dword v114, v108, s[0:3], 0 offen
	buffer_load_dword v115, v108, s[0:3], 0 offen offset:4
	v_mov_b32_e32 v108, s58
	v_cmp_eq_u32_e32 vcc_lo, 0, v105
	s_add_i32 s58, s58, 16
	ds_read_b128 v[110:113], v108
	s_or_b32 s4, vcc_lo, s4
	s_waitcnt vmcnt(2) lgkmcnt(0)
	v_mul_f64 v[116:117], v[112:113], v[106:107]
	v_mul_f64 v[106:107], v[110:111], v[106:107]
	s_waitcnt vmcnt(0)
	v_fma_f64 v[110:111], v[110:111], v[114:115], -v[116:117]
	v_fma_f64 v[106:107], v[112:113], v[114:115], v[106:107]
	v_add_f64 v[1:2], v[1:2], v[110:111]
	v_add_f64 v[3:4], v[3:4], v[106:107]
	s_andn2_b32 exec_lo, exec_lo, s4
	s_cbranch_execnz .LBB48_304
; %bb.305:
	s_or_b32 exec_lo, exec_lo, s4
.LBB48_306:
	s_or_b32 exec_lo, exec_lo, s57
	v_mov_b32_e32 v105, 0
	ds_read_b128 v[105:108], v105 offset:160
	s_waitcnt lgkmcnt(0)
	v_mul_f64 v[110:111], v[3:4], v[107:108]
	v_mul_f64 v[107:108], v[1:2], v[107:108]
	v_fma_f64 v[1:2], v[1:2], v[105:106], -v[110:111]
	v_fma_f64 v[3:4], v[3:4], v[105:106], v[107:108]
	buffer_store_dword v2, off, s[0:3], 0 offset:164
	buffer_store_dword v1, off, s[0:3], 0 offset:160
	;; [unrolled: 1-line block ×4, first 2 shown]
.LBB48_307:
	s_or_b32 exec_lo, exec_lo, s8
	v_mov_b32_e32 v4, s47
	v_cmp_lt_u32_e64 s4, 9, v0
	s_clause 0x3
	buffer_load_dword v1, v4, s[0:3], 0 offen
	buffer_load_dword v2, v4, s[0:3], 0 offen offset:4
	buffer_load_dword v3, v4, s[0:3], 0 offen offset:8
	;; [unrolled: 1-line block ×3, first 2 shown]
	s_waitcnt vmcnt(0)
	ds_write_b128 v104, v[1:4]
	s_waitcnt lgkmcnt(0)
	s_waitcnt_vscnt null, 0x0
	s_barrier
	buffer_gl0_inv
	s_and_saveexec_b32 s8, s4
	s_cbranch_execz .LBB48_315
; %bb.308:
	ds_read_b128 v[1:4], v104
	s_andn2_b32 vcc_lo, exec_lo, s56
	s_cbranch_vccnz .LBB48_310
; %bb.309:
	s_clause 0x3
	buffer_load_dword v105, v103, s[0:3], 0 offen offset:8
	buffer_load_dword v106, v103, s[0:3], 0 offen offset:12
	buffer_load_dword v107, v103, s[0:3], 0 offen
	buffer_load_dword v108, v103, s[0:3], 0 offen offset:4
	s_waitcnt vmcnt(2) lgkmcnt(0)
	v_mul_f64 v[110:111], v[3:4], v[105:106]
	v_mul_f64 v[105:106], v[1:2], v[105:106]
	s_waitcnt vmcnt(0)
	v_fma_f64 v[1:2], v[1:2], v[107:108], -v[110:111]
	v_fma_f64 v[3:4], v[3:4], v[107:108], v[105:106]
.LBB48_310:
	s_and_saveexec_b32 s57, s5
	s_cbranch_execz .LBB48_314
; %bb.311:
	v_add_nc_u32_e32 v105, -10, v0
	s_movk_i32 s58, 0x3b0
	s_mov_b32 s5, 0
	s_mov_b32 s59, s46
	.p2align	6
.LBB48_312:                             ; =>This Inner Loop Header: Depth=1
	v_mov_b32_e32 v108, s59
	v_add_nc_u32_e32 v105, -1, v105
	s_add_i32 s59, s59, 16
	s_clause 0x3
	buffer_load_dword v106, v108, s[0:3], 0 offen offset:8
	buffer_load_dword v107, v108, s[0:3], 0 offen offset:12
	buffer_load_dword v114, v108, s[0:3], 0 offen
	buffer_load_dword v115, v108, s[0:3], 0 offen offset:4
	v_mov_b32_e32 v108, s58
	v_cmp_eq_u32_e32 vcc_lo, 0, v105
	s_add_i32 s58, s58, 16
	ds_read_b128 v[110:113], v108
	s_or_b32 s5, vcc_lo, s5
	s_waitcnt vmcnt(2) lgkmcnt(0)
	v_mul_f64 v[116:117], v[112:113], v[106:107]
	v_mul_f64 v[106:107], v[110:111], v[106:107]
	s_waitcnt vmcnt(0)
	v_fma_f64 v[110:111], v[110:111], v[114:115], -v[116:117]
	v_fma_f64 v[106:107], v[112:113], v[114:115], v[106:107]
	v_add_f64 v[1:2], v[1:2], v[110:111]
	v_add_f64 v[3:4], v[3:4], v[106:107]
	s_andn2_b32 exec_lo, exec_lo, s5
	s_cbranch_execnz .LBB48_312
; %bb.313:
	s_or_b32 exec_lo, exec_lo, s5
.LBB48_314:
	s_or_b32 exec_lo, exec_lo, s57
	v_mov_b32_e32 v105, 0
	ds_read_b128 v[105:108], v105 offset:144
	s_waitcnt lgkmcnt(0)
	v_mul_f64 v[110:111], v[3:4], v[107:108]
	v_mul_f64 v[107:108], v[1:2], v[107:108]
	v_fma_f64 v[1:2], v[1:2], v[105:106], -v[110:111]
	v_fma_f64 v[3:4], v[3:4], v[105:106], v[107:108]
	buffer_store_dword v2, off, s[0:3], 0 offset:148
	buffer_store_dword v1, off, s[0:3], 0 offset:144
	buffer_store_dword v4, off, s[0:3], 0 offset:156
	buffer_store_dword v3, off, s[0:3], 0 offset:152
.LBB48_315:
	s_or_b32 exec_lo, exec_lo, s8
	v_mov_b32_e32 v4, s48
	v_cmp_lt_u32_e64 s5, 8, v0
	s_clause 0x3
	buffer_load_dword v1, v4, s[0:3], 0 offen
	buffer_load_dword v2, v4, s[0:3], 0 offen offset:4
	buffer_load_dword v3, v4, s[0:3], 0 offen offset:8
	;; [unrolled: 1-line block ×3, first 2 shown]
	s_waitcnt vmcnt(0)
	ds_write_b128 v104, v[1:4]
	s_waitcnt lgkmcnt(0)
	s_waitcnt_vscnt null, 0x0
	s_barrier
	buffer_gl0_inv
	s_and_saveexec_b32 s8, s5
	s_cbranch_execz .LBB48_323
; %bb.316:
	ds_read_b128 v[1:4], v104
	s_andn2_b32 vcc_lo, exec_lo, s56
	s_cbranch_vccnz .LBB48_318
; %bb.317:
	s_clause 0x3
	buffer_load_dword v105, v103, s[0:3], 0 offen offset:8
	buffer_load_dword v106, v103, s[0:3], 0 offen offset:12
	buffer_load_dword v107, v103, s[0:3], 0 offen
	buffer_load_dword v108, v103, s[0:3], 0 offen offset:4
	s_waitcnt vmcnt(2) lgkmcnt(0)
	v_mul_f64 v[110:111], v[3:4], v[105:106]
	v_mul_f64 v[105:106], v[1:2], v[105:106]
	s_waitcnt vmcnt(0)
	v_fma_f64 v[1:2], v[1:2], v[107:108], -v[110:111]
	v_fma_f64 v[3:4], v[3:4], v[107:108], v[105:106]
.LBB48_318:
	s_and_saveexec_b32 s57, s4
	s_cbranch_execz .LBB48_322
; %bb.319:
	v_add_nc_u32_e32 v105, -9, v0
	s_movk_i32 s58, 0x3a0
	s_mov_b32 s4, 0
	s_mov_b32 s59, s47
	.p2align	6
.LBB48_320:                             ; =>This Inner Loop Header: Depth=1
	v_mov_b32_e32 v108, s59
	v_add_nc_u32_e32 v105, -1, v105
	s_add_i32 s59, s59, 16
	s_clause 0x3
	buffer_load_dword v106, v108, s[0:3], 0 offen offset:8
	buffer_load_dword v107, v108, s[0:3], 0 offen offset:12
	buffer_load_dword v114, v108, s[0:3], 0 offen
	buffer_load_dword v115, v108, s[0:3], 0 offen offset:4
	v_mov_b32_e32 v108, s58
	v_cmp_eq_u32_e32 vcc_lo, 0, v105
	s_add_i32 s58, s58, 16
	ds_read_b128 v[110:113], v108
	s_or_b32 s4, vcc_lo, s4
	s_waitcnt vmcnt(2) lgkmcnt(0)
	v_mul_f64 v[116:117], v[112:113], v[106:107]
	v_mul_f64 v[106:107], v[110:111], v[106:107]
	s_waitcnt vmcnt(0)
	v_fma_f64 v[110:111], v[110:111], v[114:115], -v[116:117]
	v_fma_f64 v[106:107], v[112:113], v[114:115], v[106:107]
	v_add_f64 v[1:2], v[1:2], v[110:111]
	v_add_f64 v[3:4], v[3:4], v[106:107]
	s_andn2_b32 exec_lo, exec_lo, s4
	s_cbranch_execnz .LBB48_320
; %bb.321:
	s_or_b32 exec_lo, exec_lo, s4
.LBB48_322:
	s_or_b32 exec_lo, exec_lo, s57
	v_mov_b32_e32 v105, 0
	ds_read_b128 v[105:108], v105 offset:128
	s_waitcnt lgkmcnt(0)
	v_mul_f64 v[110:111], v[3:4], v[107:108]
	v_mul_f64 v[107:108], v[1:2], v[107:108]
	v_fma_f64 v[1:2], v[1:2], v[105:106], -v[110:111]
	v_fma_f64 v[3:4], v[3:4], v[105:106], v[107:108]
	buffer_store_dword v2, off, s[0:3], 0 offset:132
	buffer_store_dword v1, off, s[0:3], 0 offset:128
	;; [unrolled: 1-line block ×4, first 2 shown]
.LBB48_323:
	s_or_b32 exec_lo, exec_lo, s8
	v_mov_b32_e32 v4, s49
	v_cmp_lt_u32_e64 s4, 7, v0
	s_clause 0x3
	buffer_load_dword v1, v4, s[0:3], 0 offen
	buffer_load_dword v2, v4, s[0:3], 0 offen offset:4
	buffer_load_dword v3, v4, s[0:3], 0 offen offset:8
	;; [unrolled: 1-line block ×3, first 2 shown]
	s_waitcnt vmcnt(0)
	ds_write_b128 v104, v[1:4]
	s_waitcnt lgkmcnt(0)
	s_waitcnt_vscnt null, 0x0
	s_barrier
	buffer_gl0_inv
	s_and_saveexec_b32 s8, s4
	s_cbranch_execz .LBB48_331
; %bb.324:
	ds_read_b128 v[1:4], v104
	s_andn2_b32 vcc_lo, exec_lo, s56
	s_cbranch_vccnz .LBB48_326
; %bb.325:
	s_clause 0x3
	buffer_load_dword v105, v103, s[0:3], 0 offen offset:8
	buffer_load_dword v106, v103, s[0:3], 0 offen offset:12
	buffer_load_dword v107, v103, s[0:3], 0 offen
	buffer_load_dword v108, v103, s[0:3], 0 offen offset:4
	s_waitcnt vmcnt(2) lgkmcnt(0)
	v_mul_f64 v[110:111], v[3:4], v[105:106]
	v_mul_f64 v[105:106], v[1:2], v[105:106]
	s_waitcnt vmcnt(0)
	v_fma_f64 v[1:2], v[1:2], v[107:108], -v[110:111]
	v_fma_f64 v[3:4], v[3:4], v[107:108], v[105:106]
.LBB48_326:
	s_and_saveexec_b32 s57, s5
	s_cbranch_execz .LBB48_330
; %bb.327:
	v_add_nc_u32_e32 v105, -8, v0
	s_movk_i32 s58, 0x390
	s_mov_b32 s5, 0
	s_mov_b32 s59, s48
	.p2align	6
.LBB48_328:                             ; =>This Inner Loop Header: Depth=1
	v_mov_b32_e32 v108, s59
	v_add_nc_u32_e32 v105, -1, v105
	s_add_i32 s59, s59, 16
	s_clause 0x3
	buffer_load_dword v106, v108, s[0:3], 0 offen offset:8
	buffer_load_dword v107, v108, s[0:3], 0 offen offset:12
	buffer_load_dword v114, v108, s[0:3], 0 offen
	buffer_load_dword v115, v108, s[0:3], 0 offen offset:4
	v_mov_b32_e32 v108, s58
	v_cmp_eq_u32_e32 vcc_lo, 0, v105
	s_add_i32 s58, s58, 16
	ds_read_b128 v[110:113], v108
	s_or_b32 s5, vcc_lo, s5
	s_waitcnt vmcnt(2) lgkmcnt(0)
	v_mul_f64 v[116:117], v[112:113], v[106:107]
	v_mul_f64 v[106:107], v[110:111], v[106:107]
	s_waitcnt vmcnt(0)
	v_fma_f64 v[110:111], v[110:111], v[114:115], -v[116:117]
	v_fma_f64 v[106:107], v[112:113], v[114:115], v[106:107]
	v_add_f64 v[1:2], v[1:2], v[110:111]
	v_add_f64 v[3:4], v[3:4], v[106:107]
	s_andn2_b32 exec_lo, exec_lo, s5
	s_cbranch_execnz .LBB48_328
; %bb.329:
	s_or_b32 exec_lo, exec_lo, s5
.LBB48_330:
	s_or_b32 exec_lo, exec_lo, s57
	v_mov_b32_e32 v105, 0
	ds_read_b128 v[105:108], v105 offset:112
	s_waitcnt lgkmcnt(0)
	v_mul_f64 v[110:111], v[3:4], v[107:108]
	v_mul_f64 v[107:108], v[1:2], v[107:108]
	v_fma_f64 v[1:2], v[1:2], v[105:106], -v[110:111]
	v_fma_f64 v[3:4], v[3:4], v[105:106], v[107:108]
	buffer_store_dword v2, off, s[0:3], 0 offset:116
	buffer_store_dword v1, off, s[0:3], 0 offset:112
	;; [unrolled: 1-line block ×4, first 2 shown]
.LBB48_331:
	s_or_b32 exec_lo, exec_lo, s8
	v_mov_b32_e32 v4, s50
	v_cmp_lt_u32_e64 s5, 6, v0
	s_clause 0x3
	buffer_load_dword v1, v4, s[0:3], 0 offen
	buffer_load_dword v2, v4, s[0:3], 0 offen offset:4
	buffer_load_dword v3, v4, s[0:3], 0 offen offset:8
	;; [unrolled: 1-line block ×3, first 2 shown]
	s_waitcnt vmcnt(0)
	ds_write_b128 v104, v[1:4]
	s_waitcnt lgkmcnt(0)
	s_waitcnt_vscnt null, 0x0
	s_barrier
	buffer_gl0_inv
	s_and_saveexec_b32 s8, s5
	s_cbranch_execz .LBB48_339
; %bb.332:
	ds_read_b128 v[1:4], v104
	s_andn2_b32 vcc_lo, exec_lo, s56
	s_cbranch_vccnz .LBB48_334
; %bb.333:
	s_clause 0x3
	buffer_load_dword v105, v103, s[0:3], 0 offen offset:8
	buffer_load_dword v106, v103, s[0:3], 0 offen offset:12
	buffer_load_dword v107, v103, s[0:3], 0 offen
	buffer_load_dword v108, v103, s[0:3], 0 offen offset:4
	s_waitcnt vmcnt(2) lgkmcnt(0)
	v_mul_f64 v[110:111], v[3:4], v[105:106]
	v_mul_f64 v[105:106], v[1:2], v[105:106]
	s_waitcnt vmcnt(0)
	v_fma_f64 v[1:2], v[1:2], v[107:108], -v[110:111]
	v_fma_f64 v[3:4], v[3:4], v[107:108], v[105:106]
.LBB48_334:
	s_and_saveexec_b32 s57, s4
	s_cbranch_execz .LBB48_338
; %bb.335:
	v_add_nc_u32_e32 v105, -7, v0
	s_movk_i32 s58, 0x380
	s_mov_b32 s4, 0
	s_mov_b32 s59, s49
	.p2align	6
.LBB48_336:                             ; =>This Inner Loop Header: Depth=1
	v_mov_b32_e32 v108, s59
	v_add_nc_u32_e32 v105, -1, v105
	s_add_i32 s59, s59, 16
	s_clause 0x3
	buffer_load_dword v106, v108, s[0:3], 0 offen offset:8
	buffer_load_dword v107, v108, s[0:3], 0 offen offset:12
	buffer_load_dword v114, v108, s[0:3], 0 offen
	buffer_load_dword v115, v108, s[0:3], 0 offen offset:4
	v_mov_b32_e32 v108, s58
	v_cmp_eq_u32_e32 vcc_lo, 0, v105
	s_add_i32 s58, s58, 16
	ds_read_b128 v[110:113], v108
	s_or_b32 s4, vcc_lo, s4
	s_waitcnt vmcnt(2) lgkmcnt(0)
	v_mul_f64 v[116:117], v[112:113], v[106:107]
	v_mul_f64 v[106:107], v[110:111], v[106:107]
	s_waitcnt vmcnt(0)
	v_fma_f64 v[110:111], v[110:111], v[114:115], -v[116:117]
	v_fma_f64 v[106:107], v[112:113], v[114:115], v[106:107]
	v_add_f64 v[1:2], v[1:2], v[110:111]
	v_add_f64 v[3:4], v[3:4], v[106:107]
	s_andn2_b32 exec_lo, exec_lo, s4
	s_cbranch_execnz .LBB48_336
; %bb.337:
	s_or_b32 exec_lo, exec_lo, s4
.LBB48_338:
	s_or_b32 exec_lo, exec_lo, s57
	v_mov_b32_e32 v105, 0
	ds_read_b128 v[105:108], v105 offset:96
	s_waitcnt lgkmcnt(0)
	v_mul_f64 v[110:111], v[3:4], v[107:108]
	v_mul_f64 v[107:108], v[1:2], v[107:108]
	v_fma_f64 v[1:2], v[1:2], v[105:106], -v[110:111]
	v_fma_f64 v[3:4], v[3:4], v[105:106], v[107:108]
	buffer_store_dword v2, off, s[0:3], 0 offset:100
	buffer_store_dword v1, off, s[0:3], 0 offset:96
	;; [unrolled: 1-line block ×4, first 2 shown]
.LBB48_339:
	s_or_b32 exec_lo, exec_lo, s8
	v_mov_b32_e32 v4, s51
	v_cmp_lt_u32_e64 s4, 5, v0
	s_clause 0x3
	buffer_load_dword v1, v4, s[0:3], 0 offen
	buffer_load_dword v2, v4, s[0:3], 0 offen offset:4
	buffer_load_dword v3, v4, s[0:3], 0 offen offset:8
	buffer_load_dword v4, v4, s[0:3], 0 offen offset:12
	s_waitcnt vmcnt(0)
	ds_write_b128 v104, v[1:4]
	s_waitcnt lgkmcnt(0)
	s_waitcnt_vscnt null, 0x0
	s_barrier
	buffer_gl0_inv
	s_and_saveexec_b32 s8, s4
	s_cbranch_execz .LBB48_347
; %bb.340:
	ds_read_b128 v[1:4], v104
	s_andn2_b32 vcc_lo, exec_lo, s56
	s_cbranch_vccnz .LBB48_342
; %bb.341:
	s_clause 0x3
	buffer_load_dword v105, v103, s[0:3], 0 offen offset:8
	buffer_load_dword v106, v103, s[0:3], 0 offen offset:12
	buffer_load_dword v107, v103, s[0:3], 0 offen
	buffer_load_dword v108, v103, s[0:3], 0 offen offset:4
	s_waitcnt vmcnt(2) lgkmcnt(0)
	v_mul_f64 v[110:111], v[3:4], v[105:106]
	v_mul_f64 v[105:106], v[1:2], v[105:106]
	s_waitcnt vmcnt(0)
	v_fma_f64 v[1:2], v[1:2], v[107:108], -v[110:111]
	v_fma_f64 v[3:4], v[3:4], v[107:108], v[105:106]
.LBB48_342:
	s_and_saveexec_b32 s57, s5
	s_cbranch_execz .LBB48_346
; %bb.343:
	v_add_nc_u32_e32 v105, -6, v0
	s_movk_i32 s58, 0x370
	s_mov_b32 s5, 0
	s_mov_b32 s59, s50
	.p2align	6
.LBB48_344:                             ; =>This Inner Loop Header: Depth=1
	v_mov_b32_e32 v108, s59
	v_add_nc_u32_e32 v105, -1, v105
	s_add_i32 s59, s59, 16
	s_clause 0x3
	buffer_load_dword v106, v108, s[0:3], 0 offen offset:8
	buffer_load_dword v107, v108, s[0:3], 0 offen offset:12
	buffer_load_dword v114, v108, s[0:3], 0 offen
	buffer_load_dword v115, v108, s[0:3], 0 offen offset:4
	v_mov_b32_e32 v108, s58
	v_cmp_eq_u32_e32 vcc_lo, 0, v105
	s_add_i32 s58, s58, 16
	ds_read_b128 v[110:113], v108
	s_or_b32 s5, vcc_lo, s5
	s_waitcnt vmcnt(2) lgkmcnt(0)
	v_mul_f64 v[116:117], v[112:113], v[106:107]
	v_mul_f64 v[106:107], v[110:111], v[106:107]
	s_waitcnt vmcnt(0)
	v_fma_f64 v[110:111], v[110:111], v[114:115], -v[116:117]
	v_fma_f64 v[106:107], v[112:113], v[114:115], v[106:107]
	v_add_f64 v[1:2], v[1:2], v[110:111]
	v_add_f64 v[3:4], v[3:4], v[106:107]
	s_andn2_b32 exec_lo, exec_lo, s5
	s_cbranch_execnz .LBB48_344
; %bb.345:
	s_or_b32 exec_lo, exec_lo, s5
.LBB48_346:
	s_or_b32 exec_lo, exec_lo, s57
	v_mov_b32_e32 v105, 0
	ds_read_b128 v[105:108], v105 offset:80
	s_waitcnt lgkmcnt(0)
	v_mul_f64 v[110:111], v[3:4], v[107:108]
	v_mul_f64 v[107:108], v[1:2], v[107:108]
	v_fma_f64 v[1:2], v[1:2], v[105:106], -v[110:111]
	v_fma_f64 v[3:4], v[3:4], v[105:106], v[107:108]
	buffer_store_dword v2, off, s[0:3], 0 offset:84
	buffer_store_dword v1, off, s[0:3], 0 offset:80
	buffer_store_dword v4, off, s[0:3], 0 offset:92
	buffer_store_dword v3, off, s[0:3], 0 offset:88
.LBB48_347:
	s_or_b32 exec_lo, exec_lo, s8
	v_mov_b32_e32 v4, s52
	v_cmp_lt_u32_e64 s5, 4, v0
	s_clause 0x3
	buffer_load_dword v1, v4, s[0:3], 0 offen
	buffer_load_dword v2, v4, s[0:3], 0 offen offset:4
	buffer_load_dword v3, v4, s[0:3], 0 offen offset:8
	;; [unrolled: 1-line block ×3, first 2 shown]
	s_waitcnt vmcnt(0)
	ds_write_b128 v104, v[1:4]
	s_waitcnt lgkmcnt(0)
	s_waitcnt_vscnt null, 0x0
	s_barrier
	buffer_gl0_inv
	s_and_saveexec_b32 s8, s5
	s_cbranch_execz .LBB48_355
; %bb.348:
	ds_read_b128 v[1:4], v104
	s_andn2_b32 vcc_lo, exec_lo, s56
	s_cbranch_vccnz .LBB48_350
; %bb.349:
	s_clause 0x3
	buffer_load_dword v105, v103, s[0:3], 0 offen offset:8
	buffer_load_dword v106, v103, s[0:3], 0 offen offset:12
	buffer_load_dword v107, v103, s[0:3], 0 offen
	buffer_load_dword v108, v103, s[0:3], 0 offen offset:4
	s_waitcnt vmcnt(2) lgkmcnt(0)
	v_mul_f64 v[110:111], v[3:4], v[105:106]
	v_mul_f64 v[105:106], v[1:2], v[105:106]
	s_waitcnt vmcnt(0)
	v_fma_f64 v[1:2], v[1:2], v[107:108], -v[110:111]
	v_fma_f64 v[3:4], v[3:4], v[107:108], v[105:106]
.LBB48_350:
	s_and_saveexec_b32 s57, s4
	s_cbranch_execz .LBB48_354
; %bb.351:
	v_add_nc_u32_e32 v105, -5, v0
	s_movk_i32 s58, 0x360
	s_mov_b32 s4, 0
	s_mov_b32 s59, s51
	.p2align	6
.LBB48_352:                             ; =>This Inner Loop Header: Depth=1
	v_mov_b32_e32 v108, s59
	v_add_nc_u32_e32 v105, -1, v105
	s_add_i32 s59, s59, 16
	s_clause 0x3
	buffer_load_dword v106, v108, s[0:3], 0 offen offset:8
	buffer_load_dword v107, v108, s[0:3], 0 offen offset:12
	buffer_load_dword v114, v108, s[0:3], 0 offen
	buffer_load_dword v115, v108, s[0:3], 0 offen offset:4
	v_mov_b32_e32 v108, s58
	v_cmp_eq_u32_e32 vcc_lo, 0, v105
	s_add_i32 s58, s58, 16
	ds_read_b128 v[110:113], v108
	s_or_b32 s4, vcc_lo, s4
	s_waitcnt vmcnt(2) lgkmcnt(0)
	v_mul_f64 v[116:117], v[112:113], v[106:107]
	v_mul_f64 v[106:107], v[110:111], v[106:107]
	s_waitcnt vmcnt(0)
	v_fma_f64 v[110:111], v[110:111], v[114:115], -v[116:117]
	v_fma_f64 v[106:107], v[112:113], v[114:115], v[106:107]
	v_add_f64 v[1:2], v[1:2], v[110:111]
	v_add_f64 v[3:4], v[3:4], v[106:107]
	s_andn2_b32 exec_lo, exec_lo, s4
	s_cbranch_execnz .LBB48_352
; %bb.353:
	s_or_b32 exec_lo, exec_lo, s4
.LBB48_354:
	s_or_b32 exec_lo, exec_lo, s57
	v_mov_b32_e32 v105, 0
	ds_read_b128 v[105:108], v105 offset:64
	s_waitcnt lgkmcnt(0)
	v_mul_f64 v[110:111], v[3:4], v[107:108]
	v_mul_f64 v[107:108], v[1:2], v[107:108]
	v_fma_f64 v[1:2], v[1:2], v[105:106], -v[110:111]
	v_fma_f64 v[3:4], v[3:4], v[105:106], v[107:108]
	buffer_store_dword v2, off, s[0:3], 0 offset:68
	buffer_store_dword v1, off, s[0:3], 0 offset:64
	;; [unrolled: 1-line block ×4, first 2 shown]
.LBB48_355:
	s_or_b32 exec_lo, exec_lo, s8
	v_mov_b32_e32 v4, s53
	v_cmp_lt_u32_e64 s4, 3, v0
	s_clause 0x3
	buffer_load_dword v1, v4, s[0:3], 0 offen
	buffer_load_dword v2, v4, s[0:3], 0 offen offset:4
	buffer_load_dword v3, v4, s[0:3], 0 offen offset:8
	;; [unrolled: 1-line block ×3, first 2 shown]
	s_waitcnt vmcnt(0)
	ds_write_b128 v104, v[1:4]
	s_waitcnt lgkmcnt(0)
	s_waitcnt_vscnt null, 0x0
	s_barrier
	buffer_gl0_inv
	s_and_saveexec_b32 s8, s4
	s_cbranch_execz .LBB48_363
; %bb.356:
	ds_read_b128 v[1:4], v104
	s_andn2_b32 vcc_lo, exec_lo, s56
	s_cbranch_vccnz .LBB48_358
; %bb.357:
	s_clause 0x3
	buffer_load_dword v105, v103, s[0:3], 0 offen offset:8
	buffer_load_dword v106, v103, s[0:3], 0 offen offset:12
	buffer_load_dword v107, v103, s[0:3], 0 offen
	buffer_load_dword v108, v103, s[0:3], 0 offen offset:4
	s_waitcnt vmcnt(2) lgkmcnt(0)
	v_mul_f64 v[110:111], v[3:4], v[105:106]
	v_mul_f64 v[105:106], v[1:2], v[105:106]
	s_waitcnt vmcnt(0)
	v_fma_f64 v[1:2], v[1:2], v[107:108], -v[110:111]
	v_fma_f64 v[3:4], v[3:4], v[107:108], v[105:106]
.LBB48_358:
	s_and_saveexec_b32 s57, s5
	s_cbranch_execz .LBB48_362
; %bb.359:
	v_add_nc_u32_e32 v105, -4, v0
	s_movk_i32 s58, 0x350
	s_mov_b32 s5, 0
	s_mov_b32 s59, s52
	.p2align	6
.LBB48_360:                             ; =>This Inner Loop Header: Depth=1
	v_mov_b32_e32 v108, s59
	v_add_nc_u32_e32 v105, -1, v105
	s_add_i32 s59, s59, 16
	s_clause 0x3
	buffer_load_dword v106, v108, s[0:3], 0 offen offset:8
	buffer_load_dword v107, v108, s[0:3], 0 offen offset:12
	buffer_load_dword v114, v108, s[0:3], 0 offen
	buffer_load_dword v115, v108, s[0:3], 0 offen offset:4
	v_mov_b32_e32 v108, s58
	v_cmp_eq_u32_e32 vcc_lo, 0, v105
	s_add_i32 s58, s58, 16
	ds_read_b128 v[110:113], v108
	s_or_b32 s5, vcc_lo, s5
	s_waitcnt vmcnt(2) lgkmcnt(0)
	v_mul_f64 v[116:117], v[112:113], v[106:107]
	v_mul_f64 v[106:107], v[110:111], v[106:107]
	s_waitcnt vmcnt(0)
	v_fma_f64 v[110:111], v[110:111], v[114:115], -v[116:117]
	v_fma_f64 v[106:107], v[112:113], v[114:115], v[106:107]
	v_add_f64 v[1:2], v[1:2], v[110:111]
	v_add_f64 v[3:4], v[3:4], v[106:107]
	s_andn2_b32 exec_lo, exec_lo, s5
	s_cbranch_execnz .LBB48_360
; %bb.361:
	s_or_b32 exec_lo, exec_lo, s5
.LBB48_362:
	s_or_b32 exec_lo, exec_lo, s57
	v_mov_b32_e32 v105, 0
	ds_read_b128 v[105:108], v105 offset:48
	s_waitcnt lgkmcnt(0)
	v_mul_f64 v[110:111], v[3:4], v[107:108]
	v_mul_f64 v[107:108], v[1:2], v[107:108]
	v_fma_f64 v[1:2], v[1:2], v[105:106], -v[110:111]
	v_fma_f64 v[3:4], v[3:4], v[105:106], v[107:108]
	buffer_store_dword v2, off, s[0:3], 0 offset:52
	buffer_store_dword v1, off, s[0:3], 0 offset:48
	;; [unrolled: 1-line block ×4, first 2 shown]
.LBB48_363:
	s_or_b32 exec_lo, exec_lo, s8
	v_mov_b32_e32 v4, s54
	v_cmp_lt_u32_e64 s5, 2, v0
	s_clause 0x3
	buffer_load_dword v1, v4, s[0:3], 0 offen
	buffer_load_dword v2, v4, s[0:3], 0 offen offset:4
	buffer_load_dword v3, v4, s[0:3], 0 offen offset:8
	;; [unrolled: 1-line block ×3, first 2 shown]
	s_waitcnt vmcnt(0)
	ds_write_b128 v104, v[1:4]
	s_waitcnt lgkmcnt(0)
	s_waitcnt_vscnt null, 0x0
	s_barrier
	buffer_gl0_inv
	s_and_saveexec_b32 s8, s5
	s_cbranch_execz .LBB48_371
; %bb.364:
	ds_read_b128 v[1:4], v104
	s_andn2_b32 vcc_lo, exec_lo, s56
	s_cbranch_vccnz .LBB48_366
; %bb.365:
	s_clause 0x3
	buffer_load_dword v105, v103, s[0:3], 0 offen offset:8
	buffer_load_dword v106, v103, s[0:3], 0 offen offset:12
	buffer_load_dword v107, v103, s[0:3], 0 offen
	buffer_load_dword v108, v103, s[0:3], 0 offen offset:4
	s_waitcnt vmcnt(2) lgkmcnt(0)
	v_mul_f64 v[110:111], v[3:4], v[105:106]
	v_mul_f64 v[105:106], v[1:2], v[105:106]
	s_waitcnt vmcnt(0)
	v_fma_f64 v[1:2], v[1:2], v[107:108], -v[110:111]
	v_fma_f64 v[3:4], v[3:4], v[107:108], v[105:106]
.LBB48_366:
	s_and_saveexec_b32 s57, s4
	s_cbranch_execz .LBB48_370
; %bb.367:
	v_add_nc_u32_e32 v105, -3, v0
	s_movk_i32 s58, 0x340
	s_mov_b32 s4, 0
	s_mov_b32 s59, s53
	.p2align	6
.LBB48_368:                             ; =>This Inner Loop Header: Depth=1
	v_mov_b32_e32 v108, s59
	v_add_nc_u32_e32 v105, -1, v105
	s_add_i32 s59, s59, 16
	s_clause 0x3
	buffer_load_dword v106, v108, s[0:3], 0 offen offset:8
	buffer_load_dword v107, v108, s[0:3], 0 offen offset:12
	buffer_load_dword v114, v108, s[0:3], 0 offen
	buffer_load_dword v115, v108, s[0:3], 0 offen offset:4
	v_mov_b32_e32 v108, s58
	v_cmp_eq_u32_e32 vcc_lo, 0, v105
	s_add_i32 s58, s58, 16
	ds_read_b128 v[110:113], v108
	s_or_b32 s4, vcc_lo, s4
	s_waitcnt vmcnt(2) lgkmcnt(0)
	v_mul_f64 v[116:117], v[112:113], v[106:107]
	v_mul_f64 v[106:107], v[110:111], v[106:107]
	s_waitcnt vmcnt(0)
	v_fma_f64 v[110:111], v[110:111], v[114:115], -v[116:117]
	v_fma_f64 v[106:107], v[112:113], v[114:115], v[106:107]
	v_add_f64 v[1:2], v[1:2], v[110:111]
	v_add_f64 v[3:4], v[3:4], v[106:107]
	s_andn2_b32 exec_lo, exec_lo, s4
	s_cbranch_execnz .LBB48_368
; %bb.369:
	s_or_b32 exec_lo, exec_lo, s4
.LBB48_370:
	s_or_b32 exec_lo, exec_lo, s57
	v_mov_b32_e32 v105, 0
	ds_read_b128 v[105:108], v105 offset:32
	s_waitcnt lgkmcnt(0)
	v_mul_f64 v[110:111], v[3:4], v[107:108]
	v_mul_f64 v[107:108], v[1:2], v[107:108]
	v_fma_f64 v[1:2], v[1:2], v[105:106], -v[110:111]
	v_fma_f64 v[3:4], v[3:4], v[105:106], v[107:108]
	buffer_store_dword v2, off, s[0:3], 0 offset:36
	buffer_store_dword v1, off, s[0:3], 0 offset:32
	;; [unrolled: 1-line block ×4, first 2 shown]
.LBB48_371:
	s_or_b32 exec_lo, exec_lo, s8
	v_mov_b32_e32 v4, s55
	v_cmp_lt_u32_e64 s4, 1, v0
	s_clause 0x3
	buffer_load_dword v1, v4, s[0:3], 0 offen
	buffer_load_dword v2, v4, s[0:3], 0 offen offset:4
	buffer_load_dword v3, v4, s[0:3], 0 offen offset:8
	;; [unrolled: 1-line block ×3, first 2 shown]
	s_waitcnt vmcnt(0)
	ds_write_b128 v104, v[1:4]
	s_waitcnt lgkmcnt(0)
	s_waitcnt_vscnt null, 0x0
	s_barrier
	buffer_gl0_inv
	s_and_saveexec_b32 s8, s4
	s_cbranch_execz .LBB48_379
; %bb.372:
	ds_read_b128 v[1:4], v104
	s_andn2_b32 vcc_lo, exec_lo, s56
	s_cbranch_vccnz .LBB48_374
; %bb.373:
	s_clause 0x3
	buffer_load_dword v105, v103, s[0:3], 0 offen offset:8
	buffer_load_dword v106, v103, s[0:3], 0 offen offset:12
	buffer_load_dword v107, v103, s[0:3], 0 offen
	buffer_load_dword v108, v103, s[0:3], 0 offen offset:4
	s_waitcnt vmcnt(2) lgkmcnt(0)
	v_mul_f64 v[110:111], v[3:4], v[105:106]
	v_mul_f64 v[105:106], v[1:2], v[105:106]
	s_waitcnt vmcnt(0)
	v_fma_f64 v[1:2], v[1:2], v[107:108], -v[110:111]
	v_fma_f64 v[3:4], v[3:4], v[107:108], v[105:106]
.LBB48_374:
	s_and_saveexec_b32 s57, s5
	s_cbranch_execz .LBB48_378
; %bb.375:
	v_add_nc_u32_e32 v105, -2, v0
	s_movk_i32 s58, 0x330
	s_mov_b32 s5, 0
	s_mov_b32 s59, s54
	.p2align	6
.LBB48_376:                             ; =>This Inner Loop Header: Depth=1
	v_mov_b32_e32 v108, s59
	v_add_nc_u32_e32 v105, -1, v105
	s_add_i32 s59, s59, 16
	s_clause 0x3
	buffer_load_dword v106, v108, s[0:3], 0 offen offset:8
	buffer_load_dword v107, v108, s[0:3], 0 offen offset:12
	buffer_load_dword v114, v108, s[0:3], 0 offen
	buffer_load_dword v115, v108, s[0:3], 0 offen offset:4
	v_mov_b32_e32 v108, s58
	v_cmp_eq_u32_e32 vcc_lo, 0, v105
	s_add_i32 s58, s58, 16
	ds_read_b128 v[110:113], v108
	s_or_b32 s5, vcc_lo, s5
	s_waitcnt vmcnt(2) lgkmcnt(0)
	v_mul_f64 v[116:117], v[112:113], v[106:107]
	v_mul_f64 v[106:107], v[110:111], v[106:107]
	s_waitcnt vmcnt(0)
	v_fma_f64 v[110:111], v[110:111], v[114:115], -v[116:117]
	v_fma_f64 v[106:107], v[112:113], v[114:115], v[106:107]
	v_add_f64 v[1:2], v[1:2], v[110:111]
	v_add_f64 v[3:4], v[3:4], v[106:107]
	s_andn2_b32 exec_lo, exec_lo, s5
	s_cbranch_execnz .LBB48_376
; %bb.377:
	s_or_b32 exec_lo, exec_lo, s5
.LBB48_378:
	s_or_b32 exec_lo, exec_lo, s57
	v_mov_b32_e32 v105, 0
	ds_read_b128 v[105:108], v105 offset:16
	s_waitcnt lgkmcnt(0)
	v_mul_f64 v[110:111], v[3:4], v[107:108]
	v_mul_f64 v[107:108], v[1:2], v[107:108]
	v_fma_f64 v[1:2], v[1:2], v[105:106], -v[110:111]
	v_fma_f64 v[3:4], v[3:4], v[105:106], v[107:108]
	buffer_store_dword v2, off, s[0:3], 0 offset:20
	buffer_store_dword v1, off, s[0:3], 0 offset:16
	;; [unrolled: 1-line block ×4, first 2 shown]
.LBB48_379:
	s_or_b32 exec_lo, exec_lo, s8
	s_clause 0x3
	buffer_load_dword v1, off, s[0:3], 0
	buffer_load_dword v2, off, s[0:3], 0 offset:4
	buffer_load_dword v3, off, s[0:3], 0 offset:8
	;; [unrolled: 1-line block ×3, first 2 shown]
	s_mov_b32 s8, 0
	s_mov_b32 s5, 0
	s_mov_b32 s57, exec_lo
                                        ; implicit-def: $sgpr58
	s_waitcnt vmcnt(0)
	ds_write_b128 v104, v[1:4]
	s_waitcnt lgkmcnt(0)
	s_waitcnt_vscnt null, 0x0
	s_barrier
	buffer_gl0_inv
                                        ; implicit-def: $vgpr1_vgpr2
	v_cmpx_ne_u32_e32 0, v0
	s_cbranch_execz .LBB48_387
; %bb.380:
	ds_read_b128 v[1:4], v104
	s_andn2_b32 vcc_lo, exec_lo, s56
	s_cbranch_vccnz .LBB48_382
; %bb.381:
	s_clause 0x3
	buffer_load_dword v105, v103, s[0:3], 0 offen offset:8
	buffer_load_dword v106, v103, s[0:3], 0 offen offset:12
	buffer_load_dword v107, v103, s[0:3], 0 offen
	buffer_load_dword v108, v103, s[0:3], 0 offen offset:4
	s_waitcnt vmcnt(2) lgkmcnt(0)
	v_mul_f64 v[110:111], v[3:4], v[105:106]
	v_mul_f64 v[105:106], v[1:2], v[105:106]
	s_waitcnt vmcnt(0)
	v_fma_f64 v[1:2], v[1:2], v[107:108], -v[110:111]
	v_fma_f64 v[3:4], v[3:4], v[107:108], v[105:106]
.LBB48_382:
	s_and_saveexec_b32 s5, s4
	s_cbranch_execz .LBB48_386
; %bb.383:
	v_add_nc_u32_e32 v105, -1, v0
	s_movk_i32 s58, 0x320
	s_mov_b32 s4, 0
	s_mov_b32 s59, s55
	.p2align	6
.LBB48_384:                             ; =>This Inner Loop Header: Depth=1
	v_mov_b32_e32 v108, s59
	v_add_nc_u32_e32 v105, -1, v105
	s_add_i32 s59, s59, 16
	s_clause 0x3
	buffer_load_dword v106, v108, s[0:3], 0 offen offset:8
	buffer_load_dword v107, v108, s[0:3], 0 offen offset:12
	buffer_load_dword v114, v108, s[0:3], 0 offen
	buffer_load_dword v115, v108, s[0:3], 0 offen offset:4
	v_mov_b32_e32 v108, s58
	v_cmp_eq_u32_e32 vcc_lo, 0, v105
	s_add_i32 s58, s58, 16
	ds_read_b128 v[110:113], v108
	s_or_b32 s4, vcc_lo, s4
	s_waitcnt vmcnt(2) lgkmcnt(0)
	v_mul_f64 v[116:117], v[112:113], v[106:107]
	v_mul_f64 v[106:107], v[110:111], v[106:107]
	s_waitcnt vmcnt(0)
	v_fma_f64 v[110:111], v[110:111], v[114:115], -v[116:117]
	v_fma_f64 v[106:107], v[112:113], v[114:115], v[106:107]
	v_add_f64 v[1:2], v[1:2], v[110:111]
	v_add_f64 v[3:4], v[3:4], v[106:107]
	s_andn2_b32 exec_lo, exec_lo, s4
	s_cbranch_execnz .LBB48_384
; %bb.385:
	s_or_b32 exec_lo, exec_lo, s4
.LBB48_386:
	s_or_b32 exec_lo, exec_lo, s5
	v_mov_b32_e32 v105, 0
	s_mov_b32 s5, exec_lo
	s_or_b32 s58, 0, 8
	ds_read_b128 v[105:108], v105
	s_waitcnt lgkmcnt(0)
	v_mul_f64 v[110:111], v[3:4], v[107:108]
	v_mul_f64 v[107:108], v[1:2], v[107:108]
	v_fma_f64 v[110:111], v[1:2], v[105:106], -v[110:111]
	v_fma_f64 v[1:2], v[3:4], v[105:106], v[107:108]
	buffer_store_dword v111, off, s[0:3], 0 offset:4
	buffer_store_dword v110, off, s[0:3], 0
.LBB48_387:
	s_or_b32 exec_lo, exec_lo, s57
	s_and_b32 vcc_lo, exec_lo, s8
	s_cbranch_vccnz .LBB48_389
	s_branch .LBB48_768
.LBB48_388:
	s_mov_b32 s5, 0
                                        ; implicit-def: $vgpr1_vgpr2
                                        ; implicit-def: $sgpr58
	s_cbranch_execz .LBB48_768
.LBB48_389:
	v_mov_b32_e32 v4, s55
	v_cmp_eq_u32_e64 s4, 0, v0
	v_cndmask_b32_e64 v105, 0, 1, s56
	s_clause 0x3
	buffer_load_dword v1, v4, s[0:3], 0 offen
	buffer_load_dword v2, v4, s[0:3], 0 offen offset:4
	buffer_load_dword v3, v4, s[0:3], 0 offen offset:8
	;; [unrolled: 1-line block ×3, first 2 shown]
	s_waitcnt vmcnt(0)
	ds_write_b128 v104, v[1:4]
	s_waitcnt lgkmcnt(0)
	s_waitcnt_vscnt null, 0x0
	s_barrier
	buffer_gl0_inv
	s_and_saveexec_b32 s8, s4
	s_cbranch_execz .LBB48_393
; %bb.390:
	ds_read_b128 v[1:4], v104
	s_andn2_b32 vcc_lo, exec_lo, s56
	s_cbranch_vccnz .LBB48_392
; %bb.391:
	s_clause 0x3
	buffer_load_dword v106, v103, s[0:3], 0 offen offset:8
	buffer_load_dword v107, v103, s[0:3], 0 offen offset:12
	buffer_load_dword v110, v103, s[0:3], 0 offen
	buffer_load_dword v111, v103, s[0:3], 0 offen offset:4
	s_waitcnt vmcnt(2) lgkmcnt(0)
	v_mul_f64 v[112:113], v[3:4], v[106:107]
	v_mul_f64 v[106:107], v[1:2], v[106:107]
	s_waitcnt vmcnt(0)
	v_fma_f64 v[1:2], v[1:2], v[110:111], -v[112:113]
	v_fma_f64 v[3:4], v[3:4], v[110:111], v[106:107]
.LBB48_392:
	v_mov_b32_e32 v106, 0
	ds_read_b128 v[110:113], v106 offset:16
	s_waitcnt lgkmcnt(0)
	v_mul_f64 v[106:107], v[3:4], v[112:113]
	v_mul_f64 v[112:113], v[1:2], v[112:113]
	v_fma_f64 v[1:2], v[1:2], v[110:111], -v[106:107]
	v_fma_f64 v[3:4], v[3:4], v[110:111], v[112:113]
	buffer_store_dword v2, off, s[0:3], 0 offset:20
	buffer_store_dword v1, off, s[0:3], 0 offset:16
	;; [unrolled: 1-line block ×4, first 2 shown]
.LBB48_393:
	s_or_b32 exec_lo, exec_lo, s8
	v_mov_b32_e32 v4, s54
	s_mov_b32 s8, exec_lo
	s_clause 0x3
	buffer_load_dword v1, v4, s[0:3], 0 offen
	buffer_load_dword v2, v4, s[0:3], 0 offen offset:4
	buffer_load_dword v3, v4, s[0:3], 0 offen offset:8
	;; [unrolled: 1-line block ×3, first 2 shown]
	s_waitcnt vmcnt(0)
	ds_write_b128 v104, v[1:4]
	s_waitcnt lgkmcnt(0)
	s_waitcnt_vscnt null, 0x0
	s_barrier
	buffer_gl0_inv
	v_cmpx_gt_u32_e32 2, v0
	s_cbranch_execz .LBB48_399
; %bb.394:
	ds_read_b128 v[1:4], v104
	v_cmp_ne_u32_e32 vcc_lo, 1, v105
	s_cbranch_vccnz .LBB48_396
; %bb.395:
	s_clause 0x3
	buffer_load_dword v106, v103, s[0:3], 0 offen offset:8
	buffer_load_dword v107, v103, s[0:3], 0 offen offset:12
	buffer_load_dword v110, v103, s[0:3], 0 offen
	buffer_load_dword v111, v103, s[0:3], 0 offen offset:4
	s_waitcnt vmcnt(2) lgkmcnt(0)
	v_mul_f64 v[112:113], v[3:4], v[106:107]
	v_mul_f64 v[106:107], v[1:2], v[106:107]
	s_waitcnt vmcnt(0)
	v_fma_f64 v[1:2], v[1:2], v[110:111], -v[112:113]
	v_fma_f64 v[3:4], v[3:4], v[110:111], v[106:107]
.LBB48_396:
	s_and_saveexec_b32 s56, s4
	s_cbranch_execz .LBB48_398
; %bb.397:
	s_clause 0x3
	buffer_load_dword v106, off, s[0:3], 0 offset:24
	buffer_load_dword v107, off, s[0:3], 0 offset:28
	;; [unrolled: 1-line block ×4, first 2 shown]
	v_mov_b32_e32 v108, 0
	ds_read_b128 v[110:113], v108 offset:800
	s_waitcnt vmcnt(2) lgkmcnt(0)
	v_mul_f64 v[116:117], v[112:113], v[106:107]
	v_mul_f64 v[106:107], v[110:111], v[106:107]
	s_waitcnt vmcnt(0)
	v_fma_f64 v[110:111], v[110:111], v[114:115], -v[116:117]
	v_fma_f64 v[106:107], v[112:113], v[114:115], v[106:107]
	v_add_f64 v[1:2], v[1:2], v[110:111]
	v_add_f64 v[3:4], v[3:4], v[106:107]
.LBB48_398:
	s_or_b32 exec_lo, exec_lo, s56
	v_mov_b32_e32 v106, 0
	ds_read_b128 v[110:113], v106 offset:32
	s_waitcnt lgkmcnt(0)
	v_mul_f64 v[106:107], v[3:4], v[112:113]
	v_mul_f64 v[112:113], v[1:2], v[112:113]
	v_fma_f64 v[1:2], v[1:2], v[110:111], -v[106:107]
	v_fma_f64 v[3:4], v[3:4], v[110:111], v[112:113]
	buffer_store_dword v2, off, s[0:3], 0 offset:36
	buffer_store_dword v1, off, s[0:3], 0 offset:32
	;; [unrolled: 1-line block ×4, first 2 shown]
.LBB48_399:
	s_or_b32 exec_lo, exec_lo, s8
	v_mov_b32_e32 v4, s53
	s_mov_b32 s8, exec_lo
	s_clause 0x3
	buffer_load_dword v1, v4, s[0:3], 0 offen
	buffer_load_dword v2, v4, s[0:3], 0 offen offset:4
	buffer_load_dword v3, v4, s[0:3], 0 offen offset:8
	;; [unrolled: 1-line block ×3, first 2 shown]
	s_waitcnt vmcnt(0)
	ds_write_b128 v104, v[1:4]
	s_waitcnt lgkmcnt(0)
	s_waitcnt_vscnt null, 0x0
	s_barrier
	buffer_gl0_inv
	v_cmpx_gt_u32_e32 3, v0
	s_cbranch_execz .LBB48_407
; %bb.400:
	ds_read_b128 v[1:4], v104
	v_cmp_ne_u32_e32 vcc_lo, 1, v105
	s_cbranch_vccnz .LBB48_402
; %bb.401:
	s_clause 0x3
	buffer_load_dword v106, v103, s[0:3], 0 offen offset:8
	buffer_load_dword v107, v103, s[0:3], 0 offen offset:12
	buffer_load_dword v110, v103, s[0:3], 0 offen
	buffer_load_dword v111, v103, s[0:3], 0 offen offset:4
	s_waitcnt vmcnt(2) lgkmcnt(0)
	v_mul_f64 v[112:113], v[3:4], v[106:107]
	v_mul_f64 v[106:107], v[1:2], v[106:107]
	s_waitcnt vmcnt(0)
	v_fma_f64 v[1:2], v[1:2], v[110:111], -v[112:113]
	v_fma_f64 v[3:4], v[3:4], v[110:111], v[106:107]
.LBB48_402:
	s_mov_b32 s56, exec_lo
	v_cmpx_ne_u32_e32 2, v0
	s_cbranch_execz .LBB48_406
; %bb.403:
	s_clause 0x3
	buffer_load_dword v106, v103, s[0:3], 0 offen offset:24
	buffer_load_dword v107, v103, s[0:3], 0 offen offset:28
	;; [unrolled: 1-line block ×4, first 2 shown]
	ds_read_b128 v[110:113], v104 offset:16
	s_waitcnt vmcnt(2) lgkmcnt(0)
	v_mul_f64 v[116:117], v[112:113], v[106:107]
	v_mul_f64 v[106:107], v[110:111], v[106:107]
	s_waitcnt vmcnt(0)
	v_fma_f64 v[110:111], v[110:111], v[114:115], -v[116:117]
	v_fma_f64 v[106:107], v[112:113], v[114:115], v[106:107]
	v_add_f64 v[1:2], v[1:2], v[110:111]
	v_add_f64 v[3:4], v[3:4], v[106:107]
	s_and_saveexec_b32 s57, s4
	s_cbranch_execz .LBB48_405
; %bb.404:
	s_clause 0x3
	buffer_load_dword v106, off, s[0:3], 0 offset:40
	buffer_load_dword v107, off, s[0:3], 0 offset:44
	;; [unrolled: 1-line block ×4, first 2 shown]
	v_mov_b32_e32 v108, 0
	ds_read_b128 v[110:113], v108 offset:816
	s_waitcnt vmcnt(2) lgkmcnt(0)
	v_mul_f64 v[116:117], v[110:111], v[106:107]
	v_mul_f64 v[106:107], v[112:113], v[106:107]
	s_waitcnt vmcnt(0)
	v_fma_f64 v[112:113], v[112:113], v[114:115], v[116:117]
	v_fma_f64 v[106:107], v[110:111], v[114:115], -v[106:107]
	v_add_f64 v[3:4], v[3:4], v[112:113]
	v_add_f64 v[1:2], v[1:2], v[106:107]
.LBB48_405:
	s_or_b32 exec_lo, exec_lo, s57
.LBB48_406:
	s_or_b32 exec_lo, exec_lo, s56
	v_mov_b32_e32 v106, 0
	ds_read_b128 v[110:113], v106 offset:48
	s_waitcnt lgkmcnt(0)
	v_mul_f64 v[106:107], v[3:4], v[112:113]
	v_mul_f64 v[112:113], v[1:2], v[112:113]
	v_fma_f64 v[1:2], v[1:2], v[110:111], -v[106:107]
	v_fma_f64 v[3:4], v[3:4], v[110:111], v[112:113]
	buffer_store_dword v2, off, s[0:3], 0 offset:52
	buffer_store_dword v1, off, s[0:3], 0 offset:48
	buffer_store_dword v4, off, s[0:3], 0 offset:60
	buffer_store_dword v3, off, s[0:3], 0 offset:56
.LBB48_407:
	s_or_b32 exec_lo, exec_lo, s8
	v_mov_b32_e32 v4, s52
	s_mov_b32 s4, exec_lo
	s_clause 0x3
	buffer_load_dword v1, v4, s[0:3], 0 offen
	buffer_load_dword v2, v4, s[0:3], 0 offen offset:4
	buffer_load_dword v3, v4, s[0:3], 0 offen offset:8
	;; [unrolled: 1-line block ×3, first 2 shown]
	s_waitcnt vmcnt(0)
	ds_write_b128 v104, v[1:4]
	s_waitcnt lgkmcnt(0)
	s_waitcnt_vscnt null, 0x0
	s_barrier
	buffer_gl0_inv
	v_cmpx_gt_u32_e32 4, v0
	s_cbranch_execz .LBB48_415
; %bb.408:
	ds_read_b128 v[1:4], v104
	v_cmp_ne_u32_e32 vcc_lo, 1, v105
	s_cbranch_vccnz .LBB48_410
; %bb.409:
	s_clause 0x3
	buffer_load_dword v106, v103, s[0:3], 0 offen offset:8
	buffer_load_dword v107, v103, s[0:3], 0 offen offset:12
	buffer_load_dword v110, v103, s[0:3], 0 offen
	buffer_load_dword v111, v103, s[0:3], 0 offen offset:4
	s_waitcnt vmcnt(2) lgkmcnt(0)
	v_mul_f64 v[112:113], v[3:4], v[106:107]
	v_mul_f64 v[106:107], v[1:2], v[106:107]
	s_waitcnt vmcnt(0)
	v_fma_f64 v[1:2], v[1:2], v[110:111], -v[112:113]
	v_fma_f64 v[3:4], v[3:4], v[110:111], v[106:107]
.LBB48_410:
	s_mov_b32 s8, exec_lo
	v_cmpx_ne_u32_e32 3, v0
	s_cbranch_execz .LBB48_414
; %bb.411:
	v_add_nc_u32_e32 v106, 0x320, v109
	v_add3_u32 v107, 0, v109, 16
	v_mov_b32_e32 v108, v0
	s_mov_b32 s56, 0
	.p2align	6
.LBB48_412:                             ; =>This Inner Loop Header: Depth=1
	s_clause 0x3
	buffer_load_dword v114, v107, s[0:3], 0 offen offset:8
	buffer_load_dword v115, v107, s[0:3], 0 offen offset:12
	buffer_load_dword v116, v107, s[0:3], 0 offen
	buffer_load_dword v117, v107, s[0:3], 0 offen offset:4
	ds_read_b128 v[110:113], v106
	v_add_nc_u32_e32 v108, 1, v108
	v_add_nc_u32_e32 v106, 16, v106
	;; [unrolled: 1-line block ×3, first 2 shown]
	v_cmp_lt_u32_e32 vcc_lo, 2, v108
	s_or_b32 s56, vcc_lo, s56
	s_waitcnt vmcnt(2) lgkmcnt(0)
	v_mul_f64 v[118:119], v[112:113], v[114:115]
	v_mul_f64 v[114:115], v[110:111], v[114:115]
	s_waitcnt vmcnt(0)
	v_fma_f64 v[110:111], v[110:111], v[116:117], -v[118:119]
	v_fma_f64 v[112:113], v[112:113], v[116:117], v[114:115]
	v_add_f64 v[1:2], v[1:2], v[110:111]
	v_add_f64 v[3:4], v[3:4], v[112:113]
	s_andn2_b32 exec_lo, exec_lo, s56
	s_cbranch_execnz .LBB48_412
; %bb.413:
	s_or_b32 exec_lo, exec_lo, s56
.LBB48_414:
	s_or_b32 exec_lo, exec_lo, s8
	v_mov_b32_e32 v106, 0
	ds_read_b128 v[110:113], v106 offset:64
	s_waitcnt lgkmcnt(0)
	v_mul_f64 v[106:107], v[3:4], v[112:113]
	v_mul_f64 v[112:113], v[1:2], v[112:113]
	v_fma_f64 v[1:2], v[1:2], v[110:111], -v[106:107]
	v_fma_f64 v[3:4], v[3:4], v[110:111], v[112:113]
	buffer_store_dword v2, off, s[0:3], 0 offset:68
	buffer_store_dword v1, off, s[0:3], 0 offset:64
	;; [unrolled: 1-line block ×4, first 2 shown]
.LBB48_415:
	s_or_b32 exec_lo, exec_lo, s4
	v_mov_b32_e32 v4, s51
	s_mov_b32 s4, exec_lo
	s_clause 0x3
	buffer_load_dword v1, v4, s[0:3], 0 offen
	buffer_load_dword v2, v4, s[0:3], 0 offen offset:4
	buffer_load_dword v3, v4, s[0:3], 0 offen offset:8
	;; [unrolled: 1-line block ×3, first 2 shown]
	s_waitcnt vmcnt(0)
	ds_write_b128 v104, v[1:4]
	s_waitcnt lgkmcnt(0)
	s_waitcnt_vscnt null, 0x0
	s_barrier
	buffer_gl0_inv
	v_cmpx_gt_u32_e32 5, v0
	s_cbranch_execz .LBB48_423
; %bb.416:
	ds_read_b128 v[1:4], v104
	v_cmp_ne_u32_e32 vcc_lo, 1, v105
	s_cbranch_vccnz .LBB48_418
; %bb.417:
	s_clause 0x3
	buffer_load_dword v106, v103, s[0:3], 0 offen offset:8
	buffer_load_dword v107, v103, s[0:3], 0 offen offset:12
	buffer_load_dword v110, v103, s[0:3], 0 offen
	buffer_load_dword v111, v103, s[0:3], 0 offen offset:4
	s_waitcnt vmcnt(2) lgkmcnt(0)
	v_mul_f64 v[112:113], v[3:4], v[106:107]
	v_mul_f64 v[106:107], v[1:2], v[106:107]
	s_waitcnt vmcnt(0)
	v_fma_f64 v[1:2], v[1:2], v[110:111], -v[112:113]
	v_fma_f64 v[3:4], v[3:4], v[110:111], v[106:107]
.LBB48_418:
	s_mov_b32 s8, exec_lo
	v_cmpx_ne_u32_e32 4, v0
	s_cbranch_execz .LBB48_422
; %bb.419:
	v_add_nc_u32_e32 v106, 0x320, v109
	v_add3_u32 v107, 0, v109, 16
	v_mov_b32_e32 v108, v0
	s_mov_b32 s56, 0
	.p2align	6
.LBB48_420:                             ; =>This Inner Loop Header: Depth=1
	s_clause 0x3
	buffer_load_dword v114, v107, s[0:3], 0 offen offset:8
	buffer_load_dword v115, v107, s[0:3], 0 offen offset:12
	buffer_load_dword v116, v107, s[0:3], 0 offen
	buffer_load_dword v117, v107, s[0:3], 0 offen offset:4
	ds_read_b128 v[110:113], v106
	v_add_nc_u32_e32 v108, 1, v108
	v_add_nc_u32_e32 v106, 16, v106
	;; [unrolled: 1-line block ×3, first 2 shown]
	v_cmp_lt_u32_e32 vcc_lo, 3, v108
	s_or_b32 s56, vcc_lo, s56
	s_waitcnt vmcnt(2) lgkmcnt(0)
	v_mul_f64 v[118:119], v[112:113], v[114:115]
	v_mul_f64 v[114:115], v[110:111], v[114:115]
	s_waitcnt vmcnt(0)
	v_fma_f64 v[110:111], v[110:111], v[116:117], -v[118:119]
	v_fma_f64 v[112:113], v[112:113], v[116:117], v[114:115]
	v_add_f64 v[1:2], v[1:2], v[110:111]
	v_add_f64 v[3:4], v[3:4], v[112:113]
	s_andn2_b32 exec_lo, exec_lo, s56
	s_cbranch_execnz .LBB48_420
; %bb.421:
	s_or_b32 exec_lo, exec_lo, s56
.LBB48_422:
	s_or_b32 exec_lo, exec_lo, s8
	v_mov_b32_e32 v106, 0
	ds_read_b128 v[110:113], v106 offset:80
	s_waitcnt lgkmcnt(0)
	v_mul_f64 v[106:107], v[3:4], v[112:113]
	v_mul_f64 v[112:113], v[1:2], v[112:113]
	v_fma_f64 v[1:2], v[1:2], v[110:111], -v[106:107]
	v_fma_f64 v[3:4], v[3:4], v[110:111], v[112:113]
	buffer_store_dword v2, off, s[0:3], 0 offset:84
	buffer_store_dword v1, off, s[0:3], 0 offset:80
	;; [unrolled: 1-line block ×4, first 2 shown]
.LBB48_423:
	s_or_b32 exec_lo, exec_lo, s4
	v_mov_b32_e32 v4, s50
	s_mov_b32 s4, exec_lo
	s_clause 0x3
	buffer_load_dword v1, v4, s[0:3], 0 offen
	buffer_load_dword v2, v4, s[0:3], 0 offen offset:4
	buffer_load_dword v3, v4, s[0:3], 0 offen offset:8
	;; [unrolled: 1-line block ×3, first 2 shown]
	s_waitcnt vmcnt(0)
	ds_write_b128 v104, v[1:4]
	s_waitcnt lgkmcnt(0)
	s_waitcnt_vscnt null, 0x0
	s_barrier
	buffer_gl0_inv
	v_cmpx_gt_u32_e32 6, v0
	s_cbranch_execz .LBB48_431
; %bb.424:
	ds_read_b128 v[1:4], v104
	v_cmp_ne_u32_e32 vcc_lo, 1, v105
	s_cbranch_vccnz .LBB48_426
; %bb.425:
	s_clause 0x3
	buffer_load_dword v106, v103, s[0:3], 0 offen offset:8
	buffer_load_dword v107, v103, s[0:3], 0 offen offset:12
	buffer_load_dword v110, v103, s[0:3], 0 offen
	buffer_load_dword v111, v103, s[0:3], 0 offen offset:4
	s_waitcnt vmcnt(2) lgkmcnt(0)
	v_mul_f64 v[112:113], v[3:4], v[106:107]
	v_mul_f64 v[106:107], v[1:2], v[106:107]
	s_waitcnt vmcnt(0)
	v_fma_f64 v[1:2], v[1:2], v[110:111], -v[112:113]
	v_fma_f64 v[3:4], v[3:4], v[110:111], v[106:107]
.LBB48_426:
	s_mov_b32 s8, exec_lo
	v_cmpx_ne_u32_e32 5, v0
	s_cbranch_execz .LBB48_430
; %bb.427:
	v_add_nc_u32_e32 v106, 0x320, v109
	v_add3_u32 v107, 0, v109, 16
	v_mov_b32_e32 v108, v0
	s_mov_b32 s56, 0
	.p2align	6
.LBB48_428:                             ; =>This Inner Loop Header: Depth=1
	s_clause 0x3
	buffer_load_dword v114, v107, s[0:3], 0 offen offset:8
	buffer_load_dword v115, v107, s[0:3], 0 offen offset:12
	buffer_load_dword v116, v107, s[0:3], 0 offen
	buffer_load_dword v117, v107, s[0:3], 0 offen offset:4
	ds_read_b128 v[110:113], v106
	v_add_nc_u32_e32 v108, 1, v108
	v_add_nc_u32_e32 v106, 16, v106
	;; [unrolled: 1-line block ×3, first 2 shown]
	v_cmp_lt_u32_e32 vcc_lo, 4, v108
	s_or_b32 s56, vcc_lo, s56
	s_waitcnt vmcnt(2) lgkmcnt(0)
	v_mul_f64 v[118:119], v[112:113], v[114:115]
	v_mul_f64 v[114:115], v[110:111], v[114:115]
	s_waitcnt vmcnt(0)
	v_fma_f64 v[110:111], v[110:111], v[116:117], -v[118:119]
	v_fma_f64 v[112:113], v[112:113], v[116:117], v[114:115]
	v_add_f64 v[1:2], v[1:2], v[110:111]
	v_add_f64 v[3:4], v[3:4], v[112:113]
	s_andn2_b32 exec_lo, exec_lo, s56
	s_cbranch_execnz .LBB48_428
; %bb.429:
	s_or_b32 exec_lo, exec_lo, s56
.LBB48_430:
	s_or_b32 exec_lo, exec_lo, s8
	v_mov_b32_e32 v106, 0
	ds_read_b128 v[110:113], v106 offset:96
	s_waitcnt lgkmcnt(0)
	v_mul_f64 v[106:107], v[3:4], v[112:113]
	v_mul_f64 v[112:113], v[1:2], v[112:113]
	v_fma_f64 v[1:2], v[1:2], v[110:111], -v[106:107]
	v_fma_f64 v[3:4], v[3:4], v[110:111], v[112:113]
	buffer_store_dword v2, off, s[0:3], 0 offset:100
	buffer_store_dword v1, off, s[0:3], 0 offset:96
	;; [unrolled: 1-line block ×4, first 2 shown]
.LBB48_431:
	s_or_b32 exec_lo, exec_lo, s4
	v_mov_b32_e32 v4, s49
	s_mov_b32 s4, exec_lo
	s_clause 0x3
	buffer_load_dword v1, v4, s[0:3], 0 offen
	buffer_load_dword v2, v4, s[0:3], 0 offen offset:4
	buffer_load_dword v3, v4, s[0:3], 0 offen offset:8
	;; [unrolled: 1-line block ×3, first 2 shown]
	s_waitcnt vmcnt(0)
	ds_write_b128 v104, v[1:4]
	s_waitcnt lgkmcnt(0)
	s_waitcnt_vscnt null, 0x0
	s_barrier
	buffer_gl0_inv
	v_cmpx_gt_u32_e32 7, v0
	s_cbranch_execz .LBB48_439
; %bb.432:
	ds_read_b128 v[1:4], v104
	v_cmp_ne_u32_e32 vcc_lo, 1, v105
	s_cbranch_vccnz .LBB48_434
; %bb.433:
	s_clause 0x3
	buffer_load_dword v106, v103, s[0:3], 0 offen offset:8
	buffer_load_dword v107, v103, s[0:3], 0 offen offset:12
	buffer_load_dword v110, v103, s[0:3], 0 offen
	buffer_load_dword v111, v103, s[0:3], 0 offen offset:4
	s_waitcnt vmcnt(2) lgkmcnt(0)
	v_mul_f64 v[112:113], v[3:4], v[106:107]
	v_mul_f64 v[106:107], v[1:2], v[106:107]
	s_waitcnt vmcnt(0)
	v_fma_f64 v[1:2], v[1:2], v[110:111], -v[112:113]
	v_fma_f64 v[3:4], v[3:4], v[110:111], v[106:107]
.LBB48_434:
	s_mov_b32 s8, exec_lo
	v_cmpx_ne_u32_e32 6, v0
	s_cbranch_execz .LBB48_438
; %bb.435:
	v_add_nc_u32_e32 v106, 0x320, v109
	v_add3_u32 v107, 0, v109, 16
	v_mov_b32_e32 v108, v0
	s_mov_b32 s56, 0
	.p2align	6
.LBB48_436:                             ; =>This Inner Loop Header: Depth=1
	s_clause 0x3
	buffer_load_dword v114, v107, s[0:3], 0 offen offset:8
	buffer_load_dword v115, v107, s[0:3], 0 offen offset:12
	buffer_load_dword v116, v107, s[0:3], 0 offen
	buffer_load_dword v117, v107, s[0:3], 0 offen offset:4
	ds_read_b128 v[110:113], v106
	v_add_nc_u32_e32 v108, 1, v108
	v_add_nc_u32_e32 v106, 16, v106
	;; [unrolled: 1-line block ×3, first 2 shown]
	v_cmp_lt_u32_e32 vcc_lo, 5, v108
	s_or_b32 s56, vcc_lo, s56
	s_waitcnt vmcnt(2) lgkmcnt(0)
	v_mul_f64 v[118:119], v[112:113], v[114:115]
	v_mul_f64 v[114:115], v[110:111], v[114:115]
	s_waitcnt vmcnt(0)
	v_fma_f64 v[110:111], v[110:111], v[116:117], -v[118:119]
	v_fma_f64 v[112:113], v[112:113], v[116:117], v[114:115]
	v_add_f64 v[1:2], v[1:2], v[110:111]
	v_add_f64 v[3:4], v[3:4], v[112:113]
	s_andn2_b32 exec_lo, exec_lo, s56
	s_cbranch_execnz .LBB48_436
; %bb.437:
	s_or_b32 exec_lo, exec_lo, s56
.LBB48_438:
	s_or_b32 exec_lo, exec_lo, s8
	v_mov_b32_e32 v106, 0
	ds_read_b128 v[110:113], v106 offset:112
	s_waitcnt lgkmcnt(0)
	v_mul_f64 v[106:107], v[3:4], v[112:113]
	v_mul_f64 v[112:113], v[1:2], v[112:113]
	v_fma_f64 v[1:2], v[1:2], v[110:111], -v[106:107]
	v_fma_f64 v[3:4], v[3:4], v[110:111], v[112:113]
	buffer_store_dword v2, off, s[0:3], 0 offset:116
	buffer_store_dword v1, off, s[0:3], 0 offset:112
	buffer_store_dword v4, off, s[0:3], 0 offset:124
	buffer_store_dword v3, off, s[0:3], 0 offset:120
.LBB48_439:
	s_or_b32 exec_lo, exec_lo, s4
	v_mov_b32_e32 v4, s48
	s_mov_b32 s4, exec_lo
	s_clause 0x3
	buffer_load_dword v1, v4, s[0:3], 0 offen
	buffer_load_dword v2, v4, s[0:3], 0 offen offset:4
	buffer_load_dword v3, v4, s[0:3], 0 offen offset:8
	;; [unrolled: 1-line block ×3, first 2 shown]
	s_waitcnt vmcnt(0)
	ds_write_b128 v104, v[1:4]
	s_waitcnt lgkmcnt(0)
	s_waitcnt_vscnt null, 0x0
	s_barrier
	buffer_gl0_inv
	v_cmpx_gt_u32_e32 8, v0
	s_cbranch_execz .LBB48_447
; %bb.440:
	ds_read_b128 v[1:4], v104
	v_cmp_ne_u32_e32 vcc_lo, 1, v105
	s_cbranch_vccnz .LBB48_442
; %bb.441:
	s_clause 0x3
	buffer_load_dword v106, v103, s[0:3], 0 offen offset:8
	buffer_load_dword v107, v103, s[0:3], 0 offen offset:12
	buffer_load_dword v110, v103, s[0:3], 0 offen
	buffer_load_dword v111, v103, s[0:3], 0 offen offset:4
	s_waitcnt vmcnt(2) lgkmcnt(0)
	v_mul_f64 v[112:113], v[3:4], v[106:107]
	v_mul_f64 v[106:107], v[1:2], v[106:107]
	s_waitcnt vmcnt(0)
	v_fma_f64 v[1:2], v[1:2], v[110:111], -v[112:113]
	v_fma_f64 v[3:4], v[3:4], v[110:111], v[106:107]
.LBB48_442:
	s_mov_b32 s8, exec_lo
	v_cmpx_ne_u32_e32 7, v0
	s_cbranch_execz .LBB48_446
; %bb.443:
	v_add_nc_u32_e32 v106, 0x320, v109
	v_add3_u32 v107, 0, v109, 16
	v_mov_b32_e32 v108, v0
	s_mov_b32 s56, 0
	.p2align	6
.LBB48_444:                             ; =>This Inner Loop Header: Depth=1
	s_clause 0x3
	buffer_load_dword v114, v107, s[0:3], 0 offen offset:8
	buffer_load_dword v115, v107, s[0:3], 0 offen offset:12
	buffer_load_dword v116, v107, s[0:3], 0 offen
	buffer_load_dword v117, v107, s[0:3], 0 offen offset:4
	ds_read_b128 v[110:113], v106
	v_add_nc_u32_e32 v108, 1, v108
	v_add_nc_u32_e32 v106, 16, v106
	v_add_nc_u32_e32 v107, 16, v107
	v_cmp_lt_u32_e32 vcc_lo, 6, v108
	s_or_b32 s56, vcc_lo, s56
	s_waitcnt vmcnt(2) lgkmcnt(0)
	v_mul_f64 v[118:119], v[112:113], v[114:115]
	v_mul_f64 v[114:115], v[110:111], v[114:115]
	s_waitcnt vmcnt(0)
	v_fma_f64 v[110:111], v[110:111], v[116:117], -v[118:119]
	v_fma_f64 v[112:113], v[112:113], v[116:117], v[114:115]
	v_add_f64 v[1:2], v[1:2], v[110:111]
	v_add_f64 v[3:4], v[3:4], v[112:113]
	s_andn2_b32 exec_lo, exec_lo, s56
	s_cbranch_execnz .LBB48_444
; %bb.445:
	s_or_b32 exec_lo, exec_lo, s56
.LBB48_446:
	s_or_b32 exec_lo, exec_lo, s8
	v_mov_b32_e32 v106, 0
	ds_read_b128 v[110:113], v106 offset:128
	s_waitcnt lgkmcnt(0)
	v_mul_f64 v[106:107], v[3:4], v[112:113]
	v_mul_f64 v[112:113], v[1:2], v[112:113]
	v_fma_f64 v[1:2], v[1:2], v[110:111], -v[106:107]
	v_fma_f64 v[3:4], v[3:4], v[110:111], v[112:113]
	buffer_store_dword v2, off, s[0:3], 0 offset:132
	buffer_store_dword v1, off, s[0:3], 0 offset:128
	;; [unrolled: 1-line block ×4, first 2 shown]
.LBB48_447:
	s_or_b32 exec_lo, exec_lo, s4
	v_mov_b32_e32 v4, s47
	s_mov_b32 s4, exec_lo
	s_clause 0x3
	buffer_load_dword v1, v4, s[0:3], 0 offen
	buffer_load_dword v2, v4, s[0:3], 0 offen offset:4
	buffer_load_dword v3, v4, s[0:3], 0 offen offset:8
	;; [unrolled: 1-line block ×3, first 2 shown]
	s_waitcnt vmcnt(0)
	ds_write_b128 v104, v[1:4]
	s_waitcnt lgkmcnt(0)
	s_waitcnt_vscnt null, 0x0
	s_barrier
	buffer_gl0_inv
	v_cmpx_gt_u32_e32 9, v0
	s_cbranch_execz .LBB48_455
; %bb.448:
	ds_read_b128 v[1:4], v104
	v_cmp_ne_u32_e32 vcc_lo, 1, v105
	s_cbranch_vccnz .LBB48_450
; %bb.449:
	s_clause 0x3
	buffer_load_dword v106, v103, s[0:3], 0 offen offset:8
	buffer_load_dword v107, v103, s[0:3], 0 offen offset:12
	buffer_load_dword v110, v103, s[0:3], 0 offen
	buffer_load_dword v111, v103, s[0:3], 0 offen offset:4
	s_waitcnt vmcnt(2) lgkmcnt(0)
	v_mul_f64 v[112:113], v[3:4], v[106:107]
	v_mul_f64 v[106:107], v[1:2], v[106:107]
	s_waitcnt vmcnt(0)
	v_fma_f64 v[1:2], v[1:2], v[110:111], -v[112:113]
	v_fma_f64 v[3:4], v[3:4], v[110:111], v[106:107]
.LBB48_450:
	s_mov_b32 s8, exec_lo
	v_cmpx_ne_u32_e32 8, v0
	s_cbranch_execz .LBB48_454
; %bb.451:
	v_add_nc_u32_e32 v106, 0x320, v109
	v_add3_u32 v107, 0, v109, 16
	v_mov_b32_e32 v108, v0
	s_mov_b32 s56, 0
	.p2align	6
.LBB48_452:                             ; =>This Inner Loop Header: Depth=1
	s_clause 0x3
	buffer_load_dword v114, v107, s[0:3], 0 offen offset:8
	buffer_load_dword v115, v107, s[0:3], 0 offen offset:12
	buffer_load_dword v116, v107, s[0:3], 0 offen
	buffer_load_dword v117, v107, s[0:3], 0 offen offset:4
	ds_read_b128 v[110:113], v106
	v_add_nc_u32_e32 v108, 1, v108
	v_add_nc_u32_e32 v106, 16, v106
	;; [unrolled: 1-line block ×3, first 2 shown]
	v_cmp_lt_u32_e32 vcc_lo, 7, v108
	s_or_b32 s56, vcc_lo, s56
	s_waitcnt vmcnt(2) lgkmcnt(0)
	v_mul_f64 v[118:119], v[112:113], v[114:115]
	v_mul_f64 v[114:115], v[110:111], v[114:115]
	s_waitcnt vmcnt(0)
	v_fma_f64 v[110:111], v[110:111], v[116:117], -v[118:119]
	v_fma_f64 v[112:113], v[112:113], v[116:117], v[114:115]
	v_add_f64 v[1:2], v[1:2], v[110:111]
	v_add_f64 v[3:4], v[3:4], v[112:113]
	s_andn2_b32 exec_lo, exec_lo, s56
	s_cbranch_execnz .LBB48_452
; %bb.453:
	s_or_b32 exec_lo, exec_lo, s56
.LBB48_454:
	s_or_b32 exec_lo, exec_lo, s8
	v_mov_b32_e32 v106, 0
	ds_read_b128 v[110:113], v106 offset:144
	s_waitcnt lgkmcnt(0)
	v_mul_f64 v[106:107], v[3:4], v[112:113]
	v_mul_f64 v[112:113], v[1:2], v[112:113]
	v_fma_f64 v[1:2], v[1:2], v[110:111], -v[106:107]
	v_fma_f64 v[3:4], v[3:4], v[110:111], v[112:113]
	buffer_store_dword v2, off, s[0:3], 0 offset:148
	buffer_store_dword v1, off, s[0:3], 0 offset:144
	;; [unrolled: 1-line block ×4, first 2 shown]
.LBB48_455:
	s_or_b32 exec_lo, exec_lo, s4
	v_mov_b32_e32 v4, s46
	s_mov_b32 s4, exec_lo
	s_clause 0x3
	buffer_load_dword v1, v4, s[0:3], 0 offen
	buffer_load_dword v2, v4, s[0:3], 0 offen offset:4
	buffer_load_dword v3, v4, s[0:3], 0 offen offset:8
	;; [unrolled: 1-line block ×3, first 2 shown]
	s_waitcnt vmcnt(0)
	ds_write_b128 v104, v[1:4]
	s_waitcnt lgkmcnt(0)
	s_waitcnt_vscnt null, 0x0
	s_barrier
	buffer_gl0_inv
	v_cmpx_gt_u32_e32 10, v0
	s_cbranch_execz .LBB48_463
; %bb.456:
	ds_read_b128 v[1:4], v104
	v_cmp_ne_u32_e32 vcc_lo, 1, v105
	s_cbranch_vccnz .LBB48_458
; %bb.457:
	s_clause 0x3
	buffer_load_dword v106, v103, s[0:3], 0 offen offset:8
	buffer_load_dword v107, v103, s[0:3], 0 offen offset:12
	buffer_load_dword v110, v103, s[0:3], 0 offen
	buffer_load_dword v111, v103, s[0:3], 0 offen offset:4
	s_waitcnt vmcnt(2) lgkmcnt(0)
	v_mul_f64 v[112:113], v[3:4], v[106:107]
	v_mul_f64 v[106:107], v[1:2], v[106:107]
	s_waitcnt vmcnt(0)
	v_fma_f64 v[1:2], v[1:2], v[110:111], -v[112:113]
	v_fma_f64 v[3:4], v[3:4], v[110:111], v[106:107]
.LBB48_458:
	s_mov_b32 s8, exec_lo
	v_cmpx_ne_u32_e32 9, v0
	s_cbranch_execz .LBB48_462
; %bb.459:
	v_add_nc_u32_e32 v106, 0x320, v109
	v_add3_u32 v107, 0, v109, 16
	v_mov_b32_e32 v108, v0
	s_mov_b32 s56, 0
	.p2align	6
.LBB48_460:                             ; =>This Inner Loop Header: Depth=1
	s_clause 0x3
	buffer_load_dword v114, v107, s[0:3], 0 offen offset:8
	buffer_load_dword v115, v107, s[0:3], 0 offen offset:12
	buffer_load_dword v116, v107, s[0:3], 0 offen
	buffer_load_dword v117, v107, s[0:3], 0 offen offset:4
	ds_read_b128 v[110:113], v106
	v_add_nc_u32_e32 v108, 1, v108
	v_add_nc_u32_e32 v106, 16, v106
	;; [unrolled: 1-line block ×3, first 2 shown]
	v_cmp_lt_u32_e32 vcc_lo, 8, v108
	s_or_b32 s56, vcc_lo, s56
	s_waitcnt vmcnt(2) lgkmcnt(0)
	v_mul_f64 v[118:119], v[112:113], v[114:115]
	v_mul_f64 v[114:115], v[110:111], v[114:115]
	s_waitcnt vmcnt(0)
	v_fma_f64 v[110:111], v[110:111], v[116:117], -v[118:119]
	v_fma_f64 v[112:113], v[112:113], v[116:117], v[114:115]
	v_add_f64 v[1:2], v[1:2], v[110:111]
	v_add_f64 v[3:4], v[3:4], v[112:113]
	s_andn2_b32 exec_lo, exec_lo, s56
	s_cbranch_execnz .LBB48_460
; %bb.461:
	s_or_b32 exec_lo, exec_lo, s56
.LBB48_462:
	s_or_b32 exec_lo, exec_lo, s8
	v_mov_b32_e32 v106, 0
	ds_read_b128 v[110:113], v106 offset:160
	s_waitcnt lgkmcnt(0)
	v_mul_f64 v[106:107], v[3:4], v[112:113]
	v_mul_f64 v[112:113], v[1:2], v[112:113]
	v_fma_f64 v[1:2], v[1:2], v[110:111], -v[106:107]
	v_fma_f64 v[3:4], v[3:4], v[110:111], v[112:113]
	buffer_store_dword v2, off, s[0:3], 0 offset:164
	buffer_store_dword v1, off, s[0:3], 0 offset:160
	;; [unrolled: 1-line block ×4, first 2 shown]
.LBB48_463:
	s_or_b32 exec_lo, exec_lo, s4
	v_mov_b32_e32 v4, s45
	s_mov_b32 s4, exec_lo
	s_clause 0x3
	buffer_load_dword v1, v4, s[0:3], 0 offen
	buffer_load_dword v2, v4, s[0:3], 0 offen offset:4
	buffer_load_dword v3, v4, s[0:3], 0 offen offset:8
	;; [unrolled: 1-line block ×3, first 2 shown]
	s_waitcnt vmcnt(0)
	ds_write_b128 v104, v[1:4]
	s_waitcnt lgkmcnt(0)
	s_waitcnt_vscnt null, 0x0
	s_barrier
	buffer_gl0_inv
	v_cmpx_gt_u32_e32 11, v0
	s_cbranch_execz .LBB48_471
; %bb.464:
	ds_read_b128 v[1:4], v104
	v_cmp_ne_u32_e32 vcc_lo, 1, v105
	s_cbranch_vccnz .LBB48_466
; %bb.465:
	s_clause 0x3
	buffer_load_dword v106, v103, s[0:3], 0 offen offset:8
	buffer_load_dword v107, v103, s[0:3], 0 offen offset:12
	buffer_load_dword v110, v103, s[0:3], 0 offen
	buffer_load_dword v111, v103, s[0:3], 0 offen offset:4
	s_waitcnt vmcnt(2) lgkmcnt(0)
	v_mul_f64 v[112:113], v[3:4], v[106:107]
	v_mul_f64 v[106:107], v[1:2], v[106:107]
	s_waitcnt vmcnt(0)
	v_fma_f64 v[1:2], v[1:2], v[110:111], -v[112:113]
	v_fma_f64 v[3:4], v[3:4], v[110:111], v[106:107]
.LBB48_466:
	s_mov_b32 s8, exec_lo
	v_cmpx_ne_u32_e32 10, v0
	s_cbranch_execz .LBB48_470
; %bb.467:
	v_add_nc_u32_e32 v106, 0x320, v109
	v_add3_u32 v107, 0, v109, 16
	v_mov_b32_e32 v108, v0
	s_mov_b32 s56, 0
	.p2align	6
.LBB48_468:                             ; =>This Inner Loop Header: Depth=1
	s_clause 0x3
	buffer_load_dword v114, v107, s[0:3], 0 offen offset:8
	buffer_load_dword v115, v107, s[0:3], 0 offen offset:12
	buffer_load_dword v116, v107, s[0:3], 0 offen
	buffer_load_dword v117, v107, s[0:3], 0 offen offset:4
	ds_read_b128 v[110:113], v106
	v_add_nc_u32_e32 v108, 1, v108
	v_add_nc_u32_e32 v106, 16, v106
	;; [unrolled: 1-line block ×3, first 2 shown]
	v_cmp_lt_u32_e32 vcc_lo, 9, v108
	s_or_b32 s56, vcc_lo, s56
	s_waitcnt vmcnt(2) lgkmcnt(0)
	v_mul_f64 v[118:119], v[112:113], v[114:115]
	v_mul_f64 v[114:115], v[110:111], v[114:115]
	s_waitcnt vmcnt(0)
	v_fma_f64 v[110:111], v[110:111], v[116:117], -v[118:119]
	v_fma_f64 v[112:113], v[112:113], v[116:117], v[114:115]
	v_add_f64 v[1:2], v[1:2], v[110:111]
	v_add_f64 v[3:4], v[3:4], v[112:113]
	s_andn2_b32 exec_lo, exec_lo, s56
	s_cbranch_execnz .LBB48_468
; %bb.469:
	s_or_b32 exec_lo, exec_lo, s56
.LBB48_470:
	s_or_b32 exec_lo, exec_lo, s8
	v_mov_b32_e32 v106, 0
	ds_read_b128 v[110:113], v106 offset:176
	s_waitcnt lgkmcnt(0)
	v_mul_f64 v[106:107], v[3:4], v[112:113]
	v_mul_f64 v[112:113], v[1:2], v[112:113]
	v_fma_f64 v[1:2], v[1:2], v[110:111], -v[106:107]
	v_fma_f64 v[3:4], v[3:4], v[110:111], v[112:113]
	buffer_store_dword v2, off, s[0:3], 0 offset:180
	buffer_store_dword v1, off, s[0:3], 0 offset:176
	;; [unrolled: 1-line block ×4, first 2 shown]
.LBB48_471:
	s_or_b32 exec_lo, exec_lo, s4
	v_mov_b32_e32 v4, s44
	s_mov_b32 s4, exec_lo
	s_clause 0x3
	buffer_load_dword v1, v4, s[0:3], 0 offen
	buffer_load_dword v2, v4, s[0:3], 0 offen offset:4
	buffer_load_dword v3, v4, s[0:3], 0 offen offset:8
	;; [unrolled: 1-line block ×3, first 2 shown]
	s_waitcnt vmcnt(0)
	ds_write_b128 v104, v[1:4]
	s_waitcnt lgkmcnt(0)
	s_waitcnt_vscnt null, 0x0
	s_barrier
	buffer_gl0_inv
	v_cmpx_gt_u32_e32 12, v0
	s_cbranch_execz .LBB48_479
; %bb.472:
	ds_read_b128 v[1:4], v104
	v_cmp_ne_u32_e32 vcc_lo, 1, v105
	s_cbranch_vccnz .LBB48_474
; %bb.473:
	s_clause 0x3
	buffer_load_dword v106, v103, s[0:3], 0 offen offset:8
	buffer_load_dword v107, v103, s[0:3], 0 offen offset:12
	buffer_load_dword v110, v103, s[0:3], 0 offen
	buffer_load_dword v111, v103, s[0:3], 0 offen offset:4
	s_waitcnt vmcnt(2) lgkmcnt(0)
	v_mul_f64 v[112:113], v[3:4], v[106:107]
	v_mul_f64 v[106:107], v[1:2], v[106:107]
	s_waitcnt vmcnt(0)
	v_fma_f64 v[1:2], v[1:2], v[110:111], -v[112:113]
	v_fma_f64 v[3:4], v[3:4], v[110:111], v[106:107]
.LBB48_474:
	s_mov_b32 s8, exec_lo
	v_cmpx_ne_u32_e32 11, v0
	s_cbranch_execz .LBB48_478
; %bb.475:
	v_add_nc_u32_e32 v106, 0x320, v109
	v_add3_u32 v107, 0, v109, 16
	v_mov_b32_e32 v108, v0
	s_mov_b32 s56, 0
	.p2align	6
.LBB48_476:                             ; =>This Inner Loop Header: Depth=1
	s_clause 0x3
	buffer_load_dword v114, v107, s[0:3], 0 offen offset:8
	buffer_load_dword v115, v107, s[0:3], 0 offen offset:12
	buffer_load_dword v116, v107, s[0:3], 0 offen
	buffer_load_dword v117, v107, s[0:3], 0 offen offset:4
	ds_read_b128 v[110:113], v106
	v_add_nc_u32_e32 v108, 1, v108
	v_add_nc_u32_e32 v106, 16, v106
	v_add_nc_u32_e32 v107, 16, v107
	v_cmp_lt_u32_e32 vcc_lo, 10, v108
	s_or_b32 s56, vcc_lo, s56
	s_waitcnt vmcnt(2) lgkmcnt(0)
	v_mul_f64 v[118:119], v[112:113], v[114:115]
	v_mul_f64 v[114:115], v[110:111], v[114:115]
	s_waitcnt vmcnt(0)
	v_fma_f64 v[110:111], v[110:111], v[116:117], -v[118:119]
	v_fma_f64 v[112:113], v[112:113], v[116:117], v[114:115]
	v_add_f64 v[1:2], v[1:2], v[110:111]
	v_add_f64 v[3:4], v[3:4], v[112:113]
	s_andn2_b32 exec_lo, exec_lo, s56
	s_cbranch_execnz .LBB48_476
; %bb.477:
	s_or_b32 exec_lo, exec_lo, s56
.LBB48_478:
	s_or_b32 exec_lo, exec_lo, s8
	v_mov_b32_e32 v106, 0
	ds_read_b128 v[110:113], v106 offset:192
	s_waitcnt lgkmcnt(0)
	v_mul_f64 v[106:107], v[3:4], v[112:113]
	v_mul_f64 v[112:113], v[1:2], v[112:113]
	v_fma_f64 v[1:2], v[1:2], v[110:111], -v[106:107]
	v_fma_f64 v[3:4], v[3:4], v[110:111], v[112:113]
	buffer_store_dword v2, off, s[0:3], 0 offset:196
	buffer_store_dword v1, off, s[0:3], 0 offset:192
	;; [unrolled: 1-line block ×4, first 2 shown]
.LBB48_479:
	s_or_b32 exec_lo, exec_lo, s4
	v_mov_b32_e32 v4, s43
	s_mov_b32 s4, exec_lo
	s_clause 0x3
	buffer_load_dword v1, v4, s[0:3], 0 offen
	buffer_load_dword v2, v4, s[0:3], 0 offen offset:4
	buffer_load_dword v3, v4, s[0:3], 0 offen offset:8
	;; [unrolled: 1-line block ×3, first 2 shown]
	s_waitcnt vmcnt(0)
	ds_write_b128 v104, v[1:4]
	s_waitcnt lgkmcnt(0)
	s_waitcnt_vscnt null, 0x0
	s_barrier
	buffer_gl0_inv
	v_cmpx_gt_u32_e32 13, v0
	s_cbranch_execz .LBB48_487
; %bb.480:
	ds_read_b128 v[1:4], v104
	v_cmp_ne_u32_e32 vcc_lo, 1, v105
	s_cbranch_vccnz .LBB48_482
; %bb.481:
	s_clause 0x3
	buffer_load_dword v106, v103, s[0:3], 0 offen offset:8
	buffer_load_dword v107, v103, s[0:3], 0 offen offset:12
	buffer_load_dword v110, v103, s[0:3], 0 offen
	buffer_load_dword v111, v103, s[0:3], 0 offen offset:4
	s_waitcnt vmcnt(2) lgkmcnt(0)
	v_mul_f64 v[112:113], v[3:4], v[106:107]
	v_mul_f64 v[106:107], v[1:2], v[106:107]
	s_waitcnt vmcnt(0)
	v_fma_f64 v[1:2], v[1:2], v[110:111], -v[112:113]
	v_fma_f64 v[3:4], v[3:4], v[110:111], v[106:107]
.LBB48_482:
	s_mov_b32 s8, exec_lo
	v_cmpx_ne_u32_e32 12, v0
	s_cbranch_execz .LBB48_486
; %bb.483:
	v_add_nc_u32_e32 v106, 0x320, v109
	v_add3_u32 v107, 0, v109, 16
	v_mov_b32_e32 v108, v0
	s_mov_b32 s56, 0
	.p2align	6
.LBB48_484:                             ; =>This Inner Loop Header: Depth=1
	s_clause 0x3
	buffer_load_dword v114, v107, s[0:3], 0 offen offset:8
	buffer_load_dword v115, v107, s[0:3], 0 offen offset:12
	buffer_load_dword v116, v107, s[0:3], 0 offen
	buffer_load_dword v117, v107, s[0:3], 0 offen offset:4
	ds_read_b128 v[110:113], v106
	v_add_nc_u32_e32 v108, 1, v108
	v_add_nc_u32_e32 v106, 16, v106
	;; [unrolled: 1-line block ×3, first 2 shown]
	v_cmp_lt_u32_e32 vcc_lo, 11, v108
	s_or_b32 s56, vcc_lo, s56
	s_waitcnt vmcnt(2) lgkmcnt(0)
	v_mul_f64 v[118:119], v[112:113], v[114:115]
	v_mul_f64 v[114:115], v[110:111], v[114:115]
	s_waitcnt vmcnt(0)
	v_fma_f64 v[110:111], v[110:111], v[116:117], -v[118:119]
	v_fma_f64 v[112:113], v[112:113], v[116:117], v[114:115]
	v_add_f64 v[1:2], v[1:2], v[110:111]
	v_add_f64 v[3:4], v[3:4], v[112:113]
	s_andn2_b32 exec_lo, exec_lo, s56
	s_cbranch_execnz .LBB48_484
; %bb.485:
	s_or_b32 exec_lo, exec_lo, s56
.LBB48_486:
	s_or_b32 exec_lo, exec_lo, s8
	v_mov_b32_e32 v106, 0
	ds_read_b128 v[110:113], v106 offset:208
	s_waitcnt lgkmcnt(0)
	v_mul_f64 v[106:107], v[3:4], v[112:113]
	v_mul_f64 v[112:113], v[1:2], v[112:113]
	v_fma_f64 v[1:2], v[1:2], v[110:111], -v[106:107]
	v_fma_f64 v[3:4], v[3:4], v[110:111], v[112:113]
	buffer_store_dword v2, off, s[0:3], 0 offset:212
	buffer_store_dword v1, off, s[0:3], 0 offset:208
	;; [unrolled: 1-line block ×4, first 2 shown]
.LBB48_487:
	s_or_b32 exec_lo, exec_lo, s4
	v_mov_b32_e32 v4, s42
	s_mov_b32 s4, exec_lo
	s_clause 0x3
	buffer_load_dword v1, v4, s[0:3], 0 offen
	buffer_load_dword v2, v4, s[0:3], 0 offen offset:4
	buffer_load_dword v3, v4, s[0:3], 0 offen offset:8
	;; [unrolled: 1-line block ×3, first 2 shown]
	s_waitcnt vmcnt(0)
	ds_write_b128 v104, v[1:4]
	s_waitcnt lgkmcnt(0)
	s_waitcnt_vscnt null, 0x0
	s_barrier
	buffer_gl0_inv
	v_cmpx_gt_u32_e32 14, v0
	s_cbranch_execz .LBB48_495
; %bb.488:
	ds_read_b128 v[1:4], v104
	v_cmp_ne_u32_e32 vcc_lo, 1, v105
	s_cbranch_vccnz .LBB48_490
; %bb.489:
	s_clause 0x3
	buffer_load_dword v106, v103, s[0:3], 0 offen offset:8
	buffer_load_dword v107, v103, s[0:3], 0 offen offset:12
	buffer_load_dword v110, v103, s[0:3], 0 offen
	buffer_load_dword v111, v103, s[0:3], 0 offen offset:4
	s_waitcnt vmcnt(2) lgkmcnt(0)
	v_mul_f64 v[112:113], v[3:4], v[106:107]
	v_mul_f64 v[106:107], v[1:2], v[106:107]
	s_waitcnt vmcnt(0)
	v_fma_f64 v[1:2], v[1:2], v[110:111], -v[112:113]
	v_fma_f64 v[3:4], v[3:4], v[110:111], v[106:107]
.LBB48_490:
	s_mov_b32 s8, exec_lo
	v_cmpx_ne_u32_e32 13, v0
	s_cbranch_execz .LBB48_494
; %bb.491:
	v_add_nc_u32_e32 v106, 0x320, v109
	v_add3_u32 v107, 0, v109, 16
	v_mov_b32_e32 v108, v0
	s_mov_b32 s56, 0
	.p2align	6
.LBB48_492:                             ; =>This Inner Loop Header: Depth=1
	s_clause 0x3
	buffer_load_dword v114, v107, s[0:3], 0 offen offset:8
	buffer_load_dword v115, v107, s[0:3], 0 offen offset:12
	buffer_load_dword v116, v107, s[0:3], 0 offen
	buffer_load_dword v117, v107, s[0:3], 0 offen offset:4
	ds_read_b128 v[110:113], v106
	v_add_nc_u32_e32 v108, 1, v108
	v_add_nc_u32_e32 v106, 16, v106
	;; [unrolled: 1-line block ×3, first 2 shown]
	v_cmp_lt_u32_e32 vcc_lo, 12, v108
	s_or_b32 s56, vcc_lo, s56
	s_waitcnt vmcnt(2) lgkmcnt(0)
	v_mul_f64 v[118:119], v[112:113], v[114:115]
	v_mul_f64 v[114:115], v[110:111], v[114:115]
	s_waitcnt vmcnt(0)
	v_fma_f64 v[110:111], v[110:111], v[116:117], -v[118:119]
	v_fma_f64 v[112:113], v[112:113], v[116:117], v[114:115]
	v_add_f64 v[1:2], v[1:2], v[110:111]
	v_add_f64 v[3:4], v[3:4], v[112:113]
	s_andn2_b32 exec_lo, exec_lo, s56
	s_cbranch_execnz .LBB48_492
; %bb.493:
	s_or_b32 exec_lo, exec_lo, s56
.LBB48_494:
	s_or_b32 exec_lo, exec_lo, s8
	v_mov_b32_e32 v106, 0
	ds_read_b128 v[110:113], v106 offset:224
	s_waitcnt lgkmcnt(0)
	v_mul_f64 v[106:107], v[3:4], v[112:113]
	v_mul_f64 v[112:113], v[1:2], v[112:113]
	v_fma_f64 v[1:2], v[1:2], v[110:111], -v[106:107]
	v_fma_f64 v[3:4], v[3:4], v[110:111], v[112:113]
	buffer_store_dword v2, off, s[0:3], 0 offset:228
	buffer_store_dword v1, off, s[0:3], 0 offset:224
	;; [unrolled: 1-line block ×4, first 2 shown]
.LBB48_495:
	s_or_b32 exec_lo, exec_lo, s4
	v_mov_b32_e32 v4, s41
	s_mov_b32 s4, exec_lo
	s_clause 0x3
	buffer_load_dword v1, v4, s[0:3], 0 offen
	buffer_load_dword v2, v4, s[0:3], 0 offen offset:4
	buffer_load_dword v3, v4, s[0:3], 0 offen offset:8
	;; [unrolled: 1-line block ×3, first 2 shown]
	s_waitcnt vmcnt(0)
	ds_write_b128 v104, v[1:4]
	s_waitcnt lgkmcnt(0)
	s_waitcnt_vscnt null, 0x0
	s_barrier
	buffer_gl0_inv
	v_cmpx_gt_u32_e32 15, v0
	s_cbranch_execz .LBB48_503
; %bb.496:
	ds_read_b128 v[1:4], v104
	v_cmp_ne_u32_e32 vcc_lo, 1, v105
	s_cbranch_vccnz .LBB48_498
; %bb.497:
	s_clause 0x3
	buffer_load_dword v106, v103, s[0:3], 0 offen offset:8
	buffer_load_dword v107, v103, s[0:3], 0 offen offset:12
	buffer_load_dword v110, v103, s[0:3], 0 offen
	buffer_load_dword v111, v103, s[0:3], 0 offen offset:4
	s_waitcnt vmcnt(2) lgkmcnt(0)
	v_mul_f64 v[112:113], v[3:4], v[106:107]
	v_mul_f64 v[106:107], v[1:2], v[106:107]
	s_waitcnt vmcnt(0)
	v_fma_f64 v[1:2], v[1:2], v[110:111], -v[112:113]
	v_fma_f64 v[3:4], v[3:4], v[110:111], v[106:107]
.LBB48_498:
	s_mov_b32 s8, exec_lo
	v_cmpx_ne_u32_e32 14, v0
	s_cbranch_execz .LBB48_502
; %bb.499:
	v_add_nc_u32_e32 v106, 0x320, v109
	v_add3_u32 v107, 0, v109, 16
	v_mov_b32_e32 v108, v0
	s_mov_b32 s56, 0
	.p2align	6
.LBB48_500:                             ; =>This Inner Loop Header: Depth=1
	s_clause 0x3
	buffer_load_dword v114, v107, s[0:3], 0 offen offset:8
	buffer_load_dword v115, v107, s[0:3], 0 offen offset:12
	buffer_load_dword v116, v107, s[0:3], 0 offen
	buffer_load_dword v117, v107, s[0:3], 0 offen offset:4
	ds_read_b128 v[110:113], v106
	v_add_nc_u32_e32 v108, 1, v108
	v_add_nc_u32_e32 v106, 16, v106
	v_add_nc_u32_e32 v107, 16, v107
	v_cmp_lt_u32_e32 vcc_lo, 13, v108
	s_or_b32 s56, vcc_lo, s56
	s_waitcnt vmcnt(2) lgkmcnt(0)
	v_mul_f64 v[118:119], v[112:113], v[114:115]
	v_mul_f64 v[114:115], v[110:111], v[114:115]
	s_waitcnt vmcnt(0)
	v_fma_f64 v[110:111], v[110:111], v[116:117], -v[118:119]
	v_fma_f64 v[112:113], v[112:113], v[116:117], v[114:115]
	v_add_f64 v[1:2], v[1:2], v[110:111]
	v_add_f64 v[3:4], v[3:4], v[112:113]
	s_andn2_b32 exec_lo, exec_lo, s56
	s_cbranch_execnz .LBB48_500
; %bb.501:
	s_or_b32 exec_lo, exec_lo, s56
.LBB48_502:
	s_or_b32 exec_lo, exec_lo, s8
	v_mov_b32_e32 v106, 0
	ds_read_b128 v[110:113], v106 offset:240
	s_waitcnt lgkmcnt(0)
	v_mul_f64 v[106:107], v[3:4], v[112:113]
	v_mul_f64 v[112:113], v[1:2], v[112:113]
	v_fma_f64 v[1:2], v[1:2], v[110:111], -v[106:107]
	v_fma_f64 v[3:4], v[3:4], v[110:111], v[112:113]
	buffer_store_dword v2, off, s[0:3], 0 offset:244
	buffer_store_dword v1, off, s[0:3], 0 offset:240
	;; [unrolled: 1-line block ×4, first 2 shown]
.LBB48_503:
	s_or_b32 exec_lo, exec_lo, s4
	v_mov_b32_e32 v4, s40
	s_mov_b32 s4, exec_lo
	s_clause 0x3
	buffer_load_dword v1, v4, s[0:3], 0 offen
	buffer_load_dword v2, v4, s[0:3], 0 offen offset:4
	buffer_load_dword v3, v4, s[0:3], 0 offen offset:8
	buffer_load_dword v4, v4, s[0:3], 0 offen offset:12
	s_waitcnt vmcnt(0)
	ds_write_b128 v104, v[1:4]
	s_waitcnt lgkmcnt(0)
	s_waitcnt_vscnt null, 0x0
	s_barrier
	buffer_gl0_inv
	v_cmpx_gt_u32_e32 16, v0
	s_cbranch_execz .LBB48_511
; %bb.504:
	ds_read_b128 v[1:4], v104
	v_cmp_ne_u32_e32 vcc_lo, 1, v105
	s_cbranch_vccnz .LBB48_506
; %bb.505:
	s_clause 0x3
	buffer_load_dword v106, v103, s[0:3], 0 offen offset:8
	buffer_load_dword v107, v103, s[0:3], 0 offen offset:12
	buffer_load_dword v110, v103, s[0:3], 0 offen
	buffer_load_dword v111, v103, s[0:3], 0 offen offset:4
	s_waitcnt vmcnt(2) lgkmcnt(0)
	v_mul_f64 v[112:113], v[3:4], v[106:107]
	v_mul_f64 v[106:107], v[1:2], v[106:107]
	s_waitcnt vmcnt(0)
	v_fma_f64 v[1:2], v[1:2], v[110:111], -v[112:113]
	v_fma_f64 v[3:4], v[3:4], v[110:111], v[106:107]
.LBB48_506:
	s_mov_b32 s8, exec_lo
	v_cmpx_ne_u32_e32 15, v0
	s_cbranch_execz .LBB48_510
; %bb.507:
	v_add_nc_u32_e32 v106, 0x320, v109
	v_add3_u32 v107, 0, v109, 16
	v_mov_b32_e32 v108, v0
	s_mov_b32 s56, 0
	.p2align	6
.LBB48_508:                             ; =>This Inner Loop Header: Depth=1
	s_clause 0x3
	buffer_load_dword v114, v107, s[0:3], 0 offen offset:8
	buffer_load_dword v115, v107, s[0:3], 0 offen offset:12
	buffer_load_dword v116, v107, s[0:3], 0 offen
	buffer_load_dword v117, v107, s[0:3], 0 offen offset:4
	ds_read_b128 v[110:113], v106
	v_add_nc_u32_e32 v108, 1, v108
	v_add_nc_u32_e32 v106, 16, v106
	;; [unrolled: 1-line block ×3, first 2 shown]
	v_cmp_lt_u32_e32 vcc_lo, 14, v108
	s_or_b32 s56, vcc_lo, s56
	s_waitcnt vmcnt(2) lgkmcnt(0)
	v_mul_f64 v[118:119], v[112:113], v[114:115]
	v_mul_f64 v[114:115], v[110:111], v[114:115]
	s_waitcnt vmcnt(0)
	v_fma_f64 v[110:111], v[110:111], v[116:117], -v[118:119]
	v_fma_f64 v[112:113], v[112:113], v[116:117], v[114:115]
	v_add_f64 v[1:2], v[1:2], v[110:111]
	v_add_f64 v[3:4], v[3:4], v[112:113]
	s_andn2_b32 exec_lo, exec_lo, s56
	s_cbranch_execnz .LBB48_508
; %bb.509:
	s_or_b32 exec_lo, exec_lo, s56
.LBB48_510:
	s_or_b32 exec_lo, exec_lo, s8
	v_mov_b32_e32 v106, 0
	ds_read_b128 v[110:113], v106 offset:256
	s_waitcnt lgkmcnt(0)
	v_mul_f64 v[106:107], v[3:4], v[112:113]
	v_mul_f64 v[112:113], v[1:2], v[112:113]
	v_fma_f64 v[1:2], v[1:2], v[110:111], -v[106:107]
	v_fma_f64 v[3:4], v[3:4], v[110:111], v[112:113]
	buffer_store_dword v2, off, s[0:3], 0 offset:260
	buffer_store_dword v1, off, s[0:3], 0 offset:256
	;; [unrolled: 1-line block ×4, first 2 shown]
.LBB48_511:
	s_or_b32 exec_lo, exec_lo, s4
	v_mov_b32_e32 v4, s39
	s_mov_b32 s4, exec_lo
	s_clause 0x3
	buffer_load_dword v1, v4, s[0:3], 0 offen
	buffer_load_dword v2, v4, s[0:3], 0 offen offset:4
	buffer_load_dword v3, v4, s[0:3], 0 offen offset:8
	;; [unrolled: 1-line block ×3, first 2 shown]
	s_waitcnt vmcnt(0)
	ds_write_b128 v104, v[1:4]
	s_waitcnt lgkmcnt(0)
	s_waitcnt_vscnt null, 0x0
	s_barrier
	buffer_gl0_inv
	v_cmpx_gt_u32_e32 17, v0
	s_cbranch_execz .LBB48_519
; %bb.512:
	ds_read_b128 v[1:4], v104
	v_cmp_ne_u32_e32 vcc_lo, 1, v105
	s_cbranch_vccnz .LBB48_514
; %bb.513:
	s_clause 0x3
	buffer_load_dword v106, v103, s[0:3], 0 offen offset:8
	buffer_load_dword v107, v103, s[0:3], 0 offen offset:12
	buffer_load_dword v110, v103, s[0:3], 0 offen
	buffer_load_dword v111, v103, s[0:3], 0 offen offset:4
	s_waitcnt vmcnt(2) lgkmcnt(0)
	v_mul_f64 v[112:113], v[3:4], v[106:107]
	v_mul_f64 v[106:107], v[1:2], v[106:107]
	s_waitcnt vmcnt(0)
	v_fma_f64 v[1:2], v[1:2], v[110:111], -v[112:113]
	v_fma_f64 v[3:4], v[3:4], v[110:111], v[106:107]
.LBB48_514:
	s_mov_b32 s8, exec_lo
	v_cmpx_ne_u32_e32 16, v0
	s_cbranch_execz .LBB48_518
; %bb.515:
	v_add_nc_u32_e32 v106, 0x320, v109
	v_add3_u32 v107, 0, v109, 16
	v_mov_b32_e32 v108, v0
	s_mov_b32 s56, 0
	.p2align	6
.LBB48_516:                             ; =>This Inner Loop Header: Depth=1
	s_clause 0x3
	buffer_load_dword v114, v107, s[0:3], 0 offen offset:8
	buffer_load_dword v115, v107, s[0:3], 0 offen offset:12
	buffer_load_dword v116, v107, s[0:3], 0 offen
	buffer_load_dword v117, v107, s[0:3], 0 offen offset:4
	ds_read_b128 v[110:113], v106
	v_add_nc_u32_e32 v108, 1, v108
	v_add_nc_u32_e32 v106, 16, v106
	;; [unrolled: 1-line block ×3, first 2 shown]
	v_cmp_lt_u32_e32 vcc_lo, 15, v108
	s_or_b32 s56, vcc_lo, s56
	s_waitcnt vmcnt(2) lgkmcnt(0)
	v_mul_f64 v[118:119], v[112:113], v[114:115]
	v_mul_f64 v[114:115], v[110:111], v[114:115]
	s_waitcnt vmcnt(0)
	v_fma_f64 v[110:111], v[110:111], v[116:117], -v[118:119]
	v_fma_f64 v[112:113], v[112:113], v[116:117], v[114:115]
	v_add_f64 v[1:2], v[1:2], v[110:111]
	v_add_f64 v[3:4], v[3:4], v[112:113]
	s_andn2_b32 exec_lo, exec_lo, s56
	s_cbranch_execnz .LBB48_516
; %bb.517:
	s_or_b32 exec_lo, exec_lo, s56
.LBB48_518:
	s_or_b32 exec_lo, exec_lo, s8
	v_mov_b32_e32 v106, 0
	ds_read_b128 v[110:113], v106 offset:272
	s_waitcnt lgkmcnt(0)
	v_mul_f64 v[106:107], v[3:4], v[112:113]
	v_mul_f64 v[112:113], v[1:2], v[112:113]
	v_fma_f64 v[1:2], v[1:2], v[110:111], -v[106:107]
	v_fma_f64 v[3:4], v[3:4], v[110:111], v[112:113]
	buffer_store_dword v2, off, s[0:3], 0 offset:276
	buffer_store_dword v1, off, s[0:3], 0 offset:272
	;; [unrolled: 1-line block ×4, first 2 shown]
.LBB48_519:
	s_or_b32 exec_lo, exec_lo, s4
	v_mov_b32_e32 v4, s38
	s_mov_b32 s4, exec_lo
	s_clause 0x3
	buffer_load_dword v1, v4, s[0:3], 0 offen
	buffer_load_dword v2, v4, s[0:3], 0 offen offset:4
	buffer_load_dword v3, v4, s[0:3], 0 offen offset:8
	;; [unrolled: 1-line block ×3, first 2 shown]
	s_waitcnt vmcnt(0)
	ds_write_b128 v104, v[1:4]
	s_waitcnt lgkmcnt(0)
	s_waitcnt_vscnt null, 0x0
	s_barrier
	buffer_gl0_inv
	v_cmpx_gt_u32_e32 18, v0
	s_cbranch_execz .LBB48_527
; %bb.520:
	ds_read_b128 v[1:4], v104
	v_cmp_ne_u32_e32 vcc_lo, 1, v105
	s_cbranch_vccnz .LBB48_522
; %bb.521:
	s_clause 0x3
	buffer_load_dword v106, v103, s[0:3], 0 offen offset:8
	buffer_load_dword v107, v103, s[0:3], 0 offen offset:12
	buffer_load_dword v110, v103, s[0:3], 0 offen
	buffer_load_dword v111, v103, s[0:3], 0 offen offset:4
	s_waitcnt vmcnt(2) lgkmcnt(0)
	v_mul_f64 v[112:113], v[3:4], v[106:107]
	v_mul_f64 v[106:107], v[1:2], v[106:107]
	s_waitcnt vmcnt(0)
	v_fma_f64 v[1:2], v[1:2], v[110:111], -v[112:113]
	v_fma_f64 v[3:4], v[3:4], v[110:111], v[106:107]
.LBB48_522:
	s_mov_b32 s8, exec_lo
	v_cmpx_ne_u32_e32 17, v0
	s_cbranch_execz .LBB48_526
; %bb.523:
	v_add_nc_u32_e32 v106, 0x320, v109
	v_add3_u32 v107, 0, v109, 16
	v_mov_b32_e32 v108, v0
	s_mov_b32 s56, 0
	.p2align	6
.LBB48_524:                             ; =>This Inner Loop Header: Depth=1
	s_clause 0x3
	buffer_load_dword v114, v107, s[0:3], 0 offen offset:8
	buffer_load_dword v115, v107, s[0:3], 0 offen offset:12
	buffer_load_dword v116, v107, s[0:3], 0 offen
	buffer_load_dword v117, v107, s[0:3], 0 offen offset:4
	ds_read_b128 v[110:113], v106
	v_add_nc_u32_e32 v108, 1, v108
	v_add_nc_u32_e32 v106, 16, v106
	;; [unrolled: 1-line block ×3, first 2 shown]
	v_cmp_lt_u32_e32 vcc_lo, 16, v108
	s_or_b32 s56, vcc_lo, s56
	s_waitcnt vmcnt(2) lgkmcnt(0)
	v_mul_f64 v[118:119], v[112:113], v[114:115]
	v_mul_f64 v[114:115], v[110:111], v[114:115]
	s_waitcnt vmcnt(0)
	v_fma_f64 v[110:111], v[110:111], v[116:117], -v[118:119]
	v_fma_f64 v[112:113], v[112:113], v[116:117], v[114:115]
	v_add_f64 v[1:2], v[1:2], v[110:111]
	v_add_f64 v[3:4], v[3:4], v[112:113]
	s_andn2_b32 exec_lo, exec_lo, s56
	s_cbranch_execnz .LBB48_524
; %bb.525:
	s_or_b32 exec_lo, exec_lo, s56
.LBB48_526:
	s_or_b32 exec_lo, exec_lo, s8
	v_mov_b32_e32 v106, 0
	ds_read_b128 v[110:113], v106 offset:288
	s_waitcnt lgkmcnt(0)
	v_mul_f64 v[106:107], v[3:4], v[112:113]
	v_mul_f64 v[112:113], v[1:2], v[112:113]
	v_fma_f64 v[1:2], v[1:2], v[110:111], -v[106:107]
	v_fma_f64 v[3:4], v[3:4], v[110:111], v[112:113]
	buffer_store_dword v2, off, s[0:3], 0 offset:292
	buffer_store_dword v1, off, s[0:3], 0 offset:288
	;; [unrolled: 1-line block ×4, first 2 shown]
.LBB48_527:
	s_or_b32 exec_lo, exec_lo, s4
	v_mov_b32_e32 v4, s37
	s_mov_b32 s4, exec_lo
	s_clause 0x3
	buffer_load_dword v1, v4, s[0:3], 0 offen
	buffer_load_dword v2, v4, s[0:3], 0 offen offset:4
	buffer_load_dword v3, v4, s[0:3], 0 offen offset:8
	;; [unrolled: 1-line block ×3, first 2 shown]
	s_waitcnt vmcnt(0)
	ds_write_b128 v104, v[1:4]
	s_waitcnt lgkmcnt(0)
	s_waitcnt_vscnt null, 0x0
	s_barrier
	buffer_gl0_inv
	v_cmpx_gt_u32_e32 19, v0
	s_cbranch_execz .LBB48_535
; %bb.528:
	ds_read_b128 v[1:4], v104
	v_cmp_ne_u32_e32 vcc_lo, 1, v105
	s_cbranch_vccnz .LBB48_530
; %bb.529:
	s_clause 0x3
	buffer_load_dword v106, v103, s[0:3], 0 offen offset:8
	buffer_load_dword v107, v103, s[0:3], 0 offen offset:12
	buffer_load_dword v110, v103, s[0:3], 0 offen
	buffer_load_dword v111, v103, s[0:3], 0 offen offset:4
	s_waitcnt vmcnt(2) lgkmcnt(0)
	v_mul_f64 v[112:113], v[3:4], v[106:107]
	v_mul_f64 v[106:107], v[1:2], v[106:107]
	s_waitcnt vmcnt(0)
	v_fma_f64 v[1:2], v[1:2], v[110:111], -v[112:113]
	v_fma_f64 v[3:4], v[3:4], v[110:111], v[106:107]
.LBB48_530:
	s_mov_b32 s8, exec_lo
	v_cmpx_ne_u32_e32 18, v0
	s_cbranch_execz .LBB48_534
; %bb.531:
	v_add_nc_u32_e32 v106, 0x320, v109
	v_add3_u32 v107, 0, v109, 16
	v_mov_b32_e32 v108, v0
	s_mov_b32 s56, 0
	.p2align	6
.LBB48_532:                             ; =>This Inner Loop Header: Depth=1
	s_clause 0x3
	buffer_load_dword v114, v107, s[0:3], 0 offen offset:8
	buffer_load_dword v115, v107, s[0:3], 0 offen offset:12
	buffer_load_dword v116, v107, s[0:3], 0 offen
	buffer_load_dword v117, v107, s[0:3], 0 offen offset:4
	ds_read_b128 v[110:113], v106
	v_add_nc_u32_e32 v108, 1, v108
	v_add_nc_u32_e32 v106, 16, v106
	;; [unrolled: 1-line block ×3, first 2 shown]
	v_cmp_lt_u32_e32 vcc_lo, 17, v108
	s_or_b32 s56, vcc_lo, s56
	s_waitcnt vmcnt(2) lgkmcnt(0)
	v_mul_f64 v[118:119], v[112:113], v[114:115]
	v_mul_f64 v[114:115], v[110:111], v[114:115]
	s_waitcnt vmcnt(0)
	v_fma_f64 v[110:111], v[110:111], v[116:117], -v[118:119]
	v_fma_f64 v[112:113], v[112:113], v[116:117], v[114:115]
	v_add_f64 v[1:2], v[1:2], v[110:111]
	v_add_f64 v[3:4], v[3:4], v[112:113]
	s_andn2_b32 exec_lo, exec_lo, s56
	s_cbranch_execnz .LBB48_532
; %bb.533:
	s_or_b32 exec_lo, exec_lo, s56
.LBB48_534:
	s_or_b32 exec_lo, exec_lo, s8
	v_mov_b32_e32 v106, 0
	ds_read_b128 v[110:113], v106 offset:304
	s_waitcnt lgkmcnt(0)
	v_mul_f64 v[106:107], v[3:4], v[112:113]
	v_mul_f64 v[112:113], v[1:2], v[112:113]
	v_fma_f64 v[1:2], v[1:2], v[110:111], -v[106:107]
	v_fma_f64 v[3:4], v[3:4], v[110:111], v[112:113]
	buffer_store_dword v2, off, s[0:3], 0 offset:308
	buffer_store_dword v1, off, s[0:3], 0 offset:304
	;; [unrolled: 1-line block ×4, first 2 shown]
.LBB48_535:
	s_or_b32 exec_lo, exec_lo, s4
	v_mov_b32_e32 v4, s36
	s_mov_b32 s4, exec_lo
	s_clause 0x3
	buffer_load_dword v1, v4, s[0:3], 0 offen
	buffer_load_dword v2, v4, s[0:3], 0 offen offset:4
	buffer_load_dword v3, v4, s[0:3], 0 offen offset:8
	;; [unrolled: 1-line block ×3, first 2 shown]
	s_waitcnt vmcnt(0)
	ds_write_b128 v104, v[1:4]
	s_waitcnt lgkmcnt(0)
	s_waitcnt_vscnt null, 0x0
	s_barrier
	buffer_gl0_inv
	v_cmpx_gt_u32_e32 20, v0
	s_cbranch_execz .LBB48_543
; %bb.536:
	ds_read_b128 v[1:4], v104
	v_cmp_ne_u32_e32 vcc_lo, 1, v105
	s_cbranch_vccnz .LBB48_538
; %bb.537:
	s_clause 0x3
	buffer_load_dword v106, v103, s[0:3], 0 offen offset:8
	buffer_load_dword v107, v103, s[0:3], 0 offen offset:12
	buffer_load_dword v110, v103, s[0:3], 0 offen
	buffer_load_dword v111, v103, s[0:3], 0 offen offset:4
	s_waitcnt vmcnt(2) lgkmcnt(0)
	v_mul_f64 v[112:113], v[3:4], v[106:107]
	v_mul_f64 v[106:107], v[1:2], v[106:107]
	s_waitcnt vmcnt(0)
	v_fma_f64 v[1:2], v[1:2], v[110:111], -v[112:113]
	v_fma_f64 v[3:4], v[3:4], v[110:111], v[106:107]
.LBB48_538:
	s_mov_b32 s8, exec_lo
	v_cmpx_ne_u32_e32 19, v0
	s_cbranch_execz .LBB48_542
; %bb.539:
	v_add_nc_u32_e32 v106, 0x320, v109
	v_add3_u32 v107, 0, v109, 16
	v_mov_b32_e32 v108, v0
	s_mov_b32 s56, 0
	.p2align	6
.LBB48_540:                             ; =>This Inner Loop Header: Depth=1
	s_clause 0x3
	buffer_load_dword v114, v107, s[0:3], 0 offen offset:8
	buffer_load_dword v115, v107, s[0:3], 0 offen offset:12
	buffer_load_dword v116, v107, s[0:3], 0 offen
	buffer_load_dword v117, v107, s[0:3], 0 offen offset:4
	ds_read_b128 v[110:113], v106
	v_add_nc_u32_e32 v108, 1, v108
	v_add_nc_u32_e32 v106, 16, v106
	;; [unrolled: 1-line block ×3, first 2 shown]
	v_cmp_lt_u32_e32 vcc_lo, 18, v108
	s_or_b32 s56, vcc_lo, s56
	s_waitcnt vmcnt(2) lgkmcnt(0)
	v_mul_f64 v[118:119], v[112:113], v[114:115]
	v_mul_f64 v[114:115], v[110:111], v[114:115]
	s_waitcnt vmcnt(0)
	v_fma_f64 v[110:111], v[110:111], v[116:117], -v[118:119]
	v_fma_f64 v[112:113], v[112:113], v[116:117], v[114:115]
	v_add_f64 v[1:2], v[1:2], v[110:111]
	v_add_f64 v[3:4], v[3:4], v[112:113]
	s_andn2_b32 exec_lo, exec_lo, s56
	s_cbranch_execnz .LBB48_540
; %bb.541:
	s_or_b32 exec_lo, exec_lo, s56
.LBB48_542:
	s_or_b32 exec_lo, exec_lo, s8
	v_mov_b32_e32 v106, 0
	ds_read_b128 v[110:113], v106 offset:320
	s_waitcnt lgkmcnt(0)
	v_mul_f64 v[106:107], v[3:4], v[112:113]
	v_mul_f64 v[112:113], v[1:2], v[112:113]
	v_fma_f64 v[1:2], v[1:2], v[110:111], -v[106:107]
	v_fma_f64 v[3:4], v[3:4], v[110:111], v[112:113]
	buffer_store_dword v2, off, s[0:3], 0 offset:324
	buffer_store_dword v1, off, s[0:3], 0 offset:320
	;; [unrolled: 1-line block ×4, first 2 shown]
.LBB48_543:
	s_or_b32 exec_lo, exec_lo, s4
	v_mov_b32_e32 v4, s35
	s_mov_b32 s4, exec_lo
	s_clause 0x3
	buffer_load_dword v1, v4, s[0:3], 0 offen
	buffer_load_dword v2, v4, s[0:3], 0 offen offset:4
	buffer_load_dword v3, v4, s[0:3], 0 offen offset:8
	;; [unrolled: 1-line block ×3, first 2 shown]
	s_waitcnt vmcnt(0)
	ds_write_b128 v104, v[1:4]
	s_waitcnt lgkmcnt(0)
	s_waitcnt_vscnt null, 0x0
	s_barrier
	buffer_gl0_inv
	v_cmpx_gt_u32_e32 21, v0
	s_cbranch_execz .LBB48_551
; %bb.544:
	ds_read_b128 v[1:4], v104
	v_cmp_ne_u32_e32 vcc_lo, 1, v105
	s_cbranch_vccnz .LBB48_546
; %bb.545:
	s_clause 0x3
	buffer_load_dword v106, v103, s[0:3], 0 offen offset:8
	buffer_load_dword v107, v103, s[0:3], 0 offen offset:12
	buffer_load_dword v110, v103, s[0:3], 0 offen
	buffer_load_dword v111, v103, s[0:3], 0 offen offset:4
	s_waitcnt vmcnt(2) lgkmcnt(0)
	v_mul_f64 v[112:113], v[3:4], v[106:107]
	v_mul_f64 v[106:107], v[1:2], v[106:107]
	s_waitcnt vmcnt(0)
	v_fma_f64 v[1:2], v[1:2], v[110:111], -v[112:113]
	v_fma_f64 v[3:4], v[3:4], v[110:111], v[106:107]
.LBB48_546:
	s_mov_b32 s8, exec_lo
	v_cmpx_ne_u32_e32 20, v0
	s_cbranch_execz .LBB48_550
; %bb.547:
	v_add_nc_u32_e32 v106, 0x320, v109
	v_add3_u32 v107, 0, v109, 16
	v_mov_b32_e32 v108, v0
	s_mov_b32 s56, 0
	.p2align	6
.LBB48_548:                             ; =>This Inner Loop Header: Depth=1
	s_clause 0x3
	buffer_load_dword v114, v107, s[0:3], 0 offen offset:8
	buffer_load_dword v115, v107, s[0:3], 0 offen offset:12
	buffer_load_dword v116, v107, s[0:3], 0 offen
	buffer_load_dword v117, v107, s[0:3], 0 offen offset:4
	ds_read_b128 v[110:113], v106
	v_add_nc_u32_e32 v108, 1, v108
	v_add_nc_u32_e32 v106, 16, v106
	;; [unrolled: 1-line block ×3, first 2 shown]
	v_cmp_lt_u32_e32 vcc_lo, 19, v108
	s_or_b32 s56, vcc_lo, s56
	s_waitcnt vmcnt(2) lgkmcnt(0)
	v_mul_f64 v[118:119], v[112:113], v[114:115]
	v_mul_f64 v[114:115], v[110:111], v[114:115]
	s_waitcnt vmcnt(0)
	v_fma_f64 v[110:111], v[110:111], v[116:117], -v[118:119]
	v_fma_f64 v[112:113], v[112:113], v[116:117], v[114:115]
	v_add_f64 v[1:2], v[1:2], v[110:111]
	v_add_f64 v[3:4], v[3:4], v[112:113]
	s_andn2_b32 exec_lo, exec_lo, s56
	s_cbranch_execnz .LBB48_548
; %bb.549:
	s_or_b32 exec_lo, exec_lo, s56
.LBB48_550:
	s_or_b32 exec_lo, exec_lo, s8
	v_mov_b32_e32 v106, 0
	ds_read_b128 v[110:113], v106 offset:336
	s_waitcnt lgkmcnt(0)
	v_mul_f64 v[106:107], v[3:4], v[112:113]
	v_mul_f64 v[112:113], v[1:2], v[112:113]
	v_fma_f64 v[1:2], v[1:2], v[110:111], -v[106:107]
	v_fma_f64 v[3:4], v[3:4], v[110:111], v[112:113]
	buffer_store_dword v2, off, s[0:3], 0 offset:340
	buffer_store_dword v1, off, s[0:3], 0 offset:336
	;; [unrolled: 1-line block ×4, first 2 shown]
.LBB48_551:
	s_or_b32 exec_lo, exec_lo, s4
	v_mov_b32_e32 v4, s34
	s_mov_b32 s4, exec_lo
	s_clause 0x3
	buffer_load_dword v1, v4, s[0:3], 0 offen
	buffer_load_dword v2, v4, s[0:3], 0 offen offset:4
	buffer_load_dword v3, v4, s[0:3], 0 offen offset:8
	;; [unrolled: 1-line block ×3, first 2 shown]
	s_waitcnt vmcnt(0)
	ds_write_b128 v104, v[1:4]
	s_waitcnt lgkmcnt(0)
	s_waitcnt_vscnt null, 0x0
	s_barrier
	buffer_gl0_inv
	v_cmpx_gt_u32_e32 22, v0
	s_cbranch_execz .LBB48_559
; %bb.552:
	ds_read_b128 v[1:4], v104
	v_cmp_ne_u32_e32 vcc_lo, 1, v105
	s_cbranch_vccnz .LBB48_554
; %bb.553:
	s_clause 0x3
	buffer_load_dword v106, v103, s[0:3], 0 offen offset:8
	buffer_load_dword v107, v103, s[0:3], 0 offen offset:12
	buffer_load_dword v110, v103, s[0:3], 0 offen
	buffer_load_dword v111, v103, s[0:3], 0 offen offset:4
	s_waitcnt vmcnt(2) lgkmcnt(0)
	v_mul_f64 v[112:113], v[3:4], v[106:107]
	v_mul_f64 v[106:107], v[1:2], v[106:107]
	s_waitcnt vmcnt(0)
	v_fma_f64 v[1:2], v[1:2], v[110:111], -v[112:113]
	v_fma_f64 v[3:4], v[3:4], v[110:111], v[106:107]
.LBB48_554:
	s_mov_b32 s8, exec_lo
	v_cmpx_ne_u32_e32 21, v0
	s_cbranch_execz .LBB48_558
; %bb.555:
	v_add_nc_u32_e32 v106, 0x320, v109
	v_add3_u32 v107, 0, v109, 16
	v_mov_b32_e32 v108, v0
	s_mov_b32 s56, 0
	.p2align	6
.LBB48_556:                             ; =>This Inner Loop Header: Depth=1
	s_clause 0x3
	buffer_load_dword v114, v107, s[0:3], 0 offen offset:8
	buffer_load_dword v115, v107, s[0:3], 0 offen offset:12
	buffer_load_dword v116, v107, s[0:3], 0 offen
	buffer_load_dword v117, v107, s[0:3], 0 offen offset:4
	ds_read_b128 v[110:113], v106
	v_add_nc_u32_e32 v108, 1, v108
	v_add_nc_u32_e32 v106, 16, v106
	;; [unrolled: 1-line block ×3, first 2 shown]
	v_cmp_lt_u32_e32 vcc_lo, 20, v108
	s_or_b32 s56, vcc_lo, s56
	s_waitcnt vmcnt(2) lgkmcnt(0)
	v_mul_f64 v[118:119], v[112:113], v[114:115]
	v_mul_f64 v[114:115], v[110:111], v[114:115]
	s_waitcnt vmcnt(0)
	v_fma_f64 v[110:111], v[110:111], v[116:117], -v[118:119]
	v_fma_f64 v[112:113], v[112:113], v[116:117], v[114:115]
	v_add_f64 v[1:2], v[1:2], v[110:111]
	v_add_f64 v[3:4], v[3:4], v[112:113]
	s_andn2_b32 exec_lo, exec_lo, s56
	s_cbranch_execnz .LBB48_556
; %bb.557:
	s_or_b32 exec_lo, exec_lo, s56
.LBB48_558:
	s_or_b32 exec_lo, exec_lo, s8
	v_mov_b32_e32 v106, 0
	ds_read_b128 v[110:113], v106 offset:352
	s_waitcnt lgkmcnt(0)
	v_mul_f64 v[106:107], v[3:4], v[112:113]
	v_mul_f64 v[112:113], v[1:2], v[112:113]
	v_fma_f64 v[1:2], v[1:2], v[110:111], -v[106:107]
	v_fma_f64 v[3:4], v[3:4], v[110:111], v[112:113]
	buffer_store_dword v2, off, s[0:3], 0 offset:356
	buffer_store_dword v1, off, s[0:3], 0 offset:352
	;; [unrolled: 1-line block ×4, first 2 shown]
.LBB48_559:
	s_or_b32 exec_lo, exec_lo, s4
	v_mov_b32_e32 v4, s33
	s_mov_b32 s4, exec_lo
	s_clause 0x3
	buffer_load_dword v1, v4, s[0:3], 0 offen
	buffer_load_dword v2, v4, s[0:3], 0 offen offset:4
	buffer_load_dword v3, v4, s[0:3], 0 offen offset:8
	;; [unrolled: 1-line block ×3, first 2 shown]
	s_waitcnt vmcnt(0)
	ds_write_b128 v104, v[1:4]
	s_waitcnt lgkmcnt(0)
	s_waitcnt_vscnt null, 0x0
	s_barrier
	buffer_gl0_inv
	v_cmpx_gt_u32_e32 23, v0
	s_cbranch_execz .LBB48_567
; %bb.560:
	ds_read_b128 v[1:4], v104
	v_cmp_ne_u32_e32 vcc_lo, 1, v105
	s_cbranch_vccnz .LBB48_562
; %bb.561:
	s_clause 0x3
	buffer_load_dword v106, v103, s[0:3], 0 offen offset:8
	buffer_load_dword v107, v103, s[0:3], 0 offen offset:12
	buffer_load_dword v110, v103, s[0:3], 0 offen
	buffer_load_dword v111, v103, s[0:3], 0 offen offset:4
	s_waitcnt vmcnt(2) lgkmcnt(0)
	v_mul_f64 v[112:113], v[3:4], v[106:107]
	v_mul_f64 v[106:107], v[1:2], v[106:107]
	s_waitcnt vmcnt(0)
	v_fma_f64 v[1:2], v[1:2], v[110:111], -v[112:113]
	v_fma_f64 v[3:4], v[3:4], v[110:111], v[106:107]
.LBB48_562:
	s_mov_b32 s8, exec_lo
	v_cmpx_ne_u32_e32 22, v0
	s_cbranch_execz .LBB48_566
; %bb.563:
	v_add_nc_u32_e32 v106, 0x320, v109
	v_add3_u32 v107, 0, v109, 16
	v_mov_b32_e32 v108, v0
	s_mov_b32 s56, 0
	.p2align	6
.LBB48_564:                             ; =>This Inner Loop Header: Depth=1
	s_clause 0x3
	buffer_load_dword v114, v107, s[0:3], 0 offen offset:8
	buffer_load_dword v115, v107, s[0:3], 0 offen offset:12
	buffer_load_dword v116, v107, s[0:3], 0 offen
	buffer_load_dword v117, v107, s[0:3], 0 offen offset:4
	ds_read_b128 v[110:113], v106
	v_add_nc_u32_e32 v108, 1, v108
	v_add_nc_u32_e32 v106, 16, v106
	;; [unrolled: 1-line block ×3, first 2 shown]
	v_cmp_lt_u32_e32 vcc_lo, 21, v108
	s_or_b32 s56, vcc_lo, s56
	s_waitcnt vmcnt(2) lgkmcnt(0)
	v_mul_f64 v[118:119], v[112:113], v[114:115]
	v_mul_f64 v[114:115], v[110:111], v[114:115]
	s_waitcnt vmcnt(0)
	v_fma_f64 v[110:111], v[110:111], v[116:117], -v[118:119]
	v_fma_f64 v[112:113], v[112:113], v[116:117], v[114:115]
	v_add_f64 v[1:2], v[1:2], v[110:111]
	v_add_f64 v[3:4], v[3:4], v[112:113]
	s_andn2_b32 exec_lo, exec_lo, s56
	s_cbranch_execnz .LBB48_564
; %bb.565:
	s_or_b32 exec_lo, exec_lo, s56
.LBB48_566:
	s_or_b32 exec_lo, exec_lo, s8
	v_mov_b32_e32 v106, 0
	ds_read_b128 v[110:113], v106 offset:368
	s_waitcnt lgkmcnt(0)
	v_mul_f64 v[106:107], v[3:4], v[112:113]
	v_mul_f64 v[112:113], v[1:2], v[112:113]
	v_fma_f64 v[1:2], v[1:2], v[110:111], -v[106:107]
	v_fma_f64 v[3:4], v[3:4], v[110:111], v[112:113]
	buffer_store_dword v2, off, s[0:3], 0 offset:372
	buffer_store_dword v1, off, s[0:3], 0 offset:368
	;; [unrolled: 1-line block ×4, first 2 shown]
.LBB48_567:
	s_or_b32 exec_lo, exec_lo, s4
	v_mov_b32_e32 v4, s31
	s_mov_b32 s4, exec_lo
	s_clause 0x3
	buffer_load_dword v1, v4, s[0:3], 0 offen
	buffer_load_dword v2, v4, s[0:3], 0 offen offset:4
	buffer_load_dword v3, v4, s[0:3], 0 offen offset:8
	;; [unrolled: 1-line block ×3, first 2 shown]
	s_waitcnt vmcnt(0)
	ds_write_b128 v104, v[1:4]
	s_waitcnt lgkmcnt(0)
	s_waitcnt_vscnt null, 0x0
	s_barrier
	buffer_gl0_inv
	v_cmpx_gt_u32_e32 24, v0
	s_cbranch_execz .LBB48_575
; %bb.568:
	ds_read_b128 v[1:4], v104
	v_cmp_ne_u32_e32 vcc_lo, 1, v105
	s_cbranch_vccnz .LBB48_570
; %bb.569:
	s_clause 0x3
	buffer_load_dword v106, v103, s[0:3], 0 offen offset:8
	buffer_load_dword v107, v103, s[0:3], 0 offen offset:12
	buffer_load_dword v110, v103, s[0:3], 0 offen
	buffer_load_dword v111, v103, s[0:3], 0 offen offset:4
	s_waitcnt vmcnt(2) lgkmcnt(0)
	v_mul_f64 v[112:113], v[3:4], v[106:107]
	v_mul_f64 v[106:107], v[1:2], v[106:107]
	s_waitcnt vmcnt(0)
	v_fma_f64 v[1:2], v[1:2], v[110:111], -v[112:113]
	v_fma_f64 v[3:4], v[3:4], v[110:111], v[106:107]
.LBB48_570:
	s_mov_b32 s8, exec_lo
	v_cmpx_ne_u32_e32 23, v0
	s_cbranch_execz .LBB48_574
; %bb.571:
	v_add_nc_u32_e32 v106, 0x320, v109
	v_add3_u32 v107, 0, v109, 16
	v_mov_b32_e32 v108, v0
	s_mov_b32 s56, 0
	.p2align	6
.LBB48_572:                             ; =>This Inner Loop Header: Depth=1
	s_clause 0x3
	buffer_load_dword v114, v107, s[0:3], 0 offen offset:8
	buffer_load_dword v115, v107, s[0:3], 0 offen offset:12
	buffer_load_dword v116, v107, s[0:3], 0 offen
	buffer_load_dword v117, v107, s[0:3], 0 offen offset:4
	ds_read_b128 v[110:113], v106
	v_add_nc_u32_e32 v108, 1, v108
	v_add_nc_u32_e32 v106, 16, v106
	;; [unrolled: 1-line block ×3, first 2 shown]
	v_cmp_lt_u32_e32 vcc_lo, 22, v108
	s_or_b32 s56, vcc_lo, s56
	s_waitcnt vmcnt(2) lgkmcnt(0)
	v_mul_f64 v[118:119], v[112:113], v[114:115]
	v_mul_f64 v[114:115], v[110:111], v[114:115]
	s_waitcnt vmcnt(0)
	v_fma_f64 v[110:111], v[110:111], v[116:117], -v[118:119]
	v_fma_f64 v[112:113], v[112:113], v[116:117], v[114:115]
	v_add_f64 v[1:2], v[1:2], v[110:111]
	v_add_f64 v[3:4], v[3:4], v[112:113]
	s_andn2_b32 exec_lo, exec_lo, s56
	s_cbranch_execnz .LBB48_572
; %bb.573:
	s_or_b32 exec_lo, exec_lo, s56
.LBB48_574:
	s_or_b32 exec_lo, exec_lo, s8
	v_mov_b32_e32 v106, 0
	ds_read_b128 v[110:113], v106 offset:384
	s_waitcnt lgkmcnt(0)
	v_mul_f64 v[106:107], v[3:4], v[112:113]
	v_mul_f64 v[112:113], v[1:2], v[112:113]
	v_fma_f64 v[1:2], v[1:2], v[110:111], -v[106:107]
	v_fma_f64 v[3:4], v[3:4], v[110:111], v[112:113]
	buffer_store_dword v2, off, s[0:3], 0 offset:388
	buffer_store_dword v1, off, s[0:3], 0 offset:384
	;; [unrolled: 1-line block ×4, first 2 shown]
.LBB48_575:
	s_or_b32 exec_lo, exec_lo, s4
	v_mov_b32_e32 v4, s30
	s_mov_b32 s4, exec_lo
	s_clause 0x3
	buffer_load_dword v1, v4, s[0:3], 0 offen
	buffer_load_dword v2, v4, s[0:3], 0 offen offset:4
	buffer_load_dword v3, v4, s[0:3], 0 offen offset:8
	;; [unrolled: 1-line block ×3, first 2 shown]
	s_waitcnt vmcnt(0)
	ds_write_b128 v104, v[1:4]
	s_waitcnt lgkmcnt(0)
	s_waitcnt_vscnt null, 0x0
	s_barrier
	buffer_gl0_inv
	v_cmpx_gt_u32_e32 25, v0
	s_cbranch_execz .LBB48_583
; %bb.576:
	ds_read_b128 v[1:4], v104
	v_cmp_ne_u32_e32 vcc_lo, 1, v105
	s_cbranch_vccnz .LBB48_578
; %bb.577:
	s_clause 0x3
	buffer_load_dword v106, v103, s[0:3], 0 offen offset:8
	buffer_load_dword v107, v103, s[0:3], 0 offen offset:12
	buffer_load_dword v110, v103, s[0:3], 0 offen
	buffer_load_dword v111, v103, s[0:3], 0 offen offset:4
	s_waitcnt vmcnt(2) lgkmcnt(0)
	v_mul_f64 v[112:113], v[3:4], v[106:107]
	v_mul_f64 v[106:107], v[1:2], v[106:107]
	s_waitcnt vmcnt(0)
	v_fma_f64 v[1:2], v[1:2], v[110:111], -v[112:113]
	v_fma_f64 v[3:4], v[3:4], v[110:111], v[106:107]
.LBB48_578:
	s_mov_b32 s8, exec_lo
	v_cmpx_ne_u32_e32 24, v0
	s_cbranch_execz .LBB48_582
; %bb.579:
	v_add_nc_u32_e32 v106, 0x320, v109
	v_add3_u32 v107, 0, v109, 16
	v_mov_b32_e32 v108, v0
	s_mov_b32 s56, 0
	.p2align	6
.LBB48_580:                             ; =>This Inner Loop Header: Depth=1
	s_clause 0x3
	buffer_load_dword v114, v107, s[0:3], 0 offen offset:8
	buffer_load_dword v115, v107, s[0:3], 0 offen offset:12
	buffer_load_dword v116, v107, s[0:3], 0 offen
	buffer_load_dword v117, v107, s[0:3], 0 offen offset:4
	ds_read_b128 v[110:113], v106
	v_add_nc_u32_e32 v108, 1, v108
	v_add_nc_u32_e32 v106, 16, v106
	;; [unrolled: 1-line block ×3, first 2 shown]
	v_cmp_lt_u32_e32 vcc_lo, 23, v108
	s_or_b32 s56, vcc_lo, s56
	s_waitcnt vmcnt(2) lgkmcnt(0)
	v_mul_f64 v[118:119], v[112:113], v[114:115]
	v_mul_f64 v[114:115], v[110:111], v[114:115]
	s_waitcnt vmcnt(0)
	v_fma_f64 v[110:111], v[110:111], v[116:117], -v[118:119]
	v_fma_f64 v[112:113], v[112:113], v[116:117], v[114:115]
	v_add_f64 v[1:2], v[1:2], v[110:111]
	v_add_f64 v[3:4], v[3:4], v[112:113]
	s_andn2_b32 exec_lo, exec_lo, s56
	s_cbranch_execnz .LBB48_580
; %bb.581:
	s_or_b32 exec_lo, exec_lo, s56
.LBB48_582:
	s_or_b32 exec_lo, exec_lo, s8
	v_mov_b32_e32 v106, 0
	ds_read_b128 v[110:113], v106 offset:400
	s_waitcnt lgkmcnt(0)
	v_mul_f64 v[106:107], v[3:4], v[112:113]
	v_mul_f64 v[112:113], v[1:2], v[112:113]
	v_fma_f64 v[1:2], v[1:2], v[110:111], -v[106:107]
	v_fma_f64 v[3:4], v[3:4], v[110:111], v[112:113]
	buffer_store_dword v2, off, s[0:3], 0 offset:404
	buffer_store_dword v1, off, s[0:3], 0 offset:400
	;; [unrolled: 1-line block ×4, first 2 shown]
.LBB48_583:
	s_or_b32 exec_lo, exec_lo, s4
	v_mov_b32_e32 v4, s29
	s_mov_b32 s4, exec_lo
	s_clause 0x3
	buffer_load_dword v1, v4, s[0:3], 0 offen
	buffer_load_dword v2, v4, s[0:3], 0 offen offset:4
	buffer_load_dword v3, v4, s[0:3], 0 offen offset:8
	;; [unrolled: 1-line block ×3, first 2 shown]
	s_waitcnt vmcnt(0)
	ds_write_b128 v104, v[1:4]
	s_waitcnt lgkmcnt(0)
	s_waitcnt_vscnt null, 0x0
	s_barrier
	buffer_gl0_inv
	v_cmpx_gt_u32_e32 26, v0
	s_cbranch_execz .LBB48_591
; %bb.584:
	ds_read_b128 v[1:4], v104
	v_cmp_ne_u32_e32 vcc_lo, 1, v105
	s_cbranch_vccnz .LBB48_586
; %bb.585:
	s_clause 0x3
	buffer_load_dword v106, v103, s[0:3], 0 offen offset:8
	buffer_load_dword v107, v103, s[0:3], 0 offen offset:12
	buffer_load_dword v110, v103, s[0:3], 0 offen
	buffer_load_dword v111, v103, s[0:3], 0 offen offset:4
	s_waitcnt vmcnt(2) lgkmcnt(0)
	v_mul_f64 v[112:113], v[3:4], v[106:107]
	v_mul_f64 v[106:107], v[1:2], v[106:107]
	s_waitcnt vmcnt(0)
	v_fma_f64 v[1:2], v[1:2], v[110:111], -v[112:113]
	v_fma_f64 v[3:4], v[3:4], v[110:111], v[106:107]
.LBB48_586:
	s_mov_b32 s8, exec_lo
	v_cmpx_ne_u32_e32 25, v0
	s_cbranch_execz .LBB48_590
; %bb.587:
	v_add_nc_u32_e32 v106, 0x320, v109
	v_add3_u32 v107, 0, v109, 16
	v_mov_b32_e32 v108, v0
	s_mov_b32 s56, 0
	.p2align	6
.LBB48_588:                             ; =>This Inner Loop Header: Depth=1
	s_clause 0x3
	buffer_load_dword v114, v107, s[0:3], 0 offen offset:8
	buffer_load_dword v115, v107, s[0:3], 0 offen offset:12
	buffer_load_dword v116, v107, s[0:3], 0 offen
	buffer_load_dword v117, v107, s[0:3], 0 offen offset:4
	ds_read_b128 v[110:113], v106
	v_add_nc_u32_e32 v108, 1, v108
	v_add_nc_u32_e32 v106, 16, v106
	;; [unrolled: 1-line block ×3, first 2 shown]
	v_cmp_lt_u32_e32 vcc_lo, 24, v108
	s_or_b32 s56, vcc_lo, s56
	s_waitcnt vmcnt(2) lgkmcnt(0)
	v_mul_f64 v[118:119], v[112:113], v[114:115]
	v_mul_f64 v[114:115], v[110:111], v[114:115]
	s_waitcnt vmcnt(0)
	v_fma_f64 v[110:111], v[110:111], v[116:117], -v[118:119]
	v_fma_f64 v[112:113], v[112:113], v[116:117], v[114:115]
	v_add_f64 v[1:2], v[1:2], v[110:111]
	v_add_f64 v[3:4], v[3:4], v[112:113]
	s_andn2_b32 exec_lo, exec_lo, s56
	s_cbranch_execnz .LBB48_588
; %bb.589:
	s_or_b32 exec_lo, exec_lo, s56
.LBB48_590:
	s_or_b32 exec_lo, exec_lo, s8
	v_mov_b32_e32 v106, 0
	ds_read_b128 v[110:113], v106 offset:416
	s_waitcnt lgkmcnt(0)
	v_mul_f64 v[106:107], v[3:4], v[112:113]
	v_mul_f64 v[112:113], v[1:2], v[112:113]
	v_fma_f64 v[1:2], v[1:2], v[110:111], -v[106:107]
	v_fma_f64 v[3:4], v[3:4], v[110:111], v[112:113]
	buffer_store_dword v2, off, s[0:3], 0 offset:420
	buffer_store_dword v1, off, s[0:3], 0 offset:416
	;; [unrolled: 1-line block ×4, first 2 shown]
.LBB48_591:
	s_or_b32 exec_lo, exec_lo, s4
	v_mov_b32_e32 v4, s28
	s_mov_b32 s4, exec_lo
	s_clause 0x3
	buffer_load_dword v1, v4, s[0:3], 0 offen
	buffer_load_dword v2, v4, s[0:3], 0 offen offset:4
	buffer_load_dword v3, v4, s[0:3], 0 offen offset:8
	;; [unrolled: 1-line block ×3, first 2 shown]
	s_waitcnt vmcnt(0)
	ds_write_b128 v104, v[1:4]
	s_waitcnt lgkmcnt(0)
	s_waitcnt_vscnt null, 0x0
	s_barrier
	buffer_gl0_inv
	v_cmpx_gt_u32_e32 27, v0
	s_cbranch_execz .LBB48_599
; %bb.592:
	ds_read_b128 v[1:4], v104
	v_cmp_ne_u32_e32 vcc_lo, 1, v105
	s_cbranch_vccnz .LBB48_594
; %bb.593:
	s_clause 0x3
	buffer_load_dword v106, v103, s[0:3], 0 offen offset:8
	buffer_load_dword v107, v103, s[0:3], 0 offen offset:12
	buffer_load_dword v110, v103, s[0:3], 0 offen
	buffer_load_dword v111, v103, s[0:3], 0 offen offset:4
	s_waitcnt vmcnt(2) lgkmcnt(0)
	v_mul_f64 v[112:113], v[3:4], v[106:107]
	v_mul_f64 v[106:107], v[1:2], v[106:107]
	s_waitcnt vmcnt(0)
	v_fma_f64 v[1:2], v[1:2], v[110:111], -v[112:113]
	v_fma_f64 v[3:4], v[3:4], v[110:111], v[106:107]
.LBB48_594:
	s_mov_b32 s8, exec_lo
	v_cmpx_ne_u32_e32 26, v0
	s_cbranch_execz .LBB48_598
; %bb.595:
	v_add_nc_u32_e32 v106, 0x320, v109
	v_add3_u32 v107, 0, v109, 16
	v_mov_b32_e32 v108, v0
	s_mov_b32 s56, 0
	.p2align	6
.LBB48_596:                             ; =>This Inner Loop Header: Depth=1
	s_clause 0x3
	buffer_load_dword v114, v107, s[0:3], 0 offen offset:8
	buffer_load_dword v115, v107, s[0:3], 0 offen offset:12
	buffer_load_dword v116, v107, s[0:3], 0 offen
	buffer_load_dword v117, v107, s[0:3], 0 offen offset:4
	ds_read_b128 v[110:113], v106
	v_add_nc_u32_e32 v108, 1, v108
	v_add_nc_u32_e32 v106, 16, v106
	;; [unrolled: 1-line block ×3, first 2 shown]
	v_cmp_lt_u32_e32 vcc_lo, 25, v108
	s_or_b32 s56, vcc_lo, s56
	s_waitcnt vmcnt(2) lgkmcnt(0)
	v_mul_f64 v[118:119], v[112:113], v[114:115]
	v_mul_f64 v[114:115], v[110:111], v[114:115]
	s_waitcnt vmcnt(0)
	v_fma_f64 v[110:111], v[110:111], v[116:117], -v[118:119]
	v_fma_f64 v[112:113], v[112:113], v[116:117], v[114:115]
	v_add_f64 v[1:2], v[1:2], v[110:111]
	v_add_f64 v[3:4], v[3:4], v[112:113]
	s_andn2_b32 exec_lo, exec_lo, s56
	s_cbranch_execnz .LBB48_596
; %bb.597:
	s_or_b32 exec_lo, exec_lo, s56
.LBB48_598:
	s_or_b32 exec_lo, exec_lo, s8
	v_mov_b32_e32 v106, 0
	ds_read_b128 v[110:113], v106 offset:432
	s_waitcnt lgkmcnt(0)
	v_mul_f64 v[106:107], v[3:4], v[112:113]
	v_mul_f64 v[112:113], v[1:2], v[112:113]
	v_fma_f64 v[1:2], v[1:2], v[110:111], -v[106:107]
	v_fma_f64 v[3:4], v[3:4], v[110:111], v[112:113]
	buffer_store_dword v2, off, s[0:3], 0 offset:436
	buffer_store_dword v1, off, s[0:3], 0 offset:432
	;; [unrolled: 1-line block ×4, first 2 shown]
.LBB48_599:
	s_or_b32 exec_lo, exec_lo, s4
	v_mov_b32_e32 v4, s27
	s_mov_b32 s4, exec_lo
	s_clause 0x3
	buffer_load_dword v1, v4, s[0:3], 0 offen
	buffer_load_dword v2, v4, s[0:3], 0 offen offset:4
	buffer_load_dword v3, v4, s[0:3], 0 offen offset:8
	;; [unrolled: 1-line block ×3, first 2 shown]
	s_waitcnt vmcnt(0)
	ds_write_b128 v104, v[1:4]
	s_waitcnt lgkmcnt(0)
	s_waitcnt_vscnt null, 0x0
	s_barrier
	buffer_gl0_inv
	v_cmpx_gt_u32_e32 28, v0
	s_cbranch_execz .LBB48_607
; %bb.600:
	ds_read_b128 v[1:4], v104
	v_cmp_ne_u32_e32 vcc_lo, 1, v105
	s_cbranch_vccnz .LBB48_602
; %bb.601:
	s_clause 0x3
	buffer_load_dword v106, v103, s[0:3], 0 offen offset:8
	buffer_load_dword v107, v103, s[0:3], 0 offen offset:12
	buffer_load_dword v110, v103, s[0:3], 0 offen
	buffer_load_dword v111, v103, s[0:3], 0 offen offset:4
	s_waitcnt vmcnt(2) lgkmcnt(0)
	v_mul_f64 v[112:113], v[3:4], v[106:107]
	v_mul_f64 v[106:107], v[1:2], v[106:107]
	s_waitcnt vmcnt(0)
	v_fma_f64 v[1:2], v[1:2], v[110:111], -v[112:113]
	v_fma_f64 v[3:4], v[3:4], v[110:111], v[106:107]
.LBB48_602:
	s_mov_b32 s8, exec_lo
	v_cmpx_ne_u32_e32 27, v0
	s_cbranch_execz .LBB48_606
; %bb.603:
	v_add_nc_u32_e32 v106, 0x320, v109
	v_add3_u32 v107, 0, v109, 16
	v_mov_b32_e32 v108, v0
	s_mov_b32 s56, 0
	.p2align	6
.LBB48_604:                             ; =>This Inner Loop Header: Depth=1
	s_clause 0x3
	buffer_load_dword v114, v107, s[0:3], 0 offen offset:8
	buffer_load_dword v115, v107, s[0:3], 0 offen offset:12
	buffer_load_dword v116, v107, s[0:3], 0 offen
	buffer_load_dword v117, v107, s[0:3], 0 offen offset:4
	ds_read_b128 v[110:113], v106
	v_add_nc_u32_e32 v108, 1, v108
	v_add_nc_u32_e32 v106, 16, v106
	;; [unrolled: 1-line block ×3, first 2 shown]
	v_cmp_lt_u32_e32 vcc_lo, 26, v108
	s_or_b32 s56, vcc_lo, s56
	s_waitcnt vmcnt(2) lgkmcnt(0)
	v_mul_f64 v[118:119], v[112:113], v[114:115]
	v_mul_f64 v[114:115], v[110:111], v[114:115]
	s_waitcnt vmcnt(0)
	v_fma_f64 v[110:111], v[110:111], v[116:117], -v[118:119]
	v_fma_f64 v[112:113], v[112:113], v[116:117], v[114:115]
	v_add_f64 v[1:2], v[1:2], v[110:111]
	v_add_f64 v[3:4], v[3:4], v[112:113]
	s_andn2_b32 exec_lo, exec_lo, s56
	s_cbranch_execnz .LBB48_604
; %bb.605:
	s_or_b32 exec_lo, exec_lo, s56
.LBB48_606:
	s_or_b32 exec_lo, exec_lo, s8
	v_mov_b32_e32 v106, 0
	ds_read_b128 v[110:113], v106 offset:448
	s_waitcnt lgkmcnt(0)
	v_mul_f64 v[106:107], v[3:4], v[112:113]
	v_mul_f64 v[112:113], v[1:2], v[112:113]
	v_fma_f64 v[1:2], v[1:2], v[110:111], -v[106:107]
	v_fma_f64 v[3:4], v[3:4], v[110:111], v[112:113]
	buffer_store_dword v2, off, s[0:3], 0 offset:452
	buffer_store_dword v1, off, s[0:3], 0 offset:448
	;; [unrolled: 1-line block ×4, first 2 shown]
.LBB48_607:
	s_or_b32 exec_lo, exec_lo, s4
	v_mov_b32_e32 v4, s26
	s_mov_b32 s4, exec_lo
	s_clause 0x3
	buffer_load_dword v1, v4, s[0:3], 0 offen
	buffer_load_dword v2, v4, s[0:3], 0 offen offset:4
	buffer_load_dword v3, v4, s[0:3], 0 offen offset:8
	;; [unrolled: 1-line block ×3, first 2 shown]
	s_waitcnt vmcnt(0)
	ds_write_b128 v104, v[1:4]
	s_waitcnt lgkmcnt(0)
	s_waitcnt_vscnt null, 0x0
	s_barrier
	buffer_gl0_inv
	v_cmpx_gt_u32_e32 29, v0
	s_cbranch_execz .LBB48_615
; %bb.608:
	ds_read_b128 v[1:4], v104
	v_cmp_ne_u32_e32 vcc_lo, 1, v105
	s_cbranch_vccnz .LBB48_610
; %bb.609:
	s_clause 0x3
	buffer_load_dword v106, v103, s[0:3], 0 offen offset:8
	buffer_load_dword v107, v103, s[0:3], 0 offen offset:12
	buffer_load_dword v110, v103, s[0:3], 0 offen
	buffer_load_dword v111, v103, s[0:3], 0 offen offset:4
	s_waitcnt vmcnt(2) lgkmcnt(0)
	v_mul_f64 v[112:113], v[3:4], v[106:107]
	v_mul_f64 v[106:107], v[1:2], v[106:107]
	s_waitcnt vmcnt(0)
	v_fma_f64 v[1:2], v[1:2], v[110:111], -v[112:113]
	v_fma_f64 v[3:4], v[3:4], v[110:111], v[106:107]
.LBB48_610:
	s_mov_b32 s8, exec_lo
	v_cmpx_ne_u32_e32 28, v0
	s_cbranch_execz .LBB48_614
; %bb.611:
	v_add_nc_u32_e32 v106, 0x320, v109
	v_add3_u32 v107, 0, v109, 16
	v_mov_b32_e32 v108, v0
	s_mov_b32 s56, 0
	.p2align	6
.LBB48_612:                             ; =>This Inner Loop Header: Depth=1
	s_clause 0x3
	buffer_load_dword v114, v107, s[0:3], 0 offen offset:8
	buffer_load_dword v115, v107, s[0:3], 0 offen offset:12
	buffer_load_dword v116, v107, s[0:3], 0 offen
	buffer_load_dword v117, v107, s[0:3], 0 offen offset:4
	ds_read_b128 v[110:113], v106
	v_add_nc_u32_e32 v108, 1, v108
	v_add_nc_u32_e32 v106, 16, v106
	v_add_nc_u32_e32 v107, 16, v107
	v_cmp_lt_u32_e32 vcc_lo, 27, v108
	s_or_b32 s56, vcc_lo, s56
	s_waitcnt vmcnt(2) lgkmcnt(0)
	v_mul_f64 v[118:119], v[112:113], v[114:115]
	v_mul_f64 v[114:115], v[110:111], v[114:115]
	s_waitcnt vmcnt(0)
	v_fma_f64 v[110:111], v[110:111], v[116:117], -v[118:119]
	v_fma_f64 v[112:113], v[112:113], v[116:117], v[114:115]
	v_add_f64 v[1:2], v[1:2], v[110:111]
	v_add_f64 v[3:4], v[3:4], v[112:113]
	s_andn2_b32 exec_lo, exec_lo, s56
	s_cbranch_execnz .LBB48_612
; %bb.613:
	s_or_b32 exec_lo, exec_lo, s56
.LBB48_614:
	s_or_b32 exec_lo, exec_lo, s8
	v_mov_b32_e32 v106, 0
	ds_read_b128 v[110:113], v106 offset:464
	s_waitcnt lgkmcnt(0)
	v_mul_f64 v[106:107], v[3:4], v[112:113]
	v_mul_f64 v[112:113], v[1:2], v[112:113]
	v_fma_f64 v[1:2], v[1:2], v[110:111], -v[106:107]
	v_fma_f64 v[3:4], v[3:4], v[110:111], v[112:113]
	buffer_store_dword v2, off, s[0:3], 0 offset:468
	buffer_store_dword v1, off, s[0:3], 0 offset:464
	;; [unrolled: 1-line block ×4, first 2 shown]
.LBB48_615:
	s_or_b32 exec_lo, exec_lo, s4
	v_mov_b32_e32 v4, s25
	s_mov_b32 s4, exec_lo
	s_clause 0x3
	buffer_load_dword v1, v4, s[0:3], 0 offen
	buffer_load_dword v2, v4, s[0:3], 0 offen offset:4
	buffer_load_dword v3, v4, s[0:3], 0 offen offset:8
	;; [unrolled: 1-line block ×3, first 2 shown]
	s_waitcnt vmcnt(0)
	ds_write_b128 v104, v[1:4]
	s_waitcnt lgkmcnt(0)
	s_waitcnt_vscnt null, 0x0
	s_barrier
	buffer_gl0_inv
	v_cmpx_gt_u32_e32 30, v0
	s_cbranch_execz .LBB48_623
; %bb.616:
	ds_read_b128 v[1:4], v104
	v_cmp_ne_u32_e32 vcc_lo, 1, v105
	s_cbranch_vccnz .LBB48_618
; %bb.617:
	s_clause 0x3
	buffer_load_dword v106, v103, s[0:3], 0 offen offset:8
	buffer_load_dword v107, v103, s[0:3], 0 offen offset:12
	buffer_load_dword v110, v103, s[0:3], 0 offen
	buffer_load_dword v111, v103, s[0:3], 0 offen offset:4
	s_waitcnt vmcnt(2) lgkmcnt(0)
	v_mul_f64 v[112:113], v[3:4], v[106:107]
	v_mul_f64 v[106:107], v[1:2], v[106:107]
	s_waitcnt vmcnt(0)
	v_fma_f64 v[1:2], v[1:2], v[110:111], -v[112:113]
	v_fma_f64 v[3:4], v[3:4], v[110:111], v[106:107]
.LBB48_618:
	s_mov_b32 s8, exec_lo
	v_cmpx_ne_u32_e32 29, v0
	s_cbranch_execz .LBB48_622
; %bb.619:
	v_add_nc_u32_e32 v106, 0x320, v109
	v_add3_u32 v107, 0, v109, 16
	v_mov_b32_e32 v108, v0
	s_mov_b32 s56, 0
	.p2align	6
.LBB48_620:                             ; =>This Inner Loop Header: Depth=1
	s_clause 0x3
	buffer_load_dword v114, v107, s[0:3], 0 offen offset:8
	buffer_load_dword v115, v107, s[0:3], 0 offen offset:12
	buffer_load_dword v116, v107, s[0:3], 0 offen
	buffer_load_dword v117, v107, s[0:3], 0 offen offset:4
	ds_read_b128 v[110:113], v106
	v_add_nc_u32_e32 v108, 1, v108
	v_add_nc_u32_e32 v106, 16, v106
	;; [unrolled: 1-line block ×3, first 2 shown]
	v_cmp_lt_u32_e32 vcc_lo, 28, v108
	s_or_b32 s56, vcc_lo, s56
	s_waitcnt vmcnt(2) lgkmcnt(0)
	v_mul_f64 v[118:119], v[112:113], v[114:115]
	v_mul_f64 v[114:115], v[110:111], v[114:115]
	s_waitcnt vmcnt(0)
	v_fma_f64 v[110:111], v[110:111], v[116:117], -v[118:119]
	v_fma_f64 v[112:113], v[112:113], v[116:117], v[114:115]
	v_add_f64 v[1:2], v[1:2], v[110:111]
	v_add_f64 v[3:4], v[3:4], v[112:113]
	s_andn2_b32 exec_lo, exec_lo, s56
	s_cbranch_execnz .LBB48_620
; %bb.621:
	s_or_b32 exec_lo, exec_lo, s56
.LBB48_622:
	s_or_b32 exec_lo, exec_lo, s8
	v_mov_b32_e32 v106, 0
	ds_read_b128 v[110:113], v106 offset:480
	s_waitcnt lgkmcnt(0)
	v_mul_f64 v[106:107], v[3:4], v[112:113]
	v_mul_f64 v[112:113], v[1:2], v[112:113]
	v_fma_f64 v[1:2], v[1:2], v[110:111], -v[106:107]
	v_fma_f64 v[3:4], v[3:4], v[110:111], v[112:113]
	buffer_store_dword v2, off, s[0:3], 0 offset:484
	buffer_store_dword v1, off, s[0:3], 0 offset:480
	;; [unrolled: 1-line block ×4, first 2 shown]
.LBB48_623:
	s_or_b32 exec_lo, exec_lo, s4
	v_mov_b32_e32 v4, s24
	s_mov_b32 s4, exec_lo
	s_clause 0x3
	buffer_load_dword v1, v4, s[0:3], 0 offen
	buffer_load_dword v2, v4, s[0:3], 0 offen offset:4
	buffer_load_dword v3, v4, s[0:3], 0 offen offset:8
	;; [unrolled: 1-line block ×3, first 2 shown]
	s_waitcnt vmcnt(0)
	ds_write_b128 v104, v[1:4]
	s_waitcnt lgkmcnt(0)
	s_waitcnt_vscnt null, 0x0
	s_barrier
	buffer_gl0_inv
	v_cmpx_gt_u32_e32 31, v0
	s_cbranch_execz .LBB48_631
; %bb.624:
	ds_read_b128 v[1:4], v104
	v_cmp_ne_u32_e32 vcc_lo, 1, v105
	s_cbranch_vccnz .LBB48_626
; %bb.625:
	s_clause 0x3
	buffer_load_dword v106, v103, s[0:3], 0 offen offset:8
	buffer_load_dword v107, v103, s[0:3], 0 offen offset:12
	buffer_load_dword v110, v103, s[0:3], 0 offen
	buffer_load_dword v111, v103, s[0:3], 0 offen offset:4
	s_waitcnt vmcnt(2) lgkmcnt(0)
	v_mul_f64 v[112:113], v[3:4], v[106:107]
	v_mul_f64 v[106:107], v[1:2], v[106:107]
	s_waitcnt vmcnt(0)
	v_fma_f64 v[1:2], v[1:2], v[110:111], -v[112:113]
	v_fma_f64 v[3:4], v[3:4], v[110:111], v[106:107]
.LBB48_626:
	s_mov_b32 s8, exec_lo
	v_cmpx_ne_u32_e32 30, v0
	s_cbranch_execz .LBB48_630
; %bb.627:
	v_add_nc_u32_e32 v106, 0x320, v109
	v_add3_u32 v107, 0, v109, 16
	v_mov_b32_e32 v108, v0
	s_mov_b32 s56, 0
	.p2align	6
.LBB48_628:                             ; =>This Inner Loop Header: Depth=1
	s_clause 0x3
	buffer_load_dword v114, v107, s[0:3], 0 offen offset:8
	buffer_load_dword v115, v107, s[0:3], 0 offen offset:12
	buffer_load_dword v116, v107, s[0:3], 0 offen
	buffer_load_dword v117, v107, s[0:3], 0 offen offset:4
	ds_read_b128 v[110:113], v106
	v_add_nc_u32_e32 v108, 1, v108
	v_add_nc_u32_e32 v106, 16, v106
	;; [unrolled: 1-line block ×3, first 2 shown]
	v_cmp_lt_u32_e32 vcc_lo, 29, v108
	s_or_b32 s56, vcc_lo, s56
	s_waitcnt vmcnt(2) lgkmcnt(0)
	v_mul_f64 v[118:119], v[112:113], v[114:115]
	v_mul_f64 v[114:115], v[110:111], v[114:115]
	s_waitcnt vmcnt(0)
	v_fma_f64 v[110:111], v[110:111], v[116:117], -v[118:119]
	v_fma_f64 v[112:113], v[112:113], v[116:117], v[114:115]
	v_add_f64 v[1:2], v[1:2], v[110:111]
	v_add_f64 v[3:4], v[3:4], v[112:113]
	s_andn2_b32 exec_lo, exec_lo, s56
	s_cbranch_execnz .LBB48_628
; %bb.629:
	s_or_b32 exec_lo, exec_lo, s56
.LBB48_630:
	s_or_b32 exec_lo, exec_lo, s8
	v_mov_b32_e32 v106, 0
	ds_read_b128 v[110:113], v106 offset:496
	s_waitcnt lgkmcnt(0)
	v_mul_f64 v[106:107], v[3:4], v[112:113]
	v_mul_f64 v[112:113], v[1:2], v[112:113]
	v_fma_f64 v[1:2], v[1:2], v[110:111], -v[106:107]
	v_fma_f64 v[3:4], v[3:4], v[110:111], v[112:113]
	buffer_store_dword v2, off, s[0:3], 0 offset:500
	buffer_store_dword v1, off, s[0:3], 0 offset:496
	;; [unrolled: 1-line block ×4, first 2 shown]
.LBB48_631:
	s_or_b32 exec_lo, exec_lo, s4
	v_mov_b32_e32 v4, s23
	s_mov_b32 s4, exec_lo
	s_clause 0x3
	buffer_load_dword v1, v4, s[0:3], 0 offen
	buffer_load_dword v2, v4, s[0:3], 0 offen offset:4
	buffer_load_dword v3, v4, s[0:3], 0 offen offset:8
	;; [unrolled: 1-line block ×3, first 2 shown]
	s_waitcnt vmcnt(0)
	ds_write_b128 v104, v[1:4]
	s_waitcnt lgkmcnt(0)
	s_waitcnt_vscnt null, 0x0
	s_barrier
	buffer_gl0_inv
	v_cmpx_gt_u32_e32 32, v0
	s_cbranch_execz .LBB48_639
; %bb.632:
	ds_read_b128 v[1:4], v104
	v_cmp_ne_u32_e32 vcc_lo, 1, v105
	s_cbranch_vccnz .LBB48_634
; %bb.633:
	s_clause 0x3
	buffer_load_dword v106, v103, s[0:3], 0 offen offset:8
	buffer_load_dword v107, v103, s[0:3], 0 offen offset:12
	buffer_load_dword v110, v103, s[0:3], 0 offen
	buffer_load_dword v111, v103, s[0:3], 0 offen offset:4
	s_waitcnt vmcnt(2) lgkmcnt(0)
	v_mul_f64 v[112:113], v[3:4], v[106:107]
	v_mul_f64 v[106:107], v[1:2], v[106:107]
	s_waitcnt vmcnt(0)
	v_fma_f64 v[1:2], v[1:2], v[110:111], -v[112:113]
	v_fma_f64 v[3:4], v[3:4], v[110:111], v[106:107]
.LBB48_634:
	s_mov_b32 s8, exec_lo
	v_cmpx_ne_u32_e32 31, v0
	s_cbranch_execz .LBB48_638
; %bb.635:
	v_add_nc_u32_e32 v106, 0x320, v109
	v_add3_u32 v107, 0, v109, 16
	v_mov_b32_e32 v108, v0
	s_mov_b32 s56, 0
	.p2align	6
.LBB48_636:                             ; =>This Inner Loop Header: Depth=1
	s_clause 0x3
	buffer_load_dword v114, v107, s[0:3], 0 offen offset:8
	buffer_load_dword v115, v107, s[0:3], 0 offen offset:12
	buffer_load_dword v116, v107, s[0:3], 0 offen
	buffer_load_dword v117, v107, s[0:3], 0 offen offset:4
	ds_read_b128 v[110:113], v106
	v_add_nc_u32_e32 v108, 1, v108
	v_add_nc_u32_e32 v106, 16, v106
	;; [unrolled: 1-line block ×3, first 2 shown]
	v_cmp_lt_u32_e32 vcc_lo, 30, v108
	s_or_b32 s56, vcc_lo, s56
	s_waitcnt vmcnt(2) lgkmcnt(0)
	v_mul_f64 v[118:119], v[112:113], v[114:115]
	v_mul_f64 v[114:115], v[110:111], v[114:115]
	s_waitcnt vmcnt(0)
	v_fma_f64 v[110:111], v[110:111], v[116:117], -v[118:119]
	v_fma_f64 v[112:113], v[112:113], v[116:117], v[114:115]
	v_add_f64 v[1:2], v[1:2], v[110:111]
	v_add_f64 v[3:4], v[3:4], v[112:113]
	s_andn2_b32 exec_lo, exec_lo, s56
	s_cbranch_execnz .LBB48_636
; %bb.637:
	s_or_b32 exec_lo, exec_lo, s56
.LBB48_638:
	s_or_b32 exec_lo, exec_lo, s8
	v_mov_b32_e32 v106, 0
	ds_read_b128 v[110:113], v106 offset:512
	s_waitcnt lgkmcnt(0)
	v_mul_f64 v[106:107], v[3:4], v[112:113]
	v_mul_f64 v[112:113], v[1:2], v[112:113]
	v_fma_f64 v[1:2], v[1:2], v[110:111], -v[106:107]
	v_fma_f64 v[3:4], v[3:4], v[110:111], v[112:113]
	buffer_store_dword v2, off, s[0:3], 0 offset:516
	buffer_store_dword v1, off, s[0:3], 0 offset:512
	;; [unrolled: 1-line block ×4, first 2 shown]
.LBB48_639:
	s_or_b32 exec_lo, exec_lo, s4
	v_mov_b32_e32 v4, s22
	s_mov_b32 s4, exec_lo
	s_clause 0x3
	buffer_load_dword v1, v4, s[0:3], 0 offen
	buffer_load_dword v2, v4, s[0:3], 0 offen offset:4
	buffer_load_dword v3, v4, s[0:3], 0 offen offset:8
	;; [unrolled: 1-line block ×3, first 2 shown]
	s_waitcnt vmcnt(0)
	ds_write_b128 v104, v[1:4]
	s_waitcnt lgkmcnt(0)
	s_waitcnt_vscnt null, 0x0
	s_barrier
	buffer_gl0_inv
	v_cmpx_gt_u32_e32 33, v0
	s_cbranch_execz .LBB48_647
; %bb.640:
	ds_read_b128 v[1:4], v104
	v_cmp_ne_u32_e32 vcc_lo, 1, v105
	s_cbranch_vccnz .LBB48_642
; %bb.641:
	s_clause 0x3
	buffer_load_dword v106, v103, s[0:3], 0 offen offset:8
	buffer_load_dword v107, v103, s[0:3], 0 offen offset:12
	buffer_load_dword v110, v103, s[0:3], 0 offen
	buffer_load_dword v111, v103, s[0:3], 0 offen offset:4
	s_waitcnt vmcnt(2) lgkmcnt(0)
	v_mul_f64 v[112:113], v[3:4], v[106:107]
	v_mul_f64 v[106:107], v[1:2], v[106:107]
	s_waitcnt vmcnt(0)
	v_fma_f64 v[1:2], v[1:2], v[110:111], -v[112:113]
	v_fma_f64 v[3:4], v[3:4], v[110:111], v[106:107]
.LBB48_642:
	s_mov_b32 s8, exec_lo
	v_cmpx_ne_u32_e32 32, v0
	s_cbranch_execz .LBB48_646
; %bb.643:
	v_add_nc_u32_e32 v106, 0x320, v109
	v_add3_u32 v107, 0, v109, 16
	v_mov_b32_e32 v108, v0
	s_mov_b32 s56, 0
	.p2align	6
.LBB48_644:                             ; =>This Inner Loop Header: Depth=1
	s_clause 0x3
	buffer_load_dword v114, v107, s[0:3], 0 offen offset:8
	buffer_load_dword v115, v107, s[0:3], 0 offen offset:12
	buffer_load_dword v116, v107, s[0:3], 0 offen
	buffer_load_dword v117, v107, s[0:3], 0 offen offset:4
	ds_read_b128 v[110:113], v106
	v_add_nc_u32_e32 v108, 1, v108
	v_add_nc_u32_e32 v106, 16, v106
	;; [unrolled: 1-line block ×3, first 2 shown]
	v_cmp_lt_u32_e32 vcc_lo, 31, v108
	s_or_b32 s56, vcc_lo, s56
	s_waitcnt vmcnt(2) lgkmcnt(0)
	v_mul_f64 v[118:119], v[112:113], v[114:115]
	v_mul_f64 v[114:115], v[110:111], v[114:115]
	s_waitcnt vmcnt(0)
	v_fma_f64 v[110:111], v[110:111], v[116:117], -v[118:119]
	v_fma_f64 v[112:113], v[112:113], v[116:117], v[114:115]
	v_add_f64 v[1:2], v[1:2], v[110:111]
	v_add_f64 v[3:4], v[3:4], v[112:113]
	s_andn2_b32 exec_lo, exec_lo, s56
	s_cbranch_execnz .LBB48_644
; %bb.645:
	s_or_b32 exec_lo, exec_lo, s56
.LBB48_646:
	s_or_b32 exec_lo, exec_lo, s8
	v_mov_b32_e32 v106, 0
	ds_read_b128 v[110:113], v106 offset:528
	s_waitcnt lgkmcnt(0)
	v_mul_f64 v[106:107], v[3:4], v[112:113]
	v_mul_f64 v[112:113], v[1:2], v[112:113]
	v_fma_f64 v[1:2], v[1:2], v[110:111], -v[106:107]
	v_fma_f64 v[3:4], v[3:4], v[110:111], v[112:113]
	buffer_store_dword v2, off, s[0:3], 0 offset:532
	buffer_store_dword v1, off, s[0:3], 0 offset:528
	;; [unrolled: 1-line block ×4, first 2 shown]
.LBB48_647:
	s_or_b32 exec_lo, exec_lo, s4
	v_mov_b32_e32 v4, s21
	s_mov_b32 s4, exec_lo
	s_clause 0x3
	buffer_load_dword v1, v4, s[0:3], 0 offen
	buffer_load_dword v2, v4, s[0:3], 0 offen offset:4
	buffer_load_dword v3, v4, s[0:3], 0 offen offset:8
	;; [unrolled: 1-line block ×3, first 2 shown]
	s_waitcnt vmcnt(0)
	ds_write_b128 v104, v[1:4]
	s_waitcnt lgkmcnt(0)
	s_waitcnt_vscnt null, 0x0
	s_barrier
	buffer_gl0_inv
	v_cmpx_gt_u32_e32 34, v0
	s_cbranch_execz .LBB48_655
; %bb.648:
	ds_read_b128 v[1:4], v104
	v_cmp_ne_u32_e32 vcc_lo, 1, v105
	s_cbranch_vccnz .LBB48_650
; %bb.649:
	s_clause 0x3
	buffer_load_dword v106, v103, s[0:3], 0 offen offset:8
	buffer_load_dword v107, v103, s[0:3], 0 offen offset:12
	buffer_load_dword v110, v103, s[0:3], 0 offen
	buffer_load_dword v111, v103, s[0:3], 0 offen offset:4
	s_waitcnt vmcnt(2) lgkmcnt(0)
	v_mul_f64 v[112:113], v[3:4], v[106:107]
	v_mul_f64 v[106:107], v[1:2], v[106:107]
	s_waitcnt vmcnt(0)
	v_fma_f64 v[1:2], v[1:2], v[110:111], -v[112:113]
	v_fma_f64 v[3:4], v[3:4], v[110:111], v[106:107]
.LBB48_650:
	s_mov_b32 s8, exec_lo
	v_cmpx_ne_u32_e32 33, v0
	s_cbranch_execz .LBB48_654
; %bb.651:
	v_add_nc_u32_e32 v106, 0x320, v109
	v_add3_u32 v107, 0, v109, 16
	v_mov_b32_e32 v108, v0
	s_mov_b32 s56, 0
	.p2align	6
.LBB48_652:                             ; =>This Inner Loop Header: Depth=1
	s_clause 0x3
	buffer_load_dword v114, v107, s[0:3], 0 offen offset:8
	buffer_load_dword v115, v107, s[0:3], 0 offen offset:12
	buffer_load_dword v116, v107, s[0:3], 0 offen
	buffer_load_dword v117, v107, s[0:3], 0 offen offset:4
	ds_read_b128 v[110:113], v106
	v_add_nc_u32_e32 v108, 1, v108
	v_add_nc_u32_e32 v106, 16, v106
	;; [unrolled: 1-line block ×3, first 2 shown]
	v_cmp_lt_u32_e32 vcc_lo, 32, v108
	s_or_b32 s56, vcc_lo, s56
	s_waitcnt vmcnt(2) lgkmcnt(0)
	v_mul_f64 v[118:119], v[112:113], v[114:115]
	v_mul_f64 v[114:115], v[110:111], v[114:115]
	s_waitcnt vmcnt(0)
	v_fma_f64 v[110:111], v[110:111], v[116:117], -v[118:119]
	v_fma_f64 v[112:113], v[112:113], v[116:117], v[114:115]
	v_add_f64 v[1:2], v[1:2], v[110:111]
	v_add_f64 v[3:4], v[3:4], v[112:113]
	s_andn2_b32 exec_lo, exec_lo, s56
	s_cbranch_execnz .LBB48_652
; %bb.653:
	s_or_b32 exec_lo, exec_lo, s56
.LBB48_654:
	s_or_b32 exec_lo, exec_lo, s8
	v_mov_b32_e32 v106, 0
	ds_read_b128 v[110:113], v106 offset:544
	s_waitcnt lgkmcnt(0)
	v_mul_f64 v[106:107], v[3:4], v[112:113]
	v_mul_f64 v[112:113], v[1:2], v[112:113]
	v_fma_f64 v[1:2], v[1:2], v[110:111], -v[106:107]
	v_fma_f64 v[3:4], v[3:4], v[110:111], v[112:113]
	buffer_store_dword v2, off, s[0:3], 0 offset:548
	buffer_store_dword v1, off, s[0:3], 0 offset:544
	;; [unrolled: 1-line block ×4, first 2 shown]
.LBB48_655:
	s_or_b32 exec_lo, exec_lo, s4
	v_mov_b32_e32 v4, s20
	s_mov_b32 s4, exec_lo
	s_clause 0x3
	buffer_load_dword v1, v4, s[0:3], 0 offen
	buffer_load_dword v2, v4, s[0:3], 0 offen offset:4
	buffer_load_dword v3, v4, s[0:3], 0 offen offset:8
	buffer_load_dword v4, v4, s[0:3], 0 offen offset:12
	s_waitcnt vmcnt(0)
	ds_write_b128 v104, v[1:4]
	s_waitcnt lgkmcnt(0)
	s_waitcnt_vscnt null, 0x0
	s_barrier
	buffer_gl0_inv
	v_cmpx_gt_u32_e32 35, v0
	s_cbranch_execz .LBB48_663
; %bb.656:
	ds_read_b128 v[1:4], v104
	v_cmp_ne_u32_e32 vcc_lo, 1, v105
	s_cbranch_vccnz .LBB48_658
; %bb.657:
	s_clause 0x3
	buffer_load_dword v106, v103, s[0:3], 0 offen offset:8
	buffer_load_dword v107, v103, s[0:3], 0 offen offset:12
	buffer_load_dword v110, v103, s[0:3], 0 offen
	buffer_load_dword v111, v103, s[0:3], 0 offen offset:4
	s_waitcnt vmcnt(2) lgkmcnt(0)
	v_mul_f64 v[112:113], v[3:4], v[106:107]
	v_mul_f64 v[106:107], v[1:2], v[106:107]
	s_waitcnt vmcnt(0)
	v_fma_f64 v[1:2], v[1:2], v[110:111], -v[112:113]
	v_fma_f64 v[3:4], v[3:4], v[110:111], v[106:107]
.LBB48_658:
	s_mov_b32 s8, exec_lo
	v_cmpx_ne_u32_e32 34, v0
	s_cbranch_execz .LBB48_662
; %bb.659:
	v_add_nc_u32_e32 v106, 0x320, v109
	v_add3_u32 v107, 0, v109, 16
	v_mov_b32_e32 v108, v0
	s_mov_b32 s56, 0
	.p2align	6
.LBB48_660:                             ; =>This Inner Loop Header: Depth=1
	s_clause 0x3
	buffer_load_dword v114, v107, s[0:3], 0 offen offset:8
	buffer_load_dword v115, v107, s[0:3], 0 offen offset:12
	buffer_load_dword v116, v107, s[0:3], 0 offen
	buffer_load_dword v117, v107, s[0:3], 0 offen offset:4
	ds_read_b128 v[110:113], v106
	v_add_nc_u32_e32 v108, 1, v108
	v_add_nc_u32_e32 v106, 16, v106
	;; [unrolled: 1-line block ×3, first 2 shown]
	v_cmp_lt_u32_e32 vcc_lo, 33, v108
	s_or_b32 s56, vcc_lo, s56
	s_waitcnt vmcnt(2) lgkmcnt(0)
	v_mul_f64 v[118:119], v[112:113], v[114:115]
	v_mul_f64 v[114:115], v[110:111], v[114:115]
	s_waitcnt vmcnt(0)
	v_fma_f64 v[110:111], v[110:111], v[116:117], -v[118:119]
	v_fma_f64 v[112:113], v[112:113], v[116:117], v[114:115]
	v_add_f64 v[1:2], v[1:2], v[110:111]
	v_add_f64 v[3:4], v[3:4], v[112:113]
	s_andn2_b32 exec_lo, exec_lo, s56
	s_cbranch_execnz .LBB48_660
; %bb.661:
	s_or_b32 exec_lo, exec_lo, s56
.LBB48_662:
	s_or_b32 exec_lo, exec_lo, s8
	v_mov_b32_e32 v106, 0
	ds_read_b128 v[110:113], v106 offset:560
	s_waitcnt lgkmcnt(0)
	v_mul_f64 v[106:107], v[3:4], v[112:113]
	v_mul_f64 v[112:113], v[1:2], v[112:113]
	v_fma_f64 v[1:2], v[1:2], v[110:111], -v[106:107]
	v_fma_f64 v[3:4], v[3:4], v[110:111], v[112:113]
	buffer_store_dword v2, off, s[0:3], 0 offset:564
	buffer_store_dword v1, off, s[0:3], 0 offset:560
	;; [unrolled: 1-line block ×4, first 2 shown]
.LBB48_663:
	s_or_b32 exec_lo, exec_lo, s4
	v_mov_b32_e32 v4, s19
	s_mov_b32 s4, exec_lo
	s_clause 0x3
	buffer_load_dword v1, v4, s[0:3], 0 offen
	buffer_load_dword v2, v4, s[0:3], 0 offen offset:4
	buffer_load_dword v3, v4, s[0:3], 0 offen offset:8
	;; [unrolled: 1-line block ×3, first 2 shown]
	s_waitcnt vmcnt(0)
	ds_write_b128 v104, v[1:4]
	s_waitcnt lgkmcnt(0)
	s_waitcnt_vscnt null, 0x0
	s_barrier
	buffer_gl0_inv
	v_cmpx_gt_u32_e32 36, v0
	s_cbranch_execz .LBB48_671
; %bb.664:
	ds_read_b128 v[1:4], v104
	v_cmp_ne_u32_e32 vcc_lo, 1, v105
	s_cbranch_vccnz .LBB48_666
; %bb.665:
	s_clause 0x3
	buffer_load_dword v106, v103, s[0:3], 0 offen offset:8
	buffer_load_dword v107, v103, s[0:3], 0 offen offset:12
	buffer_load_dword v110, v103, s[0:3], 0 offen
	buffer_load_dword v111, v103, s[0:3], 0 offen offset:4
	s_waitcnt vmcnt(2) lgkmcnt(0)
	v_mul_f64 v[112:113], v[3:4], v[106:107]
	v_mul_f64 v[106:107], v[1:2], v[106:107]
	s_waitcnt vmcnt(0)
	v_fma_f64 v[1:2], v[1:2], v[110:111], -v[112:113]
	v_fma_f64 v[3:4], v[3:4], v[110:111], v[106:107]
.LBB48_666:
	s_mov_b32 s8, exec_lo
	v_cmpx_ne_u32_e32 35, v0
	s_cbranch_execz .LBB48_670
; %bb.667:
	v_add_nc_u32_e32 v106, 0x320, v109
	v_add3_u32 v107, 0, v109, 16
	v_mov_b32_e32 v108, v0
	s_mov_b32 s56, 0
	.p2align	6
.LBB48_668:                             ; =>This Inner Loop Header: Depth=1
	s_clause 0x3
	buffer_load_dword v114, v107, s[0:3], 0 offen offset:8
	buffer_load_dword v115, v107, s[0:3], 0 offen offset:12
	buffer_load_dword v116, v107, s[0:3], 0 offen
	buffer_load_dword v117, v107, s[0:3], 0 offen offset:4
	ds_read_b128 v[110:113], v106
	v_add_nc_u32_e32 v108, 1, v108
	v_add_nc_u32_e32 v106, 16, v106
	;; [unrolled: 1-line block ×3, first 2 shown]
	v_cmp_lt_u32_e32 vcc_lo, 34, v108
	s_or_b32 s56, vcc_lo, s56
	s_waitcnt vmcnt(2) lgkmcnt(0)
	v_mul_f64 v[118:119], v[112:113], v[114:115]
	v_mul_f64 v[114:115], v[110:111], v[114:115]
	s_waitcnt vmcnt(0)
	v_fma_f64 v[110:111], v[110:111], v[116:117], -v[118:119]
	v_fma_f64 v[112:113], v[112:113], v[116:117], v[114:115]
	v_add_f64 v[1:2], v[1:2], v[110:111]
	v_add_f64 v[3:4], v[3:4], v[112:113]
	s_andn2_b32 exec_lo, exec_lo, s56
	s_cbranch_execnz .LBB48_668
; %bb.669:
	s_or_b32 exec_lo, exec_lo, s56
.LBB48_670:
	s_or_b32 exec_lo, exec_lo, s8
	v_mov_b32_e32 v106, 0
	ds_read_b128 v[110:113], v106 offset:576
	s_waitcnt lgkmcnt(0)
	v_mul_f64 v[106:107], v[3:4], v[112:113]
	v_mul_f64 v[112:113], v[1:2], v[112:113]
	v_fma_f64 v[1:2], v[1:2], v[110:111], -v[106:107]
	v_fma_f64 v[3:4], v[3:4], v[110:111], v[112:113]
	buffer_store_dword v2, off, s[0:3], 0 offset:580
	buffer_store_dword v1, off, s[0:3], 0 offset:576
	;; [unrolled: 1-line block ×4, first 2 shown]
.LBB48_671:
	s_or_b32 exec_lo, exec_lo, s4
	v_mov_b32_e32 v4, s18
	s_mov_b32 s4, exec_lo
	s_clause 0x3
	buffer_load_dword v1, v4, s[0:3], 0 offen
	buffer_load_dword v2, v4, s[0:3], 0 offen offset:4
	buffer_load_dword v3, v4, s[0:3], 0 offen offset:8
	;; [unrolled: 1-line block ×3, first 2 shown]
	s_waitcnt vmcnt(0)
	ds_write_b128 v104, v[1:4]
	s_waitcnt lgkmcnt(0)
	s_waitcnt_vscnt null, 0x0
	s_barrier
	buffer_gl0_inv
	v_cmpx_gt_u32_e32 37, v0
	s_cbranch_execz .LBB48_679
; %bb.672:
	ds_read_b128 v[1:4], v104
	v_cmp_ne_u32_e32 vcc_lo, 1, v105
	s_cbranch_vccnz .LBB48_674
; %bb.673:
	s_clause 0x3
	buffer_load_dword v106, v103, s[0:3], 0 offen offset:8
	buffer_load_dword v107, v103, s[0:3], 0 offen offset:12
	buffer_load_dword v110, v103, s[0:3], 0 offen
	buffer_load_dword v111, v103, s[0:3], 0 offen offset:4
	s_waitcnt vmcnt(2) lgkmcnt(0)
	v_mul_f64 v[112:113], v[3:4], v[106:107]
	v_mul_f64 v[106:107], v[1:2], v[106:107]
	s_waitcnt vmcnt(0)
	v_fma_f64 v[1:2], v[1:2], v[110:111], -v[112:113]
	v_fma_f64 v[3:4], v[3:4], v[110:111], v[106:107]
.LBB48_674:
	s_mov_b32 s8, exec_lo
	v_cmpx_ne_u32_e32 36, v0
	s_cbranch_execz .LBB48_678
; %bb.675:
	v_add_nc_u32_e32 v106, 0x320, v109
	v_add3_u32 v107, 0, v109, 16
	v_mov_b32_e32 v108, v0
	s_mov_b32 s56, 0
	.p2align	6
.LBB48_676:                             ; =>This Inner Loop Header: Depth=1
	s_clause 0x3
	buffer_load_dword v114, v107, s[0:3], 0 offen offset:8
	buffer_load_dword v115, v107, s[0:3], 0 offen offset:12
	buffer_load_dword v116, v107, s[0:3], 0 offen
	buffer_load_dword v117, v107, s[0:3], 0 offen offset:4
	ds_read_b128 v[110:113], v106
	v_add_nc_u32_e32 v108, 1, v108
	v_add_nc_u32_e32 v106, 16, v106
	;; [unrolled: 1-line block ×3, first 2 shown]
	v_cmp_lt_u32_e32 vcc_lo, 35, v108
	s_or_b32 s56, vcc_lo, s56
	s_waitcnt vmcnt(2) lgkmcnt(0)
	v_mul_f64 v[118:119], v[112:113], v[114:115]
	v_mul_f64 v[114:115], v[110:111], v[114:115]
	s_waitcnt vmcnt(0)
	v_fma_f64 v[110:111], v[110:111], v[116:117], -v[118:119]
	v_fma_f64 v[112:113], v[112:113], v[116:117], v[114:115]
	v_add_f64 v[1:2], v[1:2], v[110:111]
	v_add_f64 v[3:4], v[3:4], v[112:113]
	s_andn2_b32 exec_lo, exec_lo, s56
	s_cbranch_execnz .LBB48_676
; %bb.677:
	s_or_b32 exec_lo, exec_lo, s56
.LBB48_678:
	s_or_b32 exec_lo, exec_lo, s8
	v_mov_b32_e32 v106, 0
	ds_read_b128 v[110:113], v106 offset:592
	s_waitcnt lgkmcnt(0)
	v_mul_f64 v[106:107], v[3:4], v[112:113]
	v_mul_f64 v[112:113], v[1:2], v[112:113]
	v_fma_f64 v[1:2], v[1:2], v[110:111], -v[106:107]
	v_fma_f64 v[3:4], v[3:4], v[110:111], v[112:113]
	buffer_store_dword v2, off, s[0:3], 0 offset:596
	buffer_store_dword v1, off, s[0:3], 0 offset:592
	;; [unrolled: 1-line block ×4, first 2 shown]
.LBB48_679:
	s_or_b32 exec_lo, exec_lo, s4
	v_mov_b32_e32 v4, s17
	s_mov_b32 s4, exec_lo
	s_clause 0x3
	buffer_load_dword v1, v4, s[0:3], 0 offen
	buffer_load_dword v2, v4, s[0:3], 0 offen offset:4
	buffer_load_dword v3, v4, s[0:3], 0 offen offset:8
	;; [unrolled: 1-line block ×3, first 2 shown]
	s_waitcnt vmcnt(0)
	ds_write_b128 v104, v[1:4]
	s_waitcnt lgkmcnt(0)
	s_waitcnt_vscnt null, 0x0
	s_barrier
	buffer_gl0_inv
	v_cmpx_gt_u32_e32 38, v0
	s_cbranch_execz .LBB48_687
; %bb.680:
	ds_read_b128 v[1:4], v104
	v_cmp_ne_u32_e32 vcc_lo, 1, v105
	s_cbranch_vccnz .LBB48_682
; %bb.681:
	s_clause 0x3
	buffer_load_dword v106, v103, s[0:3], 0 offen offset:8
	buffer_load_dword v107, v103, s[0:3], 0 offen offset:12
	buffer_load_dword v110, v103, s[0:3], 0 offen
	buffer_load_dword v111, v103, s[0:3], 0 offen offset:4
	s_waitcnt vmcnt(2) lgkmcnt(0)
	v_mul_f64 v[112:113], v[3:4], v[106:107]
	v_mul_f64 v[106:107], v[1:2], v[106:107]
	s_waitcnt vmcnt(0)
	v_fma_f64 v[1:2], v[1:2], v[110:111], -v[112:113]
	v_fma_f64 v[3:4], v[3:4], v[110:111], v[106:107]
.LBB48_682:
	s_mov_b32 s8, exec_lo
	v_cmpx_ne_u32_e32 37, v0
	s_cbranch_execz .LBB48_686
; %bb.683:
	v_add_nc_u32_e32 v106, 0x320, v109
	v_add3_u32 v107, 0, v109, 16
	v_mov_b32_e32 v108, v0
	s_mov_b32 s56, 0
	.p2align	6
.LBB48_684:                             ; =>This Inner Loop Header: Depth=1
	s_clause 0x3
	buffer_load_dword v114, v107, s[0:3], 0 offen offset:8
	buffer_load_dword v115, v107, s[0:3], 0 offen offset:12
	buffer_load_dword v116, v107, s[0:3], 0 offen
	buffer_load_dword v117, v107, s[0:3], 0 offen offset:4
	ds_read_b128 v[110:113], v106
	v_add_nc_u32_e32 v108, 1, v108
	v_add_nc_u32_e32 v106, 16, v106
	;; [unrolled: 1-line block ×3, first 2 shown]
	v_cmp_lt_u32_e32 vcc_lo, 36, v108
	s_or_b32 s56, vcc_lo, s56
	s_waitcnt vmcnt(2) lgkmcnt(0)
	v_mul_f64 v[118:119], v[112:113], v[114:115]
	v_mul_f64 v[114:115], v[110:111], v[114:115]
	s_waitcnt vmcnt(0)
	v_fma_f64 v[110:111], v[110:111], v[116:117], -v[118:119]
	v_fma_f64 v[112:113], v[112:113], v[116:117], v[114:115]
	v_add_f64 v[1:2], v[1:2], v[110:111]
	v_add_f64 v[3:4], v[3:4], v[112:113]
	s_andn2_b32 exec_lo, exec_lo, s56
	s_cbranch_execnz .LBB48_684
; %bb.685:
	s_or_b32 exec_lo, exec_lo, s56
.LBB48_686:
	s_or_b32 exec_lo, exec_lo, s8
	v_mov_b32_e32 v106, 0
	ds_read_b128 v[110:113], v106 offset:608
	s_waitcnt lgkmcnt(0)
	v_mul_f64 v[106:107], v[3:4], v[112:113]
	v_mul_f64 v[112:113], v[1:2], v[112:113]
	v_fma_f64 v[1:2], v[1:2], v[110:111], -v[106:107]
	v_fma_f64 v[3:4], v[3:4], v[110:111], v[112:113]
	buffer_store_dword v2, off, s[0:3], 0 offset:612
	buffer_store_dword v1, off, s[0:3], 0 offset:608
	;; [unrolled: 1-line block ×4, first 2 shown]
.LBB48_687:
	s_or_b32 exec_lo, exec_lo, s4
	v_mov_b32_e32 v4, s16
	s_mov_b32 s4, exec_lo
	s_clause 0x3
	buffer_load_dword v1, v4, s[0:3], 0 offen
	buffer_load_dword v2, v4, s[0:3], 0 offen offset:4
	buffer_load_dword v3, v4, s[0:3], 0 offen offset:8
	;; [unrolled: 1-line block ×3, first 2 shown]
	s_waitcnt vmcnt(0)
	ds_write_b128 v104, v[1:4]
	s_waitcnt lgkmcnt(0)
	s_waitcnt_vscnt null, 0x0
	s_barrier
	buffer_gl0_inv
	v_cmpx_gt_u32_e32 39, v0
	s_cbranch_execz .LBB48_695
; %bb.688:
	ds_read_b128 v[1:4], v104
	v_cmp_ne_u32_e32 vcc_lo, 1, v105
	s_cbranch_vccnz .LBB48_690
; %bb.689:
	s_clause 0x3
	buffer_load_dword v106, v103, s[0:3], 0 offen offset:8
	buffer_load_dword v107, v103, s[0:3], 0 offen offset:12
	buffer_load_dword v110, v103, s[0:3], 0 offen
	buffer_load_dword v111, v103, s[0:3], 0 offen offset:4
	s_waitcnt vmcnt(2) lgkmcnt(0)
	v_mul_f64 v[112:113], v[3:4], v[106:107]
	v_mul_f64 v[106:107], v[1:2], v[106:107]
	s_waitcnt vmcnt(0)
	v_fma_f64 v[1:2], v[1:2], v[110:111], -v[112:113]
	v_fma_f64 v[3:4], v[3:4], v[110:111], v[106:107]
.LBB48_690:
	s_mov_b32 s8, exec_lo
	v_cmpx_ne_u32_e32 38, v0
	s_cbranch_execz .LBB48_694
; %bb.691:
	v_add_nc_u32_e32 v106, 0x320, v109
	v_add3_u32 v107, 0, v109, 16
	v_mov_b32_e32 v108, v0
	s_mov_b32 s56, 0
	.p2align	6
.LBB48_692:                             ; =>This Inner Loop Header: Depth=1
	s_clause 0x3
	buffer_load_dword v114, v107, s[0:3], 0 offen offset:8
	buffer_load_dword v115, v107, s[0:3], 0 offen offset:12
	buffer_load_dword v116, v107, s[0:3], 0 offen
	buffer_load_dword v117, v107, s[0:3], 0 offen offset:4
	ds_read_b128 v[110:113], v106
	v_add_nc_u32_e32 v108, 1, v108
	v_add_nc_u32_e32 v106, 16, v106
	;; [unrolled: 1-line block ×3, first 2 shown]
	v_cmp_lt_u32_e32 vcc_lo, 37, v108
	s_or_b32 s56, vcc_lo, s56
	s_waitcnt vmcnt(2) lgkmcnt(0)
	v_mul_f64 v[118:119], v[112:113], v[114:115]
	v_mul_f64 v[114:115], v[110:111], v[114:115]
	s_waitcnt vmcnt(0)
	v_fma_f64 v[110:111], v[110:111], v[116:117], -v[118:119]
	v_fma_f64 v[112:113], v[112:113], v[116:117], v[114:115]
	v_add_f64 v[1:2], v[1:2], v[110:111]
	v_add_f64 v[3:4], v[3:4], v[112:113]
	s_andn2_b32 exec_lo, exec_lo, s56
	s_cbranch_execnz .LBB48_692
; %bb.693:
	s_or_b32 exec_lo, exec_lo, s56
.LBB48_694:
	s_or_b32 exec_lo, exec_lo, s8
	v_mov_b32_e32 v106, 0
	ds_read_b128 v[110:113], v106 offset:624
	s_waitcnt lgkmcnt(0)
	v_mul_f64 v[106:107], v[3:4], v[112:113]
	v_mul_f64 v[112:113], v[1:2], v[112:113]
	v_fma_f64 v[1:2], v[1:2], v[110:111], -v[106:107]
	v_fma_f64 v[3:4], v[3:4], v[110:111], v[112:113]
	buffer_store_dword v2, off, s[0:3], 0 offset:628
	buffer_store_dword v1, off, s[0:3], 0 offset:624
	;; [unrolled: 1-line block ×4, first 2 shown]
.LBB48_695:
	s_or_b32 exec_lo, exec_lo, s4
	v_mov_b32_e32 v4, s15
	s_mov_b32 s4, exec_lo
	s_clause 0x3
	buffer_load_dword v1, v4, s[0:3], 0 offen
	buffer_load_dword v2, v4, s[0:3], 0 offen offset:4
	buffer_load_dword v3, v4, s[0:3], 0 offen offset:8
	;; [unrolled: 1-line block ×3, first 2 shown]
	s_waitcnt vmcnt(0)
	ds_write_b128 v104, v[1:4]
	s_waitcnt lgkmcnt(0)
	s_waitcnt_vscnt null, 0x0
	s_barrier
	buffer_gl0_inv
	v_cmpx_gt_u32_e32 40, v0
	s_cbranch_execz .LBB48_703
; %bb.696:
	ds_read_b128 v[1:4], v104
	v_cmp_ne_u32_e32 vcc_lo, 1, v105
	s_cbranch_vccnz .LBB48_698
; %bb.697:
	s_clause 0x3
	buffer_load_dword v106, v103, s[0:3], 0 offen offset:8
	buffer_load_dword v107, v103, s[0:3], 0 offen offset:12
	buffer_load_dword v110, v103, s[0:3], 0 offen
	buffer_load_dword v111, v103, s[0:3], 0 offen offset:4
	s_waitcnt vmcnt(2) lgkmcnt(0)
	v_mul_f64 v[112:113], v[3:4], v[106:107]
	v_mul_f64 v[106:107], v[1:2], v[106:107]
	s_waitcnt vmcnt(0)
	v_fma_f64 v[1:2], v[1:2], v[110:111], -v[112:113]
	v_fma_f64 v[3:4], v[3:4], v[110:111], v[106:107]
.LBB48_698:
	s_mov_b32 s8, exec_lo
	v_cmpx_ne_u32_e32 39, v0
	s_cbranch_execz .LBB48_702
; %bb.699:
	v_add_nc_u32_e32 v106, 0x320, v109
	v_add3_u32 v107, 0, v109, 16
	v_mov_b32_e32 v108, v0
	s_mov_b32 s56, 0
	.p2align	6
.LBB48_700:                             ; =>This Inner Loop Header: Depth=1
	s_clause 0x3
	buffer_load_dword v114, v107, s[0:3], 0 offen offset:8
	buffer_load_dword v115, v107, s[0:3], 0 offen offset:12
	buffer_load_dword v116, v107, s[0:3], 0 offen
	buffer_load_dword v117, v107, s[0:3], 0 offen offset:4
	ds_read_b128 v[110:113], v106
	v_add_nc_u32_e32 v108, 1, v108
	v_add_nc_u32_e32 v106, 16, v106
	;; [unrolled: 1-line block ×3, first 2 shown]
	v_cmp_lt_u32_e32 vcc_lo, 38, v108
	s_or_b32 s56, vcc_lo, s56
	s_waitcnt vmcnt(2) lgkmcnt(0)
	v_mul_f64 v[118:119], v[112:113], v[114:115]
	v_mul_f64 v[114:115], v[110:111], v[114:115]
	s_waitcnt vmcnt(0)
	v_fma_f64 v[110:111], v[110:111], v[116:117], -v[118:119]
	v_fma_f64 v[112:113], v[112:113], v[116:117], v[114:115]
	v_add_f64 v[1:2], v[1:2], v[110:111]
	v_add_f64 v[3:4], v[3:4], v[112:113]
	s_andn2_b32 exec_lo, exec_lo, s56
	s_cbranch_execnz .LBB48_700
; %bb.701:
	s_or_b32 exec_lo, exec_lo, s56
.LBB48_702:
	s_or_b32 exec_lo, exec_lo, s8
	v_mov_b32_e32 v106, 0
	ds_read_b128 v[110:113], v106 offset:640
	s_waitcnt lgkmcnt(0)
	v_mul_f64 v[106:107], v[3:4], v[112:113]
	v_mul_f64 v[112:113], v[1:2], v[112:113]
	v_fma_f64 v[1:2], v[1:2], v[110:111], -v[106:107]
	v_fma_f64 v[3:4], v[3:4], v[110:111], v[112:113]
	buffer_store_dword v2, off, s[0:3], 0 offset:644
	buffer_store_dword v1, off, s[0:3], 0 offset:640
	;; [unrolled: 1-line block ×4, first 2 shown]
.LBB48_703:
	s_or_b32 exec_lo, exec_lo, s4
	v_mov_b32_e32 v4, s14
	s_mov_b32 s4, exec_lo
	s_clause 0x3
	buffer_load_dword v1, v4, s[0:3], 0 offen
	buffer_load_dword v2, v4, s[0:3], 0 offen offset:4
	buffer_load_dword v3, v4, s[0:3], 0 offen offset:8
	buffer_load_dword v4, v4, s[0:3], 0 offen offset:12
	s_waitcnt vmcnt(0)
	ds_write_b128 v104, v[1:4]
	s_waitcnt lgkmcnt(0)
	s_waitcnt_vscnt null, 0x0
	s_barrier
	buffer_gl0_inv
	v_cmpx_gt_u32_e32 41, v0
	s_cbranch_execz .LBB48_711
; %bb.704:
	ds_read_b128 v[1:4], v104
	v_cmp_ne_u32_e32 vcc_lo, 1, v105
	s_cbranch_vccnz .LBB48_706
; %bb.705:
	s_clause 0x3
	buffer_load_dword v106, v103, s[0:3], 0 offen offset:8
	buffer_load_dword v107, v103, s[0:3], 0 offen offset:12
	buffer_load_dword v110, v103, s[0:3], 0 offen
	buffer_load_dword v111, v103, s[0:3], 0 offen offset:4
	s_waitcnt vmcnt(2) lgkmcnt(0)
	v_mul_f64 v[112:113], v[3:4], v[106:107]
	v_mul_f64 v[106:107], v[1:2], v[106:107]
	s_waitcnt vmcnt(0)
	v_fma_f64 v[1:2], v[1:2], v[110:111], -v[112:113]
	v_fma_f64 v[3:4], v[3:4], v[110:111], v[106:107]
.LBB48_706:
	s_mov_b32 s8, exec_lo
	v_cmpx_ne_u32_e32 40, v0
	s_cbranch_execz .LBB48_710
; %bb.707:
	v_add_nc_u32_e32 v106, 0x320, v109
	v_add3_u32 v107, 0, v109, 16
	v_mov_b32_e32 v108, v0
	s_mov_b32 s56, 0
	.p2align	6
.LBB48_708:                             ; =>This Inner Loop Header: Depth=1
	s_clause 0x3
	buffer_load_dword v114, v107, s[0:3], 0 offen offset:8
	buffer_load_dword v115, v107, s[0:3], 0 offen offset:12
	buffer_load_dword v116, v107, s[0:3], 0 offen
	buffer_load_dword v117, v107, s[0:3], 0 offen offset:4
	ds_read_b128 v[110:113], v106
	v_add_nc_u32_e32 v108, 1, v108
	v_add_nc_u32_e32 v106, 16, v106
	;; [unrolled: 1-line block ×3, first 2 shown]
	v_cmp_lt_u32_e32 vcc_lo, 39, v108
	s_or_b32 s56, vcc_lo, s56
	s_waitcnt vmcnt(2) lgkmcnt(0)
	v_mul_f64 v[118:119], v[112:113], v[114:115]
	v_mul_f64 v[114:115], v[110:111], v[114:115]
	s_waitcnt vmcnt(0)
	v_fma_f64 v[110:111], v[110:111], v[116:117], -v[118:119]
	v_fma_f64 v[112:113], v[112:113], v[116:117], v[114:115]
	v_add_f64 v[1:2], v[1:2], v[110:111]
	v_add_f64 v[3:4], v[3:4], v[112:113]
	s_andn2_b32 exec_lo, exec_lo, s56
	s_cbranch_execnz .LBB48_708
; %bb.709:
	s_or_b32 exec_lo, exec_lo, s56
.LBB48_710:
	s_or_b32 exec_lo, exec_lo, s8
	v_mov_b32_e32 v106, 0
	ds_read_b128 v[110:113], v106 offset:656
	s_waitcnt lgkmcnt(0)
	v_mul_f64 v[106:107], v[3:4], v[112:113]
	v_mul_f64 v[112:113], v[1:2], v[112:113]
	v_fma_f64 v[1:2], v[1:2], v[110:111], -v[106:107]
	v_fma_f64 v[3:4], v[3:4], v[110:111], v[112:113]
	buffer_store_dword v2, off, s[0:3], 0 offset:660
	buffer_store_dword v1, off, s[0:3], 0 offset:656
	;; [unrolled: 1-line block ×4, first 2 shown]
.LBB48_711:
	s_or_b32 exec_lo, exec_lo, s4
	v_mov_b32_e32 v4, s13
	s_mov_b32 s4, exec_lo
	s_clause 0x3
	buffer_load_dword v1, v4, s[0:3], 0 offen
	buffer_load_dword v2, v4, s[0:3], 0 offen offset:4
	buffer_load_dword v3, v4, s[0:3], 0 offen offset:8
	;; [unrolled: 1-line block ×3, first 2 shown]
	s_waitcnt vmcnt(0)
	ds_write_b128 v104, v[1:4]
	s_waitcnt lgkmcnt(0)
	s_waitcnt_vscnt null, 0x0
	s_barrier
	buffer_gl0_inv
	v_cmpx_gt_u32_e32 42, v0
	s_cbranch_execz .LBB48_719
; %bb.712:
	ds_read_b128 v[1:4], v104
	v_cmp_ne_u32_e32 vcc_lo, 1, v105
	s_cbranch_vccnz .LBB48_714
; %bb.713:
	s_clause 0x3
	buffer_load_dword v106, v103, s[0:3], 0 offen offset:8
	buffer_load_dword v107, v103, s[0:3], 0 offen offset:12
	buffer_load_dword v110, v103, s[0:3], 0 offen
	buffer_load_dword v111, v103, s[0:3], 0 offen offset:4
	s_waitcnt vmcnt(2) lgkmcnt(0)
	v_mul_f64 v[112:113], v[3:4], v[106:107]
	v_mul_f64 v[106:107], v[1:2], v[106:107]
	s_waitcnt vmcnt(0)
	v_fma_f64 v[1:2], v[1:2], v[110:111], -v[112:113]
	v_fma_f64 v[3:4], v[3:4], v[110:111], v[106:107]
.LBB48_714:
	s_mov_b32 s8, exec_lo
	v_cmpx_ne_u32_e32 41, v0
	s_cbranch_execz .LBB48_718
; %bb.715:
	v_add_nc_u32_e32 v106, 0x320, v109
	v_add3_u32 v107, 0, v109, 16
	v_mov_b32_e32 v108, v0
	s_mov_b32 s56, 0
	.p2align	6
.LBB48_716:                             ; =>This Inner Loop Header: Depth=1
	s_clause 0x3
	buffer_load_dword v114, v107, s[0:3], 0 offen offset:8
	buffer_load_dword v115, v107, s[0:3], 0 offen offset:12
	buffer_load_dword v116, v107, s[0:3], 0 offen
	buffer_load_dword v117, v107, s[0:3], 0 offen offset:4
	ds_read_b128 v[110:113], v106
	v_add_nc_u32_e32 v108, 1, v108
	v_add_nc_u32_e32 v106, 16, v106
	;; [unrolled: 1-line block ×3, first 2 shown]
	v_cmp_lt_u32_e32 vcc_lo, 40, v108
	s_or_b32 s56, vcc_lo, s56
	s_waitcnt vmcnt(2) lgkmcnt(0)
	v_mul_f64 v[118:119], v[112:113], v[114:115]
	v_mul_f64 v[114:115], v[110:111], v[114:115]
	s_waitcnt vmcnt(0)
	v_fma_f64 v[110:111], v[110:111], v[116:117], -v[118:119]
	v_fma_f64 v[112:113], v[112:113], v[116:117], v[114:115]
	v_add_f64 v[1:2], v[1:2], v[110:111]
	v_add_f64 v[3:4], v[3:4], v[112:113]
	s_andn2_b32 exec_lo, exec_lo, s56
	s_cbranch_execnz .LBB48_716
; %bb.717:
	s_or_b32 exec_lo, exec_lo, s56
.LBB48_718:
	s_or_b32 exec_lo, exec_lo, s8
	v_mov_b32_e32 v106, 0
	ds_read_b128 v[110:113], v106 offset:672
	s_waitcnt lgkmcnt(0)
	v_mul_f64 v[106:107], v[3:4], v[112:113]
	v_mul_f64 v[112:113], v[1:2], v[112:113]
	v_fma_f64 v[1:2], v[1:2], v[110:111], -v[106:107]
	v_fma_f64 v[3:4], v[3:4], v[110:111], v[112:113]
	buffer_store_dword v2, off, s[0:3], 0 offset:676
	buffer_store_dword v1, off, s[0:3], 0 offset:672
	;; [unrolled: 1-line block ×4, first 2 shown]
.LBB48_719:
	s_or_b32 exec_lo, exec_lo, s4
	v_mov_b32_e32 v4, s12
	s_mov_b32 s4, exec_lo
	s_clause 0x3
	buffer_load_dword v1, v4, s[0:3], 0 offen
	buffer_load_dword v2, v4, s[0:3], 0 offen offset:4
	buffer_load_dword v3, v4, s[0:3], 0 offen offset:8
	;; [unrolled: 1-line block ×3, first 2 shown]
	s_waitcnt vmcnt(0)
	ds_write_b128 v104, v[1:4]
	s_waitcnt lgkmcnt(0)
	s_waitcnt_vscnt null, 0x0
	s_barrier
	buffer_gl0_inv
	v_cmpx_gt_u32_e32 43, v0
	s_cbranch_execz .LBB48_727
; %bb.720:
	ds_read_b128 v[1:4], v104
	v_cmp_ne_u32_e32 vcc_lo, 1, v105
	s_cbranch_vccnz .LBB48_722
; %bb.721:
	s_clause 0x3
	buffer_load_dword v106, v103, s[0:3], 0 offen offset:8
	buffer_load_dword v107, v103, s[0:3], 0 offen offset:12
	buffer_load_dword v110, v103, s[0:3], 0 offen
	buffer_load_dword v111, v103, s[0:3], 0 offen offset:4
	s_waitcnt vmcnt(2) lgkmcnt(0)
	v_mul_f64 v[112:113], v[3:4], v[106:107]
	v_mul_f64 v[106:107], v[1:2], v[106:107]
	s_waitcnt vmcnt(0)
	v_fma_f64 v[1:2], v[1:2], v[110:111], -v[112:113]
	v_fma_f64 v[3:4], v[3:4], v[110:111], v[106:107]
.LBB48_722:
	s_mov_b32 s8, exec_lo
	v_cmpx_ne_u32_e32 42, v0
	s_cbranch_execz .LBB48_726
; %bb.723:
	v_add_nc_u32_e32 v106, 0x320, v109
	v_add3_u32 v107, 0, v109, 16
	v_mov_b32_e32 v108, v0
	s_mov_b32 s56, 0
	.p2align	6
.LBB48_724:                             ; =>This Inner Loop Header: Depth=1
	s_clause 0x3
	buffer_load_dword v114, v107, s[0:3], 0 offen offset:8
	buffer_load_dword v115, v107, s[0:3], 0 offen offset:12
	buffer_load_dword v116, v107, s[0:3], 0 offen
	buffer_load_dword v117, v107, s[0:3], 0 offen offset:4
	ds_read_b128 v[110:113], v106
	v_add_nc_u32_e32 v108, 1, v108
	v_add_nc_u32_e32 v106, 16, v106
	;; [unrolled: 1-line block ×3, first 2 shown]
	v_cmp_lt_u32_e32 vcc_lo, 41, v108
	s_or_b32 s56, vcc_lo, s56
	s_waitcnt vmcnt(2) lgkmcnt(0)
	v_mul_f64 v[118:119], v[112:113], v[114:115]
	v_mul_f64 v[114:115], v[110:111], v[114:115]
	s_waitcnt vmcnt(0)
	v_fma_f64 v[110:111], v[110:111], v[116:117], -v[118:119]
	v_fma_f64 v[112:113], v[112:113], v[116:117], v[114:115]
	v_add_f64 v[1:2], v[1:2], v[110:111]
	v_add_f64 v[3:4], v[3:4], v[112:113]
	s_andn2_b32 exec_lo, exec_lo, s56
	s_cbranch_execnz .LBB48_724
; %bb.725:
	s_or_b32 exec_lo, exec_lo, s56
.LBB48_726:
	s_or_b32 exec_lo, exec_lo, s8
	v_mov_b32_e32 v106, 0
	ds_read_b128 v[110:113], v106 offset:688
	s_waitcnt lgkmcnt(0)
	v_mul_f64 v[106:107], v[3:4], v[112:113]
	v_mul_f64 v[112:113], v[1:2], v[112:113]
	v_fma_f64 v[1:2], v[1:2], v[110:111], -v[106:107]
	v_fma_f64 v[3:4], v[3:4], v[110:111], v[112:113]
	buffer_store_dword v2, off, s[0:3], 0 offset:692
	buffer_store_dword v1, off, s[0:3], 0 offset:688
	buffer_store_dword v4, off, s[0:3], 0 offset:700
	buffer_store_dword v3, off, s[0:3], 0 offset:696
.LBB48_727:
	s_or_b32 exec_lo, exec_lo, s4
	v_mov_b32_e32 v4, s11
	s_mov_b32 s4, exec_lo
	s_clause 0x3
	buffer_load_dword v1, v4, s[0:3], 0 offen
	buffer_load_dword v2, v4, s[0:3], 0 offen offset:4
	buffer_load_dword v3, v4, s[0:3], 0 offen offset:8
	;; [unrolled: 1-line block ×3, first 2 shown]
	s_waitcnt vmcnt(0)
	ds_write_b128 v104, v[1:4]
	s_waitcnt lgkmcnt(0)
	s_waitcnt_vscnt null, 0x0
	s_barrier
	buffer_gl0_inv
	v_cmpx_gt_u32_e32 44, v0
	s_cbranch_execz .LBB48_735
; %bb.728:
	ds_read_b128 v[1:4], v104
	v_cmp_ne_u32_e32 vcc_lo, 1, v105
	s_cbranch_vccnz .LBB48_730
; %bb.729:
	s_clause 0x3
	buffer_load_dword v106, v103, s[0:3], 0 offen offset:8
	buffer_load_dword v107, v103, s[0:3], 0 offen offset:12
	buffer_load_dword v110, v103, s[0:3], 0 offen
	buffer_load_dword v111, v103, s[0:3], 0 offen offset:4
	s_waitcnt vmcnt(2) lgkmcnt(0)
	v_mul_f64 v[112:113], v[3:4], v[106:107]
	v_mul_f64 v[106:107], v[1:2], v[106:107]
	s_waitcnt vmcnt(0)
	v_fma_f64 v[1:2], v[1:2], v[110:111], -v[112:113]
	v_fma_f64 v[3:4], v[3:4], v[110:111], v[106:107]
.LBB48_730:
	s_mov_b32 s8, exec_lo
	v_cmpx_ne_u32_e32 43, v0
	s_cbranch_execz .LBB48_734
; %bb.731:
	v_add_nc_u32_e32 v106, 0x320, v109
	v_add3_u32 v107, 0, v109, 16
	v_mov_b32_e32 v108, v0
	s_mov_b32 s56, 0
	.p2align	6
.LBB48_732:                             ; =>This Inner Loop Header: Depth=1
	s_clause 0x3
	buffer_load_dword v114, v107, s[0:3], 0 offen offset:8
	buffer_load_dword v115, v107, s[0:3], 0 offen offset:12
	buffer_load_dword v116, v107, s[0:3], 0 offen
	buffer_load_dword v117, v107, s[0:3], 0 offen offset:4
	ds_read_b128 v[110:113], v106
	v_add_nc_u32_e32 v108, 1, v108
	v_add_nc_u32_e32 v106, 16, v106
	;; [unrolled: 1-line block ×3, first 2 shown]
	v_cmp_lt_u32_e32 vcc_lo, 42, v108
	s_or_b32 s56, vcc_lo, s56
	s_waitcnt vmcnt(2) lgkmcnt(0)
	v_mul_f64 v[118:119], v[112:113], v[114:115]
	v_mul_f64 v[114:115], v[110:111], v[114:115]
	s_waitcnt vmcnt(0)
	v_fma_f64 v[110:111], v[110:111], v[116:117], -v[118:119]
	v_fma_f64 v[112:113], v[112:113], v[116:117], v[114:115]
	v_add_f64 v[1:2], v[1:2], v[110:111]
	v_add_f64 v[3:4], v[3:4], v[112:113]
	s_andn2_b32 exec_lo, exec_lo, s56
	s_cbranch_execnz .LBB48_732
; %bb.733:
	s_or_b32 exec_lo, exec_lo, s56
.LBB48_734:
	s_or_b32 exec_lo, exec_lo, s8
	v_mov_b32_e32 v106, 0
	ds_read_b128 v[110:113], v106 offset:704
	s_waitcnt lgkmcnt(0)
	v_mul_f64 v[106:107], v[3:4], v[112:113]
	v_mul_f64 v[112:113], v[1:2], v[112:113]
	v_fma_f64 v[1:2], v[1:2], v[110:111], -v[106:107]
	v_fma_f64 v[3:4], v[3:4], v[110:111], v[112:113]
	buffer_store_dword v2, off, s[0:3], 0 offset:708
	buffer_store_dword v1, off, s[0:3], 0 offset:704
	;; [unrolled: 1-line block ×4, first 2 shown]
.LBB48_735:
	s_or_b32 exec_lo, exec_lo, s4
	v_mov_b32_e32 v4, s10
	s_mov_b32 s4, exec_lo
	s_clause 0x3
	buffer_load_dword v1, v4, s[0:3], 0 offen
	buffer_load_dword v2, v4, s[0:3], 0 offen offset:4
	buffer_load_dword v3, v4, s[0:3], 0 offen offset:8
	;; [unrolled: 1-line block ×3, first 2 shown]
	s_waitcnt vmcnt(0)
	ds_write_b128 v104, v[1:4]
	s_waitcnt lgkmcnt(0)
	s_waitcnt_vscnt null, 0x0
	s_barrier
	buffer_gl0_inv
	v_cmpx_gt_u32_e32 45, v0
	s_cbranch_execz .LBB48_743
; %bb.736:
	ds_read_b128 v[1:4], v104
	v_cmp_ne_u32_e32 vcc_lo, 1, v105
	s_cbranch_vccnz .LBB48_738
; %bb.737:
	s_clause 0x3
	buffer_load_dword v106, v103, s[0:3], 0 offen offset:8
	buffer_load_dword v107, v103, s[0:3], 0 offen offset:12
	buffer_load_dword v110, v103, s[0:3], 0 offen
	buffer_load_dword v111, v103, s[0:3], 0 offen offset:4
	s_waitcnt vmcnt(2) lgkmcnt(0)
	v_mul_f64 v[112:113], v[3:4], v[106:107]
	v_mul_f64 v[106:107], v[1:2], v[106:107]
	s_waitcnt vmcnt(0)
	v_fma_f64 v[1:2], v[1:2], v[110:111], -v[112:113]
	v_fma_f64 v[3:4], v[3:4], v[110:111], v[106:107]
.LBB48_738:
	s_mov_b32 s8, exec_lo
	v_cmpx_ne_u32_e32 44, v0
	s_cbranch_execz .LBB48_742
; %bb.739:
	v_add_nc_u32_e32 v106, 0x320, v109
	v_add3_u32 v107, 0, v109, 16
	v_mov_b32_e32 v108, v0
	s_mov_b32 s56, 0
	.p2align	6
.LBB48_740:                             ; =>This Inner Loop Header: Depth=1
	s_clause 0x3
	buffer_load_dword v114, v107, s[0:3], 0 offen offset:8
	buffer_load_dword v115, v107, s[0:3], 0 offen offset:12
	buffer_load_dword v116, v107, s[0:3], 0 offen
	buffer_load_dword v117, v107, s[0:3], 0 offen offset:4
	ds_read_b128 v[110:113], v106
	v_add_nc_u32_e32 v108, 1, v108
	v_add_nc_u32_e32 v106, 16, v106
	;; [unrolled: 1-line block ×3, first 2 shown]
	v_cmp_lt_u32_e32 vcc_lo, 43, v108
	s_or_b32 s56, vcc_lo, s56
	s_waitcnt vmcnt(2) lgkmcnt(0)
	v_mul_f64 v[118:119], v[112:113], v[114:115]
	v_mul_f64 v[114:115], v[110:111], v[114:115]
	s_waitcnt vmcnt(0)
	v_fma_f64 v[110:111], v[110:111], v[116:117], -v[118:119]
	v_fma_f64 v[112:113], v[112:113], v[116:117], v[114:115]
	v_add_f64 v[1:2], v[1:2], v[110:111]
	v_add_f64 v[3:4], v[3:4], v[112:113]
	s_andn2_b32 exec_lo, exec_lo, s56
	s_cbranch_execnz .LBB48_740
; %bb.741:
	s_or_b32 exec_lo, exec_lo, s56
.LBB48_742:
	s_or_b32 exec_lo, exec_lo, s8
	v_mov_b32_e32 v106, 0
	ds_read_b128 v[110:113], v106 offset:720
	s_waitcnt lgkmcnt(0)
	v_mul_f64 v[106:107], v[3:4], v[112:113]
	v_mul_f64 v[112:113], v[1:2], v[112:113]
	v_fma_f64 v[1:2], v[1:2], v[110:111], -v[106:107]
	v_fma_f64 v[3:4], v[3:4], v[110:111], v[112:113]
	buffer_store_dword v2, off, s[0:3], 0 offset:724
	buffer_store_dword v1, off, s[0:3], 0 offset:720
	;; [unrolled: 1-line block ×4, first 2 shown]
.LBB48_743:
	s_or_b32 exec_lo, exec_lo, s4
	v_mov_b32_e32 v4, s9
	s_mov_b32 s4, exec_lo
	s_clause 0x3
	buffer_load_dword v1, v4, s[0:3], 0 offen
	buffer_load_dword v2, v4, s[0:3], 0 offen offset:4
	buffer_load_dword v3, v4, s[0:3], 0 offen offset:8
	;; [unrolled: 1-line block ×3, first 2 shown]
	s_waitcnt vmcnt(0)
	ds_write_b128 v104, v[1:4]
	s_waitcnt lgkmcnt(0)
	s_waitcnt_vscnt null, 0x0
	s_barrier
	buffer_gl0_inv
	v_cmpx_gt_u32_e32 46, v0
	s_cbranch_execz .LBB48_751
; %bb.744:
	ds_read_b128 v[1:4], v104
	v_cmp_ne_u32_e32 vcc_lo, 1, v105
	s_cbranch_vccnz .LBB48_746
; %bb.745:
	s_clause 0x3
	buffer_load_dword v106, v103, s[0:3], 0 offen offset:8
	buffer_load_dword v107, v103, s[0:3], 0 offen offset:12
	buffer_load_dword v110, v103, s[0:3], 0 offen
	buffer_load_dword v111, v103, s[0:3], 0 offen offset:4
	s_waitcnt vmcnt(2) lgkmcnt(0)
	v_mul_f64 v[112:113], v[3:4], v[106:107]
	v_mul_f64 v[106:107], v[1:2], v[106:107]
	s_waitcnt vmcnt(0)
	v_fma_f64 v[1:2], v[1:2], v[110:111], -v[112:113]
	v_fma_f64 v[3:4], v[3:4], v[110:111], v[106:107]
.LBB48_746:
	s_mov_b32 s8, exec_lo
	v_cmpx_ne_u32_e32 45, v0
	s_cbranch_execz .LBB48_750
; %bb.747:
	v_add_nc_u32_e32 v106, 0x320, v109
	v_add3_u32 v107, 0, v109, 16
	v_mov_b32_e32 v108, v0
	s_mov_b32 s56, 0
	.p2align	6
.LBB48_748:                             ; =>This Inner Loop Header: Depth=1
	s_clause 0x3
	buffer_load_dword v114, v107, s[0:3], 0 offen offset:8
	buffer_load_dword v115, v107, s[0:3], 0 offen offset:12
	buffer_load_dword v116, v107, s[0:3], 0 offen
	buffer_load_dword v117, v107, s[0:3], 0 offen offset:4
	ds_read_b128 v[110:113], v106
	v_add_nc_u32_e32 v108, 1, v108
	v_add_nc_u32_e32 v106, 16, v106
	;; [unrolled: 1-line block ×3, first 2 shown]
	v_cmp_lt_u32_e32 vcc_lo, 44, v108
	s_or_b32 s56, vcc_lo, s56
	s_waitcnt vmcnt(2) lgkmcnt(0)
	v_mul_f64 v[118:119], v[112:113], v[114:115]
	v_mul_f64 v[114:115], v[110:111], v[114:115]
	s_waitcnt vmcnt(0)
	v_fma_f64 v[110:111], v[110:111], v[116:117], -v[118:119]
	v_fma_f64 v[112:113], v[112:113], v[116:117], v[114:115]
	v_add_f64 v[1:2], v[1:2], v[110:111]
	v_add_f64 v[3:4], v[3:4], v[112:113]
	s_andn2_b32 exec_lo, exec_lo, s56
	s_cbranch_execnz .LBB48_748
; %bb.749:
	s_or_b32 exec_lo, exec_lo, s56
.LBB48_750:
	s_or_b32 exec_lo, exec_lo, s8
	v_mov_b32_e32 v106, 0
	ds_read_b128 v[110:113], v106 offset:736
	s_waitcnt lgkmcnt(0)
	v_mul_f64 v[106:107], v[3:4], v[112:113]
	v_mul_f64 v[112:113], v[1:2], v[112:113]
	v_fma_f64 v[1:2], v[1:2], v[110:111], -v[106:107]
	v_fma_f64 v[3:4], v[3:4], v[110:111], v[112:113]
	buffer_store_dword v2, off, s[0:3], 0 offset:740
	buffer_store_dword v1, off, s[0:3], 0 offset:736
	buffer_store_dword v4, off, s[0:3], 0 offset:748
	buffer_store_dword v3, off, s[0:3], 0 offset:744
.LBB48_751:
	s_or_b32 exec_lo, exec_lo, s4
	v_mov_b32_e32 v4, s7
	v_cmp_gt_u32_e64 s4, 47, v0
	s_clause 0x3
	buffer_load_dword v1, v4, s[0:3], 0 offen
	buffer_load_dword v2, v4, s[0:3], 0 offen offset:4
	buffer_load_dword v3, v4, s[0:3], 0 offen offset:8
	;; [unrolled: 1-line block ×3, first 2 shown]
	s_waitcnt vmcnt(0)
	ds_write_b128 v104, v[1:4]
	s_waitcnt lgkmcnt(0)
	s_waitcnt_vscnt null, 0x0
	s_barrier
	buffer_gl0_inv
	s_and_saveexec_b32 s8, s4
	s_cbranch_execz .LBB48_759
; %bb.752:
	ds_read_b128 v[1:4], v104
	v_cmp_ne_u32_e32 vcc_lo, 1, v105
	s_cbranch_vccnz .LBB48_754
; %bb.753:
	s_clause 0x3
	buffer_load_dword v106, v103, s[0:3], 0 offen offset:8
	buffer_load_dword v107, v103, s[0:3], 0 offen offset:12
	buffer_load_dword v110, v103, s[0:3], 0 offen
	buffer_load_dword v111, v103, s[0:3], 0 offen offset:4
	s_waitcnt vmcnt(2) lgkmcnt(0)
	v_mul_f64 v[112:113], v[3:4], v[106:107]
	v_mul_f64 v[106:107], v[1:2], v[106:107]
	s_waitcnt vmcnt(0)
	v_fma_f64 v[1:2], v[1:2], v[110:111], -v[112:113]
	v_fma_f64 v[3:4], v[3:4], v[110:111], v[106:107]
.LBB48_754:
	s_mov_b32 s56, exec_lo
	v_cmpx_ne_u32_e32 46, v0
	s_cbranch_execz .LBB48_758
; %bb.755:
	v_add_nc_u32_e32 v106, 0x320, v109
	v_add3_u32 v107, 0, v109, 16
	v_mov_b32_e32 v108, v0
	s_mov_b32 s57, 0
	.p2align	6
.LBB48_756:                             ; =>This Inner Loop Header: Depth=1
	s_clause 0x3
	buffer_load_dword v114, v107, s[0:3], 0 offen offset:8
	buffer_load_dword v115, v107, s[0:3], 0 offen offset:12
	buffer_load_dword v116, v107, s[0:3], 0 offen
	buffer_load_dword v117, v107, s[0:3], 0 offen offset:4
	ds_read_b128 v[110:113], v106
	v_add_nc_u32_e32 v108, 1, v108
	v_add_nc_u32_e32 v106, 16, v106
	;; [unrolled: 1-line block ×3, first 2 shown]
	v_cmp_lt_u32_e32 vcc_lo, 45, v108
	s_or_b32 s57, vcc_lo, s57
	s_waitcnt vmcnt(2) lgkmcnt(0)
	v_mul_f64 v[118:119], v[112:113], v[114:115]
	v_mul_f64 v[114:115], v[110:111], v[114:115]
	s_waitcnt vmcnt(0)
	v_fma_f64 v[110:111], v[110:111], v[116:117], -v[118:119]
	v_fma_f64 v[112:113], v[112:113], v[116:117], v[114:115]
	v_add_f64 v[1:2], v[1:2], v[110:111]
	v_add_f64 v[3:4], v[3:4], v[112:113]
	s_andn2_b32 exec_lo, exec_lo, s57
	s_cbranch_execnz .LBB48_756
; %bb.757:
	s_or_b32 exec_lo, exec_lo, s57
.LBB48_758:
	s_or_b32 exec_lo, exec_lo, s56
	v_mov_b32_e32 v106, 0
	ds_read_b128 v[110:113], v106 offset:752
	s_waitcnt lgkmcnt(0)
	v_mul_f64 v[106:107], v[3:4], v[112:113]
	v_mul_f64 v[112:113], v[1:2], v[112:113]
	v_fma_f64 v[1:2], v[1:2], v[110:111], -v[106:107]
	v_fma_f64 v[3:4], v[3:4], v[110:111], v[112:113]
	buffer_store_dword v2, off, s[0:3], 0 offset:756
	buffer_store_dword v1, off, s[0:3], 0 offset:752
	;; [unrolled: 1-line block ×4, first 2 shown]
.LBB48_759:
	s_or_b32 exec_lo, exec_lo, s8
	v_mov_b32_e32 v4, s6
	s_mov_b32 s8, exec_lo
                                        ; implicit-def: $sgpr58
	s_clause 0x3
	buffer_load_dword v1, v4, s[0:3], 0 offen
	buffer_load_dword v2, v4, s[0:3], 0 offen offset:4
	buffer_load_dword v3, v4, s[0:3], 0 offen offset:8
	;; [unrolled: 1-line block ×3, first 2 shown]
	s_waitcnt vmcnt(0)
	ds_write_b128 v104, v[1:4]
	s_waitcnt lgkmcnt(0)
	s_waitcnt_vscnt null, 0x0
	s_barrier
	buffer_gl0_inv
                                        ; implicit-def: $vgpr1_vgpr2
	v_cmpx_ne_u32_e32 48, v0
	s_cbranch_execz .LBB48_767
; %bb.760:
	ds_read_b128 v[1:4], v104
	v_cmp_ne_u32_e32 vcc_lo, 1, v105
	s_cbranch_vccnz .LBB48_762
; %bb.761:
	s_clause 0x3
	buffer_load_dword v104, v103, s[0:3], 0 offen offset:8
	buffer_load_dword v105, v103, s[0:3], 0 offen offset:12
	buffer_load_dword v106, v103, s[0:3], 0 offen
	buffer_load_dword v107, v103, s[0:3], 0 offen offset:4
	s_waitcnt vmcnt(2) lgkmcnt(0)
	v_mul_f64 v[110:111], v[3:4], v[104:105]
	v_mul_f64 v[103:104], v[1:2], v[104:105]
	s_waitcnt vmcnt(0)
	v_fma_f64 v[1:2], v[1:2], v[106:107], -v[110:111]
	v_fma_f64 v[3:4], v[3:4], v[106:107], v[103:104]
.LBB48_762:
	s_and_saveexec_b32 s56, s4
	s_cbranch_execz .LBB48_766
; %bb.763:
	v_add_nc_u32_e32 v103, 0x320, v109
	v_add3_u32 v104, 0, v109, 16
	s_mov_b32 s4, 0
	.p2align	6
.LBB48_764:                             ; =>This Inner Loop Header: Depth=1
	s_clause 0x3
	buffer_load_dword v109, v104, s[0:3], 0 offen offset:8
	buffer_load_dword v110, v104, s[0:3], 0 offen offset:12
	buffer_load_dword v111, v104, s[0:3], 0 offen
	buffer_load_dword v112, v104, s[0:3], 0 offen offset:4
	ds_read_b128 v[105:108], v103
	v_add_nc_u32_e32 v0, 1, v0
	v_add_nc_u32_e32 v103, 16, v103
	;; [unrolled: 1-line block ×3, first 2 shown]
	v_cmp_lt_u32_e32 vcc_lo, 46, v0
	s_or_b32 s4, vcc_lo, s4
	s_waitcnt vmcnt(2) lgkmcnt(0)
	v_mul_f64 v[113:114], v[107:108], v[109:110]
	v_mul_f64 v[109:110], v[105:106], v[109:110]
	s_waitcnt vmcnt(0)
	v_fma_f64 v[105:106], v[105:106], v[111:112], -v[113:114]
	v_fma_f64 v[107:108], v[107:108], v[111:112], v[109:110]
	v_add_f64 v[1:2], v[1:2], v[105:106]
	v_add_f64 v[3:4], v[3:4], v[107:108]
	s_andn2_b32 exec_lo, exec_lo, s4
	s_cbranch_execnz .LBB48_764
; %bb.765:
	s_or_b32 exec_lo, exec_lo, s4
.LBB48_766:
	s_or_b32 exec_lo, exec_lo, s56
	v_mov_b32_e32 v0, 0
	s_movk_i32 s58, 0x308
	s_or_b32 s5, s5, exec_lo
	ds_read_b128 v[103:106], v0 offset:768
	s_waitcnt lgkmcnt(0)
	v_mul_f64 v[107:108], v[3:4], v[105:106]
	v_mul_f64 v[105:106], v[1:2], v[105:106]
	v_fma_f64 v[107:108], v[1:2], v[103:104], -v[107:108]
	v_fma_f64 v[1:2], v[3:4], v[103:104], v[105:106]
	buffer_store_dword v108, off, s[0:3], 0 offset:772
	buffer_store_dword v107, off, s[0:3], 0 offset:768
.LBB48_767:
	s_or_b32 exec_lo, exec_lo, s8
.LBB48_768:
	s_and_saveexec_b32 s4, s5
	s_cbranch_execz .LBB48_770
; %bb.769:
	v_mov_b32_e32 v0, s58
	buffer_store_dword v2, v0, s[0:3], 0 offen offset:4
	buffer_store_dword v1, v0, s[0:3], 0 offen
.LBB48_770:
	s_or_b32 exec_lo, exec_lo, s4
	s_clause 0x3
	buffer_load_dword v0, off, s[0:3], 0
	buffer_load_dword v1, off, s[0:3], 0 offset:4
	buffer_load_dword v2, off, s[0:3], 0 offset:8
	;; [unrolled: 1-line block ×3, first 2 shown]
	v_mov_b32_e32 v4, s55
	v_mov_b32_e32 v126, s49
	;; [unrolled: 1-line block ×4, first 2 shown]
	s_clause 0x3
	buffer_load_dword v103, v4, s[0:3], 0 offen
	buffer_load_dword v104, v4, s[0:3], 0 offen offset:4
	buffer_load_dword v105, v4, s[0:3], 0 offen offset:8
	;; [unrolled: 1-line block ×3, first 2 shown]
	v_mov_b32_e32 v4, s54
	v_mov_b32_e32 v136, s7
	s_clause 0x3
	buffer_load_dword v107, v4, s[0:3], 0 offen
	buffer_load_dword v108, v4, s[0:3], 0 offen offset:4
	buffer_load_dword v109, v4, s[0:3], 0 offen offset:8
	buffer_load_dword v110, v4, s[0:3], 0 offen offset:12
	v_mov_b32_e32 v4, s53
	s_clause 0x3
	buffer_load_dword v111, v4, s[0:3], 0 offen
	buffer_load_dword v112, v4, s[0:3], 0 offen offset:4
	buffer_load_dword v113, v4, s[0:3], 0 offen offset:8
	buffer_load_dword v114, v4, s[0:3], 0 offen offset:12
	;; [unrolled: 6-line block ×4, first 2 shown]
	v_mov_b32_e32 v4, s50
	s_waitcnt vmcnt(20)
	global_store_dwordx4 v[7:8], v[0:3], off
	s_clause 0x7
	buffer_load_dword v0, v4, s[0:3], 0 offen
	buffer_load_dword v1, v4, s[0:3], 0 offen offset:4
	buffer_load_dword v2, v4, s[0:3], 0 offen offset:8
	;; [unrolled: 1-line block ×3, first 2 shown]
	buffer_load_dword v123, v126, s[0:3], 0 offen
	buffer_load_dword v124, v126, s[0:3], 0 offen offset:4
	buffer_load_dword v125, v126, s[0:3], 0 offen offset:8
	;; [unrolled: 1-line block ×3, first 2 shown]
	v_mov_b32_e32 v4, s48
	s_waitcnt vmcnt(24)
	global_store_dwordx4 v[9:10], v[103:106], off
	s_clause 0x3
	buffer_load_dword v7, v4, s[0:3], 0 offen
	buffer_load_dword v8, v4, s[0:3], 0 offen offset:4
	buffer_load_dword v9, v4, s[0:3], 0 offen offset:8
	;; [unrolled: 1-line block ×3, first 2 shown]
	v_mov_b32_e32 v4, s47
	s_waitcnt vmcnt(24)
	global_store_dwordx4 v[5:6], v[107:110], off
	s_clause 0x3
	buffer_load_dword v103, v4, s[0:3], 0 offen
	buffer_load_dword v104, v4, s[0:3], 0 offen offset:4
	buffer_load_dword v105, v4, s[0:3], 0 offen offset:8
	;; [unrolled: 1-line block ×3, first 2 shown]
	v_mov_b32_e32 v4, s46
	v_mov_b32_e32 v5, s40
	s_clause 0x3
	buffer_load_dword v107, v4, s[0:3], 0 offen
	buffer_load_dword v108, v4, s[0:3], 0 offen offset:4
	buffer_load_dword v109, v4, s[0:3], 0 offen offset:8
	;; [unrolled: 1-line block ×3, first 2 shown]
	v_mov_b32_e32 v4, s45
	s_waitcnt vmcnt(28)
	global_store_dwordx4 v[69:70], v[111:114], off
	s_clause 0x3
	buffer_load_dword v111, v4, s[0:3], 0 offen
	buffer_load_dword v112, v4, s[0:3], 0 offen offset:4
	buffer_load_dword v113, v4, s[0:3], 0 offen offset:8
	buffer_load_dword v114, v4, s[0:3], 0 offen offset:12
	v_mov_b32_e32 v4, s44
	s_waitcnt vmcnt(28)
	global_store_dwordx4 v[65:66], v[115:118], off
	s_clause 0x3
	buffer_load_dword v115, v4, s[0:3], 0 offen
	buffer_load_dword v116, v4, s[0:3], 0 offen offset:4
	buffer_load_dword v117, v4, s[0:3], 0 offen offset:8
	;; [unrolled: 1-line block ×3, first 2 shown]
	v_mov_b32_e32 v4, s43
	s_clause 0x3
	buffer_load_dword v127, v4, s[0:3], 0 offen
	buffer_load_dword v128, v4, s[0:3], 0 offen offset:4
	buffer_load_dword v129, v4, s[0:3], 0 offen offset:8
	buffer_load_dword v130, v4, s[0:3], 0 offen offset:12
	v_mov_b32_e32 v4, s42
	s_waitcnt vmcnt(32)
	global_store_dwordx4 v[67:68], v[119:122], off
	s_clause 0x3
	buffer_load_dword v65, v4, s[0:3], 0 offen
	buffer_load_dword v66, v4, s[0:3], 0 offen offset:4
	buffer_load_dword v67, v4, s[0:3], 0 offen offset:8
	buffer_load_dword v68, v4, s[0:3], 0 offen offset:12
	v_mov_b32_e32 v4, s41
	s_waitcnt vmcnt(32)
	global_store_dwordx4 v[63:64], v[0:3], off
	;; [unrolled: 8-line block ×3, first 2 shown]
	v_mov_b32_e32 v57, s38
	s_clause 0x7
	buffer_load_dword v119, v5, s[0:3], 0 offen
	buffer_load_dword v120, v5, s[0:3], 0 offen offset:4
	buffer_load_dword v121, v5, s[0:3], 0 offen offset:8
	buffer_load_dword v122, v5, s[0:3], 0 offen offset:12
	buffer_load_dword v123, v4, s[0:3], 0 offen
	buffer_load_dword v124, v4, s[0:3], 0 offen offset:4
	buffer_load_dword v125, v4, s[0:3], 0 offen offset:8
	;; [unrolled: 1-line block ×3, first 2 shown]
	v_mov_b32_e32 v58, s37
	s_waitcnt vmcnt(36)
	global_store_dwordx4 v[51:52], v[7:10], off
	v_mov_b32_e32 v8, s36
	s_clause 0x7
	buffer_load_dword v4, v57, s[0:3], 0 offen
	buffer_load_dword v5, v57, s[0:3], 0 offen offset:4
	buffer_load_dword v6, v57, s[0:3], 0 offen offset:8
	;; [unrolled: 1-line block ×3, first 2 shown]
	buffer_load_dword v131, v58, s[0:3], 0 offen
	buffer_load_dword v132, v58, s[0:3], 0 offen offset:4
	buffer_load_dword v133, v58, s[0:3], 0 offen offset:8
	;; [unrolled: 1-line block ×3, first 2 shown]
	v_mov_b32_e32 v9, s34
	v_mov_b32_e32 v57, s17
	;; [unrolled: 1-line block ×3, first 2 shown]
	s_waitcnt vmcnt(40)
	global_store_dwordx4 v[53:54], v[103:106], off
	s_clause 0x3
	buffer_load_dword v51, v8, s[0:3], 0 offen
	buffer_load_dword v52, v8, s[0:3], 0 offen offset:4
	buffer_load_dword v53, v8, s[0:3], 0 offen offset:8
	buffer_load_dword v54, v8, s[0:3], 0 offen offset:12
	v_mov_b32_e32 v8, s35
	s_waitcnt vmcnt(40)
	global_store_dwordx4 v[49:50], v[107:110], off
	s_clause 0x7
	buffer_load_dword v103, v8, s[0:3], 0 offen
	buffer_load_dword v104, v8, s[0:3], 0 offen offset:4
	buffer_load_dword v105, v8, s[0:3], 0 offen offset:8
	buffer_load_dword v106, v8, s[0:3], 0 offen offset:12
	buffer_load_dword v107, v9, s[0:3], 0 offen
	buffer_load_dword v108, v9, s[0:3], 0 offen offset:4
	buffer_load_dword v109, v9, s[0:3], 0 offen offset:8
	;; [unrolled: 1-line block ×3, first 2 shown]
	v_mov_b32_e32 v8, s33
	v_mov_b32_e32 v9, s30
	s_waitcnt vmcnt(44)
	global_store_dwordx4 v[47:48], v[111:114], off
	s_clause 0x3
	buffer_load_dword v47, v8, s[0:3], 0 offen
	buffer_load_dword v48, v8, s[0:3], 0 offen offset:4
	buffer_load_dword v49, v8, s[0:3], 0 offen offset:8
	;; [unrolled: 1-line block ×3, first 2 shown]
	v_mov_b32_e32 v8, s31
	s_waitcnt vmcnt(44)
	global_store_dwordx4 v[39:40], v[115:118], off
	s_clause 0x7
	buffer_load_dword v111, v8, s[0:3], 0 offen
	buffer_load_dword v112, v8, s[0:3], 0 offen offset:4
	buffer_load_dword v113, v8, s[0:3], 0 offen offset:8
	;; [unrolled: 1-line block ×3, first 2 shown]
	buffer_load_dword v115, v9, s[0:3], 0 offen
	buffer_load_dword v116, v9, s[0:3], 0 offen offset:4
	buffer_load_dword v117, v9, s[0:3], 0 offen offset:8
	;; [unrolled: 1-line block ×3, first 2 shown]
	v_mov_b32_e32 v8, s29
	v_mov_b32_e32 v9, s24
	s_waitcnt vmcnt(48)
	global_store_dwordx4 v[45:46], v[127:130], off
	s_clause 0x3
	buffer_load_dword v127, v8, s[0:3], 0 offen
	buffer_load_dword v128, v8, s[0:3], 0 offen offset:4
	buffer_load_dword v129, v8, s[0:3], 0 offen offset:8
	;; [unrolled: 1-line block ×3, first 2 shown]
	v_mov_b32_e32 v8, s28
	v_mov_b32_e32 v45, s21
	;; [unrolled: 1-line block ×3, first 2 shown]
	s_waitcnt vmcnt(48)
	global_store_dwordx4 v[37:38], v[65:68], off
	s_clause 0x3
	buffer_load_dword v37, v8, s[0:3], 0 offen
	buffer_load_dword v38, v8, s[0:3], 0 offen offset:4
	buffer_load_dword v39, v8, s[0:3], 0 offen offset:8
	;; [unrolled: 1-line block ×3, first 2 shown]
	v_mov_b32_e32 v8, s27
	s_clause 0x3
	buffer_load_dword v63, v8, s[0:3], 0 offen
	buffer_load_dword v64, v8, s[0:3], 0 offen offset:4
	buffer_load_dword v65, v8, s[0:3], 0 offen offset:8
	;; [unrolled: 1-line block ×3, first 2 shown]
	v_mov_b32_e32 v8, s25
	s_waitcnt vmcnt(52)
	global_store_dwordx4 v[35:36], v[0:3], off
	v_mov_b32_e32 v3, s26
	v_mov_b32_e32 v35, s23
	;; [unrolled: 1-line block ×3, first 2 shown]
	s_waitcnt vmcnt(48)
	global_store_dwordx4 v[29:30], v[119:122], off
	v_mov_b32_e32 v30, s19
	s_waitcnt vmcnt(44)
	global_store_dwordx4 v[21:22], v[123:126], off
	s_waitcnt vmcnt(40)
	global_store_dwordx4 v[17:18], v[4:7], off
	s_clause 0x3
	buffer_load_dword v0, v3, s[0:3], 0 offen
	buffer_load_dword v1, v3, s[0:3], 0 offen offset:4
	buffer_load_dword v2, v3, s[0:3], 0 offen offset:8
	;; [unrolled: 1-line block ×3, first 2 shown]
	v_mov_b32_e32 v119, s15
	s_waitcnt vmcnt(40)
	global_store_dwordx4 v[13:14], v[131:134], off
	s_clause 0x7
	buffer_load_dword v4, v8, s[0:3], 0 offen
	buffer_load_dword v5, v8, s[0:3], 0 offen offset:4
	buffer_load_dword v6, v8, s[0:3], 0 offen offset:8
	;; [unrolled: 1-line block ×3, first 2 shown]
	buffer_load_dword v67, v9, s[0:3], 0 offen
	buffer_load_dword v68, v9, s[0:3], 0 offen offset:4
	buffer_load_dword v69, v9, s[0:3], 0 offen offset:8
	buffer_load_dword v70, v9, s[0:3], 0 offen offset:12
	v_mov_b32_e32 v29, s20
	v_mov_b32_e32 v121, s13
	;; [unrolled: 1-line block ×3, first 2 shown]
	s_waitcnt vmcnt(44)
	global_store_dwordx4 v[11:12], v[51:54], off
	s_clause 0x7
	buffer_load_dword v8, v35, s[0:3], 0 offen
	buffer_load_dword v9, v35, s[0:3], 0 offen offset:4
	buffer_load_dword v10, v35, s[0:3], 0 offen offset:8
	;; [unrolled: 1-line block ×3, first 2 shown]
	buffer_load_dword v51, v36, s[0:3], 0 offen
	buffer_load_dword v52, v36, s[0:3], 0 offen offset:4
	buffer_load_dword v53, v36, s[0:3], 0 offen offset:8
	;; [unrolled: 1-line block ×3, first 2 shown]
	s_waitcnt vmcnt(48)
	global_store_dwordx4 v[19:20], v[103:106], off
	s_clause 0x7
	buffer_load_dword v17, v45, s[0:3], 0 offen
	buffer_load_dword v18, v45, s[0:3], 0 offen offset:4
	buffer_load_dword v19, v45, s[0:3], 0 offen offset:8
	;; [unrolled: 1-line block ×3, first 2 shown]
	buffer_load_dword v103, v29, s[0:3], 0 offen
	buffer_load_dword v104, v29, s[0:3], 0 offen offset:4
	buffer_load_dword v105, v29, s[0:3], 0 offen offset:8
	;; [unrolled: 1-line block ×3, first 2 shown]
	v_mov_b32_e32 v120, s14
	v_mov_b32_e32 v122, s12
	s_waitcnt vmcnt(52)
	global_store_dwordx4 v[15:16], v[107:110], off
	s_clause 0x7
	buffer_load_dword v12, v30, s[0:3], 0 offen
	buffer_load_dword v13, v30, s[0:3], 0 offen offset:4
	buffer_load_dword v14, v30, s[0:3], 0 offen offset:8
	;; [unrolled: 1-line block ×3, first 2 shown]
	buffer_load_dword v107, v46, s[0:3], 0 offen
	buffer_load_dword v108, v46, s[0:3], 0 offen offset:4
	buffer_load_dword v109, v46, s[0:3], 0 offen offset:8
	;; [unrolled: 1-line block ×3, first 2 shown]
	v_mov_b32_e32 v126, s10
	s_waitcnt vmcnt(56)
	global_store_dwordx4 v[23:24], v[47:50], off
	s_clause 0x7
	buffer_load_dword v21, v57, s[0:3], 0 offen
	buffer_load_dword v22, v57, s[0:3], 0 offen offset:4
	buffer_load_dword v23, v57, s[0:3], 0 offen offset:8
	buffer_load_dword v24, v57, s[0:3], 0 offen offset:12
	buffer_load_dword v45, v58, s[0:3], 0 offen
	buffer_load_dword v46, v58, s[0:3], 0 offen offset:4
	buffer_load_dword v47, v58, s[0:3], 0 offen offset:8
	buffer_load_dword v48, v58, s[0:3], 0 offen offset:12
	s_waitcnt vmcnt(60)
	global_store_dwordx4 v[27:28], v[111:114], off
	s_clause 0x7
	buffer_load_dword v27, v119, s[0:3], 0 offen
	buffer_load_dword v28, v119, s[0:3], 0 offen offset:4
	buffer_load_dword v29, v119, s[0:3], 0 offen offset:8
	buffer_load_dword v30, v119, s[0:3], 0 offen offset:12
	buffer_load_dword v111, v120, s[0:3], 0 offen
	buffer_load_dword v112, v120, s[0:3], 0 offen offset:4
	buffer_load_dword v113, v120, s[0:3], 0 offen offset:8
	buffer_load_dword v114, v120, s[0:3], 0 offen offset:12
	;; [unrolled: 11-line block ×4, first 2 shown]
	global_store_dwordx4 v[31:32], v[37:40], off
	s_clause 0x7
	buffer_load_dword v37, v135, s[0:3], 0 offen
	buffer_load_dword v38, v135, s[0:3], 0 offen offset:4
	buffer_load_dword v39, v135, s[0:3], 0 offen offset:8
	;; [unrolled: 1-line block ×3, first 2 shown]
	buffer_load_dword v127, v136, s[0:3], 0 offen
	buffer_load_dword v128, v136, s[0:3], 0 offen offset:4
	buffer_load_dword v129, v136, s[0:3], 0 offen offset:8
	;; [unrolled: 1-line block ×3, first 2 shown]
	s_waitcnt vmcnt(62)
	global_store_dwordx4 v[43:44], v[63:66], off
	s_clause 0x3
	buffer_load_dword v63, v137, s[0:3], 0 offen
	buffer_load_dword v64, v137, s[0:3], 0 offen offset:4
	buffer_load_dword v65, v137, s[0:3], 0 offen offset:8
	;; [unrolled: 1-line block ×3, first 2 shown]
	global_store_dwordx4 v[41:42], v[0:3], off
	global_store_dwordx4 v[55:56], v[4:7], off
	;; [unrolled: 1-line block ×3, first 2 shown]
	s_waitcnt vmcnt(62)
	global_store_dwordx4 v[61:62], v[8:11], off
	s_waitcnt vmcnt(60)
	global_store_dwordx4 v[71:72], v[51:54], off
	;; [unrolled: 2-line block ×17, first 2 shown]
.LBB48_771:
	s_endpgm
	.section	.rodata,"a",@progbits
	.p2align	6, 0x0
	.amdhsa_kernel _ZN9rocsolver6v33100L18trti2_kernel_smallILi49E19rocblas_complex_numIdEPS3_EEv13rocblas_fill_17rocblas_diagonal_T1_iil
		.amdhsa_group_segment_fixed_size 1568
		.amdhsa_private_segment_fixed_size 800
		.amdhsa_kernarg_size 32
		.amdhsa_user_sgpr_count 6
		.amdhsa_user_sgpr_private_segment_buffer 1
		.amdhsa_user_sgpr_dispatch_ptr 0
		.amdhsa_user_sgpr_queue_ptr 0
		.amdhsa_user_sgpr_kernarg_segment_ptr 1
		.amdhsa_user_sgpr_dispatch_id 0
		.amdhsa_user_sgpr_flat_scratch_init 0
		.amdhsa_user_sgpr_private_segment_size 0
		.amdhsa_wavefront_size32 1
		.amdhsa_uses_dynamic_stack 0
		.amdhsa_system_sgpr_private_segment_wavefront_offset 1
		.amdhsa_system_sgpr_workgroup_id_x 1
		.amdhsa_system_sgpr_workgroup_id_y 0
		.amdhsa_system_sgpr_workgroup_id_z 0
		.amdhsa_system_sgpr_workgroup_info 0
		.amdhsa_system_vgpr_workitem_id 0
		.amdhsa_next_free_vgpr 142
		.amdhsa_next_free_sgpr 78
		.amdhsa_reserve_vcc 1
		.amdhsa_reserve_flat_scratch 0
		.amdhsa_float_round_mode_32 0
		.amdhsa_float_round_mode_16_64 0
		.amdhsa_float_denorm_mode_32 3
		.amdhsa_float_denorm_mode_16_64 3
		.amdhsa_dx10_clamp 1
		.amdhsa_ieee_mode 1
		.amdhsa_fp16_overflow 0
		.amdhsa_workgroup_processor_mode 1
		.amdhsa_memory_ordered 1
		.amdhsa_forward_progress 1
		.amdhsa_shared_vgpr_count 0
		.amdhsa_exception_fp_ieee_invalid_op 0
		.amdhsa_exception_fp_denorm_src 0
		.amdhsa_exception_fp_ieee_div_zero 0
		.amdhsa_exception_fp_ieee_overflow 0
		.amdhsa_exception_fp_ieee_underflow 0
		.amdhsa_exception_fp_ieee_inexact 0
		.amdhsa_exception_int_div_zero 0
	.end_amdhsa_kernel
	.section	.text._ZN9rocsolver6v33100L18trti2_kernel_smallILi49E19rocblas_complex_numIdEPS3_EEv13rocblas_fill_17rocblas_diagonal_T1_iil,"axG",@progbits,_ZN9rocsolver6v33100L18trti2_kernel_smallILi49E19rocblas_complex_numIdEPS3_EEv13rocblas_fill_17rocblas_diagonal_T1_iil,comdat
.Lfunc_end48:
	.size	_ZN9rocsolver6v33100L18trti2_kernel_smallILi49E19rocblas_complex_numIdEPS3_EEv13rocblas_fill_17rocblas_diagonal_T1_iil, .Lfunc_end48-_ZN9rocsolver6v33100L18trti2_kernel_smallILi49E19rocblas_complex_numIdEPS3_EEv13rocblas_fill_17rocblas_diagonal_T1_iil
                                        ; -- End function
	.set _ZN9rocsolver6v33100L18trti2_kernel_smallILi49E19rocblas_complex_numIdEPS3_EEv13rocblas_fill_17rocblas_diagonal_T1_iil.num_vgpr, 142
	.set _ZN9rocsolver6v33100L18trti2_kernel_smallILi49E19rocblas_complex_numIdEPS3_EEv13rocblas_fill_17rocblas_diagonal_T1_iil.num_agpr, 0
	.set _ZN9rocsolver6v33100L18trti2_kernel_smallILi49E19rocblas_complex_numIdEPS3_EEv13rocblas_fill_17rocblas_diagonal_T1_iil.numbered_sgpr, 78
	.set _ZN9rocsolver6v33100L18trti2_kernel_smallILi49E19rocblas_complex_numIdEPS3_EEv13rocblas_fill_17rocblas_diagonal_T1_iil.num_named_barrier, 0
	.set _ZN9rocsolver6v33100L18trti2_kernel_smallILi49E19rocblas_complex_numIdEPS3_EEv13rocblas_fill_17rocblas_diagonal_T1_iil.private_seg_size, 800
	.set _ZN9rocsolver6v33100L18trti2_kernel_smallILi49E19rocblas_complex_numIdEPS3_EEv13rocblas_fill_17rocblas_diagonal_T1_iil.uses_vcc, 1
	.set _ZN9rocsolver6v33100L18trti2_kernel_smallILi49E19rocblas_complex_numIdEPS3_EEv13rocblas_fill_17rocblas_diagonal_T1_iil.uses_flat_scratch, 0
	.set _ZN9rocsolver6v33100L18trti2_kernel_smallILi49E19rocblas_complex_numIdEPS3_EEv13rocblas_fill_17rocblas_diagonal_T1_iil.has_dyn_sized_stack, 0
	.set _ZN9rocsolver6v33100L18trti2_kernel_smallILi49E19rocblas_complex_numIdEPS3_EEv13rocblas_fill_17rocblas_diagonal_T1_iil.has_recursion, 0
	.set _ZN9rocsolver6v33100L18trti2_kernel_smallILi49E19rocblas_complex_numIdEPS3_EEv13rocblas_fill_17rocblas_diagonal_T1_iil.has_indirect_call, 0
	.section	.AMDGPU.csdata,"",@progbits
; Kernel info:
; codeLenInByte = 49888
; TotalNumSgprs: 80
; NumVgprs: 142
; ScratchSize: 800
; MemoryBound: 0
; FloatMode: 240
; IeeeMode: 1
; LDSByteSize: 1568 bytes/workgroup (compile time only)
; SGPRBlocks: 0
; VGPRBlocks: 17
; NumSGPRsForWavesPerEU: 80
; NumVGPRsForWavesPerEU: 142
; Occupancy: 7
; WaveLimiterHint : 0
; COMPUTE_PGM_RSRC2:SCRATCH_EN: 1
; COMPUTE_PGM_RSRC2:USER_SGPR: 6
; COMPUTE_PGM_RSRC2:TRAP_HANDLER: 0
; COMPUTE_PGM_RSRC2:TGID_X_EN: 1
; COMPUTE_PGM_RSRC2:TGID_Y_EN: 0
; COMPUTE_PGM_RSRC2:TGID_Z_EN: 0
; COMPUTE_PGM_RSRC2:TIDIG_COMP_CNT: 0
	.section	.text._ZN9rocsolver6v33100L18trti2_kernel_smallILi50E19rocblas_complex_numIdEPS3_EEv13rocblas_fill_17rocblas_diagonal_T1_iil,"axG",@progbits,_ZN9rocsolver6v33100L18trti2_kernel_smallILi50E19rocblas_complex_numIdEPS3_EEv13rocblas_fill_17rocblas_diagonal_T1_iil,comdat
	.globl	_ZN9rocsolver6v33100L18trti2_kernel_smallILi50E19rocblas_complex_numIdEPS3_EEv13rocblas_fill_17rocblas_diagonal_T1_iil ; -- Begin function _ZN9rocsolver6v33100L18trti2_kernel_smallILi50E19rocblas_complex_numIdEPS3_EEv13rocblas_fill_17rocblas_diagonal_T1_iil
	.p2align	8
	.type	_ZN9rocsolver6v33100L18trti2_kernel_smallILi50E19rocblas_complex_numIdEPS3_EEv13rocblas_fill_17rocblas_diagonal_T1_iil,@function
_ZN9rocsolver6v33100L18trti2_kernel_smallILi50E19rocblas_complex_numIdEPS3_EEv13rocblas_fill_17rocblas_diagonal_T1_iil: ; @_ZN9rocsolver6v33100L18trti2_kernel_smallILi50E19rocblas_complex_numIdEPS3_EEv13rocblas_fill_17rocblas_diagonal_T1_iil
; %bb.0:
	s_add_u32 s0, s0, s7
	s_addc_u32 s1, s1, 0
	s_mov_b32 s7, exec_lo
	v_cmpx_gt_u32_e32 50, v0
	s_cbranch_execz .LBB49_787
; %bb.1:
	s_load_dwordx8 s[8:15], s[4:5], 0x0
	s_ashr_i32 s4, s6, 31
	v_lshlrev_b32_e32 v129, 4, v0
	s_movk_i32 s16, 0xf0
	s_movk_i32 s17, 0x100
	;; [unrolled: 1-line block ×17, first 2 shown]
	s_waitcnt lgkmcnt(0)
	s_mul_hi_u32 s5, s14, s6
	s_mul_i32 s4, s14, s4
	s_mul_i32 s7, s15, s6
	s_add_i32 s5, s5, s4
	s_mul_i32 s4, s14, s6
	s_add_i32 s5, s5, s7
	s_ashr_i32 s7, s12, 31
	s_lshl_b64 s[4:5], s[4:5], 4
	s_mov_b32 s6, s12
	s_add_u32 s10, s10, s4
	s_addc_u32 s11, s11, s5
	s_lshl_b64 s[4:5], s[6:7], 4
	v_add3_u32 v7, s13, s13, v0
	s_add_u32 s4, s10, s4
	s_addc_u32 s5, s11, s5
	v_add_co_u32 v79, s10, s4, v129
	global_load_dwordx4 v[1:4], v129, s[4:5]
	v_add_nc_u32_e32 v6, s13, v7
	v_ashrrev_i32_e32 v8, 31, v7
	s_mov_b32 s6, s13
	s_ashr_i32 s7, s13, 31
	v_add_co_ci_u32_e64 v80, null, s5, 0, s10
	v_add_nc_u32_e32 v5, s13, v6
	v_lshlrev_b64 v[8:9], 4, v[7:8]
	v_ashrrev_i32_e32 v7, 31, v6
	s_lshl_b64 s[6:7], s[6:7], 4
	s_cmpk_lg_i32 s9, 0x84
	v_add_nc_u32_e32 v11, s13, v5
	v_add_co_u32 v81, vcc_lo, v79, s6
	v_add_co_ci_u32_e64 v82, null, s7, v80, vcc_lo
	v_add_nc_u32_e32 v13, s13, v11
	v_add_co_u32 v95, vcc_lo, s4, v8
	v_lshlrev_b64 v[6:7], 4, v[6:7]
	v_add_co_ci_u32_e64 v96, null, s5, v9, vcc_lo
	v_add_nc_u32_e32 v15, s13, v13
	global_load_dwordx4 v[74:77], v[81:82], off
	v_ashrrev_i32_e32 v12, 31, v11
	v_add_co_u32 v103, vcc_lo, s4, v6
	v_add_nc_u32_e32 v17, s13, v15
	global_load_dwordx4 v[83:86], v[95:96], off
	v_ashrrev_i32_e32 v6, 31, v5
	v_add_co_ci_u32_e64 v104, null, s5, v7, vcc_lo
	v_add_nc_u32_e32 v19, s13, v17
	v_ashrrev_i32_e32 v14, 31, v13
	v_lshlrev_b64 v[5:6], 4, v[5:6]
	global_load_dwordx4 v[87:90], v[103:104], off
	v_lshlrev_b64 v[11:12], 4, v[11:12]
	v_add_nc_u32_e32 v21, s13, v19
	v_lshlrev_b64 v[48:49], 4, v[13:14]
	v_ashrrev_i32_e32 v16, 31, v15
	v_ashrrev_i32_e32 v18, 31, v17
	;; [unrolled: 1-line block ×3, first 2 shown]
	v_add_nc_u32_e32 v23, s13, v21
	v_ashrrev_i32_e32 v22, 31, v21
	v_lshlrev_b64 v[15:16], 4, v[15:16]
	s_movk_i32 s6, 0x70
	s_movk_i32 s7, 0x80
	v_add_nc_u32_e32 v25, s13, v23
	v_ashrrev_i32_e32 v24, 31, v23
	s_movk_i32 s10, 0x90
	s_movk_i32 s11, 0xa0
	s_movk_i32 s12, 0xb0
	v_add_nc_u32_e32 v27, s13, v25
	v_ashrrev_i32_e32 v26, 31, v25
	s_movk_i32 s14, 0xd0
	;; [unrolled: 5-line block ×8, first 2 shown]
	s_movk_i32 s79, 0x310
	s_cselect_b32 s58, -1, 0
	v_add_nc_u32_e32 v41, s13, v39
	v_ashrrev_i32_e32 v40, 31, v39
	s_cmpk_eq_i32 s9, 0x84
	v_add_nc_u32_e32 v43, s13, v41
	v_ashrrev_i32_e32 v42, 31, v41
	v_add_nc_u32_e32 v45, s13, v43
	v_ashrrev_i32_e32 v44, 31, v43
	v_add_nc_u32_e32 v47, s13, v45
	v_ashrrev_i32_e32 v46, 31, v45
	v_add_nc_u32_e32 v51, s13, v47
	v_add_nc_u32_e32 v53, s13, v51
	v_ashrrev_i32_e32 v52, 31, v51
	v_add_nc_u32_e32 v55, s13, v53
	v_ashrrev_i32_e32 v54, 31, v53
	;; [unrolled: 2-line block ×10, first 2 shown]
	v_add_nc_u32_e32 v109, s13, v73
	v_add_nc_u32_e32 v111, s13, v109
	v_ashrrev_i32_e32 v110, 31, v109
	v_add_nc_u32_e32 v113, s13, v111
	v_ashrrev_i32_e32 v112, 31, v111
	v_add_nc_u32_e32 v115, s13, v113
	v_ashrrev_i32_e32 v114, 31, v113
	v_add_nc_u32_e32 v117, s13, v115
	v_ashrrev_i32_e32 v116, 31, v115
	v_add_nc_u32_e32 v119, s13, v117
	v_ashrrev_i32_e32 v118, 31, v117
	v_add_nc_u32_e32 v121, s13, v119
	v_ashrrev_i32_e32 v120, 31, v119
	v_add_nc_u32_e32 v123, s13, v121
	v_ashrrev_i32_e32 v122, 31, v121
	v_add_nc_u32_e32 v125, s13, v123
	v_ashrrev_i32_e32 v124, 31, v123
	v_add_nc_u32_e32 v127, s13, v125
	v_ashrrev_i32_e32 v126, 31, v125
	v_add_nc_u32_e32 v130, s13, v127
	v_ashrrev_i32_e32 v128, 31, v127
	v_add_nc_u32_e32 v132, s13, v130
	v_ashrrev_i32_e32 v131, 31, v130
	v_add_nc_u32_e32 v134, s13, v132
	v_ashrrev_i32_e32 v133, 31, v132
	v_add_nc_u32_e32 v136, s13, v134
	v_ashrrev_i32_e32 v135, 31, v134
	v_add_nc_u32_e32 v8, s13, v136
	v_ashrrev_i32_e32 v137, 31, v136
	s_movk_i32 s13, 0xc0
	v_ashrrev_i32_e32 v9, 31, v8
	v_lshlrev_b64 v[7:8], 4, v[8:9]
	v_add_co_u32 v9, vcc_lo, s4, v7
	v_add_co_ci_u32_e64 v10, null, s5, v8, vcc_lo
	v_add_co_u32 v105, vcc_lo, s4, v5
	v_add_co_ci_u32_e64 v106, null, s5, v6, vcc_lo
	global_load_dwordx4 v[5:8], v[9:10], off
	v_add_co_u32 v107, vcc_lo, s4, v11
	v_add_co_ci_u32_e64 v108, null, s5, v12, vcc_lo
	v_add_co_u32 v101, vcc_lo, s4, v48
	v_add_co_ci_u32_e64 v102, null, s5, v49, vcc_lo
	;; [unrolled: 2-line block ×3, first 2 shown]
	v_lshlrev_b64 v[15:16], 4, v[17:18]
	v_lshlrev_b64 v[17:18], 4, v[21:22]
	v_ashrrev_i32_e32 v48, 31, v47
	s_waitcnt vmcnt(4)
	buffer_store_dword v4, off, s[0:3], 0 offset:12
	buffer_store_dword v3, off, s[0:3], 0 offset:8
	;; [unrolled: 1-line block ×3, first 2 shown]
	buffer_store_dword v1, off, s[0:3], 0
	global_load_dwordx4 v[1:4], v[105:106], off
	v_add_co_u32 v97, vcc_lo, s4, v15
	v_add_co_ci_u32_e64 v98, null, s5, v16, vcc_lo
	v_lshlrev_b64 v[15:16], 4, v[19:20]
	v_lshlrev_b64 v[19:20], 4, v[23:24]
	s_waitcnt vmcnt(4)
	buffer_store_dword v77, off, s[0:3], 0 offset:28
	buffer_store_dword v76, off, s[0:3], 0 offset:24
	buffer_store_dword v75, off, s[0:3], 0 offset:20
	buffer_store_dword v74, off, s[0:3], 0 offset:16
	global_load_dwordx4 v[11:14], v[107:108], off
	s_waitcnt vmcnt(4)
	buffer_store_dword v86, off, s[0:3], 0 offset:44
	buffer_store_dword v85, off, s[0:3], 0 offset:40
	buffer_store_dword v84, off, s[0:3], 0 offset:36
	buffer_store_dword v83, off, s[0:3], 0 offset:32
	global_load_dwordx4 v[74:77], v[101:102], off
	;; [unrolled: 6-line block ×3, first 2 shown]
	v_add_co_u32 v93, vcc_lo, s4, v15
	v_add_co_ci_u32_e64 v94, null, s5, v16, vcc_lo
	v_add_co_u32 v91, vcc_lo, s4, v17
	v_add_co_ci_u32_e64 v92, null, s5, v18, vcc_lo
	;; [unrolled: 2-line block ×3, first 2 shown]
	v_lshlrev_b64 v[23:24], 4, v[25:26]
	v_lshlrev_b64 v[25:26], 4, v[29:30]
	v_lshlrev_b64 v[29:30], 4, v[39:40]
	s_waitcnt vmcnt(3)
	buffer_store_dword v4, off, s[0:3], 0 offset:76
	buffer_store_dword v3, off, s[0:3], 0 offset:72
	;; [unrolled: 1-line block ×4, first 2 shown]
	global_load_dwordx4 v[1:4], v[97:98], off
	v_add_co_u32 v89, vcc_lo, s4, v23
	v_add_co_ci_u32_e64 v90, null, s5, v24, vcc_lo
	v_lshlrev_b64 v[23:24], 4, v[27:28]
	v_lshlrev_b64 v[27:28], 4, v[37:38]
	s_waitcnt vmcnt(3)
	buffer_store_dword v14, off, s[0:3], 0 offset:92
	buffer_store_dword v13, off, s[0:3], 0 offset:88
	buffer_store_dword v12, off, s[0:3], 0 offset:84
	buffer_store_dword v11, off, s[0:3], 0 offset:80
	global_load_dwordx4 v[11:14], v[93:94], off
	s_waitcnt vmcnt(3)
	buffer_store_dword v77, off, s[0:3], 0 offset:108
	buffer_store_dword v76, off, s[0:3], 0 offset:104
	buffer_store_dword v75, off, s[0:3], 0 offset:100
	buffer_store_dword v74, off, s[0:3], 0 offset:96
	global_load_dwordx4 v[15:18], v[91:92], off
	;; [unrolled: 6-line block ×3, first 2 shown]
	v_add_co_u32 v85, vcc_lo, s4, v23
	v_add_co_ci_u32_e64 v86, null, s5, v24, vcc_lo
	v_lshlrev_b64 v[23:24], 4, v[31:32]
	v_add_co_u32 v83, vcc_lo, s4, v25
	v_add_co_ci_u32_e64 v84, null, s5, v26, vcc_lo
	v_lshlrev_b64 v[37:38], 4, v[47:48]
	;; [unrolled: 3-line block ×3, first 2 shown]
	v_ashrrev_i32_e32 v74, 31, v73
	s_waitcnt vmcnt(3)
	buffer_store_dword v4, off, s[0:3], 0 offset:140
	buffer_store_dword v3, off, s[0:3], 0 offset:136
	;; [unrolled: 1-line block ×4, first 2 shown]
	global_load_dwordx4 v[1:4], v[89:90], off
	v_add_co_u32 v75, vcc_lo, s4, v23
	v_add_co_ci_u32_e64 v76, null, s5, v24, vcc_lo
	v_lshlrev_b64 v[23:24], 4, v[35:36]
	s_waitcnt vmcnt(3)
	buffer_store_dword v11, off, s[0:3], 0 offset:144
	buffer_store_dword v12, off, s[0:3], 0 offset:148
	buffer_store_dword v13, off, s[0:3], 0 offset:152
	buffer_store_dword v14, off, s[0:3], 0 offset:156
	global_load_dwordx4 v[11:14], v[85:86], off
	s_waitcnt vmcnt(3)
	buffer_store_dword v15, off, s[0:3], 0 offset:160
	buffer_store_dword v16, off, s[0:3], 0 offset:164
	buffer_store_dword v17, off, s[0:3], 0 offset:168
	buffer_store_dword v18, off, s[0:3], 0 offset:172
	global_load_dwordx4 v[15:18], v[83:84], off
	;; [unrolled: 6-line block ×3, first 2 shown]
	v_add_co_u32 v65, vcc_lo, s4, v23
	v_add_co_ci_u32_e64 v66, null, s5, v24, vcc_lo
	v_add_co_u32 v49, vcc_lo, s4, v27
	v_add_co_ci_u32_e64 v50, null, s5, v28, vcc_lo
	;; [unrolled: 2-line block ×3, first 2 shown]
	v_lshlrev_b64 v[29:30], 4, v[45:46]
	s_waitcnt vmcnt(3)
	buffer_store_dword v4, off, s[0:3], 0 offset:204
	buffer_store_dword v3, off, s[0:3], 0 offset:200
	buffer_store_dword v2, off, s[0:3], 0 offset:196
	buffer_store_dword v1, off, s[0:3], 0 offset:192
	global_load_dwordx4 v[1:4], v[75:76], off
	s_waitcnt vmcnt(3)
	buffer_store_dword v14, off, s[0:3], 0 offset:220
	buffer_store_dword v13, off, s[0:3], 0 offset:216
	buffer_store_dword v12, off, s[0:3], 0 offset:212
	buffer_store_dword v11, off, s[0:3], 0 offset:208
	global_load_dwordx4 v[23:26], v[65:66], off
	;; [unrolled: 6-line block ×3, first 2 shown]
	s_waitcnt vmcnt(3)
	buffer_store_dword v22, off, s[0:3], 0 offset:252
	buffer_store_dword v21, off, s[0:3], 0 offset:248
	buffer_store_dword v20, off, s[0:3], 0 offset:244
	buffer_store_dword v19, off, s[0:3], 0 offset:240
	v_lshlrev_b64 v[11:12], 4, v[41:42]
	global_load_dwordx4 v[17:20], v[35:36], off
	v_lshlrev_b64 v[21:22], 4, v[43:44]
	s_waitcnt vmcnt(3)
	buffer_store_dword v4, off, s[0:3], 0 offset:268
	buffer_store_dword v3, off, s[0:3], 0 offset:264
	;; [unrolled: 1-line block ×4, first 2 shown]
	v_add_co_u32 v11, vcc_lo, s4, v11
	v_add_co_ci_u32_e64 v12, null, s5, v12, vcc_lo
	v_add_co_u32 v27, vcc_lo, s4, v21
	v_add_co_ci_u32_e64 v28, null, s5, v22, vcc_lo
	global_load_dwordx4 v[1:4], v[11:12], off
	s_waitcnt vmcnt(3)
	buffer_store_dword v26, off, s[0:3], 0 offset:284
	buffer_store_dword v25, off, s[0:3], 0 offset:280
	;; [unrolled: 1-line block ×4, first 2 shown]
	v_add_co_u32 v21, vcc_lo, s4, v29
	global_load_dwordx4 v[23:26], v[27:28], off
	v_add_co_ci_u32_e64 v22, null, s5, v30, vcc_lo
	s_waitcnt vmcnt(3)
	buffer_store_dword v16, off, s[0:3], 0 offset:300
	buffer_store_dword v15, off, s[0:3], 0 offset:296
	;; [unrolled: 1-line block ×4, first 2 shown]
	v_add_co_u32 v13, vcc_lo, s4, v37
	v_add_co_ci_u32_e64 v14, null, s5, v38, vcc_lo
	global_load_dwordx4 v[31:34], v[21:22], off
	s_waitcnt vmcnt(3)
	buffer_store_dword v20, off, s[0:3], 0 offset:316
	buffer_store_dword v19, off, s[0:3], 0 offset:312
	;; [unrolled: 1-line block ×4, first 2 shown]
	v_lshlrev_b64 v[15:16], 4, v[51:52]
	global_load_dwordx4 v[37:40], v[13:14], off
	v_lshlrev_b64 v[17:18], 4, v[53:54]
	v_lshlrev_b64 v[19:20], 4, v[55:56]
	;; [unrolled: 1-line block ×3, first 2 shown]
	s_waitcnt vmcnt(3)
	buffer_store_dword v4, off, s[0:3], 0 offset:332
	buffer_store_dword v3, off, s[0:3], 0 offset:328
	;; [unrolled: 1-line block ×4, first 2 shown]
	v_add_co_u32 v15, vcc_lo, s4, v15
	v_add_co_ci_u32_e64 v16, null, s5, v16, vcc_lo
	v_add_co_u32 v29, vcc_lo, s4, v17
	v_add_co_ci_u32_e64 v30, null, s5, v18, vcc_lo
	global_load_dwordx4 v[1:4], v[15:16], off
	v_lshlrev_b64 v[17:18], 4, v[57:58]
	s_waitcnt vmcnt(3)
	buffer_store_dword v26, off, s[0:3], 0 offset:348
	buffer_store_dword v25, off, s[0:3], 0 offset:344
	;; [unrolled: 1-line block ×4, first 2 shown]
	v_add_co_u32 v23, vcc_lo, s4, v19
	v_add_co_ci_u32_e64 v24, null, s5, v20, vcc_lo
	v_add_co_u32 v17, vcc_lo, s4, v17
	global_load_dwordx4 v[41:44], v[29:30], off
	v_add_co_ci_u32_e64 v18, null, s5, v18, vcc_lo
	s_waitcnt vmcnt(3)
	buffer_store_dword v34, off, s[0:3], 0 offset:364
	buffer_store_dword v33, off, s[0:3], 0 offset:360
	;; [unrolled: 1-line block ×4, first 2 shown]
	global_load_dwordx4 v[45:48], v[23:24], off
	s_waitcnt vmcnt(3)
	buffer_store_dword v40, off, s[0:3], 0 offset:380
	buffer_store_dword v39, off, s[0:3], 0 offset:376
	;; [unrolled: 1-line block ×4, first 2 shown]
	v_lshlrev_b64 v[19:20], 4, v[59:60]
	global_load_dwordx4 v[37:40], v[17:18], off
	v_lshlrev_b64 v[25:26], 4, v[61:62]
	v_lshlrev_b64 v[33:34], 4, v[63:64]
	v_lshlrev_b64 v[59:60], 4, v[73:74]
	v_lshlrev_b64 v[63:64], 4, v[109:110]
	v_add_co_u32 v19, vcc_lo, s4, v19
	v_add_co_ci_u32_e64 v20, null, s5, v20, vcc_lo
	v_add_co_u32 v31, vcc_lo, s4, v25
	v_add_co_ci_u32_e64 v32, null, s5, v26, vcc_lo
	;; [unrolled: 2-line block ×4, first 2 shown]
	s_waitcnt vmcnt(3)
	buffer_store_dword v4, off, s[0:3], 0 offset:396
	buffer_store_dword v3, off, s[0:3], 0 offset:392
	buffer_store_dword v2, off, s[0:3], 0 offset:388
	buffer_store_dword v1, off, s[0:3], 0 offset:384
	global_load_dwordx4 v[1:4], v[19:20], off
	s_waitcnt vmcnt(3)
	buffer_store_dword v44, off, s[0:3], 0 offset:412
	buffer_store_dword v43, off, s[0:3], 0 offset:408
	buffer_store_dword v42, off, s[0:3], 0 offset:404
	buffer_store_dword v41, off, s[0:3], 0 offset:400
	global_load_dwordx4 v[41:44], v[31:32], off
	;; [unrolled: 6-line block ×3, first 2 shown]
	s_waitcnt vmcnt(3)
	buffer_store_dword v40, off, s[0:3], 0 offset:444
	buffer_store_dword v39, off, s[0:3], 0 offset:440
	;; [unrolled: 1-line block ×4, first 2 shown]
	v_lshlrev_b64 v[37:38], 4, v[69:70]
	global_load_dwordx4 v[51:54], v[33:34], off
	v_lshlrev_b64 v[39:40], 4, v[71:72]
	s_waitcnt vmcnt(3)
	buffer_store_dword v4, off, s[0:3], 0 offset:460
	buffer_store_dword v3, off, s[0:3], 0 offset:456
	;; [unrolled: 1-line block ×4, first 2 shown]
	v_add_co_u32 v37, vcc_lo, s4, v37
	v_add_co_ci_u32_e64 v38, null, s5, v38, vcc_lo
	v_add_co_u32 v39, vcc_lo, s4, v39
	v_add_co_ci_u32_e64 v40, null, s5, v40, vcc_lo
	global_load_dwordx4 v[1:4], v[37:38], off
	s_waitcnt vmcnt(3)
	buffer_store_dword v44, off, s[0:3], 0 offset:476
	buffer_store_dword v43, off, s[0:3], 0 offset:472
	;; [unrolled: 1-line block ×4, first 2 shown]
	v_add_co_u32 v41, vcc_lo, s4, v59
	v_add_co_ci_u32_e64 v42, null, s5, v60, vcc_lo
	global_load_dwordx4 v[55:58], v[39:40], off
	s_waitcnt vmcnt(3)
	buffer_store_dword v48, off, s[0:3], 0 offset:492
	buffer_store_dword v47, off, s[0:3], 0 offset:488
	;; [unrolled: 1-line block ×4, first 2 shown]
	v_lshlrev_b64 v[45:46], 4, v[111:112]
	global_load_dwordx4 v[59:62], v[41:42], off
	v_add_co_u32 v43, vcc_lo, s4, v63
	v_add_co_ci_u32_e64 v44, null, s5, v64, vcc_lo
	v_add_co_u32 v45, vcc_lo, s4, v45
	v_add_co_ci_u32_e64 v46, null, s5, v46, vcc_lo
	s_waitcnt vmcnt(3)
	buffer_store_dword v54, off, s[0:3], 0 offset:508
	buffer_store_dword v53, off, s[0:3], 0 offset:504
	;; [unrolled: 1-line block ×4, first 2 shown]
	global_load_dwordx4 v[67:70], v[43:44], off
	v_lshlrev_b64 v[47:48], 4, v[113:114]
	v_lshlrev_b64 v[51:52], 4, v[115:116]
	;; [unrolled: 1-line block ×4, first 2 shown]
	s_waitcnt vmcnt(3)
	buffer_store_dword v4, off, s[0:3], 0 offset:524
	buffer_store_dword v3, off, s[0:3], 0 offset:520
	buffer_store_dword v2, off, s[0:3], 0 offset:516
	buffer_store_dword v1, off, s[0:3], 0 offset:512
	global_load_dwordx4 v[1:4], v[45:46], off
	v_add_co_u32 v47, vcc_lo, s4, v47
	v_add_co_ci_u32_e64 v48, null, s5, v48, vcc_lo
	v_add_co_u32 v51, vcc_lo, s4, v51
	v_add_co_ci_u32_e64 v52, null, s5, v52, vcc_lo
	s_waitcnt vmcnt(3)
	buffer_store_dword v58, off, s[0:3], 0 offset:540
	buffer_store_dword v57, off, s[0:3], 0 offset:536
	;; [unrolled: 1-line block ×4, first 2 shown]
	global_load_dwordx4 v[71:74], v[47:48], off
	s_waitcnt vmcnt(3)
	buffer_store_dword v62, off, s[0:3], 0 offset:556
	buffer_store_dword v61, off, s[0:3], 0 offset:552
	;; [unrolled: 1-line block ×4, first 2 shown]
	v_lshlrev_b64 v[55:56], 4, v[119:120]
	global_load_dwordx4 v[61:64], v[51:52], off
	v_add_co_u32 v53, vcc_lo, s4, v53
	v_add_co_ci_u32_e64 v54, null, s5, v54, vcc_lo
	v_add_co_u32 v55, vcc_lo, s4, v55
	v_add_co_ci_u32_e64 v56, null, s5, v56, vcc_lo
	s_waitcnt vmcnt(3)
	buffer_store_dword v70, off, s[0:3], 0 offset:572
	buffer_store_dword v69, off, s[0:3], 0 offset:568
	;; [unrolled: 1-line block ×4, first 2 shown]
	global_load_dwordx4 v[67:70], v[53:54], off
	v_lshlrev_b64 v[57:58], 4, v[121:122]
	v_lshlrev_b64 v[59:60], 4, v[123:124]
	s_waitcnt vmcnt(3)
	buffer_store_dword v4, off, s[0:3], 0 offset:588
	buffer_store_dword v3, off, s[0:3], 0 offset:584
	buffer_store_dword v2, off, s[0:3], 0 offset:580
	buffer_store_dword v1, off, s[0:3], 0 offset:576
	global_load_dwordx4 v[1:4], v[55:56], off
	v_add_co_u32 v57, vcc_lo, s4, v57
	v_add_co_ci_u32_e64 v58, null, s5, v58, vcc_lo
	v_add_co_u32 v59, vcc_lo, s4, v59
	s_waitcnt vmcnt(3)
	buffer_store_dword v74, off, s[0:3], 0 offset:604
	buffer_store_dword v73, off, s[0:3], 0 offset:600
	;; [unrolled: 1-line block ×4, first 2 shown]
	v_add_co_ci_u32_e64 v60, null, s5, v60, vcc_lo
	global_load_dwordx4 v[71:74], v[57:58], off
	s_waitcnt vmcnt(3)
	buffer_store_dword v64, off, s[0:3], 0 offset:620
	buffer_store_dword v63, off, s[0:3], 0 offset:616
	;; [unrolled: 1-line block ×4, first 2 shown]
	v_lshlrev_b64 v[63:64], 4, v[127:128]
	global_load_dwordx4 v[109:112], v[59:60], off
	v_add_co_u32 v61, vcc_lo, s4, v113
	v_add_co_ci_u32_e64 v62, null, s5, v114, vcc_lo
	v_add_co_u32 v63, vcc_lo, s4, v63
	v_add_co_ci_u32_e64 v64, null, s5, v64, vcc_lo
	s_waitcnt vmcnt(3)
	buffer_store_dword v70, off, s[0:3], 0 offset:636
	buffer_store_dword v69, off, s[0:3], 0 offset:632
	buffer_store_dword v68, off, s[0:3], 0 offset:628
	buffer_store_dword v67, off, s[0:3], 0 offset:624
	global_load_dwordx4 v[113:116], v[61:62], off
	v_lshlrev_b64 v[67:68], 4, v[130:131]
	v_lshlrev_b64 v[69:70], 4, v[132:133]
	s_waitcnt vmcnt(3)
	buffer_store_dword v4, off, s[0:3], 0 offset:652
	buffer_store_dword v3, off, s[0:3], 0 offset:648
	;; [unrolled: 1-line block ×4, first 2 shown]
	global_load_dwordx4 v[1:4], v[63:64], off
	s_waitcnt vmcnt(3)
	buffer_store_dword v74, off, s[0:3], 0 offset:668
	buffer_store_dword v73, off, s[0:3], 0 offset:664
	;; [unrolled: 1-line block ×4, first 2 shown]
	s_waitcnt vmcnt(2)
	buffer_store_dword v112, off, s[0:3], 0 offset:684
	buffer_store_dword v111, off, s[0:3], 0 offset:680
	buffer_store_dword v110, off, s[0:3], 0 offset:676
	buffer_store_dword v109, off, s[0:3], 0 offset:672
	v_lshlrev_b64 v[71:72], 4, v[134:135]
	v_add_co_u32 v67, vcc_lo, s4, v67
	v_lshlrev_b64 v[73:74], 4, v[136:137]
	v_add_co_ci_u32_e64 v68, null, s5, v68, vcc_lo
	v_add_co_u32 v69, vcc_lo, s4, v69
	v_add_co_ci_u32_e64 v70, null, s5, v70, vcc_lo
	v_add_co_u32 v71, vcc_lo, s4, v71
	;; [unrolled: 2-line block ×3, first 2 shown]
	v_add_co_ci_u32_e64 v74, null, s5, v74, vcc_lo
	s_waitcnt vmcnt(1)
	buffer_store_dword v116, off, s[0:3], 0 offset:700
	buffer_store_dword v115, off, s[0:3], 0 offset:696
	global_load_dwordx4 v[109:112], v[67:68], off
	buffer_store_dword v114, off, s[0:3], 0 offset:692
	buffer_store_dword v113, off, s[0:3], 0 offset:688
	s_clause 0x1
	global_load_dwordx4 v[113:116], v[69:70], off
	global_load_dwordx4 v[117:120], v[71:72], off
	s_movk_i32 s4, 0x50
	s_movk_i32 s5, 0x60
	s_waitcnt vmcnt(3)
	buffer_store_dword v4, off, s[0:3], 0 offset:716
	buffer_store_dword v3, off, s[0:3], 0 offset:712
	;; [unrolled: 1-line block ×4, first 2 shown]
	global_load_dwordx4 v[1:4], v[73:74], off
	s_waitcnt vmcnt(3)
	buffer_store_dword v112, off, s[0:3], 0 offset:732
	buffer_store_dword v111, off, s[0:3], 0 offset:728
	buffer_store_dword v110, off, s[0:3], 0 offset:724
	buffer_store_dword v109, off, s[0:3], 0 offset:720
	s_waitcnt vmcnt(2)
	buffer_store_dword v116, off, s[0:3], 0 offset:748
	buffer_store_dword v115, off, s[0:3], 0 offset:744
	buffer_store_dword v114, off, s[0:3], 0 offset:740
	buffer_store_dword v113, off, s[0:3], 0 offset:736
	;; [unrolled: 5-line block ×4, first 2 shown]
	buffer_store_dword v8, off, s[0:3], 0 offset:796
	buffer_store_dword v7, off, s[0:3], 0 offset:792
	;; [unrolled: 1-line block ×4, first 2 shown]
	s_cbranch_scc1 .LBB49_7
; %bb.2:
	v_lshl_add_u32 v111, v0, 4, 0
                                        ; implicit-def: $vgpr7_vgpr8
                                        ; implicit-def: $vgpr3_vgpr4
	s_clause 0x3
	buffer_load_dword v5, v111, s[0:3], 0 offen
	buffer_load_dword v6, v111, s[0:3], 0 offen offset:4
	buffer_load_dword v109, v111, s[0:3], 0 offen offset:8
	;; [unrolled: 1-line block ×3, first 2 shown]
	s_waitcnt vmcnt(0)
	v_cmp_ngt_f64_e64 s9, |v[5:6]|, |v[109:110]|
	s_and_saveexec_b32 s30, s9
	s_xor_b32 s9, exec_lo, s30
	s_cbranch_execz .LBB49_4
; %bb.3:
	v_div_scale_f64 v[1:2], null, v[109:110], v[109:110], v[5:6]
	v_div_scale_f64 v[112:113], vcc_lo, v[5:6], v[109:110], v[5:6]
	v_rcp_f64_e32 v[3:4], v[1:2]
	v_fma_f64 v[7:8], -v[1:2], v[3:4], 1.0
	v_fma_f64 v[3:4], v[3:4], v[7:8], v[3:4]
	v_fma_f64 v[7:8], -v[1:2], v[3:4], 1.0
	v_fma_f64 v[3:4], v[3:4], v[7:8], v[3:4]
	v_mul_f64 v[7:8], v[112:113], v[3:4]
	v_fma_f64 v[1:2], -v[1:2], v[7:8], v[112:113]
	v_div_fmas_f64 v[1:2], v[1:2], v[3:4], v[7:8]
	v_div_fixup_f64 v[1:2], v[1:2], v[109:110], v[5:6]
	v_fma_f64 v[3:4], v[5:6], v[1:2], v[109:110]
	v_div_scale_f64 v[5:6], null, v[3:4], v[3:4], 1.0
	v_div_scale_f64 v[112:113], vcc_lo, 1.0, v[3:4], 1.0
	v_rcp_f64_e32 v[7:8], v[5:6]
	v_fma_f64 v[109:110], -v[5:6], v[7:8], 1.0
	v_fma_f64 v[7:8], v[7:8], v[109:110], v[7:8]
	v_fma_f64 v[109:110], -v[5:6], v[7:8], 1.0
	v_fma_f64 v[7:8], v[7:8], v[109:110], v[7:8]
	v_mul_f64 v[109:110], v[112:113], v[7:8]
	v_fma_f64 v[5:6], -v[5:6], v[109:110], v[112:113]
	v_div_fmas_f64 v[5:6], v[5:6], v[7:8], v[109:110]
                                        ; implicit-def: $vgpr109_vgpr110
	v_div_fixup_f64 v[3:4], v[5:6], v[3:4], 1.0
                                        ; implicit-def: $vgpr5_vgpr6
	v_mul_f64 v[7:8], v[1:2], v[3:4]
	v_xor_b32_e32 v4, 0x80000000, v4
	v_xor_b32_e32 v2, 0x80000000, v8
	v_mov_b32_e32 v1, v7
.LBB49_4:
	s_andn2_saveexec_b32 s9, s9
	s_cbranch_execz .LBB49_6
; %bb.5:
	v_div_scale_f64 v[1:2], null, v[5:6], v[5:6], v[109:110]
	v_div_scale_f64 v[112:113], vcc_lo, v[109:110], v[5:6], v[109:110]
	v_rcp_f64_e32 v[3:4], v[1:2]
	v_fma_f64 v[7:8], -v[1:2], v[3:4], 1.0
	v_fma_f64 v[3:4], v[3:4], v[7:8], v[3:4]
	v_fma_f64 v[7:8], -v[1:2], v[3:4], 1.0
	v_fma_f64 v[3:4], v[3:4], v[7:8], v[3:4]
	v_mul_f64 v[7:8], v[112:113], v[3:4]
	v_fma_f64 v[1:2], -v[1:2], v[7:8], v[112:113]
	v_div_fmas_f64 v[1:2], v[1:2], v[3:4], v[7:8]
	v_div_fixup_f64 v[1:2], v[1:2], v[5:6], v[109:110]
	v_fma_f64 v[3:4], v[109:110], v[1:2], v[5:6]
	v_div_scale_f64 v[5:6], null, v[3:4], v[3:4], 1.0
	v_rcp_f64_e32 v[7:8], v[5:6]
	v_fma_f64 v[109:110], -v[5:6], v[7:8], 1.0
	v_fma_f64 v[7:8], v[7:8], v[109:110], v[7:8]
	v_fma_f64 v[109:110], -v[5:6], v[7:8], 1.0
	v_fma_f64 v[7:8], v[7:8], v[109:110], v[7:8]
	v_div_scale_f64 v[109:110], vcc_lo, 1.0, v[3:4], 1.0
	v_mul_f64 v[112:113], v[109:110], v[7:8]
	v_fma_f64 v[5:6], -v[5:6], v[112:113], v[109:110]
	v_div_fmas_f64 v[5:6], v[5:6], v[7:8], v[112:113]
	v_div_fixup_f64 v[7:8], v[5:6], v[3:4], 1.0
	v_mul_f64 v[3:4], v[1:2], -v[7:8]
	v_xor_b32_e32 v2, 0x80000000, v8
	v_mov_b32_e32 v1, v7
.LBB49_6:
	s_or_b32 exec_lo, exec_lo, s9
	buffer_store_dword v4, v111, s[0:3], 0 offen offset:12
	v_xor_b32_e32 v4, 0x80000000, v4
	buffer_store_dword v8, v111, s[0:3], 0 offen offset:4
	buffer_store_dword v7, v111, s[0:3], 0 offen
	buffer_store_dword v3, v111, s[0:3], 0 offen offset:8
	s_branch .LBB49_8
.LBB49_7:
	v_mov_b32_e32 v1, 0
	v_mov_b32_e32 v3, 0
	;; [unrolled: 1-line block ×4, first 2 shown]
.LBB49_8:
	v_add_nc_u32_e32 v6, 0x320, v129
	v_mov_b32_e32 v5, v129
	s_mov_b32 s56, 16
	s_mov_b32 s57, 32
	;; [unrolled: 1-line block ×48, first 2 shown]
	s_cmpk_eq_i32 s8, 0x79
	ds_write_b128 v129, v[1:4]
	s_cbranch_scc1 .LBB49_396
; %bb.9:
	v_mov_b32_e32 v4, s9
	v_cmp_eq_u32_e64 s4, 49, v0
	s_clause 0x3
	buffer_load_dword v1, v4, s[0:3], 0 offen
	buffer_load_dword v2, v4, s[0:3], 0 offen offset:4
	buffer_load_dword v3, v4, s[0:3], 0 offen offset:8
	;; [unrolled: 1-line block ×3, first 2 shown]
	s_waitcnt vmcnt(0)
	ds_write_b128 v6, v[1:4]
	s_waitcnt lgkmcnt(0)
	s_waitcnt_vscnt null, 0x0
	s_barrier
	buffer_gl0_inv
	s_and_saveexec_b32 s5, s4
	s_cbranch_execz .LBB49_13
; %bb.10:
	ds_read_b128 v[1:4], v6
	s_andn2_b32 vcc_lo, exec_lo, s58
	s_cbranch_vccnz .LBB49_12
; %bb.11:
	s_clause 0x3
	buffer_load_dword v7, v5, s[0:3], 0 offen offset:8
	buffer_load_dword v8, v5, s[0:3], 0 offen offset:12
	buffer_load_dword v109, v5, s[0:3], 0 offen
	buffer_load_dword v110, v5, s[0:3], 0 offen offset:4
	s_waitcnt vmcnt(2) lgkmcnt(0)
	v_mul_f64 v[111:112], v[3:4], v[7:8]
	v_mul_f64 v[7:8], v[1:2], v[7:8]
	s_waitcnt vmcnt(0)
	v_fma_f64 v[1:2], v[1:2], v[109:110], -v[111:112]
	v_fma_f64 v[3:4], v[3:4], v[109:110], v[7:8]
.LBB49_12:
	v_mov_b32_e32 v7, 0
	ds_read_b128 v[109:112], v7 offset:768
	s_waitcnt lgkmcnt(0)
	v_mul_f64 v[7:8], v[3:4], v[111:112]
	v_mul_f64 v[111:112], v[1:2], v[111:112]
	v_fma_f64 v[1:2], v[1:2], v[109:110], -v[7:8]
	v_fma_f64 v[3:4], v[3:4], v[109:110], v[111:112]
	buffer_store_dword v2, off, s[0:3], 0 offset:772
	buffer_store_dword v1, off, s[0:3], 0 offset:768
	;; [unrolled: 1-line block ×4, first 2 shown]
.LBB49_13:
	s_or_b32 exec_lo, exec_lo, s5
	v_mov_b32_e32 v4, s10
	v_cmp_lt_u32_e64 s5, 47, v0
	s_clause 0x3
	buffer_load_dword v1, v4, s[0:3], 0 offen
	buffer_load_dword v2, v4, s[0:3], 0 offen offset:4
	buffer_load_dword v3, v4, s[0:3], 0 offen offset:8
	buffer_load_dword v4, v4, s[0:3], 0 offen offset:12
	s_waitcnt vmcnt(0)
	ds_write_b128 v6, v[1:4]
	s_waitcnt lgkmcnt(0)
	s_waitcnt_vscnt null, 0x0
	s_barrier
	buffer_gl0_inv
	s_and_saveexec_b32 s6, s5
	s_cbranch_execz .LBB49_19
; %bb.14:
	ds_read_b128 v[1:4], v6
	s_andn2_b32 vcc_lo, exec_lo, s58
	s_cbranch_vccnz .LBB49_16
; %bb.15:
	s_clause 0x3
	buffer_load_dword v7, v5, s[0:3], 0 offen offset:8
	buffer_load_dword v8, v5, s[0:3], 0 offen offset:12
	buffer_load_dword v109, v5, s[0:3], 0 offen
	buffer_load_dword v110, v5, s[0:3], 0 offen offset:4
	s_waitcnt vmcnt(2) lgkmcnt(0)
	v_mul_f64 v[111:112], v[3:4], v[7:8]
	v_mul_f64 v[7:8], v[1:2], v[7:8]
	s_waitcnt vmcnt(0)
	v_fma_f64 v[1:2], v[1:2], v[109:110], -v[111:112]
	v_fma_f64 v[3:4], v[3:4], v[109:110], v[7:8]
.LBB49_16:
	s_and_saveexec_b32 s8, s4
	s_cbranch_execz .LBB49_18
; %bb.17:
	s_clause 0x3
	buffer_load_dword v7, off, s[0:3], 0 offset:776
	buffer_load_dword v8, off, s[0:3], 0 offset:780
	;; [unrolled: 1-line block ×4, first 2 shown]
	v_mov_b32_e32 v109, 0
	ds_read_b128 v[109:112], v109 offset:1568
	s_waitcnt vmcnt(2) lgkmcnt(0)
	v_mul_f64 v[115:116], v[109:110], v[7:8]
	v_mul_f64 v[7:8], v[111:112], v[7:8]
	s_waitcnt vmcnt(0)
	v_fma_f64 v[111:112], v[111:112], v[113:114], v[115:116]
	v_fma_f64 v[7:8], v[109:110], v[113:114], -v[7:8]
	v_add_f64 v[3:4], v[3:4], v[111:112]
	v_add_f64 v[1:2], v[1:2], v[7:8]
.LBB49_18:
	s_or_b32 exec_lo, exec_lo, s8
	v_mov_b32_e32 v7, 0
	ds_read_b128 v[109:112], v7 offset:752
	s_waitcnt lgkmcnt(0)
	v_mul_f64 v[7:8], v[3:4], v[111:112]
	v_mul_f64 v[111:112], v[1:2], v[111:112]
	v_fma_f64 v[1:2], v[1:2], v[109:110], -v[7:8]
	v_fma_f64 v[3:4], v[3:4], v[109:110], v[111:112]
	buffer_store_dword v2, off, s[0:3], 0 offset:756
	buffer_store_dword v1, off, s[0:3], 0 offset:752
	;; [unrolled: 1-line block ×4, first 2 shown]
.LBB49_19:
	s_or_b32 exec_lo, exec_lo, s6
	v_mov_b32_e32 v4, s11
	v_cmp_lt_u32_e64 s4, 46, v0
	s_clause 0x3
	buffer_load_dword v1, v4, s[0:3], 0 offen
	buffer_load_dword v2, v4, s[0:3], 0 offen offset:4
	buffer_load_dword v3, v4, s[0:3], 0 offen offset:8
	;; [unrolled: 1-line block ×3, first 2 shown]
	s_waitcnt vmcnt(0)
	ds_write_b128 v6, v[1:4]
	s_waitcnt lgkmcnt(0)
	s_waitcnt_vscnt null, 0x0
	s_barrier
	buffer_gl0_inv
	s_and_saveexec_b32 s6, s4
	s_cbranch_execz .LBB49_27
; %bb.20:
	ds_read_b128 v[1:4], v6
	s_andn2_b32 vcc_lo, exec_lo, s58
	s_cbranch_vccnz .LBB49_22
; %bb.21:
	s_clause 0x3
	buffer_load_dword v7, v5, s[0:3], 0 offen offset:8
	buffer_load_dword v8, v5, s[0:3], 0 offen offset:12
	buffer_load_dword v109, v5, s[0:3], 0 offen
	buffer_load_dword v110, v5, s[0:3], 0 offen offset:4
	s_waitcnt vmcnt(2) lgkmcnt(0)
	v_mul_f64 v[111:112], v[3:4], v[7:8]
	v_mul_f64 v[7:8], v[1:2], v[7:8]
	s_waitcnt vmcnt(0)
	v_fma_f64 v[1:2], v[1:2], v[109:110], -v[111:112]
	v_fma_f64 v[3:4], v[3:4], v[109:110], v[7:8]
.LBB49_22:
	s_and_saveexec_b32 s8, s5
	s_cbranch_execz .LBB49_26
; %bb.23:
	v_subrev_nc_u32_e32 v7, 47, v0
	s_movk_i32 s59, 0x610
	s_mov_b32 s5, 0
	s_mov_b32 s60, s10
	.p2align	6
.LBB49_24:                              ; =>This Inner Loop Header: Depth=1
	v_mov_b32_e32 v8, s60
	v_add_nc_u32_e32 v7, -1, v7
	s_add_i32 s60, s60, 16
	s_clause 0x3
	buffer_load_dword v113, v8, s[0:3], 0 offen offset:8
	buffer_load_dword v114, v8, s[0:3], 0 offen offset:12
	buffer_load_dword v115, v8, s[0:3], 0 offen
	buffer_load_dword v116, v8, s[0:3], 0 offen offset:4
	v_mov_b32_e32 v8, s59
	v_cmp_eq_u32_e32 vcc_lo, 0, v7
	s_add_i32 s59, s59, 16
	ds_read_b128 v[109:112], v8
	s_or_b32 s5, vcc_lo, s5
	s_waitcnt vmcnt(2) lgkmcnt(0)
	v_mul_f64 v[117:118], v[111:112], v[113:114]
	v_mul_f64 v[113:114], v[109:110], v[113:114]
	s_waitcnt vmcnt(0)
	v_fma_f64 v[109:110], v[109:110], v[115:116], -v[117:118]
	v_fma_f64 v[111:112], v[111:112], v[115:116], v[113:114]
	v_add_f64 v[1:2], v[1:2], v[109:110]
	v_add_f64 v[3:4], v[3:4], v[111:112]
	s_andn2_b32 exec_lo, exec_lo, s5
	s_cbranch_execnz .LBB49_24
; %bb.25:
	s_or_b32 exec_lo, exec_lo, s5
.LBB49_26:
	s_or_b32 exec_lo, exec_lo, s8
	v_mov_b32_e32 v7, 0
	ds_read_b128 v[109:112], v7 offset:736
	s_waitcnt lgkmcnt(0)
	v_mul_f64 v[7:8], v[3:4], v[111:112]
	v_mul_f64 v[111:112], v[1:2], v[111:112]
	v_fma_f64 v[1:2], v[1:2], v[109:110], -v[7:8]
	v_fma_f64 v[3:4], v[3:4], v[109:110], v[111:112]
	buffer_store_dword v2, off, s[0:3], 0 offset:740
	buffer_store_dword v1, off, s[0:3], 0 offset:736
	;; [unrolled: 1-line block ×4, first 2 shown]
.LBB49_27:
	s_or_b32 exec_lo, exec_lo, s6
	v_mov_b32_e32 v4, s12
	v_cmp_lt_u32_e64 s5, 45, v0
	s_clause 0x3
	buffer_load_dword v1, v4, s[0:3], 0 offen
	buffer_load_dword v2, v4, s[0:3], 0 offen offset:4
	buffer_load_dword v3, v4, s[0:3], 0 offen offset:8
	;; [unrolled: 1-line block ×3, first 2 shown]
	s_waitcnt vmcnt(0)
	ds_write_b128 v6, v[1:4]
	s_waitcnt lgkmcnt(0)
	s_waitcnt_vscnt null, 0x0
	s_barrier
	buffer_gl0_inv
	s_and_saveexec_b32 s6, s5
	s_cbranch_execz .LBB49_35
; %bb.28:
	ds_read_b128 v[1:4], v6
	s_andn2_b32 vcc_lo, exec_lo, s58
	s_cbranch_vccnz .LBB49_30
; %bb.29:
	s_clause 0x3
	buffer_load_dword v7, v5, s[0:3], 0 offen offset:8
	buffer_load_dword v8, v5, s[0:3], 0 offen offset:12
	buffer_load_dword v109, v5, s[0:3], 0 offen
	buffer_load_dword v110, v5, s[0:3], 0 offen offset:4
	s_waitcnt vmcnt(2) lgkmcnt(0)
	v_mul_f64 v[111:112], v[3:4], v[7:8]
	v_mul_f64 v[7:8], v[1:2], v[7:8]
	s_waitcnt vmcnt(0)
	v_fma_f64 v[1:2], v[1:2], v[109:110], -v[111:112]
	v_fma_f64 v[3:4], v[3:4], v[109:110], v[7:8]
.LBB49_30:
	s_and_saveexec_b32 s8, s4
	s_cbranch_execz .LBB49_34
; %bb.31:
	v_subrev_nc_u32_e32 v7, 46, v0
	s_movk_i32 s59, 0x600
	s_mov_b32 s4, 0
	s_mov_b32 s60, s11
	.p2align	6
.LBB49_32:                              ; =>This Inner Loop Header: Depth=1
	v_mov_b32_e32 v8, s60
	v_add_nc_u32_e32 v7, -1, v7
	s_add_i32 s60, s60, 16
	s_clause 0x3
	buffer_load_dword v113, v8, s[0:3], 0 offen offset:8
	buffer_load_dword v114, v8, s[0:3], 0 offen offset:12
	buffer_load_dword v115, v8, s[0:3], 0 offen
	buffer_load_dword v116, v8, s[0:3], 0 offen offset:4
	v_mov_b32_e32 v8, s59
	v_cmp_eq_u32_e32 vcc_lo, 0, v7
	s_add_i32 s59, s59, 16
	ds_read_b128 v[109:112], v8
	s_or_b32 s4, vcc_lo, s4
	s_waitcnt vmcnt(2) lgkmcnt(0)
	v_mul_f64 v[117:118], v[111:112], v[113:114]
	v_mul_f64 v[113:114], v[109:110], v[113:114]
	s_waitcnt vmcnt(0)
	v_fma_f64 v[109:110], v[109:110], v[115:116], -v[117:118]
	v_fma_f64 v[111:112], v[111:112], v[115:116], v[113:114]
	v_add_f64 v[1:2], v[1:2], v[109:110]
	v_add_f64 v[3:4], v[3:4], v[111:112]
	s_andn2_b32 exec_lo, exec_lo, s4
	s_cbranch_execnz .LBB49_32
; %bb.33:
	s_or_b32 exec_lo, exec_lo, s4
.LBB49_34:
	s_or_b32 exec_lo, exec_lo, s8
	v_mov_b32_e32 v7, 0
	ds_read_b128 v[109:112], v7 offset:720
	s_waitcnt lgkmcnt(0)
	v_mul_f64 v[7:8], v[3:4], v[111:112]
	v_mul_f64 v[111:112], v[1:2], v[111:112]
	v_fma_f64 v[1:2], v[1:2], v[109:110], -v[7:8]
	v_fma_f64 v[3:4], v[3:4], v[109:110], v[111:112]
	buffer_store_dword v2, off, s[0:3], 0 offset:724
	buffer_store_dword v1, off, s[0:3], 0 offset:720
	;; [unrolled: 1-line block ×4, first 2 shown]
.LBB49_35:
	s_or_b32 exec_lo, exec_lo, s6
	v_mov_b32_e32 v4, s13
	v_cmp_lt_u32_e64 s4, 44, v0
	s_clause 0x3
	buffer_load_dword v1, v4, s[0:3], 0 offen
	buffer_load_dword v2, v4, s[0:3], 0 offen offset:4
	buffer_load_dword v3, v4, s[0:3], 0 offen offset:8
	;; [unrolled: 1-line block ×3, first 2 shown]
	s_waitcnt vmcnt(0)
	ds_write_b128 v6, v[1:4]
	s_waitcnt lgkmcnt(0)
	s_waitcnt_vscnt null, 0x0
	s_barrier
	buffer_gl0_inv
	s_and_saveexec_b32 s6, s4
	s_cbranch_execz .LBB49_43
; %bb.36:
	ds_read_b128 v[1:4], v6
	s_andn2_b32 vcc_lo, exec_lo, s58
	s_cbranch_vccnz .LBB49_38
; %bb.37:
	s_clause 0x3
	buffer_load_dword v7, v5, s[0:3], 0 offen offset:8
	buffer_load_dword v8, v5, s[0:3], 0 offen offset:12
	buffer_load_dword v109, v5, s[0:3], 0 offen
	buffer_load_dword v110, v5, s[0:3], 0 offen offset:4
	s_waitcnt vmcnt(2) lgkmcnt(0)
	v_mul_f64 v[111:112], v[3:4], v[7:8]
	v_mul_f64 v[7:8], v[1:2], v[7:8]
	s_waitcnt vmcnt(0)
	v_fma_f64 v[1:2], v[1:2], v[109:110], -v[111:112]
	v_fma_f64 v[3:4], v[3:4], v[109:110], v[7:8]
.LBB49_38:
	s_and_saveexec_b32 s8, s5
	s_cbranch_execz .LBB49_42
; %bb.39:
	v_subrev_nc_u32_e32 v7, 45, v0
	s_movk_i32 s59, 0x5f0
	s_mov_b32 s5, 0
	s_mov_b32 s60, s12
	.p2align	6
.LBB49_40:                              ; =>This Inner Loop Header: Depth=1
	v_mov_b32_e32 v8, s60
	v_add_nc_u32_e32 v7, -1, v7
	s_add_i32 s60, s60, 16
	s_clause 0x3
	buffer_load_dword v113, v8, s[0:3], 0 offen offset:8
	buffer_load_dword v114, v8, s[0:3], 0 offen offset:12
	buffer_load_dword v115, v8, s[0:3], 0 offen
	buffer_load_dword v116, v8, s[0:3], 0 offen offset:4
	v_mov_b32_e32 v8, s59
	v_cmp_eq_u32_e32 vcc_lo, 0, v7
	s_add_i32 s59, s59, 16
	ds_read_b128 v[109:112], v8
	s_or_b32 s5, vcc_lo, s5
	s_waitcnt vmcnt(2) lgkmcnt(0)
	v_mul_f64 v[117:118], v[111:112], v[113:114]
	v_mul_f64 v[113:114], v[109:110], v[113:114]
	s_waitcnt vmcnt(0)
	v_fma_f64 v[109:110], v[109:110], v[115:116], -v[117:118]
	v_fma_f64 v[111:112], v[111:112], v[115:116], v[113:114]
	v_add_f64 v[1:2], v[1:2], v[109:110]
	v_add_f64 v[3:4], v[3:4], v[111:112]
	s_andn2_b32 exec_lo, exec_lo, s5
	s_cbranch_execnz .LBB49_40
; %bb.41:
	s_or_b32 exec_lo, exec_lo, s5
.LBB49_42:
	s_or_b32 exec_lo, exec_lo, s8
	v_mov_b32_e32 v7, 0
	ds_read_b128 v[109:112], v7 offset:704
	s_waitcnt lgkmcnt(0)
	v_mul_f64 v[7:8], v[3:4], v[111:112]
	v_mul_f64 v[111:112], v[1:2], v[111:112]
	v_fma_f64 v[1:2], v[1:2], v[109:110], -v[7:8]
	v_fma_f64 v[3:4], v[3:4], v[109:110], v[111:112]
	buffer_store_dword v2, off, s[0:3], 0 offset:708
	buffer_store_dword v1, off, s[0:3], 0 offset:704
	;; [unrolled: 1-line block ×4, first 2 shown]
.LBB49_43:
	s_or_b32 exec_lo, exec_lo, s6
	v_mov_b32_e32 v4, s14
	v_cmp_lt_u32_e64 s5, 43, v0
	s_clause 0x3
	buffer_load_dword v1, v4, s[0:3], 0 offen
	buffer_load_dword v2, v4, s[0:3], 0 offen offset:4
	buffer_load_dword v3, v4, s[0:3], 0 offen offset:8
	;; [unrolled: 1-line block ×3, first 2 shown]
	s_waitcnt vmcnt(0)
	ds_write_b128 v6, v[1:4]
	s_waitcnt lgkmcnt(0)
	s_waitcnt_vscnt null, 0x0
	s_barrier
	buffer_gl0_inv
	s_and_saveexec_b32 s6, s5
	s_cbranch_execz .LBB49_51
; %bb.44:
	ds_read_b128 v[1:4], v6
	s_andn2_b32 vcc_lo, exec_lo, s58
	s_cbranch_vccnz .LBB49_46
; %bb.45:
	s_clause 0x3
	buffer_load_dword v7, v5, s[0:3], 0 offen offset:8
	buffer_load_dword v8, v5, s[0:3], 0 offen offset:12
	buffer_load_dword v109, v5, s[0:3], 0 offen
	buffer_load_dword v110, v5, s[0:3], 0 offen offset:4
	s_waitcnt vmcnt(2) lgkmcnt(0)
	v_mul_f64 v[111:112], v[3:4], v[7:8]
	v_mul_f64 v[7:8], v[1:2], v[7:8]
	s_waitcnt vmcnt(0)
	v_fma_f64 v[1:2], v[1:2], v[109:110], -v[111:112]
	v_fma_f64 v[3:4], v[3:4], v[109:110], v[7:8]
.LBB49_46:
	s_and_saveexec_b32 s8, s4
	s_cbranch_execz .LBB49_50
; %bb.47:
	v_subrev_nc_u32_e32 v7, 44, v0
	s_movk_i32 s59, 0x5e0
	s_mov_b32 s4, 0
	s_mov_b32 s60, s13
	.p2align	6
.LBB49_48:                              ; =>This Inner Loop Header: Depth=1
	v_mov_b32_e32 v8, s60
	v_add_nc_u32_e32 v7, -1, v7
	s_add_i32 s60, s60, 16
	s_clause 0x3
	buffer_load_dword v113, v8, s[0:3], 0 offen offset:8
	buffer_load_dword v114, v8, s[0:3], 0 offen offset:12
	buffer_load_dword v115, v8, s[0:3], 0 offen
	buffer_load_dword v116, v8, s[0:3], 0 offen offset:4
	v_mov_b32_e32 v8, s59
	v_cmp_eq_u32_e32 vcc_lo, 0, v7
	s_add_i32 s59, s59, 16
	ds_read_b128 v[109:112], v8
	s_or_b32 s4, vcc_lo, s4
	s_waitcnt vmcnt(2) lgkmcnt(0)
	v_mul_f64 v[117:118], v[111:112], v[113:114]
	v_mul_f64 v[113:114], v[109:110], v[113:114]
	s_waitcnt vmcnt(0)
	v_fma_f64 v[109:110], v[109:110], v[115:116], -v[117:118]
	v_fma_f64 v[111:112], v[111:112], v[115:116], v[113:114]
	v_add_f64 v[1:2], v[1:2], v[109:110]
	v_add_f64 v[3:4], v[3:4], v[111:112]
	s_andn2_b32 exec_lo, exec_lo, s4
	s_cbranch_execnz .LBB49_48
; %bb.49:
	s_or_b32 exec_lo, exec_lo, s4
.LBB49_50:
	s_or_b32 exec_lo, exec_lo, s8
	v_mov_b32_e32 v7, 0
	ds_read_b128 v[109:112], v7 offset:688
	s_waitcnt lgkmcnt(0)
	v_mul_f64 v[7:8], v[3:4], v[111:112]
	v_mul_f64 v[111:112], v[1:2], v[111:112]
	v_fma_f64 v[1:2], v[1:2], v[109:110], -v[7:8]
	v_fma_f64 v[3:4], v[3:4], v[109:110], v[111:112]
	buffer_store_dword v2, off, s[0:3], 0 offset:692
	buffer_store_dword v1, off, s[0:3], 0 offset:688
	;; [unrolled: 1-line block ×4, first 2 shown]
.LBB49_51:
	s_or_b32 exec_lo, exec_lo, s6
	v_mov_b32_e32 v4, s15
	v_cmp_lt_u32_e64 s4, 42, v0
	s_clause 0x3
	buffer_load_dword v1, v4, s[0:3], 0 offen
	buffer_load_dword v2, v4, s[0:3], 0 offen offset:4
	buffer_load_dword v3, v4, s[0:3], 0 offen offset:8
	;; [unrolled: 1-line block ×3, first 2 shown]
	s_waitcnt vmcnt(0)
	ds_write_b128 v6, v[1:4]
	s_waitcnt lgkmcnt(0)
	s_waitcnt_vscnt null, 0x0
	s_barrier
	buffer_gl0_inv
	s_and_saveexec_b32 s6, s4
	s_cbranch_execz .LBB49_59
; %bb.52:
	ds_read_b128 v[1:4], v6
	s_andn2_b32 vcc_lo, exec_lo, s58
	s_cbranch_vccnz .LBB49_54
; %bb.53:
	s_clause 0x3
	buffer_load_dword v7, v5, s[0:3], 0 offen offset:8
	buffer_load_dword v8, v5, s[0:3], 0 offen offset:12
	buffer_load_dword v109, v5, s[0:3], 0 offen
	buffer_load_dword v110, v5, s[0:3], 0 offen offset:4
	s_waitcnt vmcnt(2) lgkmcnt(0)
	v_mul_f64 v[111:112], v[3:4], v[7:8]
	v_mul_f64 v[7:8], v[1:2], v[7:8]
	s_waitcnt vmcnt(0)
	v_fma_f64 v[1:2], v[1:2], v[109:110], -v[111:112]
	v_fma_f64 v[3:4], v[3:4], v[109:110], v[7:8]
.LBB49_54:
	s_and_saveexec_b32 s8, s5
	s_cbranch_execz .LBB49_58
; %bb.55:
	v_subrev_nc_u32_e32 v7, 43, v0
	s_movk_i32 s59, 0x5d0
	s_mov_b32 s5, 0
	s_mov_b32 s60, s14
	.p2align	6
.LBB49_56:                              ; =>This Inner Loop Header: Depth=1
	v_mov_b32_e32 v8, s60
	v_add_nc_u32_e32 v7, -1, v7
	s_add_i32 s60, s60, 16
	s_clause 0x3
	buffer_load_dword v113, v8, s[0:3], 0 offen offset:8
	buffer_load_dword v114, v8, s[0:3], 0 offen offset:12
	buffer_load_dword v115, v8, s[0:3], 0 offen
	buffer_load_dword v116, v8, s[0:3], 0 offen offset:4
	v_mov_b32_e32 v8, s59
	v_cmp_eq_u32_e32 vcc_lo, 0, v7
	s_add_i32 s59, s59, 16
	ds_read_b128 v[109:112], v8
	s_or_b32 s5, vcc_lo, s5
	s_waitcnt vmcnt(2) lgkmcnt(0)
	v_mul_f64 v[117:118], v[111:112], v[113:114]
	v_mul_f64 v[113:114], v[109:110], v[113:114]
	s_waitcnt vmcnt(0)
	v_fma_f64 v[109:110], v[109:110], v[115:116], -v[117:118]
	v_fma_f64 v[111:112], v[111:112], v[115:116], v[113:114]
	v_add_f64 v[1:2], v[1:2], v[109:110]
	v_add_f64 v[3:4], v[3:4], v[111:112]
	s_andn2_b32 exec_lo, exec_lo, s5
	s_cbranch_execnz .LBB49_56
; %bb.57:
	s_or_b32 exec_lo, exec_lo, s5
.LBB49_58:
	s_or_b32 exec_lo, exec_lo, s8
	v_mov_b32_e32 v7, 0
	ds_read_b128 v[109:112], v7 offset:672
	s_waitcnt lgkmcnt(0)
	v_mul_f64 v[7:8], v[3:4], v[111:112]
	v_mul_f64 v[111:112], v[1:2], v[111:112]
	v_fma_f64 v[1:2], v[1:2], v[109:110], -v[7:8]
	v_fma_f64 v[3:4], v[3:4], v[109:110], v[111:112]
	buffer_store_dword v2, off, s[0:3], 0 offset:676
	buffer_store_dword v1, off, s[0:3], 0 offset:672
	;; [unrolled: 1-line block ×4, first 2 shown]
.LBB49_59:
	s_or_b32 exec_lo, exec_lo, s6
	v_mov_b32_e32 v4, s16
	v_cmp_lt_u32_e64 s5, 41, v0
	s_clause 0x3
	buffer_load_dword v1, v4, s[0:3], 0 offen
	buffer_load_dword v2, v4, s[0:3], 0 offen offset:4
	buffer_load_dword v3, v4, s[0:3], 0 offen offset:8
	;; [unrolled: 1-line block ×3, first 2 shown]
	s_waitcnt vmcnt(0)
	ds_write_b128 v6, v[1:4]
	s_waitcnt lgkmcnt(0)
	s_waitcnt_vscnt null, 0x0
	s_barrier
	buffer_gl0_inv
	s_and_saveexec_b32 s6, s5
	s_cbranch_execz .LBB49_67
; %bb.60:
	ds_read_b128 v[1:4], v6
	s_andn2_b32 vcc_lo, exec_lo, s58
	s_cbranch_vccnz .LBB49_62
; %bb.61:
	s_clause 0x3
	buffer_load_dword v7, v5, s[0:3], 0 offen offset:8
	buffer_load_dword v8, v5, s[0:3], 0 offen offset:12
	buffer_load_dword v109, v5, s[0:3], 0 offen
	buffer_load_dword v110, v5, s[0:3], 0 offen offset:4
	s_waitcnt vmcnt(2) lgkmcnt(0)
	v_mul_f64 v[111:112], v[3:4], v[7:8]
	v_mul_f64 v[7:8], v[1:2], v[7:8]
	s_waitcnt vmcnt(0)
	v_fma_f64 v[1:2], v[1:2], v[109:110], -v[111:112]
	v_fma_f64 v[3:4], v[3:4], v[109:110], v[7:8]
.LBB49_62:
	s_and_saveexec_b32 s8, s4
	s_cbranch_execz .LBB49_66
; %bb.63:
	v_subrev_nc_u32_e32 v7, 42, v0
	s_movk_i32 s59, 0x5c0
	s_mov_b32 s4, 0
	s_mov_b32 s60, s15
	.p2align	6
.LBB49_64:                              ; =>This Inner Loop Header: Depth=1
	v_mov_b32_e32 v8, s60
	v_add_nc_u32_e32 v7, -1, v7
	s_add_i32 s60, s60, 16
	s_clause 0x3
	buffer_load_dword v113, v8, s[0:3], 0 offen offset:8
	buffer_load_dword v114, v8, s[0:3], 0 offen offset:12
	buffer_load_dword v115, v8, s[0:3], 0 offen
	buffer_load_dword v116, v8, s[0:3], 0 offen offset:4
	v_mov_b32_e32 v8, s59
	v_cmp_eq_u32_e32 vcc_lo, 0, v7
	s_add_i32 s59, s59, 16
	ds_read_b128 v[109:112], v8
	s_or_b32 s4, vcc_lo, s4
	s_waitcnt vmcnt(2) lgkmcnt(0)
	v_mul_f64 v[117:118], v[111:112], v[113:114]
	v_mul_f64 v[113:114], v[109:110], v[113:114]
	s_waitcnt vmcnt(0)
	v_fma_f64 v[109:110], v[109:110], v[115:116], -v[117:118]
	v_fma_f64 v[111:112], v[111:112], v[115:116], v[113:114]
	v_add_f64 v[1:2], v[1:2], v[109:110]
	v_add_f64 v[3:4], v[3:4], v[111:112]
	s_andn2_b32 exec_lo, exec_lo, s4
	s_cbranch_execnz .LBB49_64
; %bb.65:
	s_or_b32 exec_lo, exec_lo, s4
.LBB49_66:
	s_or_b32 exec_lo, exec_lo, s8
	v_mov_b32_e32 v7, 0
	ds_read_b128 v[109:112], v7 offset:656
	s_waitcnt lgkmcnt(0)
	v_mul_f64 v[7:8], v[3:4], v[111:112]
	v_mul_f64 v[111:112], v[1:2], v[111:112]
	v_fma_f64 v[1:2], v[1:2], v[109:110], -v[7:8]
	v_fma_f64 v[3:4], v[3:4], v[109:110], v[111:112]
	buffer_store_dword v2, off, s[0:3], 0 offset:660
	buffer_store_dword v1, off, s[0:3], 0 offset:656
	;; [unrolled: 1-line block ×4, first 2 shown]
.LBB49_67:
	s_or_b32 exec_lo, exec_lo, s6
	v_mov_b32_e32 v4, s17
	v_cmp_lt_u32_e64 s4, 40, v0
	s_clause 0x3
	buffer_load_dword v1, v4, s[0:3], 0 offen
	buffer_load_dword v2, v4, s[0:3], 0 offen offset:4
	buffer_load_dword v3, v4, s[0:3], 0 offen offset:8
	;; [unrolled: 1-line block ×3, first 2 shown]
	s_waitcnt vmcnt(0)
	ds_write_b128 v6, v[1:4]
	s_waitcnt lgkmcnt(0)
	s_waitcnt_vscnt null, 0x0
	s_barrier
	buffer_gl0_inv
	s_and_saveexec_b32 s6, s4
	s_cbranch_execz .LBB49_75
; %bb.68:
	ds_read_b128 v[1:4], v6
	s_andn2_b32 vcc_lo, exec_lo, s58
	s_cbranch_vccnz .LBB49_70
; %bb.69:
	s_clause 0x3
	buffer_load_dword v7, v5, s[0:3], 0 offen offset:8
	buffer_load_dword v8, v5, s[0:3], 0 offen offset:12
	buffer_load_dword v109, v5, s[0:3], 0 offen
	buffer_load_dword v110, v5, s[0:3], 0 offen offset:4
	s_waitcnt vmcnt(2) lgkmcnt(0)
	v_mul_f64 v[111:112], v[3:4], v[7:8]
	v_mul_f64 v[7:8], v[1:2], v[7:8]
	s_waitcnt vmcnt(0)
	v_fma_f64 v[1:2], v[1:2], v[109:110], -v[111:112]
	v_fma_f64 v[3:4], v[3:4], v[109:110], v[7:8]
.LBB49_70:
	s_and_saveexec_b32 s8, s5
	s_cbranch_execz .LBB49_74
; %bb.71:
	v_subrev_nc_u32_e32 v7, 41, v0
	s_movk_i32 s59, 0x5b0
	s_mov_b32 s5, 0
	s_mov_b32 s60, s16
	.p2align	6
.LBB49_72:                              ; =>This Inner Loop Header: Depth=1
	v_mov_b32_e32 v8, s60
	v_add_nc_u32_e32 v7, -1, v7
	s_add_i32 s60, s60, 16
	s_clause 0x3
	buffer_load_dword v113, v8, s[0:3], 0 offen offset:8
	buffer_load_dword v114, v8, s[0:3], 0 offen offset:12
	buffer_load_dword v115, v8, s[0:3], 0 offen
	buffer_load_dword v116, v8, s[0:3], 0 offen offset:4
	v_mov_b32_e32 v8, s59
	v_cmp_eq_u32_e32 vcc_lo, 0, v7
	s_add_i32 s59, s59, 16
	ds_read_b128 v[109:112], v8
	s_or_b32 s5, vcc_lo, s5
	s_waitcnt vmcnt(2) lgkmcnt(0)
	v_mul_f64 v[117:118], v[111:112], v[113:114]
	v_mul_f64 v[113:114], v[109:110], v[113:114]
	s_waitcnt vmcnt(0)
	v_fma_f64 v[109:110], v[109:110], v[115:116], -v[117:118]
	v_fma_f64 v[111:112], v[111:112], v[115:116], v[113:114]
	v_add_f64 v[1:2], v[1:2], v[109:110]
	v_add_f64 v[3:4], v[3:4], v[111:112]
	s_andn2_b32 exec_lo, exec_lo, s5
	s_cbranch_execnz .LBB49_72
; %bb.73:
	s_or_b32 exec_lo, exec_lo, s5
.LBB49_74:
	s_or_b32 exec_lo, exec_lo, s8
	v_mov_b32_e32 v7, 0
	ds_read_b128 v[109:112], v7 offset:640
	s_waitcnt lgkmcnt(0)
	v_mul_f64 v[7:8], v[3:4], v[111:112]
	v_mul_f64 v[111:112], v[1:2], v[111:112]
	v_fma_f64 v[1:2], v[1:2], v[109:110], -v[7:8]
	v_fma_f64 v[3:4], v[3:4], v[109:110], v[111:112]
	buffer_store_dword v2, off, s[0:3], 0 offset:644
	buffer_store_dword v1, off, s[0:3], 0 offset:640
	;; [unrolled: 1-line block ×4, first 2 shown]
.LBB49_75:
	s_or_b32 exec_lo, exec_lo, s6
	v_mov_b32_e32 v4, s18
	v_cmp_lt_u32_e64 s5, 39, v0
	s_clause 0x3
	buffer_load_dword v1, v4, s[0:3], 0 offen
	buffer_load_dword v2, v4, s[0:3], 0 offen offset:4
	buffer_load_dword v3, v4, s[0:3], 0 offen offset:8
	;; [unrolled: 1-line block ×3, first 2 shown]
	s_waitcnt vmcnt(0)
	ds_write_b128 v6, v[1:4]
	s_waitcnt lgkmcnt(0)
	s_waitcnt_vscnt null, 0x0
	s_barrier
	buffer_gl0_inv
	s_and_saveexec_b32 s6, s5
	s_cbranch_execz .LBB49_83
; %bb.76:
	ds_read_b128 v[1:4], v6
	s_andn2_b32 vcc_lo, exec_lo, s58
	s_cbranch_vccnz .LBB49_78
; %bb.77:
	s_clause 0x3
	buffer_load_dword v7, v5, s[0:3], 0 offen offset:8
	buffer_load_dword v8, v5, s[0:3], 0 offen offset:12
	buffer_load_dword v109, v5, s[0:3], 0 offen
	buffer_load_dword v110, v5, s[0:3], 0 offen offset:4
	s_waitcnt vmcnt(2) lgkmcnt(0)
	v_mul_f64 v[111:112], v[3:4], v[7:8]
	v_mul_f64 v[7:8], v[1:2], v[7:8]
	s_waitcnt vmcnt(0)
	v_fma_f64 v[1:2], v[1:2], v[109:110], -v[111:112]
	v_fma_f64 v[3:4], v[3:4], v[109:110], v[7:8]
.LBB49_78:
	s_and_saveexec_b32 s8, s4
	s_cbranch_execz .LBB49_82
; %bb.79:
	v_subrev_nc_u32_e32 v7, 40, v0
	s_movk_i32 s59, 0x5a0
	s_mov_b32 s4, 0
	s_mov_b32 s60, s17
	.p2align	6
.LBB49_80:                              ; =>This Inner Loop Header: Depth=1
	v_mov_b32_e32 v8, s60
	v_add_nc_u32_e32 v7, -1, v7
	s_add_i32 s60, s60, 16
	s_clause 0x3
	buffer_load_dword v113, v8, s[0:3], 0 offen offset:8
	buffer_load_dword v114, v8, s[0:3], 0 offen offset:12
	buffer_load_dword v115, v8, s[0:3], 0 offen
	buffer_load_dword v116, v8, s[0:3], 0 offen offset:4
	v_mov_b32_e32 v8, s59
	v_cmp_eq_u32_e32 vcc_lo, 0, v7
	s_add_i32 s59, s59, 16
	ds_read_b128 v[109:112], v8
	s_or_b32 s4, vcc_lo, s4
	s_waitcnt vmcnt(2) lgkmcnt(0)
	v_mul_f64 v[117:118], v[111:112], v[113:114]
	v_mul_f64 v[113:114], v[109:110], v[113:114]
	s_waitcnt vmcnt(0)
	v_fma_f64 v[109:110], v[109:110], v[115:116], -v[117:118]
	v_fma_f64 v[111:112], v[111:112], v[115:116], v[113:114]
	v_add_f64 v[1:2], v[1:2], v[109:110]
	v_add_f64 v[3:4], v[3:4], v[111:112]
	s_andn2_b32 exec_lo, exec_lo, s4
	s_cbranch_execnz .LBB49_80
; %bb.81:
	s_or_b32 exec_lo, exec_lo, s4
.LBB49_82:
	s_or_b32 exec_lo, exec_lo, s8
	v_mov_b32_e32 v7, 0
	ds_read_b128 v[109:112], v7 offset:624
	s_waitcnt lgkmcnt(0)
	v_mul_f64 v[7:8], v[3:4], v[111:112]
	v_mul_f64 v[111:112], v[1:2], v[111:112]
	v_fma_f64 v[1:2], v[1:2], v[109:110], -v[7:8]
	v_fma_f64 v[3:4], v[3:4], v[109:110], v[111:112]
	buffer_store_dword v2, off, s[0:3], 0 offset:628
	buffer_store_dword v1, off, s[0:3], 0 offset:624
	buffer_store_dword v4, off, s[0:3], 0 offset:636
	buffer_store_dword v3, off, s[0:3], 0 offset:632
.LBB49_83:
	s_or_b32 exec_lo, exec_lo, s6
	v_mov_b32_e32 v4, s19
	v_cmp_lt_u32_e64 s4, 38, v0
	s_clause 0x3
	buffer_load_dword v1, v4, s[0:3], 0 offen
	buffer_load_dword v2, v4, s[0:3], 0 offen offset:4
	buffer_load_dword v3, v4, s[0:3], 0 offen offset:8
	;; [unrolled: 1-line block ×3, first 2 shown]
	s_waitcnt vmcnt(0)
	ds_write_b128 v6, v[1:4]
	s_waitcnt lgkmcnt(0)
	s_waitcnt_vscnt null, 0x0
	s_barrier
	buffer_gl0_inv
	s_and_saveexec_b32 s6, s4
	s_cbranch_execz .LBB49_91
; %bb.84:
	ds_read_b128 v[1:4], v6
	s_andn2_b32 vcc_lo, exec_lo, s58
	s_cbranch_vccnz .LBB49_86
; %bb.85:
	s_clause 0x3
	buffer_load_dword v7, v5, s[0:3], 0 offen offset:8
	buffer_load_dword v8, v5, s[0:3], 0 offen offset:12
	buffer_load_dword v109, v5, s[0:3], 0 offen
	buffer_load_dword v110, v5, s[0:3], 0 offen offset:4
	s_waitcnt vmcnt(2) lgkmcnt(0)
	v_mul_f64 v[111:112], v[3:4], v[7:8]
	v_mul_f64 v[7:8], v[1:2], v[7:8]
	s_waitcnt vmcnt(0)
	v_fma_f64 v[1:2], v[1:2], v[109:110], -v[111:112]
	v_fma_f64 v[3:4], v[3:4], v[109:110], v[7:8]
.LBB49_86:
	s_and_saveexec_b32 s8, s5
	s_cbranch_execz .LBB49_90
; %bb.87:
	v_subrev_nc_u32_e32 v7, 39, v0
	s_movk_i32 s59, 0x590
	s_mov_b32 s5, 0
	s_mov_b32 s60, s18
	.p2align	6
.LBB49_88:                              ; =>This Inner Loop Header: Depth=1
	v_mov_b32_e32 v8, s60
	v_add_nc_u32_e32 v7, -1, v7
	s_add_i32 s60, s60, 16
	s_clause 0x3
	buffer_load_dword v113, v8, s[0:3], 0 offen offset:8
	buffer_load_dword v114, v8, s[0:3], 0 offen offset:12
	buffer_load_dword v115, v8, s[0:3], 0 offen
	buffer_load_dword v116, v8, s[0:3], 0 offen offset:4
	v_mov_b32_e32 v8, s59
	v_cmp_eq_u32_e32 vcc_lo, 0, v7
	s_add_i32 s59, s59, 16
	ds_read_b128 v[109:112], v8
	s_or_b32 s5, vcc_lo, s5
	s_waitcnt vmcnt(2) lgkmcnt(0)
	v_mul_f64 v[117:118], v[111:112], v[113:114]
	v_mul_f64 v[113:114], v[109:110], v[113:114]
	s_waitcnt vmcnt(0)
	v_fma_f64 v[109:110], v[109:110], v[115:116], -v[117:118]
	v_fma_f64 v[111:112], v[111:112], v[115:116], v[113:114]
	v_add_f64 v[1:2], v[1:2], v[109:110]
	v_add_f64 v[3:4], v[3:4], v[111:112]
	s_andn2_b32 exec_lo, exec_lo, s5
	s_cbranch_execnz .LBB49_88
; %bb.89:
	s_or_b32 exec_lo, exec_lo, s5
.LBB49_90:
	s_or_b32 exec_lo, exec_lo, s8
	v_mov_b32_e32 v7, 0
	ds_read_b128 v[109:112], v7 offset:608
	s_waitcnt lgkmcnt(0)
	v_mul_f64 v[7:8], v[3:4], v[111:112]
	v_mul_f64 v[111:112], v[1:2], v[111:112]
	v_fma_f64 v[1:2], v[1:2], v[109:110], -v[7:8]
	v_fma_f64 v[3:4], v[3:4], v[109:110], v[111:112]
	buffer_store_dword v2, off, s[0:3], 0 offset:612
	buffer_store_dword v1, off, s[0:3], 0 offset:608
	buffer_store_dword v4, off, s[0:3], 0 offset:620
	buffer_store_dword v3, off, s[0:3], 0 offset:616
.LBB49_91:
	s_or_b32 exec_lo, exec_lo, s6
	v_mov_b32_e32 v4, s20
	v_cmp_lt_u32_e64 s5, 37, v0
	s_clause 0x3
	buffer_load_dword v1, v4, s[0:3], 0 offen
	buffer_load_dword v2, v4, s[0:3], 0 offen offset:4
	buffer_load_dword v3, v4, s[0:3], 0 offen offset:8
	;; [unrolled: 1-line block ×3, first 2 shown]
	s_waitcnt vmcnt(0)
	ds_write_b128 v6, v[1:4]
	s_waitcnt lgkmcnt(0)
	s_waitcnt_vscnt null, 0x0
	s_barrier
	buffer_gl0_inv
	s_and_saveexec_b32 s6, s5
	s_cbranch_execz .LBB49_99
; %bb.92:
	ds_read_b128 v[1:4], v6
	s_andn2_b32 vcc_lo, exec_lo, s58
	s_cbranch_vccnz .LBB49_94
; %bb.93:
	s_clause 0x3
	buffer_load_dword v7, v5, s[0:3], 0 offen offset:8
	buffer_load_dword v8, v5, s[0:3], 0 offen offset:12
	buffer_load_dword v109, v5, s[0:3], 0 offen
	buffer_load_dword v110, v5, s[0:3], 0 offen offset:4
	s_waitcnt vmcnt(2) lgkmcnt(0)
	v_mul_f64 v[111:112], v[3:4], v[7:8]
	v_mul_f64 v[7:8], v[1:2], v[7:8]
	s_waitcnt vmcnt(0)
	v_fma_f64 v[1:2], v[1:2], v[109:110], -v[111:112]
	v_fma_f64 v[3:4], v[3:4], v[109:110], v[7:8]
.LBB49_94:
	s_and_saveexec_b32 s8, s4
	s_cbranch_execz .LBB49_98
; %bb.95:
	v_subrev_nc_u32_e32 v7, 38, v0
	s_movk_i32 s59, 0x580
	s_mov_b32 s4, 0
	s_mov_b32 s60, s19
	.p2align	6
.LBB49_96:                              ; =>This Inner Loop Header: Depth=1
	v_mov_b32_e32 v8, s60
	v_add_nc_u32_e32 v7, -1, v7
	s_add_i32 s60, s60, 16
	s_clause 0x3
	buffer_load_dword v113, v8, s[0:3], 0 offen offset:8
	buffer_load_dword v114, v8, s[0:3], 0 offen offset:12
	buffer_load_dword v115, v8, s[0:3], 0 offen
	buffer_load_dword v116, v8, s[0:3], 0 offen offset:4
	v_mov_b32_e32 v8, s59
	v_cmp_eq_u32_e32 vcc_lo, 0, v7
	s_add_i32 s59, s59, 16
	ds_read_b128 v[109:112], v8
	s_or_b32 s4, vcc_lo, s4
	s_waitcnt vmcnt(2) lgkmcnt(0)
	v_mul_f64 v[117:118], v[111:112], v[113:114]
	v_mul_f64 v[113:114], v[109:110], v[113:114]
	s_waitcnt vmcnt(0)
	v_fma_f64 v[109:110], v[109:110], v[115:116], -v[117:118]
	v_fma_f64 v[111:112], v[111:112], v[115:116], v[113:114]
	v_add_f64 v[1:2], v[1:2], v[109:110]
	v_add_f64 v[3:4], v[3:4], v[111:112]
	s_andn2_b32 exec_lo, exec_lo, s4
	s_cbranch_execnz .LBB49_96
; %bb.97:
	s_or_b32 exec_lo, exec_lo, s4
.LBB49_98:
	s_or_b32 exec_lo, exec_lo, s8
	v_mov_b32_e32 v7, 0
	ds_read_b128 v[109:112], v7 offset:592
	s_waitcnt lgkmcnt(0)
	v_mul_f64 v[7:8], v[3:4], v[111:112]
	v_mul_f64 v[111:112], v[1:2], v[111:112]
	v_fma_f64 v[1:2], v[1:2], v[109:110], -v[7:8]
	v_fma_f64 v[3:4], v[3:4], v[109:110], v[111:112]
	buffer_store_dword v2, off, s[0:3], 0 offset:596
	buffer_store_dword v1, off, s[0:3], 0 offset:592
	;; [unrolled: 1-line block ×4, first 2 shown]
.LBB49_99:
	s_or_b32 exec_lo, exec_lo, s6
	v_mov_b32_e32 v4, s21
	v_cmp_lt_u32_e64 s4, 36, v0
	s_clause 0x3
	buffer_load_dword v1, v4, s[0:3], 0 offen
	buffer_load_dword v2, v4, s[0:3], 0 offen offset:4
	buffer_load_dword v3, v4, s[0:3], 0 offen offset:8
	;; [unrolled: 1-line block ×3, first 2 shown]
	s_waitcnt vmcnt(0)
	ds_write_b128 v6, v[1:4]
	s_waitcnt lgkmcnt(0)
	s_waitcnt_vscnt null, 0x0
	s_barrier
	buffer_gl0_inv
	s_and_saveexec_b32 s6, s4
	s_cbranch_execz .LBB49_107
; %bb.100:
	ds_read_b128 v[1:4], v6
	s_andn2_b32 vcc_lo, exec_lo, s58
	s_cbranch_vccnz .LBB49_102
; %bb.101:
	s_clause 0x3
	buffer_load_dword v7, v5, s[0:3], 0 offen offset:8
	buffer_load_dword v8, v5, s[0:3], 0 offen offset:12
	buffer_load_dword v109, v5, s[0:3], 0 offen
	buffer_load_dword v110, v5, s[0:3], 0 offen offset:4
	s_waitcnt vmcnt(2) lgkmcnt(0)
	v_mul_f64 v[111:112], v[3:4], v[7:8]
	v_mul_f64 v[7:8], v[1:2], v[7:8]
	s_waitcnt vmcnt(0)
	v_fma_f64 v[1:2], v[1:2], v[109:110], -v[111:112]
	v_fma_f64 v[3:4], v[3:4], v[109:110], v[7:8]
.LBB49_102:
	s_and_saveexec_b32 s8, s5
	s_cbranch_execz .LBB49_106
; %bb.103:
	v_subrev_nc_u32_e32 v7, 37, v0
	s_movk_i32 s59, 0x570
	s_mov_b32 s5, 0
	s_mov_b32 s60, s20
	.p2align	6
.LBB49_104:                             ; =>This Inner Loop Header: Depth=1
	v_mov_b32_e32 v8, s60
	v_add_nc_u32_e32 v7, -1, v7
	s_add_i32 s60, s60, 16
	s_clause 0x3
	buffer_load_dword v113, v8, s[0:3], 0 offen offset:8
	buffer_load_dword v114, v8, s[0:3], 0 offen offset:12
	buffer_load_dword v115, v8, s[0:3], 0 offen
	buffer_load_dword v116, v8, s[0:3], 0 offen offset:4
	v_mov_b32_e32 v8, s59
	v_cmp_eq_u32_e32 vcc_lo, 0, v7
	s_add_i32 s59, s59, 16
	ds_read_b128 v[109:112], v8
	s_or_b32 s5, vcc_lo, s5
	s_waitcnt vmcnt(2) lgkmcnt(0)
	v_mul_f64 v[117:118], v[111:112], v[113:114]
	v_mul_f64 v[113:114], v[109:110], v[113:114]
	s_waitcnt vmcnt(0)
	v_fma_f64 v[109:110], v[109:110], v[115:116], -v[117:118]
	v_fma_f64 v[111:112], v[111:112], v[115:116], v[113:114]
	v_add_f64 v[1:2], v[1:2], v[109:110]
	v_add_f64 v[3:4], v[3:4], v[111:112]
	s_andn2_b32 exec_lo, exec_lo, s5
	s_cbranch_execnz .LBB49_104
; %bb.105:
	s_or_b32 exec_lo, exec_lo, s5
.LBB49_106:
	s_or_b32 exec_lo, exec_lo, s8
	v_mov_b32_e32 v7, 0
	ds_read_b128 v[109:112], v7 offset:576
	s_waitcnt lgkmcnt(0)
	v_mul_f64 v[7:8], v[3:4], v[111:112]
	v_mul_f64 v[111:112], v[1:2], v[111:112]
	v_fma_f64 v[1:2], v[1:2], v[109:110], -v[7:8]
	v_fma_f64 v[3:4], v[3:4], v[109:110], v[111:112]
	buffer_store_dword v2, off, s[0:3], 0 offset:580
	buffer_store_dword v1, off, s[0:3], 0 offset:576
	;; [unrolled: 1-line block ×4, first 2 shown]
.LBB49_107:
	s_or_b32 exec_lo, exec_lo, s6
	v_mov_b32_e32 v4, s22
	v_cmp_lt_u32_e64 s5, 35, v0
	s_clause 0x3
	buffer_load_dword v1, v4, s[0:3], 0 offen
	buffer_load_dword v2, v4, s[0:3], 0 offen offset:4
	buffer_load_dword v3, v4, s[0:3], 0 offen offset:8
	;; [unrolled: 1-line block ×3, first 2 shown]
	s_waitcnt vmcnt(0)
	ds_write_b128 v6, v[1:4]
	s_waitcnt lgkmcnt(0)
	s_waitcnt_vscnt null, 0x0
	s_barrier
	buffer_gl0_inv
	s_and_saveexec_b32 s6, s5
	s_cbranch_execz .LBB49_115
; %bb.108:
	ds_read_b128 v[1:4], v6
	s_andn2_b32 vcc_lo, exec_lo, s58
	s_cbranch_vccnz .LBB49_110
; %bb.109:
	s_clause 0x3
	buffer_load_dword v7, v5, s[0:3], 0 offen offset:8
	buffer_load_dword v8, v5, s[0:3], 0 offen offset:12
	buffer_load_dword v109, v5, s[0:3], 0 offen
	buffer_load_dword v110, v5, s[0:3], 0 offen offset:4
	s_waitcnt vmcnt(2) lgkmcnt(0)
	v_mul_f64 v[111:112], v[3:4], v[7:8]
	v_mul_f64 v[7:8], v[1:2], v[7:8]
	s_waitcnt vmcnt(0)
	v_fma_f64 v[1:2], v[1:2], v[109:110], -v[111:112]
	v_fma_f64 v[3:4], v[3:4], v[109:110], v[7:8]
.LBB49_110:
	s_and_saveexec_b32 s8, s4
	s_cbranch_execz .LBB49_114
; %bb.111:
	v_subrev_nc_u32_e32 v7, 36, v0
	s_movk_i32 s59, 0x560
	s_mov_b32 s4, 0
	s_mov_b32 s60, s21
	.p2align	6
.LBB49_112:                             ; =>This Inner Loop Header: Depth=1
	v_mov_b32_e32 v8, s60
	v_add_nc_u32_e32 v7, -1, v7
	s_add_i32 s60, s60, 16
	s_clause 0x3
	buffer_load_dword v113, v8, s[0:3], 0 offen offset:8
	buffer_load_dword v114, v8, s[0:3], 0 offen offset:12
	buffer_load_dword v115, v8, s[0:3], 0 offen
	buffer_load_dword v116, v8, s[0:3], 0 offen offset:4
	v_mov_b32_e32 v8, s59
	v_cmp_eq_u32_e32 vcc_lo, 0, v7
	s_add_i32 s59, s59, 16
	ds_read_b128 v[109:112], v8
	s_or_b32 s4, vcc_lo, s4
	s_waitcnt vmcnt(2) lgkmcnt(0)
	v_mul_f64 v[117:118], v[111:112], v[113:114]
	v_mul_f64 v[113:114], v[109:110], v[113:114]
	s_waitcnt vmcnt(0)
	v_fma_f64 v[109:110], v[109:110], v[115:116], -v[117:118]
	v_fma_f64 v[111:112], v[111:112], v[115:116], v[113:114]
	v_add_f64 v[1:2], v[1:2], v[109:110]
	v_add_f64 v[3:4], v[3:4], v[111:112]
	s_andn2_b32 exec_lo, exec_lo, s4
	s_cbranch_execnz .LBB49_112
; %bb.113:
	s_or_b32 exec_lo, exec_lo, s4
.LBB49_114:
	s_or_b32 exec_lo, exec_lo, s8
	v_mov_b32_e32 v7, 0
	ds_read_b128 v[109:112], v7 offset:560
	s_waitcnt lgkmcnt(0)
	v_mul_f64 v[7:8], v[3:4], v[111:112]
	v_mul_f64 v[111:112], v[1:2], v[111:112]
	v_fma_f64 v[1:2], v[1:2], v[109:110], -v[7:8]
	v_fma_f64 v[3:4], v[3:4], v[109:110], v[111:112]
	buffer_store_dword v2, off, s[0:3], 0 offset:564
	buffer_store_dword v1, off, s[0:3], 0 offset:560
	;; [unrolled: 1-line block ×4, first 2 shown]
.LBB49_115:
	s_or_b32 exec_lo, exec_lo, s6
	v_mov_b32_e32 v4, s23
	v_cmp_lt_u32_e64 s4, 34, v0
	s_clause 0x3
	buffer_load_dword v1, v4, s[0:3], 0 offen
	buffer_load_dword v2, v4, s[0:3], 0 offen offset:4
	buffer_load_dword v3, v4, s[0:3], 0 offen offset:8
	;; [unrolled: 1-line block ×3, first 2 shown]
	s_waitcnt vmcnt(0)
	ds_write_b128 v6, v[1:4]
	s_waitcnt lgkmcnt(0)
	s_waitcnt_vscnt null, 0x0
	s_barrier
	buffer_gl0_inv
	s_and_saveexec_b32 s6, s4
	s_cbranch_execz .LBB49_123
; %bb.116:
	ds_read_b128 v[1:4], v6
	s_andn2_b32 vcc_lo, exec_lo, s58
	s_cbranch_vccnz .LBB49_118
; %bb.117:
	s_clause 0x3
	buffer_load_dword v7, v5, s[0:3], 0 offen offset:8
	buffer_load_dword v8, v5, s[0:3], 0 offen offset:12
	buffer_load_dword v109, v5, s[0:3], 0 offen
	buffer_load_dword v110, v5, s[0:3], 0 offen offset:4
	s_waitcnt vmcnt(2) lgkmcnt(0)
	v_mul_f64 v[111:112], v[3:4], v[7:8]
	v_mul_f64 v[7:8], v[1:2], v[7:8]
	s_waitcnt vmcnt(0)
	v_fma_f64 v[1:2], v[1:2], v[109:110], -v[111:112]
	v_fma_f64 v[3:4], v[3:4], v[109:110], v[7:8]
.LBB49_118:
	s_and_saveexec_b32 s8, s5
	s_cbranch_execz .LBB49_122
; %bb.119:
	v_subrev_nc_u32_e32 v7, 35, v0
	s_movk_i32 s59, 0x550
	s_mov_b32 s5, 0
	s_mov_b32 s60, s22
	.p2align	6
.LBB49_120:                             ; =>This Inner Loop Header: Depth=1
	v_mov_b32_e32 v8, s60
	v_add_nc_u32_e32 v7, -1, v7
	s_add_i32 s60, s60, 16
	s_clause 0x3
	buffer_load_dword v113, v8, s[0:3], 0 offen offset:8
	buffer_load_dword v114, v8, s[0:3], 0 offen offset:12
	buffer_load_dword v115, v8, s[0:3], 0 offen
	buffer_load_dword v116, v8, s[0:3], 0 offen offset:4
	v_mov_b32_e32 v8, s59
	v_cmp_eq_u32_e32 vcc_lo, 0, v7
	s_add_i32 s59, s59, 16
	ds_read_b128 v[109:112], v8
	s_or_b32 s5, vcc_lo, s5
	s_waitcnt vmcnt(2) lgkmcnt(0)
	v_mul_f64 v[117:118], v[111:112], v[113:114]
	v_mul_f64 v[113:114], v[109:110], v[113:114]
	s_waitcnt vmcnt(0)
	v_fma_f64 v[109:110], v[109:110], v[115:116], -v[117:118]
	v_fma_f64 v[111:112], v[111:112], v[115:116], v[113:114]
	v_add_f64 v[1:2], v[1:2], v[109:110]
	v_add_f64 v[3:4], v[3:4], v[111:112]
	s_andn2_b32 exec_lo, exec_lo, s5
	s_cbranch_execnz .LBB49_120
; %bb.121:
	s_or_b32 exec_lo, exec_lo, s5
.LBB49_122:
	s_or_b32 exec_lo, exec_lo, s8
	v_mov_b32_e32 v7, 0
	ds_read_b128 v[109:112], v7 offset:544
	s_waitcnt lgkmcnt(0)
	v_mul_f64 v[7:8], v[3:4], v[111:112]
	v_mul_f64 v[111:112], v[1:2], v[111:112]
	v_fma_f64 v[1:2], v[1:2], v[109:110], -v[7:8]
	v_fma_f64 v[3:4], v[3:4], v[109:110], v[111:112]
	buffer_store_dword v2, off, s[0:3], 0 offset:548
	buffer_store_dword v1, off, s[0:3], 0 offset:544
	;; [unrolled: 1-line block ×4, first 2 shown]
.LBB49_123:
	s_or_b32 exec_lo, exec_lo, s6
	v_mov_b32_e32 v4, s24
	v_cmp_lt_u32_e64 s5, 33, v0
	s_clause 0x3
	buffer_load_dword v1, v4, s[0:3], 0 offen
	buffer_load_dword v2, v4, s[0:3], 0 offen offset:4
	buffer_load_dword v3, v4, s[0:3], 0 offen offset:8
	;; [unrolled: 1-line block ×3, first 2 shown]
	s_waitcnt vmcnt(0)
	ds_write_b128 v6, v[1:4]
	s_waitcnt lgkmcnt(0)
	s_waitcnt_vscnt null, 0x0
	s_barrier
	buffer_gl0_inv
	s_and_saveexec_b32 s6, s5
	s_cbranch_execz .LBB49_131
; %bb.124:
	ds_read_b128 v[1:4], v6
	s_andn2_b32 vcc_lo, exec_lo, s58
	s_cbranch_vccnz .LBB49_126
; %bb.125:
	s_clause 0x3
	buffer_load_dword v7, v5, s[0:3], 0 offen offset:8
	buffer_load_dword v8, v5, s[0:3], 0 offen offset:12
	buffer_load_dword v109, v5, s[0:3], 0 offen
	buffer_load_dword v110, v5, s[0:3], 0 offen offset:4
	s_waitcnt vmcnt(2) lgkmcnt(0)
	v_mul_f64 v[111:112], v[3:4], v[7:8]
	v_mul_f64 v[7:8], v[1:2], v[7:8]
	s_waitcnt vmcnt(0)
	v_fma_f64 v[1:2], v[1:2], v[109:110], -v[111:112]
	v_fma_f64 v[3:4], v[3:4], v[109:110], v[7:8]
.LBB49_126:
	s_and_saveexec_b32 s8, s4
	s_cbranch_execz .LBB49_130
; %bb.127:
	v_subrev_nc_u32_e32 v7, 34, v0
	s_movk_i32 s59, 0x540
	s_mov_b32 s4, 0
	s_mov_b32 s60, s23
	.p2align	6
.LBB49_128:                             ; =>This Inner Loop Header: Depth=1
	v_mov_b32_e32 v8, s60
	v_add_nc_u32_e32 v7, -1, v7
	s_add_i32 s60, s60, 16
	s_clause 0x3
	buffer_load_dword v113, v8, s[0:3], 0 offen offset:8
	buffer_load_dword v114, v8, s[0:3], 0 offen offset:12
	buffer_load_dword v115, v8, s[0:3], 0 offen
	buffer_load_dword v116, v8, s[0:3], 0 offen offset:4
	v_mov_b32_e32 v8, s59
	v_cmp_eq_u32_e32 vcc_lo, 0, v7
	s_add_i32 s59, s59, 16
	ds_read_b128 v[109:112], v8
	s_or_b32 s4, vcc_lo, s4
	s_waitcnt vmcnt(2) lgkmcnt(0)
	v_mul_f64 v[117:118], v[111:112], v[113:114]
	v_mul_f64 v[113:114], v[109:110], v[113:114]
	s_waitcnt vmcnt(0)
	v_fma_f64 v[109:110], v[109:110], v[115:116], -v[117:118]
	v_fma_f64 v[111:112], v[111:112], v[115:116], v[113:114]
	v_add_f64 v[1:2], v[1:2], v[109:110]
	v_add_f64 v[3:4], v[3:4], v[111:112]
	s_andn2_b32 exec_lo, exec_lo, s4
	s_cbranch_execnz .LBB49_128
; %bb.129:
	s_or_b32 exec_lo, exec_lo, s4
.LBB49_130:
	s_or_b32 exec_lo, exec_lo, s8
	v_mov_b32_e32 v7, 0
	ds_read_b128 v[109:112], v7 offset:528
	s_waitcnt lgkmcnt(0)
	v_mul_f64 v[7:8], v[3:4], v[111:112]
	v_mul_f64 v[111:112], v[1:2], v[111:112]
	v_fma_f64 v[1:2], v[1:2], v[109:110], -v[7:8]
	v_fma_f64 v[3:4], v[3:4], v[109:110], v[111:112]
	buffer_store_dword v2, off, s[0:3], 0 offset:532
	buffer_store_dword v1, off, s[0:3], 0 offset:528
	;; [unrolled: 1-line block ×4, first 2 shown]
.LBB49_131:
	s_or_b32 exec_lo, exec_lo, s6
	v_mov_b32_e32 v4, s25
	v_cmp_lt_u32_e64 s4, 32, v0
	s_clause 0x3
	buffer_load_dword v1, v4, s[0:3], 0 offen
	buffer_load_dword v2, v4, s[0:3], 0 offen offset:4
	buffer_load_dword v3, v4, s[0:3], 0 offen offset:8
	;; [unrolled: 1-line block ×3, first 2 shown]
	s_waitcnt vmcnt(0)
	ds_write_b128 v6, v[1:4]
	s_waitcnt lgkmcnt(0)
	s_waitcnt_vscnt null, 0x0
	s_barrier
	buffer_gl0_inv
	s_and_saveexec_b32 s6, s4
	s_cbranch_execz .LBB49_139
; %bb.132:
	ds_read_b128 v[1:4], v6
	s_andn2_b32 vcc_lo, exec_lo, s58
	s_cbranch_vccnz .LBB49_134
; %bb.133:
	s_clause 0x3
	buffer_load_dword v7, v5, s[0:3], 0 offen offset:8
	buffer_load_dword v8, v5, s[0:3], 0 offen offset:12
	buffer_load_dword v109, v5, s[0:3], 0 offen
	buffer_load_dword v110, v5, s[0:3], 0 offen offset:4
	s_waitcnt vmcnt(2) lgkmcnt(0)
	v_mul_f64 v[111:112], v[3:4], v[7:8]
	v_mul_f64 v[7:8], v[1:2], v[7:8]
	s_waitcnt vmcnt(0)
	v_fma_f64 v[1:2], v[1:2], v[109:110], -v[111:112]
	v_fma_f64 v[3:4], v[3:4], v[109:110], v[7:8]
.LBB49_134:
	s_and_saveexec_b32 s8, s5
	s_cbranch_execz .LBB49_138
; %bb.135:
	v_subrev_nc_u32_e32 v7, 33, v0
	s_movk_i32 s59, 0x530
	s_mov_b32 s5, 0
	s_mov_b32 s60, s24
	.p2align	6
.LBB49_136:                             ; =>This Inner Loop Header: Depth=1
	v_mov_b32_e32 v8, s60
	v_add_nc_u32_e32 v7, -1, v7
	s_add_i32 s60, s60, 16
	s_clause 0x3
	buffer_load_dword v113, v8, s[0:3], 0 offen offset:8
	buffer_load_dword v114, v8, s[0:3], 0 offen offset:12
	buffer_load_dword v115, v8, s[0:3], 0 offen
	buffer_load_dword v116, v8, s[0:3], 0 offen offset:4
	v_mov_b32_e32 v8, s59
	v_cmp_eq_u32_e32 vcc_lo, 0, v7
	s_add_i32 s59, s59, 16
	ds_read_b128 v[109:112], v8
	s_or_b32 s5, vcc_lo, s5
	s_waitcnt vmcnt(2) lgkmcnt(0)
	v_mul_f64 v[117:118], v[111:112], v[113:114]
	v_mul_f64 v[113:114], v[109:110], v[113:114]
	s_waitcnt vmcnt(0)
	v_fma_f64 v[109:110], v[109:110], v[115:116], -v[117:118]
	v_fma_f64 v[111:112], v[111:112], v[115:116], v[113:114]
	v_add_f64 v[1:2], v[1:2], v[109:110]
	v_add_f64 v[3:4], v[3:4], v[111:112]
	s_andn2_b32 exec_lo, exec_lo, s5
	s_cbranch_execnz .LBB49_136
; %bb.137:
	s_or_b32 exec_lo, exec_lo, s5
.LBB49_138:
	s_or_b32 exec_lo, exec_lo, s8
	v_mov_b32_e32 v7, 0
	ds_read_b128 v[109:112], v7 offset:512
	s_waitcnt lgkmcnt(0)
	v_mul_f64 v[7:8], v[3:4], v[111:112]
	v_mul_f64 v[111:112], v[1:2], v[111:112]
	v_fma_f64 v[1:2], v[1:2], v[109:110], -v[7:8]
	v_fma_f64 v[3:4], v[3:4], v[109:110], v[111:112]
	buffer_store_dword v2, off, s[0:3], 0 offset:516
	buffer_store_dword v1, off, s[0:3], 0 offset:512
	;; [unrolled: 1-line block ×4, first 2 shown]
.LBB49_139:
	s_or_b32 exec_lo, exec_lo, s6
	v_mov_b32_e32 v4, s26
	v_cmp_lt_u32_e64 s5, 31, v0
	s_clause 0x3
	buffer_load_dword v1, v4, s[0:3], 0 offen
	buffer_load_dword v2, v4, s[0:3], 0 offen offset:4
	buffer_load_dword v3, v4, s[0:3], 0 offen offset:8
	;; [unrolled: 1-line block ×3, first 2 shown]
	s_waitcnt vmcnt(0)
	ds_write_b128 v6, v[1:4]
	s_waitcnt lgkmcnt(0)
	s_waitcnt_vscnt null, 0x0
	s_barrier
	buffer_gl0_inv
	s_and_saveexec_b32 s6, s5
	s_cbranch_execz .LBB49_147
; %bb.140:
	ds_read_b128 v[1:4], v6
	s_andn2_b32 vcc_lo, exec_lo, s58
	s_cbranch_vccnz .LBB49_142
; %bb.141:
	s_clause 0x3
	buffer_load_dword v7, v5, s[0:3], 0 offen offset:8
	buffer_load_dword v8, v5, s[0:3], 0 offen offset:12
	buffer_load_dword v109, v5, s[0:3], 0 offen
	buffer_load_dword v110, v5, s[0:3], 0 offen offset:4
	s_waitcnt vmcnt(2) lgkmcnt(0)
	v_mul_f64 v[111:112], v[3:4], v[7:8]
	v_mul_f64 v[7:8], v[1:2], v[7:8]
	s_waitcnt vmcnt(0)
	v_fma_f64 v[1:2], v[1:2], v[109:110], -v[111:112]
	v_fma_f64 v[3:4], v[3:4], v[109:110], v[7:8]
.LBB49_142:
	s_and_saveexec_b32 s8, s4
	s_cbranch_execz .LBB49_146
; %bb.143:
	v_subrev_nc_u32_e32 v7, 32, v0
	s_movk_i32 s59, 0x520
	s_mov_b32 s4, 0
	s_mov_b32 s60, s25
	.p2align	6
.LBB49_144:                             ; =>This Inner Loop Header: Depth=1
	v_mov_b32_e32 v8, s60
	v_add_nc_u32_e32 v7, -1, v7
	s_add_i32 s60, s60, 16
	s_clause 0x3
	buffer_load_dword v113, v8, s[0:3], 0 offen offset:8
	buffer_load_dword v114, v8, s[0:3], 0 offen offset:12
	buffer_load_dword v115, v8, s[0:3], 0 offen
	buffer_load_dword v116, v8, s[0:3], 0 offen offset:4
	v_mov_b32_e32 v8, s59
	v_cmp_eq_u32_e32 vcc_lo, 0, v7
	s_add_i32 s59, s59, 16
	ds_read_b128 v[109:112], v8
	s_or_b32 s4, vcc_lo, s4
	s_waitcnt vmcnt(2) lgkmcnt(0)
	v_mul_f64 v[117:118], v[111:112], v[113:114]
	v_mul_f64 v[113:114], v[109:110], v[113:114]
	s_waitcnt vmcnt(0)
	v_fma_f64 v[109:110], v[109:110], v[115:116], -v[117:118]
	v_fma_f64 v[111:112], v[111:112], v[115:116], v[113:114]
	v_add_f64 v[1:2], v[1:2], v[109:110]
	v_add_f64 v[3:4], v[3:4], v[111:112]
	s_andn2_b32 exec_lo, exec_lo, s4
	s_cbranch_execnz .LBB49_144
; %bb.145:
	s_or_b32 exec_lo, exec_lo, s4
.LBB49_146:
	s_or_b32 exec_lo, exec_lo, s8
	v_mov_b32_e32 v7, 0
	ds_read_b128 v[109:112], v7 offset:496
	s_waitcnt lgkmcnt(0)
	v_mul_f64 v[7:8], v[3:4], v[111:112]
	v_mul_f64 v[111:112], v[1:2], v[111:112]
	v_fma_f64 v[1:2], v[1:2], v[109:110], -v[7:8]
	v_fma_f64 v[3:4], v[3:4], v[109:110], v[111:112]
	buffer_store_dword v2, off, s[0:3], 0 offset:500
	buffer_store_dword v1, off, s[0:3], 0 offset:496
	;; [unrolled: 1-line block ×4, first 2 shown]
.LBB49_147:
	s_or_b32 exec_lo, exec_lo, s6
	v_mov_b32_e32 v4, s27
	v_cmp_lt_u32_e64 s4, 30, v0
	s_clause 0x3
	buffer_load_dword v1, v4, s[0:3], 0 offen
	buffer_load_dword v2, v4, s[0:3], 0 offen offset:4
	buffer_load_dword v3, v4, s[0:3], 0 offen offset:8
	;; [unrolled: 1-line block ×3, first 2 shown]
	s_waitcnt vmcnt(0)
	ds_write_b128 v6, v[1:4]
	s_waitcnt lgkmcnt(0)
	s_waitcnt_vscnt null, 0x0
	s_barrier
	buffer_gl0_inv
	s_and_saveexec_b32 s6, s4
	s_cbranch_execz .LBB49_155
; %bb.148:
	ds_read_b128 v[1:4], v6
	s_andn2_b32 vcc_lo, exec_lo, s58
	s_cbranch_vccnz .LBB49_150
; %bb.149:
	s_clause 0x3
	buffer_load_dword v7, v5, s[0:3], 0 offen offset:8
	buffer_load_dword v8, v5, s[0:3], 0 offen offset:12
	buffer_load_dword v109, v5, s[0:3], 0 offen
	buffer_load_dword v110, v5, s[0:3], 0 offen offset:4
	s_waitcnt vmcnt(2) lgkmcnt(0)
	v_mul_f64 v[111:112], v[3:4], v[7:8]
	v_mul_f64 v[7:8], v[1:2], v[7:8]
	s_waitcnt vmcnt(0)
	v_fma_f64 v[1:2], v[1:2], v[109:110], -v[111:112]
	v_fma_f64 v[3:4], v[3:4], v[109:110], v[7:8]
.LBB49_150:
	s_and_saveexec_b32 s8, s5
	s_cbranch_execz .LBB49_154
; %bb.151:
	v_subrev_nc_u32_e32 v7, 31, v0
	s_movk_i32 s59, 0x510
	s_mov_b32 s5, 0
	s_mov_b32 s60, s26
	.p2align	6
.LBB49_152:                             ; =>This Inner Loop Header: Depth=1
	v_mov_b32_e32 v8, s60
	v_add_nc_u32_e32 v7, -1, v7
	s_add_i32 s60, s60, 16
	s_clause 0x3
	buffer_load_dword v113, v8, s[0:3], 0 offen offset:8
	buffer_load_dword v114, v8, s[0:3], 0 offen offset:12
	buffer_load_dword v115, v8, s[0:3], 0 offen
	buffer_load_dword v116, v8, s[0:3], 0 offen offset:4
	v_mov_b32_e32 v8, s59
	v_cmp_eq_u32_e32 vcc_lo, 0, v7
	s_add_i32 s59, s59, 16
	ds_read_b128 v[109:112], v8
	s_or_b32 s5, vcc_lo, s5
	s_waitcnt vmcnt(2) lgkmcnt(0)
	v_mul_f64 v[117:118], v[111:112], v[113:114]
	v_mul_f64 v[113:114], v[109:110], v[113:114]
	s_waitcnt vmcnt(0)
	v_fma_f64 v[109:110], v[109:110], v[115:116], -v[117:118]
	v_fma_f64 v[111:112], v[111:112], v[115:116], v[113:114]
	v_add_f64 v[1:2], v[1:2], v[109:110]
	v_add_f64 v[3:4], v[3:4], v[111:112]
	s_andn2_b32 exec_lo, exec_lo, s5
	s_cbranch_execnz .LBB49_152
; %bb.153:
	s_or_b32 exec_lo, exec_lo, s5
.LBB49_154:
	s_or_b32 exec_lo, exec_lo, s8
	v_mov_b32_e32 v7, 0
	ds_read_b128 v[109:112], v7 offset:480
	s_waitcnt lgkmcnt(0)
	v_mul_f64 v[7:8], v[3:4], v[111:112]
	v_mul_f64 v[111:112], v[1:2], v[111:112]
	v_fma_f64 v[1:2], v[1:2], v[109:110], -v[7:8]
	v_fma_f64 v[3:4], v[3:4], v[109:110], v[111:112]
	buffer_store_dword v2, off, s[0:3], 0 offset:484
	buffer_store_dword v1, off, s[0:3], 0 offset:480
	;; [unrolled: 1-line block ×4, first 2 shown]
.LBB49_155:
	s_or_b32 exec_lo, exec_lo, s6
	v_mov_b32_e32 v4, s28
	v_cmp_lt_u32_e64 s5, 29, v0
	s_clause 0x3
	buffer_load_dword v1, v4, s[0:3], 0 offen
	buffer_load_dword v2, v4, s[0:3], 0 offen offset:4
	buffer_load_dword v3, v4, s[0:3], 0 offen offset:8
	;; [unrolled: 1-line block ×3, first 2 shown]
	s_waitcnt vmcnt(0)
	ds_write_b128 v6, v[1:4]
	s_waitcnt lgkmcnt(0)
	s_waitcnt_vscnt null, 0x0
	s_barrier
	buffer_gl0_inv
	s_and_saveexec_b32 s6, s5
	s_cbranch_execz .LBB49_163
; %bb.156:
	ds_read_b128 v[1:4], v6
	s_andn2_b32 vcc_lo, exec_lo, s58
	s_cbranch_vccnz .LBB49_158
; %bb.157:
	s_clause 0x3
	buffer_load_dword v7, v5, s[0:3], 0 offen offset:8
	buffer_load_dword v8, v5, s[0:3], 0 offen offset:12
	buffer_load_dword v109, v5, s[0:3], 0 offen
	buffer_load_dword v110, v5, s[0:3], 0 offen offset:4
	s_waitcnt vmcnt(2) lgkmcnt(0)
	v_mul_f64 v[111:112], v[3:4], v[7:8]
	v_mul_f64 v[7:8], v[1:2], v[7:8]
	s_waitcnt vmcnt(0)
	v_fma_f64 v[1:2], v[1:2], v[109:110], -v[111:112]
	v_fma_f64 v[3:4], v[3:4], v[109:110], v[7:8]
.LBB49_158:
	s_and_saveexec_b32 s8, s4
	s_cbranch_execz .LBB49_162
; %bb.159:
	v_subrev_nc_u32_e32 v7, 30, v0
	s_movk_i32 s59, 0x500
	s_mov_b32 s4, 0
	s_mov_b32 s60, s27
	.p2align	6
.LBB49_160:                             ; =>This Inner Loop Header: Depth=1
	v_mov_b32_e32 v8, s60
	v_add_nc_u32_e32 v7, -1, v7
	s_add_i32 s60, s60, 16
	s_clause 0x3
	buffer_load_dword v113, v8, s[0:3], 0 offen offset:8
	buffer_load_dword v114, v8, s[0:3], 0 offen offset:12
	buffer_load_dword v115, v8, s[0:3], 0 offen
	buffer_load_dword v116, v8, s[0:3], 0 offen offset:4
	v_mov_b32_e32 v8, s59
	v_cmp_eq_u32_e32 vcc_lo, 0, v7
	s_add_i32 s59, s59, 16
	ds_read_b128 v[109:112], v8
	s_or_b32 s4, vcc_lo, s4
	s_waitcnt vmcnt(2) lgkmcnt(0)
	v_mul_f64 v[117:118], v[111:112], v[113:114]
	v_mul_f64 v[113:114], v[109:110], v[113:114]
	s_waitcnt vmcnt(0)
	v_fma_f64 v[109:110], v[109:110], v[115:116], -v[117:118]
	v_fma_f64 v[111:112], v[111:112], v[115:116], v[113:114]
	v_add_f64 v[1:2], v[1:2], v[109:110]
	v_add_f64 v[3:4], v[3:4], v[111:112]
	s_andn2_b32 exec_lo, exec_lo, s4
	s_cbranch_execnz .LBB49_160
; %bb.161:
	s_or_b32 exec_lo, exec_lo, s4
.LBB49_162:
	s_or_b32 exec_lo, exec_lo, s8
	v_mov_b32_e32 v7, 0
	ds_read_b128 v[109:112], v7 offset:464
	s_waitcnt lgkmcnt(0)
	v_mul_f64 v[7:8], v[3:4], v[111:112]
	v_mul_f64 v[111:112], v[1:2], v[111:112]
	v_fma_f64 v[1:2], v[1:2], v[109:110], -v[7:8]
	v_fma_f64 v[3:4], v[3:4], v[109:110], v[111:112]
	buffer_store_dword v2, off, s[0:3], 0 offset:468
	buffer_store_dword v1, off, s[0:3], 0 offset:464
	buffer_store_dword v4, off, s[0:3], 0 offset:476
	buffer_store_dword v3, off, s[0:3], 0 offset:472
.LBB49_163:
	s_or_b32 exec_lo, exec_lo, s6
	v_mov_b32_e32 v4, s29
	v_cmp_lt_u32_e64 s4, 28, v0
	s_clause 0x3
	buffer_load_dword v1, v4, s[0:3], 0 offen
	buffer_load_dword v2, v4, s[0:3], 0 offen offset:4
	buffer_load_dword v3, v4, s[0:3], 0 offen offset:8
	;; [unrolled: 1-line block ×3, first 2 shown]
	s_waitcnt vmcnt(0)
	ds_write_b128 v6, v[1:4]
	s_waitcnt lgkmcnt(0)
	s_waitcnt_vscnt null, 0x0
	s_barrier
	buffer_gl0_inv
	s_and_saveexec_b32 s6, s4
	s_cbranch_execz .LBB49_171
; %bb.164:
	ds_read_b128 v[1:4], v6
	s_andn2_b32 vcc_lo, exec_lo, s58
	s_cbranch_vccnz .LBB49_166
; %bb.165:
	s_clause 0x3
	buffer_load_dword v7, v5, s[0:3], 0 offen offset:8
	buffer_load_dword v8, v5, s[0:3], 0 offen offset:12
	buffer_load_dword v109, v5, s[0:3], 0 offen
	buffer_load_dword v110, v5, s[0:3], 0 offen offset:4
	s_waitcnt vmcnt(2) lgkmcnt(0)
	v_mul_f64 v[111:112], v[3:4], v[7:8]
	v_mul_f64 v[7:8], v[1:2], v[7:8]
	s_waitcnt vmcnt(0)
	v_fma_f64 v[1:2], v[1:2], v[109:110], -v[111:112]
	v_fma_f64 v[3:4], v[3:4], v[109:110], v[7:8]
.LBB49_166:
	s_and_saveexec_b32 s8, s5
	s_cbranch_execz .LBB49_170
; %bb.167:
	v_subrev_nc_u32_e32 v7, 29, v0
	s_movk_i32 s59, 0x4f0
	s_mov_b32 s5, 0
	s_mov_b32 s60, s28
	.p2align	6
.LBB49_168:                             ; =>This Inner Loop Header: Depth=1
	v_mov_b32_e32 v8, s60
	v_add_nc_u32_e32 v7, -1, v7
	s_add_i32 s60, s60, 16
	s_clause 0x3
	buffer_load_dword v113, v8, s[0:3], 0 offen offset:8
	buffer_load_dword v114, v8, s[0:3], 0 offen offset:12
	buffer_load_dword v115, v8, s[0:3], 0 offen
	buffer_load_dword v116, v8, s[0:3], 0 offen offset:4
	v_mov_b32_e32 v8, s59
	v_cmp_eq_u32_e32 vcc_lo, 0, v7
	s_add_i32 s59, s59, 16
	ds_read_b128 v[109:112], v8
	s_or_b32 s5, vcc_lo, s5
	s_waitcnt vmcnt(2) lgkmcnt(0)
	v_mul_f64 v[117:118], v[111:112], v[113:114]
	v_mul_f64 v[113:114], v[109:110], v[113:114]
	s_waitcnt vmcnt(0)
	v_fma_f64 v[109:110], v[109:110], v[115:116], -v[117:118]
	v_fma_f64 v[111:112], v[111:112], v[115:116], v[113:114]
	v_add_f64 v[1:2], v[1:2], v[109:110]
	v_add_f64 v[3:4], v[3:4], v[111:112]
	s_andn2_b32 exec_lo, exec_lo, s5
	s_cbranch_execnz .LBB49_168
; %bb.169:
	s_or_b32 exec_lo, exec_lo, s5
.LBB49_170:
	s_or_b32 exec_lo, exec_lo, s8
	v_mov_b32_e32 v7, 0
	ds_read_b128 v[109:112], v7 offset:448
	s_waitcnt lgkmcnt(0)
	v_mul_f64 v[7:8], v[3:4], v[111:112]
	v_mul_f64 v[111:112], v[1:2], v[111:112]
	v_fma_f64 v[1:2], v[1:2], v[109:110], -v[7:8]
	v_fma_f64 v[3:4], v[3:4], v[109:110], v[111:112]
	buffer_store_dword v2, off, s[0:3], 0 offset:452
	buffer_store_dword v1, off, s[0:3], 0 offset:448
	;; [unrolled: 1-line block ×4, first 2 shown]
.LBB49_171:
	s_or_b32 exec_lo, exec_lo, s6
	v_mov_b32_e32 v4, s30
	v_cmp_lt_u32_e64 s5, 27, v0
	s_clause 0x3
	buffer_load_dword v1, v4, s[0:3], 0 offen
	buffer_load_dword v2, v4, s[0:3], 0 offen offset:4
	buffer_load_dword v3, v4, s[0:3], 0 offen offset:8
	;; [unrolled: 1-line block ×3, first 2 shown]
	s_waitcnt vmcnt(0)
	ds_write_b128 v6, v[1:4]
	s_waitcnt lgkmcnt(0)
	s_waitcnt_vscnt null, 0x0
	s_barrier
	buffer_gl0_inv
	s_and_saveexec_b32 s6, s5
	s_cbranch_execz .LBB49_179
; %bb.172:
	ds_read_b128 v[1:4], v6
	s_andn2_b32 vcc_lo, exec_lo, s58
	s_cbranch_vccnz .LBB49_174
; %bb.173:
	s_clause 0x3
	buffer_load_dword v7, v5, s[0:3], 0 offen offset:8
	buffer_load_dword v8, v5, s[0:3], 0 offen offset:12
	buffer_load_dword v109, v5, s[0:3], 0 offen
	buffer_load_dword v110, v5, s[0:3], 0 offen offset:4
	s_waitcnt vmcnt(2) lgkmcnt(0)
	v_mul_f64 v[111:112], v[3:4], v[7:8]
	v_mul_f64 v[7:8], v[1:2], v[7:8]
	s_waitcnt vmcnt(0)
	v_fma_f64 v[1:2], v[1:2], v[109:110], -v[111:112]
	v_fma_f64 v[3:4], v[3:4], v[109:110], v[7:8]
.LBB49_174:
	s_and_saveexec_b32 s8, s4
	s_cbranch_execz .LBB49_178
; %bb.175:
	v_subrev_nc_u32_e32 v7, 28, v0
	s_movk_i32 s59, 0x4e0
	s_mov_b32 s4, 0
	s_mov_b32 s60, s29
	.p2align	6
.LBB49_176:                             ; =>This Inner Loop Header: Depth=1
	v_mov_b32_e32 v8, s60
	v_add_nc_u32_e32 v7, -1, v7
	s_add_i32 s60, s60, 16
	s_clause 0x3
	buffer_load_dword v113, v8, s[0:3], 0 offen offset:8
	buffer_load_dword v114, v8, s[0:3], 0 offen offset:12
	buffer_load_dword v115, v8, s[0:3], 0 offen
	buffer_load_dword v116, v8, s[0:3], 0 offen offset:4
	v_mov_b32_e32 v8, s59
	v_cmp_eq_u32_e32 vcc_lo, 0, v7
	s_add_i32 s59, s59, 16
	ds_read_b128 v[109:112], v8
	s_or_b32 s4, vcc_lo, s4
	s_waitcnt vmcnt(2) lgkmcnt(0)
	v_mul_f64 v[117:118], v[111:112], v[113:114]
	v_mul_f64 v[113:114], v[109:110], v[113:114]
	s_waitcnt vmcnt(0)
	v_fma_f64 v[109:110], v[109:110], v[115:116], -v[117:118]
	v_fma_f64 v[111:112], v[111:112], v[115:116], v[113:114]
	v_add_f64 v[1:2], v[1:2], v[109:110]
	v_add_f64 v[3:4], v[3:4], v[111:112]
	s_andn2_b32 exec_lo, exec_lo, s4
	s_cbranch_execnz .LBB49_176
; %bb.177:
	s_or_b32 exec_lo, exec_lo, s4
.LBB49_178:
	s_or_b32 exec_lo, exec_lo, s8
	v_mov_b32_e32 v7, 0
	ds_read_b128 v[109:112], v7 offset:432
	s_waitcnt lgkmcnt(0)
	v_mul_f64 v[7:8], v[3:4], v[111:112]
	v_mul_f64 v[111:112], v[1:2], v[111:112]
	v_fma_f64 v[1:2], v[1:2], v[109:110], -v[7:8]
	v_fma_f64 v[3:4], v[3:4], v[109:110], v[111:112]
	buffer_store_dword v2, off, s[0:3], 0 offset:436
	buffer_store_dword v1, off, s[0:3], 0 offset:432
	;; [unrolled: 1-line block ×4, first 2 shown]
.LBB49_179:
	s_or_b32 exec_lo, exec_lo, s6
	v_mov_b32_e32 v4, s31
	v_cmp_lt_u32_e64 s4, 26, v0
	s_clause 0x3
	buffer_load_dword v1, v4, s[0:3], 0 offen
	buffer_load_dword v2, v4, s[0:3], 0 offen offset:4
	buffer_load_dword v3, v4, s[0:3], 0 offen offset:8
	;; [unrolled: 1-line block ×3, first 2 shown]
	s_waitcnt vmcnt(0)
	ds_write_b128 v6, v[1:4]
	s_waitcnt lgkmcnt(0)
	s_waitcnt_vscnt null, 0x0
	s_barrier
	buffer_gl0_inv
	s_and_saveexec_b32 s6, s4
	s_cbranch_execz .LBB49_187
; %bb.180:
	ds_read_b128 v[1:4], v6
	s_andn2_b32 vcc_lo, exec_lo, s58
	s_cbranch_vccnz .LBB49_182
; %bb.181:
	s_clause 0x3
	buffer_load_dword v7, v5, s[0:3], 0 offen offset:8
	buffer_load_dword v8, v5, s[0:3], 0 offen offset:12
	buffer_load_dword v109, v5, s[0:3], 0 offen
	buffer_load_dword v110, v5, s[0:3], 0 offen offset:4
	s_waitcnt vmcnt(2) lgkmcnt(0)
	v_mul_f64 v[111:112], v[3:4], v[7:8]
	v_mul_f64 v[7:8], v[1:2], v[7:8]
	s_waitcnt vmcnt(0)
	v_fma_f64 v[1:2], v[1:2], v[109:110], -v[111:112]
	v_fma_f64 v[3:4], v[3:4], v[109:110], v[7:8]
.LBB49_182:
	s_and_saveexec_b32 s8, s5
	s_cbranch_execz .LBB49_186
; %bb.183:
	v_subrev_nc_u32_e32 v7, 27, v0
	s_movk_i32 s59, 0x4d0
	s_mov_b32 s5, 0
	s_mov_b32 s60, s30
	.p2align	6
.LBB49_184:                             ; =>This Inner Loop Header: Depth=1
	v_mov_b32_e32 v8, s60
	v_add_nc_u32_e32 v7, -1, v7
	s_add_i32 s60, s60, 16
	s_clause 0x3
	buffer_load_dword v113, v8, s[0:3], 0 offen offset:8
	buffer_load_dword v114, v8, s[0:3], 0 offen offset:12
	buffer_load_dword v115, v8, s[0:3], 0 offen
	buffer_load_dword v116, v8, s[0:3], 0 offen offset:4
	v_mov_b32_e32 v8, s59
	v_cmp_eq_u32_e32 vcc_lo, 0, v7
	s_add_i32 s59, s59, 16
	ds_read_b128 v[109:112], v8
	s_or_b32 s5, vcc_lo, s5
	s_waitcnt vmcnt(2) lgkmcnt(0)
	v_mul_f64 v[117:118], v[111:112], v[113:114]
	v_mul_f64 v[113:114], v[109:110], v[113:114]
	s_waitcnt vmcnt(0)
	v_fma_f64 v[109:110], v[109:110], v[115:116], -v[117:118]
	v_fma_f64 v[111:112], v[111:112], v[115:116], v[113:114]
	v_add_f64 v[1:2], v[1:2], v[109:110]
	v_add_f64 v[3:4], v[3:4], v[111:112]
	s_andn2_b32 exec_lo, exec_lo, s5
	s_cbranch_execnz .LBB49_184
; %bb.185:
	s_or_b32 exec_lo, exec_lo, s5
.LBB49_186:
	s_or_b32 exec_lo, exec_lo, s8
	v_mov_b32_e32 v7, 0
	ds_read_b128 v[109:112], v7 offset:416
	s_waitcnt lgkmcnt(0)
	v_mul_f64 v[7:8], v[3:4], v[111:112]
	v_mul_f64 v[111:112], v[1:2], v[111:112]
	v_fma_f64 v[1:2], v[1:2], v[109:110], -v[7:8]
	v_fma_f64 v[3:4], v[3:4], v[109:110], v[111:112]
	buffer_store_dword v2, off, s[0:3], 0 offset:420
	buffer_store_dword v1, off, s[0:3], 0 offset:416
	;; [unrolled: 1-line block ×4, first 2 shown]
.LBB49_187:
	s_or_b32 exec_lo, exec_lo, s6
	v_mov_b32_e32 v4, s33
	v_cmp_lt_u32_e64 s5, 25, v0
	s_clause 0x3
	buffer_load_dword v1, v4, s[0:3], 0 offen
	buffer_load_dword v2, v4, s[0:3], 0 offen offset:4
	buffer_load_dword v3, v4, s[0:3], 0 offen offset:8
	;; [unrolled: 1-line block ×3, first 2 shown]
	s_waitcnt vmcnt(0)
	ds_write_b128 v6, v[1:4]
	s_waitcnt lgkmcnt(0)
	s_waitcnt_vscnt null, 0x0
	s_barrier
	buffer_gl0_inv
	s_and_saveexec_b32 s6, s5
	s_cbranch_execz .LBB49_195
; %bb.188:
	ds_read_b128 v[1:4], v6
	s_andn2_b32 vcc_lo, exec_lo, s58
	s_cbranch_vccnz .LBB49_190
; %bb.189:
	s_clause 0x3
	buffer_load_dword v7, v5, s[0:3], 0 offen offset:8
	buffer_load_dword v8, v5, s[0:3], 0 offen offset:12
	buffer_load_dword v109, v5, s[0:3], 0 offen
	buffer_load_dword v110, v5, s[0:3], 0 offen offset:4
	s_waitcnt vmcnt(2) lgkmcnt(0)
	v_mul_f64 v[111:112], v[3:4], v[7:8]
	v_mul_f64 v[7:8], v[1:2], v[7:8]
	s_waitcnt vmcnt(0)
	v_fma_f64 v[1:2], v[1:2], v[109:110], -v[111:112]
	v_fma_f64 v[3:4], v[3:4], v[109:110], v[7:8]
.LBB49_190:
	s_and_saveexec_b32 s8, s4
	s_cbranch_execz .LBB49_194
; %bb.191:
	v_subrev_nc_u32_e32 v7, 26, v0
	s_movk_i32 s59, 0x4c0
	s_mov_b32 s4, 0
	s_mov_b32 s60, s31
	.p2align	6
.LBB49_192:                             ; =>This Inner Loop Header: Depth=1
	v_mov_b32_e32 v8, s60
	v_add_nc_u32_e32 v7, -1, v7
	s_add_i32 s60, s60, 16
	s_clause 0x3
	buffer_load_dword v113, v8, s[0:3], 0 offen offset:8
	buffer_load_dword v114, v8, s[0:3], 0 offen offset:12
	buffer_load_dword v115, v8, s[0:3], 0 offen
	buffer_load_dword v116, v8, s[0:3], 0 offen offset:4
	v_mov_b32_e32 v8, s59
	v_cmp_eq_u32_e32 vcc_lo, 0, v7
	s_add_i32 s59, s59, 16
	ds_read_b128 v[109:112], v8
	s_or_b32 s4, vcc_lo, s4
	s_waitcnt vmcnt(2) lgkmcnt(0)
	v_mul_f64 v[117:118], v[111:112], v[113:114]
	v_mul_f64 v[113:114], v[109:110], v[113:114]
	s_waitcnt vmcnt(0)
	v_fma_f64 v[109:110], v[109:110], v[115:116], -v[117:118]
	v_fma_f64 v[111:112], v[111:112], v[115:116], v[113:114]
	v_add_f64 v[1:2], v[1:2], v[109:110]
	v_add_f64 v[3:4], v[3:4], v[111:112]
	s_andn2_b32 exec_lo, exec_lo, s4
	s_cbranch_execnz .LBB49_192
; %bb.193:
	s_or_b32 exec_lo, exec_lo, s4
.LBB49_194:
	s_or_b32 exec_lo, exec_lo, s8
	v_mov_b32_e32 v7, 0
	ds_read_b128 v[109:112], v7 offset:400
	s_waitcnt lgkmcnt(0)
	v_mul_f64 v[7:8], v[3:4], v[111:112]
	v_mul_f64 v[111:112], v[1:2], v[111:112]
	v_fma_f64 v[1:2], v[1:2], v[109:110], -v[7:8]
	v_fma_f64 v[3:4], v[3:4], v[109:110], v[111:112]
	buffer_store_dword v2, off, s[0:3], 0 offset:404
	buffer_store_dword v1, off, s[0:3], 0 offset:400
	;; [unrolled: 1-line block ×4, first 2 shown]
.LBB49_195:
	s_or_b32 exec_lo, exec_lo, s6
	v_mov_b32_e32 v4, s34
	v_cmp_lt_u32_e64 s4, 24, v0
	s_clause 0x3
	buffer_load_dword v1, v4, s[0:3], 0 offen
	buffer_load_dword v2, v4, s[0:3], 0 offen offset:4
	buffer_load_dword v3, v4, s[0:3], 0 offen offset:8
	;; [unrolled: 1-line block ×3, first 2 shown]
	s_waitcnt vmcnt(0)
	ds_write_b128 v6, v[1:4]
	s_waitcnt lgkmcnt(0)
	s_waitcnt_vscnt null, 0x0
	s_barrier
	buffer_gl0_inv
	s_and_saveexec_b32 s6, s4
	s_cbranch_execz .LBB49_203
; %bb.196:
	ds_read_b128 v[1:4], v6
	s_andn2_b32 vcc_lo, exec_lo, s58
	s_cbranch_vccnz .LBB49_198
; %bb.197:
	s_clause 0x3
	buffer_load_dword v7, v5, s[0:3], 0 offen offset:8
	buffer_load_dword v8, v5, s[0:3], 0 offen offset:12
	buffer_load_dword v109, v5, s[0:3], 0 offen
	buffer_load_dword v110, v5, s[0:3], 0 offen offset:4
	s_waitcnt vmcnt(2) lgkmcnt(0)
	v_mul_f64 v[111:112], v[3:4], v[7:8]
	v_mul_f64 v[7:8], v[1:2], v[7:8]
	s_waitcnt vmcnt(0)
	v_fma_f64 v[1:2], v[1:2], v[109:110], -v[111:112]
	v_fma_f64 v[3:4], v[3:4], v[109:110], v[7:8]
.LBB49_198:
	s_and_saveexec_b32 s8, s5
	s_cbranch_execz .LBB49_202
; %bb.199:
	v_subrev_nc_u32_e32 v7, 25, v0
	s_movk_i32 s59, 0x4b0
	s_mov_b32 s5, 0
	s_mov_b32 s60, s33
	.p2align	6
.LBB49_200:                             ; =>This Inner Loop Header: Depth=1
	v_mov_b32_e32 v8, s60
	v_add_nc_u32_e32 v7, -1, v7
	s_add_i32 s60, s60, 16
	s_clause 0x3
	buffer_load_dword v113, v8, s[0:3], 0 offen offset:8
	buffer_load_dword v114, v8, s[0:3], 0 offen offset:12
	buffer_load_dword v115, v8, s[0:3], 0 offen
	buffer_load_dword v116, v8, s[0:3], 0 offen offset:4
	v_mov_b32_e32 v8, s59
	v_cmp_eq_u32_e32 vcc_lo, 0, v7
	s_add_i32 s59, s59, 16
	ds_read_b128 v[109:112], v8
	s_or_b32 s5, vcc_lo, s5
	s_waitcnt vmcnt(2) lgkmcnt(0)
	v_mul_f64 v[117:118], v[111:112], v[113:114]
	v_mul_f64 v[113:114], v[109:110], v[113:114]
	s_waitcnt vmcnt(0)
	v_fma_f64 v[109:110], v[109:110], v[115:116], -v[117:118]
	v_fma_f64 v[111:112], v[111:112], v[115:116], v[113:114]
	v_add_f64 v[1:2], v[1:2], v[109:110]
	v_add_f64 v[3:4], v[3:4], v[111:112]
	s_andn2_b32 exec_lo, exec_lo, s5
	s_cbranch_execnz .LBB49_200
; %bb.201:
	s_or_b32 exec_lo, exec_lo, s5
.LBB49_202:
	s_or_b32 exec_lo, exec_lo, s8
	v_mov_b32_e32 v7, 0
	ds_read_b128 v[109:112], v7 offset:384
	s_waitcnt lgkmcnt(0)
	v_mul_f64 v[7:8], v[3:4], v[111:112]
	v_mul_f64 v[111:112], v[1:2], v[111:112]
	v_fma_f64 v[1:2], v[1:2], v[109:110], -v[7:8]
	v_fma_f64 v[3:4], v[3:4], v[109:110], v[111:112]
	buffer_store_dword v2, off, s[0:3], 0 offset:388
	buffer_store_dword v1, off, s[0:3], 0 offset:384
	;; [unrolled: 1-line block ×4, first 2 shown]
.LBB49_203:
	s_or_b32 exec_lo, exec_lo, s6
	v_mov_b32_e32 v4, s35
	v_cmp_lt_u32_e64 s5, 23, v0
	s_clause 0x3
	buffer_load_dword v1, v4, s[0:3], 0 offen
	buffer_load_dword v2, v4, s[0:3], 0 offen offset:4
	buffer_load_dword v3, v4, s[0:3], 0 offen offset:8
	;; [unrolled: 1-line block ×3, first 2 shown]
	s_waitcnt vmcnt(0)
	ds_write_b128 v6, v[1:4]
	s_waitcnt lgkmcnt(0)
	s_waitcnt_vscnt null, 0x0
	s_barrier
	buffer_gl0_inv
	s_and_saveexec_b32 s6, s5
	s_cbranch_execz .LBB49_211
; %bb.204:
	ds_read_b128 v[1:4], v6
	s_andn2_b32 vcc_lo, exec_lo, s58
	s_cbranch_vccnz .LBB49_206
; %bb.205:
	s_clause 0x3
	buffer_load_dword v7, v5, s[0:3], 0 offen offset:8
	buffer_load_dword v8, v5, s[0:3], 0 offen offset:12
	buffer_load_dword v109, v5, s[0:3], 0 offen
	buffer_load_dword v110, v5, s[0:3], 0 offen offset:4
	s_waitcnt vmcnt(2) lgkmcnt(0)
	v_mul_f64 v[111:112], v[3:4], v[7:8]
	v_mul_f64 v[7:8], v[1:2], v[7:8]
	s_waitcnt vmcnt(0)
	v_fma_f64 v[1:2], v[1:2], v[109:110], -v[111:112]
	v_fma_f64 v[3:4], v[3:4], v[109:110], v[7:8]
.LBB49_206:
	s_and_saveexec_b32 s8, s4
	s_cbranch_execz .LBB49_210
; %bb.207:
	v_subrev_nc_u32_e32 v7, 24, v0
	s_movk_i32 s59, 0x4a0
	s_mov_b32 s4, 0
	s_mov_b32 s60, s34
	.p2align	6
.LBB49_208:                             ; =>This Inner Loop Header: Depth=1
	v_mov_b32_e32 v8, s60
	v_add_nc_u32_e32 v7, -1, v7
	s_add_i32 s60, s60, 16
	s_clause 0x3
	buffer_load_dword v113, v8, s[0:3], 0 offen offset:8
	buffer_load_dword v114, v8, s[0:3], 0 offen offset:12
	buffer_load_dword v115, v8, s[0:3], 0 offen
	buffer_load_dword v116, v8, s[0:3], 0 offen offset:4
	v_mov_b32_e32 v8, s59
	v_cmp_eq_u32_e32 vcc_lo, 0, v7
	s_add_i32 s59, s59, 16
	ds_read_b128 v[109:112], v8
	s_or_b32 s4, vcc_lo, s4
	s_waitcnt vmcnt(2) lgkmcnt(0)
	v_mul_f64 v[117:118], v[111:112], v[113:114]
	v_mul_f64 v[113:114], v[109:110], v[113:114]
	s_waitcnt vmcnt(0)
	v_fma_f64 v[109:110], v[109:110], v[115:116], -v[117:118]
	v_fma_f64 v[111:112], v[111:112], v[115:116], v[113:114]
	v_add_f64 v[1:2], v[1:2], v[109:110]
	v_add_f64 v[3:4], v[3:4], v[111:112]
	s_andn2_b32 exec_lo, exec_lo, s4
	s_cbranch_execnz .LBB49_208
; %bb.209:
	s_or_b32 exec_lo, exec_lo, s4
.LBB49_210:
	s_or_b32 exec_lo, exec_lo, s8
	v_mov_b32_e32 v7, 0
	ds_read_b128 v[109:112], v7 offset:368
	s_waitcnt lgkmcnt(0)
	v_mul_f64 v[7:8], v[3:4], v[111:112]
	v_mul_f64 v[111:112], v[1:2], v[111:112]
	v_fma_f64 v[1:2], v[1:2], v[109:110], -v[7:8]
	v_fma_f64 v[3:4], v[3:4], v[109:110], v[111:112]
	buffer_store_dword v2, off, s[0:3], 0 offset:372
	buffer_store_dword v1, off, s[0:3], 0 offset:368
	;; [unrolled: 1-line block ×4, first 2 shown]
.LBB49_211:
	s_or_b32 exec_lo, exec_lo, s6
	v_mov_b32_e32 v4, s36
	v_cmp_lt_u32_e64 s4, 22, v0
	s_clause 0x3
	buffer_load_dword v1, v4, s[0:3], 0 offen
	buffer_load_dword v2, v4, s[0:3], 0 offen offset:4
	buffer_load_dword v3, v4, s[0:3], 0 offen offset:8
	;; [unrolled: 1-line block ×3, first 2 shown]
	s_waitcnt vmcnt(0)
	ds_write_b128 v6, v[1:4]
	s_waitcnt lgkmcnt(0)
	s_waitcnt_vscnt null, 0x0
	s_barrier
	buffer_gl0_inv
	s_and_saveexec_b32 s6, s4
	s_cbranch_execz .LBB49_219
; %bb.212:
	ds_read_b128 v[1:4], v6
	s_andn2_b32 vcc_lo, exec_lo, s58
	s_cbranch_vccnz .LBB49_214
; %bb.213:
	s_clause 0x3
	buffer_load_dword v7, v5, s[0:3], 0 offen offset:8
	buffer_load_dword v8, v5, s[0:3], 0 offen offset:12
	buffer_load_dword v109, v5, s[0:3], 0 offen
	buffer_load_dword v110, v5, s[0:3], 0 offen offset:4
	s_waitcnt vmcnt(2) lgkmcnt(0)
	v_mul_f64 v[111:112], v[3:4], v[7:8]
	v_mul_f64 v[7:8], v[1:2], v[7:8]
	s_waitcnt vmcnt(0)
	v_fma_f64 v[1:2], v[1:2], v[109:110], -v[111:112]
	v_fma_f64 v[3:4], v[3:4], v[109:110], v[7:8]
.LBB49_214:
	s_and_saveexec_b32 s8, s5
	s_cbranch_execz .LBB49_218
; %bb.215:
	v_subrev_nc_u32_e32 v7, 23, v0
	s_movk_i32 s59, 0x490
	s_mov_b32 s5, 0
	s_mov_b32 s60, s35
	.p2align	6
.LBB49_216:                             ; =>This Inner Loop Header: Depth=1
	v_mov_b32_e32 v8, s60
	v_add_nc_u32_e32 v7, -1, v7
	s_add_i32 s60, s60, 16
	s_clause 0x3
	buffer_load_dword v113, v8, s[0:3], 0 offen offset:8
	buffer_load_dword v114, v8, s[0:3], 0 offen offset:12
	buffer_load_dword v115, v8, s[0:3], 0 offen
	buffer_load_dword v116, v8, s[0:3], 0 offen offset:4
	v_mov_b32_e32 v8, s59
	v_cmp_eq_u32_e32 vcc_lo, 0, v7
	s_add_i32 s59, s59, 16
	ds_read_b128 v[109:112], v8
	s_or_b32 s5, vcc_lo, s5
	s_waitcnt vmcnt(2) lgkmcnt(0)
	v_mul_f64 v[117:118], v[111:112], v[113:114]
	v_mul_f64 v[113:114], v[109:110], v[113:114]
	s_waitcnt vmcnt(0)
	v_fma_f64 v[109:110], v[109:110], v[115:116], -v[117:118]
	v_fma_f64 v[111:112], v[111:112], v[115:116], v[113:114]
	v_add_f64 v[1:2], v[1:2], v[109:110]
	v_add_f64 v[3:4], v[3:4], v[111:112]
	s_andn2_b32 exec_lo, exec_lo, s5
	s_cbranch_execnz .LBB49_216
; %bb.217:
	s_or_b32 exec_lo, exec_lo, s5
.LBB49_218:
	s_or_b32 exec_lo, exec_lo, s8
	v_mov_b32_e32 v7, 0
	ds_read_b128 v[109:112], v7 offset:352
	s_waitcnt lgkmcnt(0)
	v_mul_f64 v[7:8], v[3:4], v[111:112]
	v_mul_f64 v[111:112], v[1:2], v[111:112]
	v_fma_f64 v[1:2], v[1:2], v[109:110], -v[7:8]
	v_fma_f64 v[3:4], v[3:4], v[109:110], v[111:112]
	buffer_store_dword v2, off, s[0:3], 0 offset:356
	buffer_store_dword v1, off, s[0:3], 0 offset:352
	;; [unrolled: 1-line block ×4, first 2 shown]
.LBB49_219:
	s_or_b32 exec_lo, exec_lo, s6
	v_mov_b32_e32 v4, s37
	v_cmp_lt_u32_e64 s5, 21, v0
	s_clause 0x3
	buffer_load_dword v1, v4, s[0:3], 0 offen
	buffer_load_dword v2, v4, s[0:3], 0 offen offset:4
	buffer_load_dword v3, v4, s[0:3], 0 offen offset:8
	buffer_load_dword v4, v4, s[0:3], 0 offen offset:12
	s_waitcnt vmcnt(0)
	ds_write_b128 v6, v[1:4]
	s_waitcnt lgkmcnt(0)
	s_waitcnt_vscnt null, 0x0
	s_barrier
	buffer_gl0_inv
	s_and_saveexec_b32 s6, s5
	s_cbranch_execz .LBB49_227
; %bb.220:
	ds_read_b128 v[1:4], v6
	s_andn2_b32 vcc_lo, exec_lo, s58
	s_cbranch_vccnz .LBB49_222
; %bb.221:
	s_clause 0x3
	buffer_load_dword v7, v5, s[0:3], 0 offen offset:8
	buffer_load_dword v8, v5, s[0:3], 0 offen offset:12
	buffer_load_dword v109, v5, s[0:3], 0 offen
	buffer_load_dword v110, v5, s[0:3], 0 offen offset:4
	s_waitcnt vmcnt(2) lgkmcnt(0)
	v_mul_f64 v[111:112], v[3:4], v[7:8]
	v_mul_f64 v[7:8], v[1:2], v[7:8]
	s_waitcnt vmcnt(0)
	v_fma_f64 v[1:2], v[1:2], v[109:110], -v[111:112]
	v_fma_f64 v[3:4], v[3:4], v[109:110], v[7:8]
.LBB49_222:
	s_and_saveexec_b32 s8, s4
	s_cbranch_execz .LBB49_226
; %bb.223:
	v_subrev_nc_u32_e32 v7, 22, v0
	s_movk_i32 s59, 0x480
	s_mov_b32 s4, 0
	s_mov_b32 s60, s36
	.p2align	6
.LBB49_224:                             ; =>This Inner Loop Header: Depth=1
	v_mov_b32_e32 v8, s60
	v_add_nc_u32_e32 v7, -1, v7
	s_add_i32 s60, s60, 16
	s_clause 0x3
	buffer_load_dword v113, v8, s[0:3], 0 offen offset:8
	buffer_load_dword v114, v8, s[0:3], 0 offen offset:12
	buffer_load_dword v115, v8, s[0:3], 0 offen
	buffer_load_dword v116, v8, s[0:3], 0 offen offset:4
	v_mov_b32_e32 v8, s59
	v_cmp_eq_u32_e32 vcc_lo, 0, v7
	s_add_i32 s59, s59, 16
	ds_read_b128 v[109:112], v8
	s_or_b32 s4, vcc_lo, s4
	s_waitcnt vmcnt(2) lgkmcnt(0)
	v_mul_f64 v[117:118], v[111:112], v[113:114]
	v_mul_f64 v[113:114], v[109:110], v[113:114]
	s_waitcnt vmcnt(0)
	v_fma_f64 v[109:110], v[109:110], v[115:116], -v[117:118]
	v_fma_f64 v[111:112], v[111:112], v[115:116], v[113:114]
	v_add_f64 v[1:2], v[1:2], v[109:110]
	v_add_f64 v[3:4], v[3:4], v[111:112]
	s_andn2_b32 exec_lo, exec_lo, s4
	s_cbranch_execnz .LBB49_224
; %bb.225:
	s_or_b32 exec_lo, exec_lo, s4
.LBB49_226:
	s_or_b32 exec_lo, exec_lo, s8
	v_mov_b32_e32 v7, 0
	ds_read_b128 v[109:112], v7 offset:336
	s_waitcnt lgkmcnt(0)
	v_mul_f64 v[7:8], v[3:4], v[111:112]
	v_mul_f64 v[111:112], v[1:2], v[111:112]
	v_fma_f64 v[1:2], v[1:2], v[109:110], -v[7:8]
	v_fma_f64 v[3:4], v[3:4], v[109:110], v[111:112]
	buffer_store_dword v2, off, s[0:3], 0 offset:340
	buffer_store_dword v1, off, s[0:3], 0 offset:336
	;; [unrolled: 1-line block ×4, first 2 shown]
.LBB49_227:
	s_or_b32 exec_lo, exec_lo, s6
	v_mov_b32_e32 v4, s38
	v_cmp_lt_u32_e64 s4, 20, v0
	s_clause 0x3
	buffer_load_dword v1, v4, s[0:3], 0 offen
	buffer_load_dword v2, v4, s[0:3], 0 offen offset:4
	buffer_load_dword v3, v4, s[0:3], 0 offen offset:8
	;; [unrolled: 1-line block ×3, first 2 shown]
	s_waitcnt vmcnt(0)
	ds_write_b128 v6, v[1:4]
	s_waitcnt lgkmcnt(0)
	s_waitcnt_vscnt null, 0x0
	s_barrier
	buffer_gl0_inv
	s_and_saveexec_b32 s6, s4
	s_cbranch_execz .LBB49_235
; %bb.228:
	ds_read_b128 v[1:4], v6
	s_andn2_b32 vcc_lo, exec_lo, s58
	s_cbranch_vccnz .LBB49_230
; %bb.229:
	s_clause 0x3
	buffer_load_dword v7, v5, s[0:3], 0 offen offset:8
	buffer_load_dword v8, v5, s[0:3], 0 offen offset:12
	buffer_load_dword v109, v5, s[0:3], 0 offen
	buffer_load_dword v110, v5, s[0:3], 0 offen offset:4
	s_waitcnt vmcnt(2) lgkmcnt(0)
	v_mul_f64 v[111:112], v[3:4], v[7:8]
	v_mul_f64 v[7:8], v[1:2], v[7:8]
	s_waitcnt vmcnt(0)
	v_fma_f64 v[1:2], v[1:2], v[109:110], -v[111:112]
	v_fma_f64 v[3:4], v[3:4], v[109:110], v[7:8]
.LBB49_230:
	s_and_saveexec_b32 s8, s5
	s_cbranch_execz .LBB49_234
; %bb.231:
	v_subrev_nc_u32_e32 v7, 21, v0
	s_movk_i32 s59, 0x470
	s_mov_b32 s5, 0
	s_mov_b32 s60, s37
	.p2align	6
.LBB49_232:                             ; =>This Inner Loop Header: Depth=1
	v_mov_b32_e32 v8, s60
	v_add_nc_u32_e32 v7, -1, v7
	s_add_i32 s60, s60, 16
	s_clause 0x3
	buffer_load_dword v113, v8, s[0:3], 0 offen offset:8
	buffer_load_dword v114, v8, s[0:3], 0 offen offset:12
	buffer_load_dword v115, v8, s[0:3], 0 offen
	buffer_load_dword v116, v8, s[0:3], 0 offen offset:4
	v_mov_b32_e32 v8, s59
	v_cmp_eq_u32_e32 vcc_lo, 0, v7
	s_add_i32 s59, s59, 16
	ds_read_b128 v[109:112], v8
	s_or_b32 s5, vcc_lo, s5
	s_waitcnt vmcnt(2) lgkmcnt(0)
	v_mul_f64 v[117:118], v[111:112], v[113:114]
	v_mul_f64 v[113:114], v[109:110], v[113:114]
	s_waitcnt vmcnt(0)
	v_fma_f64 v[109:110], v[109:110], v[115:116], -v[117:118]
	v_fma_f64 v[111:112], v[111:112], v[115:116], v[113:114]
	v_add_f64 v[1:2], v[1:2], v[109:110]
	v_add_f64 v[3:4], v[3:4], v[111:112]
	s_andn2_b32 exec_lo, exec_lo, s5
	s_cbranch_execnz .LBB49_232
; %bb.233:
	s_or_b32 exec_lo, exec_lo, s5
.LBB49_234:
	s_or_b32 exec_lo, exec_lo, s8
	v_mov_b32_e32 v7, 0
	ds_read_b128 v[109:112], v7 offset:320
	s_waitcnt lgkmcnt(0)
	v_mul_f64 v[7:8], v[3:4], v[111:112]
	v_mul_f64 v[111:112], v[1:2], v[111:112]
	v_fma_f64 v[1:2], v[1:2], v[109:110], -v[7:8]
	v_fma_f64 v[3:4], v[3:4], v[109:110], v[111:112]
	buffer_store_dword v2, off, s[0:3], 0 offset:324
	buffer_store_dword v1, off, s[0:3], 0 offset:320
	;; [unrolled: 1-line block ×4, first 2 shown]
.LBB49_235:
	s_or_b32 exec_lo, exec_lo, s6
	v_mov_b32_e32 v4, s39
	v_cmp_lt_u32_e64 s5, 19, v0
	s_clause 0x3
	buffer_load_dword v1, v4, s[0:3], 0 offen
	buffer_load_dword v2, v4, s[0:3], 0 offen offset:4
	buffer_load_dword v3, v4, s[0:3], 0 offen offset:8
	;; [unrolled: 1-line block ×3, first 2 shown]
	s_waitcnt vmcnt(0)
	ds_write_b128 v6, v[1:4]
	s_waitcnt lgkmcnt(0)
	s_waitcnt_vscnt null, 0x0
	s_barrier
	buffer_gl0_inv
	s_and_saveexec_b32 s6, s5
	s_cbranch_execz .LBB49_243
; %bb.236:
	ds_read_b128 v[1:4], v6
	s_andn2_b32 vcc_lo, exec_lo, s58
	s_cbranch_vccnz .LBB49_238
; %bb.237:
	s_clause 0x3
	buffer_load_dword v7, v5, s[0:3], 0 offen offset:8
	buffer_load_dword v8, v5, s[0:3], 0 offen offset:12
	buffer_load_dword v109, v5, s[0:3], 0 offen
	buffer_load_dword v110, v5, s[0:3], 0 offen offset:4
	s_waitcnt vmcnt(2) lgkmcnt(0)
	v_mul_f64 v[111:112], v[3:4], v[7:8]
	v_mul_f64 v[7:8], v[1:2], v[7:8]
	s_waitcnt vmcnt(0)
	v_fma_f64 v[1:2], v[1:2], v[109:110], -v[111:112]
	v_fma_f64 v[3:4], v[3:4], v[109:110], v[7:8]
.LBB49_238:
	s_and_saveexec_b32 s8, s4
	s_cbranch_execz .LBB49_242
; %bb.239:
	v_subrev_nc_u32_e32 v7, 20, v0
	s_movk_i32 s59, 0x460
	s_mov_b32 s4, 0
	s_mov_b32 s60, s38
	.p2align	6
.LBB49_240:                             ; =>This Inner Loop Header: Depth=1
	v_mov_b32_e32 v8, s60
	v_add_nc_u32_e32 v7, -1, v7
	s_add_i32 s60, s60, 16
	s_clause 0x3
	buffer_load_dword v113, v8, s[0:3], 0 offen offset:8
	buffer_load_dword v114, v8, s[0:3], 0 offen offset:12
	buffer_load_dword v115, v8, s[0:3], 0 offen
	buffer_load_dword v116, v8, s[0:3], 0 offen offset:4
	v_mov_b32_e32 v8, s59
	v_cmp_eq_u32_e32 vcc_lo, 0, v7
	s_add_i32 s59, s59, 16
	ds_read_b128 v[109:112], v8
	s_or_b32 s4, vcc_lo, s4
	s_waitcnt vmcnt(2) lgkmcnt(0)
	v_mul_f64 v[117:118], v[111:112], v[113:114]
	v_mul_f64 v[113:114], v[109:110], v[113:114]
	s_waitcnt vmcnt(0)
	v_fma_f64 v[109:110], v[109:110], v[115:116], -v[117:118]
	v_fma_f64 v[111:112], v[111:112], v[115:116], v[113:114]
	v_add_f64 v[1:2], v[1:2], v[109:110]
	v_add_f64 v[3:4], v[3:4], v[111:112]
	s_andn2_b32 exec_lo, exec_lo, s4
	s_cbranch_execnz .LBB49_240
; %bb.241:
	s_or_b32 exec_lo, exec_lo, s4
.LBB49_242:
	s_or_b32 exec_lo, exec_lo, s8
	v_mov_b32_e32 v7, 0
	ds_read_b128 v[109:112], v7 offset:304
	s_waitcnt lgkmcnt(0)
	v_mul_f64 v[7:8], v[3:4], v[111:112]
	v_mul_f64 v[111:112], v[1:2], v[111:112]
	v_fma_f64 v[1:2], v[1:2], v[109:110], -v[7:8]
	v_fma_f64 v[3:4], v[3:4], v[109:110], v[111:112]
	buffer_store_dword v2, off, s[0:3], 0 offset:308
	buffer_store_dword v1, off, s[0:3], 0 offset:304
	;; [unrolled: 1-line block ×4, first 2 shown]
.LBB49_243:
	s_or_b32 exec_lo, exec_lo, s6
	v_mov_b32_e32 v4, s40
	v_cmp_lt_u32_e64 s4, 18, v0
	s_clause 0x3
	buffer_load_dword v1, v4, s[0:3], 0 offen
	buffer_load_dword v2, v4, s[0:3], 0 offen offset:4
	buffer_load_dword v3, v4, s[0:3], 0 offen offset:8
	;; [unrolled: 1-line block ×3, first 2 shown]
	s_waitcnt vmcnt(0)
	ds_write_b128 v6, v[1:4]
	s_waitcnt lgkmcnt(0)
	s_waitcnt_vscnt null, 0x0
	s_barrier
	buffer_gl0_inv
	s_and_saveexec_b32 s6, s4
	s_cbranch_execz .LBB49_251
; %bb.244:
	ds_read_b128 v[1:4], v6
	s_andn2_b32 vcc_lo, exec_lo, s58
	s_cbranch_vccnz .LBB49_246
; %bb.245:
	s_clause 0x3
	buffer_load_dword v7, v5, s[0:3], 0 offen offset:8
	buffer_load_dword v8, v5, s[0:3], 0 offen offset:12
	buffer_load_dword v109, v5, s[0:3], 0 offen
	buffer_load_dword v110, v5, s[0:3], 0 offen offset:4
	s_waitcnt vmcnt(2) lgkmcnt(0)
	v_mul_f64 v[111:112], v[3:4], v[7:8]
	v_mul_f64 v[7:8], v[1:2], v[7:8]
	s_waitcnt vmcnt(0)
	v_fma_f64 v[1:2], v[1:2], v[109:110], -v[111:112]
	v_fma_f64 v[3:4], v[3:4], v[109:110], v[7:8]
.LBB49_246:
	s_and_saveexec_b32 s8, s5
	s_cbranch_execz .LBB49_250
; %bb.247:
	v_subrev_nc_u32_e32 v7, 19, v0
	s_movk_i32 s59, 0x450
	s_mov_b32 s5, 0
	s_mov_b32 s60, s39
	.p2align	6
.LBB49_248:                             ; =>This Inner Loop Header: Depth=1
	v_mov_b32_e32 v8, s60
	v_add_nc_u32_e32 v7, -1, v7
	s_add_i32 s60, s60, 16
	s_clause 0x3
	buffer_load_dword v113, v8, s[0:3], 0 offen offset:8
	buffer_load_dword v114, v8, s[0:3], 0 offen offset:12
	buffer_load_dword v115, v8, s[0:3], 0 offen
	buffer_load_dword v116, v8, s[0:3], 0 offen offset:4
	v_mov_b32_e32 v8, s59
	v_cmp_eq_u32_e32 vcc_lo, 0, v7
	s_add_i32 s59, s59, 16
	ds_read_b128 v[109:112], v8
	s_or_b32 s5, vcc_lo, s5
	s_waitcnt vmcnt(2) lgkmcnt(0)
	v_mul_f64 v[117:118], v[111:112], v[113:114]
	v_mul_f64 v[113:114], v[109:110], v[113:114]
	s_waitcnt vmcnt(0)
	v_fma_f64 v[109:110], v[109:110], v[115:116], -v[117:118]
	v_fma_f64 v[111:112], v[111:112], v[115:116], v[113:114]
	v_add_f64 v[1:2], v[1:2], v[109:110]
	v_add_f64 v[3:4], v[3:4], v[111:112]
	s_andn2_b32 exec_lo, exec_lo, s5
	s_cbranch_execnz .LBB49_248
; %bb.249:
	s_or_b32 exec_lo, exec_lo, s5
.LBB49_250:
	s_or_b32 exec_lo, exec_lo, s8
	v_mov_b32_e32 v7, 0
	ds_read_b128 v[109:112], v7 offset:288
	s_waitcnt lgkmcnt(0)
	v_mul_f64 v[7:8], v[3:4], v[111:112]
	v_mul_f64 v[111:112], v[1:2], v[111:112]
	v_fma_f64 v[1:2], v[1:2], v[109:110], -v[7:8]
	v_fma_f64 v[3:4], v[3:4], v[109:110], v[111:112]
	buffer_store_dword v2, off, s[0:3], 0 offset:292
	buffer_store_dword v1, off, s[0:3], 0 offset:288
	;; [unrolled: 1-line block ×4, first 2 shown]
.LBB49_251:
	s_or_b32 exec_lo, exec_lo, s6
	v_mov_b32_e32 v4, s41
	v_cmp_lt_u32_e64 s5, 17, v0
	s_clause 0x3
	buffer_load_dword v1, v4, s[0:3], 0 offen
	buffer_load_dword v2, v4, s[0:3], 0 offen offset:4
	buffer_load_dword v3, v4, s[0:3], 0 offen offset:8
	;; [unrolled: 1-line block ×3, first 2 shown]
	s_waitcnt vmcnt(0)
	ds_write_b128 v6, v[1:4]
	s_waitcnt lgkmcnt(0)
	s_waitcnt_vscnt null, 0x0
	s_barrier
	buffer_gl0_inv
	s_and_saveexec_b32 s6, s5
	s_cbranch_execz .LBB49_259
; %bb.252:
	ds_read_b128 v[1:4], v6
	s_andn2_b32 vcc_lo, exec_lo, s58
	s_cbranch_vccnz .LBB49_254
; %bb.253:
	s_clause 0x3
	buffer_load_dword v7, v5, s[0:3], 0 offen offset:8
	buffer_load_dword v8, v5, s[0:3], 0 offen offset:12
	buffer_load_dword v109, v5, s[0:3], 0 offen
	buffer_load_dword v110, v5, s[0:3], 0 offen offset:4
	s_waitcnt vmcnt(2) lgkmcnt(0)
	v_mul_f64 v[111:112], v[3:4], v[7:8]
	v_mul_f64 v[7:8], v[1:2], v[7:8]
	s_waitcnt vmcnt(0)
	v_fma_f64 v[1:2], v[1:2], v[109:110], -v[111:112]
	v_fma_f64 v[3:4], v[3:4], v[109:110], v[7:8]
.LBB49_254:
	s_and_saveexec_b32 s8, s4
	s_cbranch_execz .LBB49_258
; %bb.255:
	v_subrev_nc_u32_e32 v7, 18, v0
	s_movk_i32 s59, 0x440
	s_mov_b32 s4, 0
	s_mov_b32 s60, s40
	.p2align	6
.LBB49_256:                             ; =>This Inner Loop Header: Depth=1
	v_mov_b32_e32 v8, s60
	v_add_nc_u32_e32 v7, -1, v7
	s_add_i32 s60, s60, 16
	s_clause 0x3
	buffer_load_dword v113, v8, s[0:3], 0 offen offset:8
	buffer_load_dword v114, v8, s[0:3], 0 offen offset:12
	buffer_load_dword v115, v8, s[0:3], 0 offen
	buffer_load_dword v116, v8, s[0:3], 0 offen offset:4
	v_mov_b32_e32 v8, s59
	v_cmp_eq_u32_e32 vcc_lo, 0, v7
	s_add_i32 s59, s59, 16
	ds_read_b128 v[109:112], v8
	s_or_b32 s4, vcc_lo, s4
	s_waitcnt vmcnt(2) lgkmcnt(0)
	v_mul_f64 v[117:118], v[111:112], v[113:114]
	v_mul_f64 v[113:114], v[109:110], v[113:114]
	s_waitcnt vmcnt(0)
	v_fma_f64 v[109:110], v[109:110], v[115:116], -v[117:118]
	v_fma_f64 v[111:112], v[111:112], v[115:116], v[113:114]
	v_add_f64 v[1:2], v[1:2], v[109:110]
	v_add_f64 v[3:4], v[3:4], v[111:112]
	s_andn2_b32 exec_lo, exec_lo, s4
	s_cbranch_execnz .LBB49_256
; %bb.257:
	s_or_b32 exec_lo, exec_lo, s4
.LBB49_258:
	s_or_b32 exec_lo, exec_lo, s8
	v_mov_b32_e32 v7, 0
	ds_read_b128 v[109:112], v7 offset:272
	s_waitcnt lgkmcnt(0)
	v_mul_f64 v[7:8], v[3:4], v[111:112]
	v_mul_f64 v[111:112], v[1:2], v[111:112]
	v_fma_f64 v[1:2], v[1:2], v[109:110], -v[7:8]
	v_fma_f64 v[3:4], v[3:4], v[109:110], v[111:112]
	buffer_store_dword v2, off, s[0:3], 0 offset:276
	buffer_store_dword v1, off, s[0:3], 0 offset:272
	;; [unrolled: 1-line block ×4, first 2 shown]
.LBB49_259:
	s_or_b32 exec_lo, exec_lo, s6
	v_mov_b32_e32 v4, s42
	v_cmp_lt_u32_e64 s4, 16, v0
	s_clause 0x3
	buffer_load_dword v1, v4, s[0:3], 0 offen
	buffer_load_dword v2, v4, s[0:3], 0 offen offset:4
	buffer_load_dword v3, v4, s[0:3], 0 offen offset:8
	;; [unrolled: 1-line block ×3, first 2 shown]
	s_waitcnt vmcnt(0)
	ds_write_b128 v6, v[1:4]
	s_waitcnt lgkmcnt(0)
	s_waitcnt_vscnt null, 0x0
	s_barrier
	buffer_gl0_inv
	s_and_saveexec_b32 s6, s4
	s_cbranch_execz .LBB49_267
; %bb.260:
	ds_read_b128 v[1:4], v6
	s_andn2_b32 vcc_lo, exec_lo, s58
	s_cbranch_vccnz .LBB49_262
; %bb.261:
	s_clause 0x3
	buffer_load_dword v7, v5, s[0:3], 0 offen offset:8
	buffer_load_dword v8, v5, s[0:3], 0 offen offset:12
	buffer_load_dword v109, v5, s[0:3], 0 offen
	buffer_load_dword v110, v5, s[0:3], 0 offen offset:4
	s_waitcnt vmcnt(2) lgkmcnt(0)
	v_mul_f64 v[111:112], v[3:4], v[7:8]
	v_mul_f64 v[7:8], v[1:2], v[7:8]
	s_waitcnt vmcnt(0)
	v_fma_f64 v[1:2], v[1:2], v[109:110], -v[111:112]
	v_fma_f64 v[3:4], v[3:4], v[109:110], v[7:8]
.LBB49_262:
	s_and_saveexec_b32 s8, s5
	s_cbranch_execz .LBB49_266
; %bb.263:
	v_subrev_nc_u32_e32 v7, 17, v0
	s_movk_i32 s59, 0x430
	s_mov_b32 s5, 0
	s_mov_b32 s60, s41
	.p2align	6
.LBB49_264:                             ; =>This Inner Loop Header: Depth=1
	v_mov_b32_e32 v8, s60
	v_add_nc_u32_e32 v7, -1, v7
	s_add_i32 s60, s60, 16
	s_clause 0x3
	buffer_load_dword v113, v8, s[0:3], 0 offen offset:8
	buffer_load_dword v114, v8, s[0:3], 0 offen offset:12
	buffer_load_dword v115, v8, s[0:3], 0 offen
	buffer_load_dword v116, v8, s[0:3], 0 offen offset:4
	v_mov_b32_e32 v8, s59
	v_cmp_eq_u32_e32 vcc_lo, 0, v7
	s_add_i32 s59, s59, 16
	ds_read_b128 v[109:112], v8
	s_or_b32 s5, vcc_lo, s5
	s_waitcnt vmcnt(2) lgkmcnt(0)
	v_mul_f64 v[117:118], v[111:112], v[113:114]
	v_mul_f64 v[113:114], v[109:110], v[113:114]
	s_waitcnt vmcnt(0)
	v_fma_f64 v[109:110], v[109:110], v[115:116], -v[117:118]
	v_fma_f64 v[111:112], v[111:112], v[115:116], v[113:114]
	v_add_f64 v[1:2], v[1:2], v[109:110]
	v_add_f64 v[3:4], v[3:4], v[111:112]
	s_andn2_b32 exec_lo, exec_lo, s5
	s_cbranch_execnz .LBB49_264
; %bb.265:
	s_or_b32 exec_lo, exec_lo, s5
.LBB49_266:
	s_or_b32 exec_lo, exec_lo, s8
	v_mov_b32_e32 v7, 0
	ds_read_b128 v[109:112], v7 offset:256
	s_waitcnt lgkmcnt(0)
	v_mul_f64 v[7:8], v[3:4], v[111:112]
	v_mul_f64 v[111:112], v[1:2], v[111:112]
	v_fma_f64 v[1:2], v[1:2], v[109:110], -v[7:8]
	v_fma_f64 v[3:4], v[3:4], v[109:110], v[111:112]
	buffer_store_dword v2, off, s[0:3], 0 offset:260
	buffer_store_dword v1, off, s[0:3], 0 offset:256
	;; [unrolled: 1-line block ×4, first 2 shown]
.LBB49_267:
	s_or_b32 exec_lo, exec_lo, s6
	v_mov_b32_e32 v4, s43
	v_cmp_lt_u32_e64 s5, 15, v0
	s_clause 0x3
	buffer_load_dword v1, v4, s[0:3], 0 offen
	buffer_load_dword v2, v4, s[0:3], 0 offen offset:4
	buffer_load_dword v3, v4, s[0:3], 0 offen offset:8
	;; [unrolled: 1-line block ×3, first 2 shown]
	s_waitcnt vmcnt(0)
	ds_write_b128 v6, v[1:4]
	s_waitcnt lgkmcnt(0)
	s_waitcnt_vscnt null, 0x0
	s_barrier
	buffer_gl0_inv
	s_and_saveexec_b32 s6, s5
	s_cbranch_execz .LBB49_275
; %bb.268:
	ds_read_b128 v[1:4], v6
	s_andn2_b32 vcc_lo, exec_lo, s58
	s_cbranch_vccnz .LBB49_270
; %bb.269:
	s_clause 0x3
	buffer_load_dword v7, v5, s[0:3], 0 offen offset:8
	buffer_load_dword v8, v5, s[0:3], 0 offen offset:12
	buffer_load_dword v109, v5, s[0:3], 0 offen
	buffer_load_dword v110, v5, s[0:3], 0 offen offset:4
	s_waitcnt vmcnt(2) lgkmcnt(0)
	v_mul_f64 v[111:112], v[3:4], v[7:8]
	v_mul_f64 v[7:8], v[1:2], v[7:8]
	s_waitcnt vmcnt(0)
	v_fma_f64 v[1:2], v[1:2], v[109:110], -v[111:112]
	v_fma_f64 v[3:4], v[3:4], v[109:110], v[7:8]
.LBB49_270:
	s_and_saveexec_b32 s8, s4
	s_cbranch_execz .LBB49_274
; %bb.271:
	v_add_nc_u32_e32 v7, -16, v0
	s_movk_i32 s59, 0x420
	s_mov_b32 s4, 0
	s_mov_b32 s60, s42
	.p2align	6
.LBB49_272:                             ; =>This Inner Loop Header: Depth=1
	v_mov_b32_e32 v8, s60
	v_add_nc_u32_e32 v7, -1, v7
	s_add_i32 s60, s60, 16
	s_clause 0x3
	buffer_load_dword v113, v8, s[0:3], 0 offen offset:8
	buffer_load_dword v114, v8, s[0:3], 0 offen offset:12
	buffer_load_dword v115, v8, s[0:3], 0 offen
	buffer_load_dword v116, v8, s[0:3], 0 offen offset:4
	v_mov_b32_e32 v8, s59
	v_cmp_eq_u32_e32 vcc_lo, 0, v7
	s_add_i32 s59, s59, 16
	ds_read_b128 v[109:112], v8
	s_or_b32 s4, vcc_lo, s4
	s_waitcnt vmcnt(2) lgkmcnt(0)
	v_mul_f64 v[117:118], v[111:112], v[113:114]
	v_mul_f64 v[113:114], v[109:110], v[113:114]
	s_waitcnt vmcnt(0)
	v_fma_f64 v[109:110], v[109:110], v[115:116], -v[117:118]
	v_fma_f64 v[111:112], v[111:112], v[115:116], v[113:114]
	v_add_f64 v[1:2], v[1:2], v[109:110]
	v_add_f64 v[3:4], v[3:4], v[111:112]
	s_andn2_b32 exec_lo, exec_lo, s4
	s_cbranch_execnz .LBB49_272
; %bb.273:
	s_or_b32 exec_lo, exec_lo, s4
.LBB49_274:
	s_or_b32 exec_lo, exec_lo, s8
	v_mov_b32_e32 v7, 0
	ds_read_b128 v[109:112], v7 offset:240
	s_waitcnt lgkmcnt(0)
	v_mul_f64 v[7:8], v[3:4], v[111:112]
	v_mul_f64 v[111:112], v[1:2], v[111:112]
	v_fma_f64 v[1:2], v[1:2], v[109:110], -v[7:8]
	v_fma_f64 v[3:4], v[3:4], v[109:110], v[111:112]
	buffer_store_dword v2, off, s[0:3], 0 offset:244
	buffer_store_dword v1, off, s[0:3], 0 offset:240
	;; [unrolled: 1-line block ×4, first 2 shown]
.LBB49_275:
	s_or_b32 exec_lo, exec_lo, s6
	v_mov_b32_e32 v4, s44
	v_cmp_lt_u32_e64 s4, 14, v0
	s_clause 0x3
	buffer_load_dword v1, v4, s[0:3], 0 offen
	buffer_load_dword v2, v4, s[0:3], 0 offen offset:4
	buffer_load_dword v3, v4, s[0:3], 0 offen offset:8
	;; [unrolled: 1-line block ×3, first 2 shown]
	s_waitcnt vmcnt(0)
	ds_write_b128 v6, v[1:4]
	s_waitcnt lgkmcnt(0)
	s_waitcnt_vscnt null, 0x0
	s_barrier
	buffer_gl0_inv
	s_and_saveexec_b32 s6, s4
	s_cbranch_execz .LBB49_283
; %bb.276:
	ds_read_b128 v[1:4], v6
	s_andn2_b32 vcc_lo, exec_lo, s58
	s_cbranch_vccnz .LBB49_278
; %bb.277:
	s_clause 0x3
	buffer_load_dword v7, v5, s[0:3], 0 offen offset:8
	buffer_load_dword v8, v5, s[0:3], 0 offen offset:12
	buffer_load_dword v109, v5, s[0:3], 0 offen
	buffer_load_dword v110, v5, s[0:3], 0 offen offset:4
	s_waitcnt vmcnt(2) lgkmcnt(0)
	v_mul_f64 v[111:112], v[3:4], v[7:8]
	v_mul_f64 v[7:8], v[1:2], v[7:8]
	s_waitcnt vmcnt(0)
	v_fma_f64 v[1:2], v[1:2], v[109:110], -v[111:112]
	v_fma_f64 v[3:4], v[3:4], v[109:110], v[7:8]
.LBB49_278:
	s_and_saveexec_b32 s8, s5
	s_cbranch_execz .LBB49_282
; %bb.279:
	v_add_nc_u32_e32 v7, -15, v0
	s_movk_i32 s59, 0x410
	s_mov_b32 s5, 0
	s_mov_b32 s60, s43
	.p2align	6
.LBB49_280:                             ; =>This Inner Loop Header: Depth=1
	v_mov_b32_e32 v8, s60
	v_add_nc_u32_e32 v7, -1, v7
	s_add_i32 s60, s60, 16
	s_clause 0x3
	buffer_load_dword v113, v8, s[0:3], 0 offen offset:8
	buffer_load_dword v114, v8, s[0:3], 0 offen offset:12
	buffer_load_dword v115, v8, s[0:3], 0 offen
	buffer_load_dword v116, v8, s[0:3], 0 offen offset:4
	v_mov_b32_e32 v8, s59
	v_cmp_eq_u32_e32 vcc_lo, 0, v7
	s_add_i32 s59, s59, 16
	ds_read_b128 v[109:112], v8
	s_or_b32 s5, vcc_lo, s5
	s_waitcnt vmcnt(2) lgkmcnt(0)
	v_mul_f64 v[117:118], v[111:112], v[113:114]
	v_mul_f64 v[113:114], v[109:110], v[113:114]
	s_waitcnt vmcnt(0)
	v_fma_f64 v[109:110], v[109:110], v[115:116], -v[117:118]
	v_fma_f64 v[111:112], v[111:112], v[115:116], v[113:114]
	v_add_f64 v[1:2], v[1:2], v[109:110]
	v_add_f64 v[3:4], v[3:4], v[111:112]
	s_andn2_b32 exec_lo, exec_lo, s5
	s_cbranch_execnz .LBB49_280
; %bb.281:
	s_or_b32 exec_lo, exec_lo, s5
.LBB49_282:
	s_or_b32 exec_lo, exec_lo, s8
	v_mov_b32_e32 v7, 0
	ds_read_b128 v[109:112], v7 offset:224
	s_waitcnt lgkmcnt(0)
	v_mul_f64 v[7:8], v[3:4], v[111:112]
	v_mul_f64 v[111:112], v[1:2], v[111:112]
	v_fma_f64 v[1:2], v[1:2], v[109:110], -v[7:8]
	v_fma_f64 v[3:4], v[3:4], v[109:110], v[111:112]
	buffer_store_dword v2, off, s[0:3], 0 offset:228
	buffer_store_dword v1, off, s[0:3], 0 offset:224
	;; [unrolled: 1-line block ×4, first 2 shown]
.LBB49_283:
	s_or_b32 exec_lo, exec_lo, s6
	v_mov_b32_e32 v4, s45
	v_cmp_lt_u32_e64 s5, 13, v0
	s_clause 0x3
	buffer_load_dword v1, v4, s[0:3], 0 offen
	buffer_load_dword v2, v4, s[0:3], 0 offen offset:4
	buffer_load_dword v3, v4, s[0:3], 0 offen offset:8
	;; [unrolled: 1-line block ×3, first 2 shown]
	s_waitcnt vmcnt(0)
	ds_write_b128 v6, v[1:4]
	s_waitcnt lgkmcnt(0)
	s_waitcnt_vscnt null, 0x0
	s_barrier
	buffer_gl0_inv
	s_and_saveexec_b32 s6, s5
	s_cbranch_execz .LBB49_291
; %bb.284:
	ds_read_b128 v[1:4], v6
	s_andn2_b32 vcc_lo, exec_lo, s58
	s_cbranch_vccnz .LBB49_286
; %bb.285:
	s_clause 0x3
	buffer_load_dword v7, v5, s[0:3], 0 offen offset:8
	buffer_load_dword v8, v5, s[0:3], 0 offen offset:12
	buffer_load_dword v109, v5, s[0:3], 0 offen
	buffer_load_dword v110, v5, s[0:3], 0 offen offset:4
	s_waitcnt vmcnt(2) lgkmcnt(0)
	v_mul_f64 v[111:112], v[3:4], v[7:8]
	v_mul_f64 v[7:8], v[1:2], v[7:8]
	s_waitcnt vmcnt(0)
	v_fma_f64 v[1:2], v[1:2], v[109:110], -v[111:112]
	v_fma_f64 v[3:4], v[3:4], v[109:110], v[7:8]
.LBB49_286:
	s_and_saveexec_b32 s8, s4
	s_cbranch_execz .LBB49_290
; %bb.287:
	v_add_nc_u32_e32 v7, -14, v0
	s_movk_i32 s59, 0x400
	s_mov_b32 s4, 0
	s_mov_b32 s60, s44
	.p2align	6
.LBB49_288:                             ; =>This Inner Loop Header: Depth=1
	v_mov_b32_e32 v8, s60
	v_add_nc_u32_e32 v7, -1, v7
	s_add_i32 s60, s60, 16
	s_clause 0x3
	buffer_load_dword v113, v8, s[0:3], 0 offen offset:8
	buffer_load_dword v114, v8, s[0:3], 0 offen offset:12
	buffer_load_dword v115, v8, s[0:3], 0 offen
	buffer_load_dword v116, v8, s[0:3], 0 offen offset:4
	v_mov_b32_e32 v8, s59
	v_cmp_eq_u32_e32 vcc_lo, 0, v7
	s_add_i32 s59, s59, 16
	ds_read_b128 v[109:112], v8
	s_or_b32 s4, vcc_lo, s4
	s_waitcnt vmcnt(2) lgkmcnt(0)
	v_mul_f64 v[117:118], v[111:112], v[113:114]
	v_mul_f64 v[113:114], v[109:110], v[113:114]
	s_waitcnt vmcnt(0)
	v_fma_f64 v[109:110], v[109:110], v[115:116], -v[117:118]
	v_fma_f64 v[111:112], v[111:112], v[115:116], v[113:114]
	v_add_f64 v[1:2], v[1:2], v[109:110]
	v_add_f64 v[3:4], v[3:4], v[111:112]
	s_andn2_b32 exec_lo, exec_lo, s4
	s_cbranch_execnz .LBB49_288
; %bb.289:
	s_or_b32 exec_lo, exec_lo, s4
.LBB49_290:
	s_or_b32 exec_lo, exec_lo, s8
	v_mov_b32_e32 v7, 0
	ds_read_b128 v[109:112], v7 offset:208
	s_waitcnt lgkmcnt(0)
	v_mul_f64 v[7:8], v[3:4], v[111:112]
	v_mul_f64 v[111:112], v[1:2], v[111:112]
	v_fma_f64 v[1:2], v[1:2], v[109:110], -v[7:8]
	v_fma_f64 v[3:4], v[3:4], v[109:110], v[111:112]
	buffer_store_dword v2, off, s[0:3], 0 offset:212
	buffer_store_dword v1, off, s[0:3], 0 offset:208
	buffer_store_dword v4, off, s[0:3], 0 offset:220
	buffer_store_dword v3, off, s[0:3], 0 offset:216
.LBB49_291:
	s_or_b32 exec_lo, exec_lo, s6
	v_mov_b32_e32 v4, s46
	v_cmp_lt_u32_e64 s4, 12, v0
	s_clause 0x3
	buffer_load_dword v1, v4, s[0:3], 0 offen
	buffer_load_dword v2, v4, s[0:3], 0 offen offset:4
	buffer_load_dword v3, v4, s[0:3], 0 offen offset:8
	buffer_load_dword v4, v4, s[0:3], 0 offen offset:12
	s_waitcnt vmcnt(0)
	ds_write_b128 v6, v[1:4]
	s_waitcnt lgkmcnt(0)
	s_waitcnt_vscnt null, 0x0
	s_barrier
	buffer_gl0_inv
	s_and_saveexec_b32 s6, s4
	s_cbranch_execz .LBB49_299
; %bb.292:
	ds_read_b128 v[1:4], v6
	s_andn2_b32 vcc_lo, exec_lo, s58
	s_cbranch_vccnz .LBB49_294
; %bb.293:
	s_clause 0x3
	buffer_load_dword v7, v5, s[0:3], 0 offen offset:8
	buffer_load_dword v8, v5, s[0:3], 0 offen offset:12
	buffer_load_dword v109, v5, s[0:3], 0 offen
	buffer_load_dword v110, v5, s[0:3], 0 offen offset:4
	s_waitcnt vmcnt(2) lgkmcnt(0)
	v_mul_f64 v[111:112], v[3:4], v[7:8]
	v_mul_f64 v[7:8], v[1:2], v[7:8]
	s_waitcnt vmcnt(0)
	v_fma_f64 v[1:2], v[1:2], v[109:110], -v[111:112]
	v_fma_f64 v[3:4], v[3:4], v[109:110], v[7:8]
.LBB49_294:
	s_and_saveexec_b32 s8, s5
	s_cbranch_execz .LBB49_298
; %bb.295:
	v_add_nc_u32_e32 v7, -13, v0
	s_movk_i32 s59, 0x3f0
	s_mov_b32 s5, 0
	s_mov_b32 s60, s45
	.p2align	6
.LBB49_296:                             ; =>This Inner Loop Header: Depth=1
	v_mov_b32_e32 v8, s60
	v_add_nc_u32_e32 v7, -1, v7
	s_add_i32 s60, s60, 16
	s_clause 0x3
	buffer_load_dword v113, v8, s[0:3], 0 offen offset:8
	buffer_load_dword v114, v8, s[0:3], 0 offen offset:12
	buffer_load_dword v115, v8, s[0:3], 0 offen
	buffer_load_dword v116, v8, s[0:3], 0 offen offset:4
	v_mov_b32_e32 v8, s59
	v_cmp_eq_u32_e32 vcc_lo, 0, v7
	s_add_i32 s59, s59, 16
	ds_read_b128 v[109:112], v8
	s_or_b32 s5, vcc_lo, s5
	s_waitcnt vmcnt(2) lgkmcnt(0)
	v_mul_f64 v[117:118], v[111:112], v[113:114]
	v_mul_f64 v[113:114], v[109:110], v[113:114]
	s_waitcnt vmcnt(0)
	v_fma_f64 v[109:110], v[109:110], v[115:116], -v[117:118]
	v_fma_f64 v[111:112], v[111:112], v[115:116], v[113:114]
	v_add_f64 v[1:2], v[1:2], v[109:110]
	v_add_f64 v[3:4], v[3:4], v[111:112]
	s_andn2_b32 exec_lo, exec_lo, s5
	s_cbranch_execnz .LBB49_296
; %bb.297:
	s_or_b32 exec_lo, exec_lo, s5
.LBB49_298:
	s_or_b32 exec_lo, exec_lo, s8
	v_mov_b32_e32 v7, 0
	ds_read_b128 v[109:112], v7 offset:192
	s_waitcnt lgkmcnt(0)
	v_mul_f64 v[7:8], v[3:4], v[111:112]
	v_mul_f64 v[111:112], v[1:2], v[111:112]
	v_fma_f64 v[1:2], v[1:2], v[109:110], -v[7:8]
	v_fma_f64 v[3:4], v[3:4], v[109:110], v[111:112]
	buffer_store_dword v2, off, s[0:3], 0 offset:196
	buffer_store_dword v1, off, s[0:3], 0 offset:192
	;; [unrolled: 1-line block ×4, first 2 shown]
.LBB49_299:
	s_or_b32 exec_lo, exec_lo, s6
	v_mov_b32_e32 v4, s47
	v_cmp_lt_u32_e64 s5, 11, v0
	s_clause 0x3
	buffer_load_dword v1, v4, s[0:3], 0 offen
	buffer_load_dword v2, v4, s[0:3], 0 offen offset:4
	buffer_load_dword v3, v4, s[0:3], 0 offen offset:8
	;; [unrolled: 1-line block ×3, first 2 shown]
	s_waitcnt vmcnt(0)
	ds_write_b128 v6, v[1:4]
	s_waitcnt lgkmcnt(0)
	s_waitcnt_vscnt null, 0x0
	s_barrier
	buffer_gl0_inv
	s_and_saveexec_b32 s6, s5
	s_cbranch_execz .LBB49_307
; %bb.300:
	ds_read_b128 v[1:4], v6
	s_andn2_b32 vcc_lo, exec_lo, s58
	s_cbranch_vccnz .LBB49_302
; %bb.301:
	s_clause 0x3
	buffer_load_dword v7, v5, s[0:3], 0 offen offset:8
	buffer_load_dword v8, v5, s[0:3], 0 offen offset:12
	buffer_load_dword v109, v5, s[0:3], 0 offen
	buffer_load_dword v110, v5, s[0:3], 0 offen offset:4
	s_waitcnt vmcnt(2) lgkmcnt(0)
	v_mul_f64 v[111:112], v[3:4], v[7:8]
	v_mul_f64 v[7:8], v[1:2], v[7:8]
	s_waitcnt vmcnt(0)
	v_fma_f64 v[1:2], v[1:2], v[109:110], -v[111:112]
	v_fma_f64 v[3:4], v[3:4], v[109:110], v[7:8]
.LBB49_302:
	s_and_saveexec_b32 s8, s4
	s_cbranch_execz .LBB49_306
; %bb.303:
	v_add_nc_u32_e32 v7, -12, v0
	s_movk_i32 s59, 0x3e0
	s_mov_b32 s4, 0
	s_mov_b32 s60, s46
	.p2align	6
.LBB49_304:                             ; =>This Inner Loop Header: Depth=1
	v_mov_b32_e32 v8, s60
	v_add_nc_u32_e32 v7, -1, v7
	s_add_i32 s60, s60, 16
	s_clause 0x3
	buffer_load_dword v113, v8, s[0:3], 0 offen offset:8
	buffer_load_dword v114, v8, s[0:3], 0 offen offset:12
	buffer_load_dword v115, v8, s[0:3], 0 offen
	buffer_load_dword v116, v8, s[0:3], 0 offen offset:4
	v_mov_b32_e32 v8, s59
	v_cmp_eq_u32_e32 vcc_lo, 0, v7
	s_add_i32 s59, s59, 16
	ds_read_b128 v[109:112], v8
	s_or_b32 s4, vcc_lo, s4
	s_waitcnt vmcnt(2) lgkmcnt(0)
	v_mul_f64 v[117:118], v[111:112], v[113:114]
	v_mul_f64 v[113:114], v[109:110], v[113:114]
	s_waitcnt vmcnt(0)
	v_fma_f64 v[109:110], v[109:110], v[115:116], -v[117:118]
	v_fma_f64 v[111:112], v[111:112], v[115:116], v[113:114]
	v_add_f64 v[1:2], v[1:2], v[109:110]
	v_add_f64 v[3:4], v[3:4], v[111:112]
	s_andn2_b32 exec_lo, exec_lo, s4
	s_cbranch_execnz .LBB49_304
; %bb.305:
	s_or_b32 exec_lo, exec_lo, s4
.LBB49_306:
	s_or_b32 exec_lo, exec_lo, s8
	v_mov_b32_e32 v7, 0
	ds_read_b128 v[109:112], v7 offset:176
	s_waitcnt lgkmcnt(0)
	v_mul_f64 v[7:8], v[3:4], v[111:112]
	v_mul_f64 v[111:112], v[1:2], v[111:112]
	v_fma_f64 v[1:2], v[1:2], v[109:110], -v[7:8]
	v_fma_f64 v[3:4], v[3:4], v[109:110], v[111:112]
	buffer_store_dword v2, off, s[0:3], 0 offset:180
	buffer_store_dword v1, off, s[0:3], 0 offset:176
	;; [unrolled: 1-line block ×4, first 2 shown]
.LBB49_307:
	s_or_b32 exec_lo, exec_lo, s6
	v_mov_b32_e32 v4, s48
	v_cmp_lt_u32_e64 s4, 10, v0
	s_clause 0x3
	buffer_load_dword v1, v4, s[0:3], 0 offen
	buffer_load_dword v2, v4, s[0:3], 0 offen offset:4
	buffer_load_dword v3, v4, s[0:3], 0 offen offset:8
	;; [unrolled: 1-line block ×3, first 2 shown]
	s_waitcnt vmcnt(0)
	ds_write_b128 v6, v[1:4]
	s_waitcnt lgkmcnt(0)
	s_waitcnt_vscnt null, 0x0
	s_barrier
	buffer_gl0_inv
	s_and_saveexec_b32 s6, s4
	s_cbranch_execz .LBB49_315
; %bb.308:
	ds_read_b128 v[1:4], v6
	s_andn2_b32 vcc_lo, exec_lo, s58
	s_cbranch_vccnz .LBB49_310
; %bb.309:
	s_clause 0x3
	buffer_load_dword v7, v5, s[0:3], 0 offen offset:8
	buffer_load_dword v8, v5, s[0:3], 0 offen offset:12
	buffer_load_dword v109, v5, s[0:3], 0 offen
	buffer_load_dword v110, v5, s[0:3], 0 offen offset:4
	s_waitcnt vmcnt(2) lgkmcnt(0)
	v_mul_f64 v[111:112], v[3:4], v[7:8]
	v_mul_f64 v[7:8], v[1:2], v[7:8]
	s_waitcnt vmcnt(0)
	v_fma_f64 v[1:2], v[1:2], v[109:110], -v[111:112]
	v_fma_f64 v[3:4], v[3:4], v[109:110], v[7:8]
.LBB49_310:
	s_and_saveexec_b32 s8, s5
	s_cbranch_execz .LBB49_314
; %bb.311:
	v_add_nc_u32_e32 v7, -11, v0
	s_movk_i32 s59, 0x3d0
	s_mov_b32 s5, 0
	s_mov_b32 s60, s47
	.p2align	6
.LBB49_312:                             ; =>This Inner Loop Header: Depth=1
	v_mov_b32_e32 v8, s60
	v_add_nc_u32_e32 v7, -1, v7
	s_add_i32 s60, s60, 16
	s_clause 0x3
	buffer_load_dword v113, v8, s[0:3], 0 offen offset:8
	buffer_load_dword v114, v8, s[0:3], 0 offen offset:12
	buffer_load_dword v115, v8, s[0:3], 0 offen
	buffer_load_dword v116, v8, s[0:3], 0 offen offset:4
	v_mov_b32_e32 v8, s59
	v_cmp_eq_u32_e32 vcc_lo, 0, v7
	s_add_i32 s59, s59, 16
	ds_read_b128 v[109:112], v8
	s_or_b32 s5, vcc_lo, s5
	s_waitcnt vmcnt(2) lgkmcnt(0)
	v_mul_f64 v[117:118], v[111:112], v[113:114]
	v_mul_f64 v[113:114], v[109:110], v[113:114]
	s_waitcnt vmcnt(0)
	v_fma_f64 v[109:110], v[109:110], v[115:116], -v[117:118]
	v_fma_f64 v[111:112], v[111:112], v[115:116], v[113:114]
	v_add_f64 v[1:2], v[1:2], v[109:110]
	v_add_f64 v[3:4], v[3:4], v[111:112]
	s_andn2_b32 exec_lo, exec_lo, s5
	s_cbranch_execnz .LBB49_312
; %bb.313:
	s_or_b32 exec_lo, exec_lo, s5
.LBB49_314:
	s_or_b32 exec_lo, exec_lo, s8
	v_mov_b32_e32 v7, 0
	ds_read_b128 v[109:112], v7 offset:160
	s_waitcnt lgkmcnt(0)
	v_mul_f64 v[7:8], v[3:4], v[111:112]
	v_mul_f64 v[111:112], v[1:2], v[111:112]
	v_fma_f64 v[1:2], v[1:2], v[109:110], -v[7:8]
	v_fma_f64 v[3:4], v[3:4], v[109:110], v[111:112]
	buffer_store_dword v2, off, s[0:3], 0 offset:164
	buffer_store_dword v1, off, s[0:3], 0 offset:160
	;; [unrolled: 1-line block ×4, first 2 shown]
.LBB49_315:
	s_or_b32 exec_lo, exec_lo, s6
	v_mov_b32_e32 v4, s49
	v_cmp_lt_u32_e64 s5, 9, v0
	s_clause 0x3
	buffer_load_dword v1, v4, s[0:3], 0 offen
	buffer_load_dword v2, v4, s[0:3], 0 offen offset:4
	buffer_load_dword v3, v4, s[0:3], 0 offen offset:8
	;; [unrolled: 1-line block ×3, first 2 shown]
	s_waitcnt vmcnt(0)
	ds_write_b128 v6, v[1:4]
	s_waitcnt lgkmcnt(0)
	s_waitcnt_vscnt null, 0x0
	s_barrier
	buffer_gl0_inv
	s_and_saveexec_b32 s6, s5
	s_cbranch_execz .LBB49_323
; %bb.316:
	ds_read_b128 v[1:4], v6
	s_andn2_b32 vcc_lo, exec_lo, s58
	s_cbranch_vccnz .LBB49_318
; %bb.317:
	s_clause 0x3
	buffer_load_dword v7, v5, s[0:3], 0 offen offset:8
	buffer_load_dword v8, v5, s[0:3], 0 offen offset:12
	buffer_load_dword v109, v5, s[0:3], 0 offen
	buffer_load_dword v110, v5, s[0:3], 0 offen offset:4
	s_waitcnt vmcnt(2) lgkmcnt(0)
	v_mul_f64 v[111:112], v[3:4], v[7:8]
	v_mul_f64 v[7:8], v[1:2], v[7:8]
	s_waitcnt vmcnt(0)
	v_fma_f64 v[1:2], v[1:2], v[109:110], -v[111:112]
	v_fma_f64 v[3:4], v[3:4], v[109:110], v[7:8]
.LBB49_318:
	s_and_saveexec_b32 s8, s4
	s_cbranch_execz .LBB49_322
; %bb.319:
	v_add_nc_u32_e32 v7, -10, v0
	s_movk_i32 s59, 0x3c0
	s_mov_b32 s4, 0
	s_mov_b32 s60, s48
	.p2align	6
.LBB49_320:                             ; =>This Inner Loop Header: Depth=1
	v_mov_b32_e32 v8, s60
	v_add_nc_u32_e32 v7, -1, v7
	s_add_i32 s60, s60, 16
	s_clause 0x3
	buffer_load_dword v113, v8, s[0:3], 0 offen offset:8
	buffer_load_dword v114, v8, s[0:3], 0 offen offset:12
	buffer_load_dword v115, v8, s[0:3], 0 offen
	buffer_load_dword v116, v8, s[0:3], 0 offen offset:4
	v_mov_b32_e32 v8, s59
	v_cmp_eq_u32_e32 vcc_lo, 0, v7
	s_add_i32 s59, s59, 16
	ds_read_b128 v[109:112], v8
	s_or_b32 s4, vcc_lo, s4
	s_waitcnt vmcnt(2) lgkmcnt(0)
	v_mul_f64 v[117:118], v[111:112], v[113:114]
	v_mul_f64 v[113:114], v[109:110], v[113:114]
	s_waitcnt vmcnt(0)
	v_fma_f64 v[109:110], v[109:110], v[115:116], -v[117:118]
	v_fma_f64 v[111:112], v[111:112], v[115:116], v[113:114]
	v_add_f64 v[1:2], v[1:2], v[109:110]
	v_add_f64 v[3:4], v[3:4], v[111:112]
	s_andn2_b32 exec_lo, exec_lo, s4
	s_cbranch_execnz .LBB49_320
; %bb.321:
	s_or_b32 exec_lo, exec_lo, s4
.LBB49_322:
	s_or_b32 exec_lo, exec_lo, s8
	v_mov_b32_e32 v7, 0
	ds_read_b128 v[109:112], v7 offset:144
	s_waitcnt lgkmcnt(0)
	v_mul_f64 v[7:8], v[3:4], v[111:112]
	v_mul_f64 v[111:112], v[1:2], v[111:112]
	v_fma_f64 v[1:2], v[1:2], v[109:110], -v[7:8]
	v_fma_f64 v[3:4], v[3:4], v[109:110], v[111:112]
	buffer_store_dword v2, off, s[0:3], 0 offset:148
	buffer_store_dword v1, off, s[0:3], 0 offset:144
	;; [unrolled: 1-line block ×4, first 2 shown]
.LBB49_323:
	s_or_b32 exec_lo, exec_lo, s6
	v_mov_b32_e32 v4, s50
	v_cmp_lt_u32_e64 s4, 8, v0
	s_clause 0x3
	buffer_load_dword v1, v4, s[0:3], 0 offen
	buffer_load_dword v2, v4, s[0:3], 0 offen offset:4
	buffer_load_dword v3, v4, s[0:3], 0 offen offset:8
	;; [unrolled: 1-line block ×3, first 2 shown]
	s_waitcnt vmcnt(0)
	ds_write_b128 v6, v[1:4]
	s_waitcnt lgkmcnt(0)
	s_waitcnt_vscnt null, 0x0
	s_barrier
	buffer_gl0_inv
	s_and_saveexec_b32 s6, s4
	s_cbranch_execz .LBB49_331
; %bb.324:
	ds_read_b128 v[1:4], v6
	s_andn2_b32 vcc_lo, exec_lo, s58
	s_cbranch_vccnz .LBB49_326
; %bb.325:
	s_clause 0x3
	buffer_load_dword v7, v5, s[0:3], 0 offen offset:8
	buffer_load_dword v8, v5, s[0:3], 0 offen offset:12
	buffer_load_dword v109, v5, s[0:3], 0 offen
	buffer_load_dword v110, v5, s[0:3], 0 offen offset:4
	s_waitcnt vmcnt(2) lgkmcnt(0)
	v_mul_f64 v[111:112], v[3:4], v[7:8]
	v_mul_f64 v[7:8], v[1:2], v[7:8]
	s_waitcnt vmcnt(0)
	v_fma_f64 v[1:2], v[1:2], v[109:110], -v[111:112]
	v_fma_f64 v[3:4], v[3:4], v[109:110], v[7:8]
.LBB49_326:
	s_and_saveexec_b32 s8, s5
	s_cbranch_execz .LBB49_330
; %bb.327:
	v_add_nc_u32_e32 v7, -9, v0
	s_movk_i32 s59, 0x3b0
	s_mov_b32 s5, 0
	s_mov_b32 s60, s49
	.p2align	6
.LBB49_328:                             ; =>This Inner Loop Header: Depth=1
	v_mov_b32_e32 v8, s60
	v_add_nc_u32_e32 v7, -1, v7
	s_add_i32 s60, s60, 16
	s_clause 0x3
	buffer_load_dword v113, v8, s[0:3], 0 offen offset:8
	buffer_load_dword v114, v8, s[0:3], 0 offen offset:12
	buffer_load_dword v115, v8, s[0:3], 0 offen
	buffer_load_dword v116, v8, s[0:3], 0 offen offset:4
	v_mov_b32_e32 v8, s59
	v_cmp_eq_u32_e32 vcc_lo, 0, v7
	s_add_i32 s59, s59, 16
	ds_read_b128 v[109:112], v8
	s_or_b32 s5, vcc_lo, s5
	s_waitcnt vmcnt(2) lgkmcnt(0)
	v_mul_f64 v[117:118], v[111:112], v[113:114]
	v_mul_f64 v[113:114], v[109:110], v[113:114]
	s_waitcnt vmcnt(0)
	v_fma_f64 v[109:110], v[109:110], v[115:116], -v[117:118]
	v_fma_f64 v[111:112], v[111:112], v[115:116], v[113:114]
	v_add_f64 v[1:2], v[1:2], v[109:110]
	v_add_f64 v[3:4], v[3:4], v[111:112]
	s_andn2_b32 exec_lo, exec_lo, s5
	s_cbranch_execnz .LBB49_328
; %bb.329:
	s_or_b32 exec_lo, exec_lo, s5
.LBB49_330:
	s_or_b32 exec_lo, exec_lo, s8
	v_mov_b32_e32 v7, 0
	ds_read_b128 v[109:112], v7 offset:128
	s_waitcnt lgkmcnt(0)
	v_mul_f64 v[7:8], v[3:4], v[111:112]
	v_mul_f64 v[111:112], v[1:2], v[111:112]
	v_fma_f64 v[1:2], v[1:2], v[109:110], -v[7:8]
	v_fma_f64 v[3:4], v[3:4], v[109:110], v[111:112]
	buffer_store_dword v2, off, s[0:3], 0 offset:132
	buffer_store_dword v1, off, s[0:3], 0 offset:128
	;; [unrolled: 1-line block ×4, first 2 shown]
.LBB49_331:
	s_or_b32 exec_lo, exec_lo, s6
	v_mov_b32_e32 v4, s51
	v_cmp_lt_u32_e64 s5, 7, v0
	s_clause 0x3
	buffer_load_dword v1, v4, s[0:3], 0 offen
	buffer_load_dword v2, v4, s[0:3], 0 offen offset:4
	buffer_load_dword v3, v4, s[0:3], 0 offen offset:8
	buffer_load_dword v4, v4, s[0:3], 0 offen offset:12
	s_waitcnt vmcnt(0)
	ds_write_b128 v6, v[1:4]
	s_waitcnt lgkmcnt(0)
	s_waitcnt_vscnt null, 0x0
	s_barrier
	buffer_gl0_inv
	s_and_saveexec_b32 s6, s5
	s_cbranch_execz .LBB49_339
; %bb.332:
	ds_read_b128 v[1:4], v6
	s_andn2_b32 vcc_lo, exec_lo, s58
	s_cbranch_vccnz .LBB49_334
; %bb.333:
	s_clause 0x3
	buffer_load_dword v7, v5, s[0:3], 0 offen offset:8
	buffer_load_dword v8, v5, s[0:3], 0 offen offset:12
	buffer_load_dword v109, v5, s[0:3], 0 offen
	buffer_load_dword v110, v5, s[0:3], 0 offen offset:4
	s_waitcnt vmcnt(2) lgkmcnt(0)
	v_mul_f64 v[111:112], v[3:4], v[7:8]
	v_mul_f64 v[7:8], v[1:2], v[7:8]
	s_waitcnt vmcnt(0)
	v_fma_f64 v[1:2], v[1:2], v[109:110], -v[111:112]
	v_fma_f64 v[3:4], v[3:4], v[109:110], v[7:8]
.LBB49_334:
	s_and_saveexec_b32 s8, s4
	s_cbranch_execz .LBB49_338
; %bb.335:
	v_add_nc_u32_e32 v7, -8, v0
	s_movk_i32 s59, 0x3a0
	s_mov_b32 s4, 0
	s_mov_b32 s60, s50
	.p2align	6
.LBB49_336:                             ; =>This Inner Loop Header: Depth=1
	v_mov_b32_e32 v8, s60
	v_add_nc_u32_e32 v7, -1, v7
	s_add_i32 s60, s60, 16
	s_clause 0x3
	buffer_load_dword v113, v8, s[0:3], 0 offen offset:8
	buffer_load_dword v114, v8, s[0:3], 0 offen offset:12
	buffer_load_dword v115, v8, s[0:3], 0 offen
	buffer_load_dword v116, v8, s[0:3], 0 offen offset:4
	v_mov_b32_e32 v8, s59
	v_cmp_eq_u32_e32 vcc_lo, 0, v7
	s_add_i32 s59, s59, 16
	ds_read_b128 v[109:112], v8
	s_or_b32 s4, vcc_lo, s4
	s_waitcnt vmcnt(2) lgkmcnt(0)
	v_mul_f64 v[117:118], v[111:112], v[113:114]
	v_mul_f64 v[113:114], v[109:110], v[113:114]
	s_waitcnt vmcnt(0)
	v_fma_f64 v[109:110], v[109:110], v[115:116], -v[117:118]
	v_fma_f64 v[111:112], v[111:112], v[115:116], v[113:114]
	v_add_f64 v[1:2], v[1:2], v[109:110]
	v_add_f64 v[3:4], v[3:4], v[111:112]
	s_andn2_b32 exec_lo, exec_lo, s4
	s_cbranch_execnz .LBB49_336
; %bb.337:
	s_or_b32 exec_lo, exec_lo, s4
.LBB49_338:
	s_or_b32 exec_lo, exec_lo, s8
	v_mov_b32_e32 v7, 0
	ds_read_b128 v[109:112], v7 offset:112
	s_waitcnt lgkmcnt(0)
	v_mul_f64 v[7:8], v[3:4], v[111:112]
	v_mul_f64 v[111:112], v[1:2], v[111:112]
	v_fma_f64 v[1:2], v[1:2], v[109:110], -v[7:8]
	v_fma_f64 v[3:4], v[3:4], v[109:110], v[111:112]
	buffer_store_dword v2, off, s[0:3], 0 offset:116
	buffer_store_dword v1, off, s[0:3], 0 offset:112
	;; [unrolled: 1-line block ×4, first 2 shown]
.LBB49_339:
	s_or_b32 exec_lo, exec_lo, s6
	v_mov_b32_e32 v4, s52
	v_cmp_lt_u32_e64 s4, 6, v0
	s_clause 0x3
	buffer_load_dword v1, v4, s[0:3], 0 offen
	buffer_load_dword v2, v4, s[0:3], 0 offen offset:4
	buffer_load_dword v3, v4, s[0:3], 0 offen offset:8
	;; [unrolled: 1-line block ×3, first 2 shown]
	s_waitcnt vmcnt(0)
	ds_write_b128 v6, v[1:4]
	s_waitcnt lgkmcnt(0)
	s_waitcnt_vscnt null, 0x0
	s_barrier
	buffer_gl0_inv
	s_and_saveexec_b32 s6, s4
	s_cbranch_execz .LBB49_347
; %bb.340:
	ds_read_b128 v[1:4], v6
	s_andn2_b32 vcc_lo, exec_lo, s58
	s_cbranch_vccnz .LBB49_342
; %bb.341:
	s_clause 0x3
	buffer_load_dword v7, v5, s[0:3], 0 offen offset:8
	buffer_load_dword v8, v5, s[0:3], 0 offen offset:12
	buffer_load_dword v109, v5, s[0:3], 0 offen
	buffer_load_dword v110, v5, s[0:3], 0 offen offset:4
	s_waitcnt vmcnt(2) lgkmcnt(0)
	v_mul_f64 v[111:112], v[3:4], v[7:8]
	v_mul_f64 v[7:8], v[1:2], v[7:8]
	s_waitcnt vmcnt(0)
	v_fma_f64 v[1:2], v[1:2], v[109:110], -v[111:112]
	v_fma_f64 v[3:4], v[3:4], v[109:110], v[7:8]
.LBB49_342:
	s_and_saveexec_b32 s8, s5
	s_cbranch_execz .LBB49_346
; %bb.343:
	v_add_nc_u32_e32 v7, -7, v0
	s_movk_i32 s59, 0x390
	s_mov_b32 s5, 0
	s_mov_b32 s60, s51
	.p2align	6
.LBB49_344:                             ; =>This Inner Loop Header: Depth=1
	v_mov_b32_e32 v8, s60
	v_add_nc_u32_e32 v7, -1, v7
	s_add_i32 s60, s60, 16
	s_clause 0x3
	buffer_load_dword v113, v8, s[0:3], 0 offen offset:8
	buffer_load_dword v114, v8, s[0:3], 0 offen offset:12
	buffer_load_dword v115, v8, s[0:3], 0 offen
	buffer_load_dword v116, v8, s[0:3], 0 offen offset:4
	v_mov_b32_e32 v8, s59
	v_cmp_eq_u32_e32 vcc_lo, 0, v7
	s_add_i32 s59, s59, 16
	ds_read_b128 v[109:112], v8
	s_or_b32 s5, vcc_lo, s5
	s_waitcnt vmcnt(2) lgkmcnt(0)
	v_mul_f64 v[117:118], v[111:112], v[113:114]
	v_mul_f64 v[113:114], v[109:110], v[113:114]
	s_waitcnt vmcnt(0)
	v_fma_f64 v[109:110], v[109:110], v[115:116], -v[117:118]
	v_fma_f64 v[111:112], v[111:112], v[115:116], v[113:114]
	v_add_f64 v[1:2], v[1:2], v[109:110]
	v_add_f64 v[3:4], v[3:4], v[111:112]
	s_andn2_b32 exec_lo, exec_lo, s5
	s_cbranch_execnz .LBB49_344
; %bb.345:
	s_or_b32 exec_lo, exec_lo, s5
.LBB49_346:
	s_or_b32 exec_lo, exec_lo, s8
	v_mov_b32_e32 v7, 0
	ds_read_b128 v[109:112], v7 offset:96
	s_waitcnt lgkmcnt(0)
	v_mul_f64 v[7:8], v[3:4], v[111:112]
	v_mul_f64 v[111:112], v[1:2], v[111:112]
	v_fma_f64 v[1:2], v[1:2], v[109:110], -v[7:8]
	v_fma_f64 v[3:4], v[3:4], v[109:110], v[111:112]
	buffer_store_dword v2, off, s[0:3], 0 offset:100
	buffer_store_dword v1, off, s[0:3], 0 offset:96
	;; [unrolled: 1-line block ×4, first 2 shown]
.LBB49_347:
	s_or_b32 exec_lo, exec_lo, s6
	v_mov_b32_e32 v4, s53
	v_cmp_lt_u32_e64 s5, 5, v0
	s_clause 0x3
	buffer_load_dword v1, v4, s[0:3], 0 offen
	buffer_load_dword v2, v4, s[0:3], 0 offen offset:4
	buffer_load_dword v3, v4, s[0:3], 0 offen offset:8
	;; [unrolled: 1-line block ×3, first 2 shown]
	s_waitcnt vmcnt(0)
	ds_write_b128 v6, v[1:4]
	s_waitcnt lgkmcnt(0)
	s_waitcnt_vscnt null, 0x0
	s_barrier
	buffer_gl0_inv
	s_and_saveexec_b32 s6, s5
	s_cbranch_execz .LBB49_355
; %bb.348:
	ds_read_b128 v[1:4], v6
	s_andn2_b32 vcc_lo, exec_lo, s58
	s_cbranch_vccnz .LBB49_350
; %bb.349:
	s_clause 0x3
	buffer_load_dword v7, v5, s[0:3], 0 offen offset:8
	buffer_load_dword v8, v5, s[0:3], 0 offen offset:12
	buffer_load_dword v109, v5, s[0:3], 0 offen
	buffer_load_dword v110, v5, s[0:3], 0 offen offset:4
	s_waitcnt vmcnt(2) lgkmcnt(0)
	v_mul_f64 v[111:112], v[3:4], v[7:8]
	v_mul_f64 v[7:8], v[1:2], v[7:8]
	s_waitcnt vmcnt(0)
	v_fma_f64 v[1:2], v[1:2], v[109:110], -v[111:112]
	v_fma_f64 v[3:4], v[3:4], v[109:110], v[7:8]
.LBB49_350:
	s_and_saveexec_b32 s8, s4
	s_cbranch_execz .LBB49_354
; %bb.351:
	v_add_nc_u32_e32 v7, -6, v0
	s_movk_i32 s59, 0x380
	s_mov_b32 s4, 0
	s_mov_b32 s60, s52
	.p2align	6
.LBB49_352:                             ; =>This Inner Loop Header: Depth=1
	v_mov_b32_e32 v8, s60
	v_add_nc_u32_e32 v7, -1, v7
	s_add_i32 s60, s60, 16
	s_clause 0x3
	buffer_load_dword v113, v8, s[0:3], 0 offen offset:8
	buffer_load_dword v114, v8, s[0:3], 0 offen offset:12
	buffer_load_dword v115, v8, s[0:3], 0 offen
	buffer_load_dword v116, v8, s[0:3], 0 offen offset:4
	v_mov_b32_e32 v8, s59
	v_cmp_eq_u32_e32 vcc_lo, 0, v7
	s_add_i32 s59, s59, 16
	ds_read_b128 v[109:112], v8
	s_or_b32 s4, vcc_lo, s4
	s_waitcnt vmcnt(2) lgkmcnt(0)
	v_mul_f64 v[117:118], v[111:112], v[113:114]
	v_mul_f64 v[113:114], v[109:110], v[113:114]
	s_waitcnt vmcnt(0)
	v_fma_f64 v[109:110], v[109:110], v[115:116], -v[117:118]
	v_fma_f64 v[111:112], v[111:112], v[115:116], v[113:114]
	v_add_f64 v[1:2], v[1:2], v[109:110]
	v_add_f64 v[3:4], v[3:4], v[111:112]
	s_andn2_b32 exec_lo, exec_lo, s4
	s_cbranch_execnz .LBB49_352
; %bb.353:
	s_or_b32 exec_lo, exec_lo, s4
.LBB49_354:
	s_or_b32 exec_lo, exec_lo, s8
	v_mov_b32_e32 v7, 0
	ds_read_b128 v[109:112], v7 offset:80
	s_waitcnt lgkmcnt(0)
	v_mul_f64 v[7:8], v[3:4], v[111:112]
	v_mul_f64 v[111:112], v[1:2], v[111:112]
	v_fma_f64 v[1:2], v[1:2], v[109:110], -v[7:8]
	v_fma_f64 v[3:4], v[3:4], v[109:110], v[111:112]
	buffer_store_dword v2, off, s[0:3], 0 offset:84
	buffer_store_dword v1, off, s[0:3], 0 offset:80
	;; [unrolled: 1-line block ×4, first 2 shown]
.LBB49_355:
	s_or_b32 exec_lo, exec_lo, s6
	v_mov_b32_e32 v4, s54
	v_cmp_lt_u32_e64 s4, 4, v0
	s_clause 0x3
	buffer_load_dword v1, v4, s[0:3], 0 offen
	buffer_load_dword v2, v4, s[0:3], 0 offen offset:4
	buffer_load_dword v3, v4, s[0:3], 0 offen offset:8
	buffer_load_dword v4, v4, s[0:3], 0 offen offset:12
	s_waitcnt vmcnt(0)
	ds_write_b128 v6, v[1:4]
	s_waitcnt lgkmcnt(0)
	s_waitcnt_vscnt null, 0x0
	s_barrier
	buffer_gl0_inv
	s_and_saveexec_b32 s6, s4
	s_cbranch_execz .LBB49_363
; %bb.356:
	ds_read_b128 v[1:4], v6
	s_andn2_b32 vcc_lo, exec_lo, s58
	s_cbranch_vccnz .LBB49_358
; %bb.357:
	s_clause 0x3
	buffer_load_dword v7, v5, s[0:3], 0 offen offset:8
	buffer_load_dword v8, v5, s[0:3], 0 offen offset:12
	buffer_load_dword v109, v5, s[0:3], 0 offen
	buffer_load_dword v110, v5, s[0:3], 0 offen offset:4
	s_waitcnt vmcnt(2) lgkmcnt(0)
	v_mul_f64 v[111:112], v[3:4], v[7:8]
	v_mul_f64 v[7:8], v[1:2], v[7:8]
	s_waitcnt vmcnt(0)
	v_fma_f64 v[1:2], v[1:2], v[109:110], -v[111:112]
	v_fma_f64 v[3:4], v[3:4], v[109:110], v[7:8]
.LBB49_358:
	s_and_saveexec_b32 s8, s5
	s_cbranch_execz .LBB49_362
; %bb.359:
	v_add_nc_u32_e32 v7, -5, v0
	s_movk_i32 s59, 0x370
	s_mov_b32 s5, 0
	s_mov_b32 s60, s53
	.p2align	6
.LBB49_360:                             ; =>This Inner Loop Header: Depth=1
	v_mov_b32_e32 v8, s60
	v_add_nc_u32_e32 v7, -1, v7
	s_add_i32 s60, s60, 16
	s_clause 0x3
	buffer_load_dword v113, v8, s[0:3], 0 offen offset:8
	buffer_load_dword v114, v8, s[0:3], 0 offen offset:12
	buffer_load_dword v115, v8, s[0:3], 0 offen
	buffer_load_dword v116, v8, s[0:3], 0 offen offset:4
	v_mov_b32_e32 v8, s59
	v_cmp_eq_u32_e32 vcc_lo, 0, v7
	s_add_i32 s59, s59, 16
	ds_read_b128 v[109:112], v8
	s_or_b32 s5, vcc_lo, s5
	s_waitcnt vmcnt(2) lgkmcnt(0)
	v_mul_f64 v[117:118], v[111:112], v[113:114]
	v_mul_f64 v[113:114], v[109:110], v[113:114]
	s_waitcnt vmcnt(0)
	v_fma_f64 v[109:110], v[109:110], v[115:116], -v[117:118]
	v_fma_f64 v[111:112], v[111:112], v[115:116], v[113:114]
	v_add_f64 v[1:2], v[1:2], v[109:110]
	v_add_f64 v[3:4], v[3:4], v[111:112]
	s_andn2_b32 exec_lo, exec_lo, s5
	s_cbranch_execnz .LBB49_360
; %bb.361:
	s_or_b32 exec_lo, exec_lo, s5
.LBB49_362:
	s_or_b32 exec_lo, exec_lo, s8
	v_mov_b32_e32 v7, 0
	ds_read_b128 v[109:112], v7 offset:64
	s_waitcnt lgkmcnt(0)
	v_mul_f64 v[7:8], v[3:4], v[111:112]
	v_mul_f64 v[111:112], v[1:2], v[111:112]
	v_fma_f64 v[1:2], v[1:2], v[109:110], -v[7:8]
	v_fma_f64 v[3:4], v[3:4], v[109:110], v[111:112]
	buffer_store_dword v2, off, s[0:3], 0 offset:68
	buffer_store_dword v1, off, s[0:3], 0 offset:64
	;; [unrolled: 1-line block ×4, first 2 shown]
.LBB49_363:
	s_or_b32 exec_lo, exec_lo, s6
	v_mov_b32_e32 v4, s55
	v_cmp_lt_u32_e64 s5, 3, v0
	s_clause 0x3
	buffer_load_dword v1, v4, s[0:3], 0 offen
	buffer_load_dword v2, v4, s[0:3], 0 offen offset:4
	buffer_load_dword v3, v4, s[0:3], 0 offen offset:8
	;; [unrolled: 1-line block ×3, first 2 shown]
	s_waitcnt vmcnt(0)
	ds_write_b128 v6, v[1:4]
	s_waitcnt lgkmcnt(0)
	s_waitcnt_vscnt null, 0x0
	s_barrier
	buffer_gl0_inv
	s_and_saveexec_b32 s6, s5
	s_cbranch_execz .LBB49_371
; %bb.364:
	ds_read_b128 v[1:4], v6
	s_andn2_b32 vcc_lo, exec_lo, s58
	s_cbranch_vccnz .LBB49_366
; %bb.365:
	s_clause 0x3
	buffer_load_dword v7, v5, s[0:3], 0 offen offset:8
	buffer_load_dword v8, v5, s[0:3], 0 offen offset:12
	buffer_load_dword v109, v5, s[0:3], 0 offen
	buffer_load_dword v110, v5, s[0:3], 0 offen offset:4
	s_waitcnt vmcnt(2) lgkmcnt(0)
	v_mul_f64 v[111:112], v[3:4], v[7:8]
	v_mul_f64 v[7:8], v[1:2], v[7:8]
	s_waitcnt vmcnt(0)
	v_fma_f64 v[1:2], v[1:2], v[109:110], -v[111:112]
	v_fma_f64 v[3:4], v[3:4], v[109:110], v[7:8]
.LBB49_366:
	s_and_saveexec_b32 s8, s4
	s_cbranch_execz .LBB49_370
; %bb.367:
	v_add_nc_u32_e32 v7, -4, v0
	s_movk_i32 s59, 0x360
	s_mov_b32 s4, 0
	s_mov_b32 s60, s54
	.p2align	6
.LBB49_368:                             ; =>This Inner Loop Header: Depth=1
	v_mov_b32_e32 v8, s60
	v_add_nc_u32_e32 v7, -1, v7
	s_add_i32 s60, s60, 16
	s_clause 0x3
	buffer_load_dword v113, v8, s[0:3], 0 offen offset:8
	buffer_load_dword v114, v8, s[0:3], 0 offen offset:12
	buffer_load_dword v115, v8, s[0:3], 0 offen
	buffer_load_dword v116, v8, s[0:3], 0 offen offset:4
	v_mov_b32_e32 v8, s59
	v_cmp_eq_u32_e32 vcc_lo, 0, v7
	s_add_i32 s59, s59, 16
	ds_read_b128 v[109:112], v8
	s_or_b32 s4, vcc_lo, s4
	s_waitcnt vmcnt(2) lgkmcnt(0)
	v_mul_f64 v[117:118], v[111:112], v[113:114]
	v_mul_f64 v[113:114], v[109:110], v[113:114]
	s_waitcnt vmcnt(0)
	v_fma_f64 v[109:110], v[109:110], v[115:116], -v[117:118]
	v_fma_f64 v[111:112], v[111:112], v[115:116], v[113:114]
	v_add_f64 v[1:2], v[1:2], v[109:110]
	v_add_f64 v[3:4], v[3:4], v[111:112]
	s_andn2_b32 exec_lo, exec_lo, s4
	s_cbranch_execnz .LBB49_368
; %bb.369:
	s_or_b32 exec_lo, exec_lo, s4
.LBB49_370:
	s_or_b32 exec_lo, exec_lo, s8
	v_mov_b32_e32 v7, 0
	ds_read_b128 v[109:112], v7 offset:48
	s_waitcnt lgkmcnt(0)
	v_mul_f64 v[7:8], v[3:4], v[111:112]
	v_mul_f64 v[111:112], v[1:2], v[111:112]
	v_fma_f64 v[1:2], v[1:2], v[109:110], -v[7:8]
	v_fma_f64 v[3:4], v[3:4], v[109:110], v[111:112]
	buffer_store_dword v2, off, s[0:3], 0 offset:52
	buffer_store_dword v1, off, s[0:3], 0 offset:48
	buffer_store_dword v4, off, s[0:3], 0 offset:60
	buffer_store_dword v3, off, s[0:3], 0 offset:56
.LBB49_371:
	s_or_b32 exec_lo, exec_lo, s6
	v_mov_b32_e32 v4, s57
	v_cmp_lt_u32_e64 s6, 2, v0
	s_clause 0x3
	buffer_load_dword v1, v4, s[0:3], 0 offen
	buffer_load_dword v2, v4, s[0:3], 0 offen offset:4
	buffer_load_dword v3, v4, s[0:3], 0 offen offset:8
	buffer_load_dword v4, v4, s[0:3], 0 offen offset:12
	s_waitcnt vmcnt(0)
	ds_write_b128 v6, v[1:4]
	s_waitcnt lgkmcnt(0)
	s_waitcnt_vscnt null, 0x0
	s_barrier
	buffer_gl0_inv
	s_and_saveexec_b32 s4, s6
	s_cbranch_execz .LBB49_379
; %bb.372:
	ds_read_b128 v[1:4], v6
	s_andn2_b32 vcc_lo, exec_lo, s58
	s_cbranch_vccnz .LBB49_374
; %bb.373:
	s_clause 0x3
	buffer_load_dword v7, v5, s[0:3], 0 offen offset:8
	buffer_load_dword v8, v5, s[0:3], 0 offen offset:12
	buffer_load_dword v109, v5, s[0:3], 0 offen
	buffer_load_dword v110, v5, s[0:3], 0 offen offset:4
	s_waitcnt vmcnt(2) lgkmcnt(0)
	v_mul_f64 v[111:112], v[3:4], v[7:8]
	v_mul_f64 v[7:8], v[1:2], v[7:8]
	s_waitcnt vmcnt(0)
	v_fma_f64 v[1:2], v[1:2], v[109:110], -v[111:112]
	v_fma_f64 v[3:4], v[3:4], v[109:110], v[7:8]
.LBB49_374:
	s_and_saveexec_b32 s8, s5
	s_cbranch_execz .LBB49_378
; %bb.375:
	v_add_nc_u32_e32 v7, -3, v0
	s_movk_i32 s59, 0x350
	s_mov_b32 s5, 0
	s_mov_b32 s60, s55
	.p2align	6
.LBB49_376:                             ; =>This Inner Loop Header: Depth=1
	v_mov_b32_e32 v8, s60
	v_add_nc_u32_e32 v7, -1, v7
	s_add_i32 s60, s60, 16
	s_clause 0x3
	buffer_load_dword v113, v8, s[0:3], 0 offen offset:8
	buffer_load_dword v114, v8, s[0:3], 0 offen offset:12
	buffer_load_dword v115, v8, s[0:3], 0 offen
	buffer_load_dword v116, v8, s[0:3], 0 offen offset:4
	v_mov_b32_e32 v8, s59
	v_cmp_eq_u32_e32 vcc_lo, 0, v7
	s_add_i32 s59, s59, 16
	ds_read_b128 v[109:112], v8
	s_or_b32 s5, vcc_lo, s5
	s_waitcnt vmcnt(2) lgkmcnt(0)
	v_mul_f64 v[117:118], v[111:112], v[113:114]
	v_mul_f64 v[113:114], v[109:110], v[113:114]
	s_waitcnt vmcnt(0)
	v_fma_f64 v[109:110], v[109:110], v[115:116], -v[117:118]
	v_fma_f64 v[111:112], v[111:112], v[115:116], v[113:114]
	v_add_f64 v[1:2], v[1:2], v[109:110]
	v_add_f64 v[3:4], v[3:4], v[111:112]
	s_andn2_b32 exec_lo, exec_lo, s5
	s_cbranch_execnz .LBB49_376
; %bb.377:
	s_or_b32 exec_lo, exec_lo, s5
.LBB49_378:
	s_or_b32 exec_lo, exec_lo, s8
	v_mov_b32_e32 v7, 0
	ds_read_b128 v[109:112], v7 offset:32
	s_waitcnt lgkmcnt(0)
	v_mul_f64 v[7:8], v[3:4], v[111:112]
	v_mul_f64 v[111:112], v[1:2], v[111:112]
	v_fma_f64 v[1:2], v[1:2], v[109:110], -v[7:8]
	v_fma_f64 v[3:4], v[3:4], v[109:110], v[111:112]
	buffer_store_dword v2, off, s[0:3], 0 offset:36
	buffer_store_dword v1, off, s[0:3], 0 offset:32
	;; [unrolled: 1-line block ×4, first 2 shown]
.LBB49_379:
	s_or_b32 exec_lo, exec_lo, s4
	v_mov_b32_e32 v4, s56
	v_cmp_lt_u32_e64 s4, 1, v0
	s_clause 0x3
	buffer_load_dword v1, v4, s[0:3], 0 offen
	buffer_load_dword v2, v4, s[0:3], 0 offen offset:4
	buffer_load_dword v3, v4, s[0:3], 0 offen offset:8
	;; [unrolled: 1-line block ×3, first 2 shown]
	s_waitcnt vmcnt(0)
	ds_write_b128 v6, v[1:4]
	s_waitcnt lgkmcnt(0)
	s_waitcnt_vscnt null, 0x0
	s_barrier
	buffer_gl0_inv
	s_and_saveexec_b32 s5, s4
	s_cbranch_execz .LBB49_387
; %bb.380:
	ds_read_b128 v[1:4], v6
	s_andn2_b32 vcc_lo, exec_lo, s58
	s_cbranch_vccnz .LBB49_382
; %bb.381:
	s_clause 0x3
	buffer_load_dword v7, v5, s[0:3], 0 offen offset:8
	buffer_load_dword v8, v5, s[0:3], 0 offen offset:12
	buffer_load_dword v109, v5, s[0:3], 0 offen
	buffer_load_dword v110, v5, s[0:3], 0 offen offset:4
	s_waitcnt vmcnt(2) lgkmcnt(0)
	v_mul_f64 v[111:112], v[3:4], v[7:8]
	v_mul_f64 v[7:8], v[1:2], v[7:8]
	s_waitcnt vmcnt(0)
	v_fma_f64 v[1:2], v[1:2], v[109:110], -v[111:112]
	v_fma_f64 v[3:4], v[3:4], v[109:110], v[7:8]
.LBB49_382:
	s_and_saveexec_b32 s8, s6
	s_cbranch_execz .LBB49_386
; %bb.383:
	v_add_nc_u32_e32 v7, -2, v0
	s_movk_i32 s59, 0x340
	s_mov_b32 s6, 0
	s_mov_b32 s60, s57
	.p2align	6
.LBB49_384:                             ; =>This Inner Loop Header: Depth=1
	v_mov_b32_e32 v8, s60
	v_add_nc_u32_e32 v7, -1, v7
	s_add_i32 s60, s60, 16
	s_clause 0x3
	buffer_load_dword v113, v8, s[0:3], 0 offen offset:8
	buffer_load_dword v114, v8, s[0:3], 0 offen offset:12
	buffer_load_dword v115, v8, s[0:3], 0 offen
	buffer_load_dword v116, v8, s[0:3], 0 offen offset:4
	v_mov_b32_e32 v8, s59
	v_cmp_eq_u32_e32 vcc_lo, 0, v7
	s_add_i32 s59, s59, 16
	ds_read_b128 v[109:112], v8
	s_or_b32 s6, vcc_lo, s6
	s_waitcnt vmcnt(2) lgkmcnt(0)
	v_mul_f64 v[117:118], v[111:112], v[113:114]
	v_mul_f64 v[113:114], v[109:110], v[113:114]
	s_waitcnt vmcnt(0)
	v_fma_f64 v[109:110], v[109:110], v[115:116], -v[117:118]
	v_fma_f64 v[111:112], v[111:112], v[115:116], v[113:114]
	v_add_f64 v[1:2], v[1:2], v[109:110]
	v_add_f64 v[3:4], v[3:4], v[111:112]
	s_andn2_b32 exec_lo, exec_lo, s6
	s_cbranch_execnz .LBB49_384
; %bb.385:
	s_or_b32 exec_lo, exec_lo, s6
.LBB49_386:
	s_or_b32 exec_lo, exec_lo, s8
	v_mov_b32_e32 v7, 0
	ds_read_b128 v[109:112], v7 offset:16
	s_waitcnt lgkmcnt(0)
	v_mul_f64 v[7:8], v[3:4], v[111:112]
	v_mul_f64 v[111:112], v[1:2], v[111:112]
	v_fma_f64 v[1:2], v[1:2], v[109:110], -v[7:8]
	v_fma_f64 v[3:4], v[3:4], v[109:110], v[111:112]
	buffer_store_dword v2, off, s[0:3], 0 offset:20
	buffer_store_dword v1, off, s[0:3], 0 offset:16
	buffer_store_dword v4, off, s[0:3], 0 offset:28
	buffer_store_dword v3, off, s[0:3], 0 offset:24
.LBB49_387:
	s_or_b32 exec_lo, exec_lo, s5
	s_clause 0x3
	buffer_load_dword v1, off, s[0:3], 0
	buffer_load_dword v2, off, s[0:3], 0 offset:4
	buffer_load_dword v3, off, s[0:3], 0 offset:8
	;; [unrolled: 1-line block ×3, first 2 shown]
	s_mov_b32 s6, 0
	s_mov_b32 s5, 0
	s_mov_b32 s8, exec_lo
                                        ; implicit-def: $sgpr59
	s_waitcnt vmcnt(0)
	ds_write_b128 v6, v[1:4]
	s_waitcnt lgkmcnt(0)
	s_waitcnt_vscnt null, 0x0
	s_barrier
	buffer_gl0_inv
                                        ; implicit-def: $vgpr1_vgpr2
	v_cmpx_ne_u32_e32 0, v0
	s_cbranch_execz .LBB49_395
; %bb.388:
	ds_read_b128 v[1:4], v6
	s_andn2_b32 vcc_lo, exec_lo, s58
	s_cbranch_vccnz .LBB49_390
; %bb.389:
	s_clause 0x3
	buffer_load_dword v7, v5, s[0:3], 0 offen offset:8
	buffer_load_dword v8, v5, s[0:3], 0 offen offset:12
	buffer_load_dword v109, v5, s[0:3], 0 offen
	buffer_load_dword v110, v5, s[0:3], 0 offen offset:4
	s_waitcnt vmcnt(2) lgkmcnt(0)
	v_mul_f64 v[111:112], v[3:4], v[7:8]
	v_mul_f64 v[7:8], v[1:2], v[7:8]
	s_waitcnt vmcnt(0)
	v_fma_f64 v[1:2], v[1:2], v[109:110], -v[111:112]
	v_fma_f64 v[3:4], v[3:4], v[109:110], v[7:8]
.LBB49_390:
	s_and_saveexec_b32 s5, s4
	s_cbranch_execz .LBB49_394
; %bb.391:
	v_add_nc_u32_e32 v7, -1, v0
	s_movk_i32 s59, 0x330
	s_mov_b32 s4, 0
	s_mov_b32 s60, s56
	.p2align	6
.LBB49_392:                             ; =>This Inner Loop Header: Depth=1
	v_mov_b32_e32 v8, s60
	v_add_nc_u32_e32 v7, -1, v7
	s_add_i32 s60, s60, 16
	s_clause 0x3
	buffer_load_dword v113, v8, s[0:3], 0 offen offset:8
	buffer_load_dword v114, v8, s[0:3], 0 offen offset:12
	buffer_load_dword v115, v8, s[0:3], 0 offen
	buffer_load_dword v116, v8, s[0:3], 0 offen offset:4
	v_mov_b32_e32 v8, s59
	v_cmp_eq_u32_e32 vcc_lo, 0, v7
	s_add_i32 s59, s59, 16
	ds_read_b128 v[109:112], v8
	s_or_b32 s4, vcc_lo, s4
	s_waitcnt vmcnt(2) lgkmcnt(0)
	v_mul_f64 v[117:118], v[111:112], v[113:114]
	v_mul_f64 v[113:114], v[109:110], v[113:114]
	s_waitcnt vmcnt(0)
	v_fma_f64 v[109:110], v[109:110], v[115:116], -v[117:118]
	v_fma_f64 v[111:112], v[111:112], v[115:116], v[113:114]
	v_add_f64 v[1:2], v[1:2], v[109:110]
	v_add_f64 v[3:4], v[3:4], v[111:112]
	s_andn2_b32 exec_lo, exec_lo, s4
	s_cbranch_execnz .LBB49_392
; %bb.393:
	s_or_b32 exec_lo, exec_lo, s4
.LBB49_394:
	s_or_b32 exec_lo, exec_lo, s5
	v_mov_b32_e32 v7, 0
	s_mov_b32 s5, exec_lo
	s_or_b32 s59, 0, 8
	ds_read_b128 v[109:112], v7
	s_waitcnt lgkmcnt(0)
	v_mul_f64 v[7:8], v[3:4], v[111:112]
	v_mul_f64 v[111:112], v[1:2], v[111:112]
	v_fma_f64 v[7:8], v[1:2], v[109:110], -v[7:8]
	v_fma_f64 v[1:2], v[3:4], v[109:110], v[111:112]
	buffer_store_dword v8, off, s[0:3], 0 offset:4
	buffer_store_dword v7, off, s[0:3], 0
.LBB49_395:
	s_or_b32 exec_lo, exec_lo, s8
	s_and_b32 vcc_lo, exec_lo, s6
	s_cbranch_vccnz .LBB49_397
	s_branch .LBB49_784
.LBB49_396:
	s_mov_b32 s5, 0
                                        ; implicit-def: $vgpr1_vgpr2
                                        ; implicit-def: $sgpr59
	s_cbranch_execz .LBB49_784
.LBB49_397:
	v_mov_b32_e32 v4, s56
	v_cmp_eq_u32_e64 s4, 0, v0
	v_cndmask_b32_e64 v7, 0, 1, s58
	s_clause 0x3
	buffer_load_dword v1, v4, s[0:3], 0 offen
	buffer_load_dword v2, v4, s[0:3], 0 offen offset:4
	buffer_load_dword v3, v4, s[0:3], 0 offen offset:8
	buffer_load_dword v4, v4, s[0:3], 0 offen offset:12
	s_waitcnt vmcnt(0)
	ds_write_b128 v6, v[1:4]
	s_waitcnt lgkmcnt(0)
	s_waitcnt_vscnt null, 0x0
	s_barrier
	buffer_gl0_inv
	s_and_saveexec_b32 s6, s4
	s_cbranch_execz .LBB49_401
; %bb.398:
	ds_read_b128 v[1:4], v6
	s_andn2_b32 vcc_lo, exec_lo, s58
	s_cbranch_vccnz .LBB49_400
; %bb.399:
	s_clause 0x3
	buffer_load_dword v109, v5, s[0:3], 0 offen offset:8
	buffer_load_dword v110, v5, s[0:3], 0 offen offset:12
	buffer_load_dword v111, v5, s[0:3], 0 offen
	buffer_load_dword v112, v5, s[0:3], 0 offen offset:4
	s_waitcnt vmcnt(2) lgkmcnt(0)
	v_mul_f64 v[113:114], v[3:4], v[109:110]
	v_mul_f64 v[109:110], v[1:2], v[109:110]
	s_waitcnt vmcnt(0)
	v_fma_f64 v[1:2], v[1:2], v[111:112], -v[113:114]
	v_fma_f64 v[3:4], v[3:4], v[111:112], v[109:110]
.LBB49_400:
	v_mov_b32_e32 v8, 0
	ds_read_b128 v[109:112], v8 offset:16
	s_waitcnt lgkmcnt(0)
	v_mul_f64 v[113:114], v[3:4], v[111:112]
	v_mul_f64 v[111:112], v[1:2], v[111:112]
	v_fma_f64 v[1:2], v[1:2], v[109:110], -v[113:114]
	v_fma_f64 v[3:4], v[3:4], v[109:110], v[111:112]
	buffer_store_dword v2, off, s[0:3], 0 offset:20
	buffer_store_dword v1, off, s[0:3], 0 offset:16
	;; [unrolled: 1-line block ×4, first 2 shown]
.LBB49_401:
	s_or_b32 exec_lo, exec_lo, s6
	v_mov_b32_e32 v4, s57
	s_mov_b32 s6, exec_lo
	s_clause 0x3
	buffer_load_dword v1, v4, s[0:3], 0 offen
	buffer_load_dword v2, v4, s[0:3], 0 offen offset:4
	buffer_load_dword v3, v4, s[0:3], 0 offen offset:8
	;; [unrolled: 1-line block ×3, first 2 shown]
	s_waitcnt vmcnt(0)
	ds_write_b128 v6, v[1:4]
	s_waitcnt lgkmcnt(0)
	s_waitcnt_vscnt null, 0x0
	s_barrier
	buffer_gl0_inv
	v_cmpx_gt_u32_e32 2, v0
	s_cbranch_execz .LBB49_407
; %bb.402:
	ds_read_b128 v[1:4], v6
	v_cmp_ne_u32_e32 vcc_lo, 1, v7
	s_cbranch_vccnz .LBB49_404
; %bb.403:
	s_clause 0x3
	buffer_load_dword v109, v5, s[0:3], 0 offen offset:8
	buffer_load_dword v110, v5, s[0:3], 0 offen offset:12
	buffer_load_dword v111, v5, s[0:3], 0 offen
	buffer_load_dword v112, v5, s[0:3], 0 offen offset:4
	s_waitcnt vmcnt(2) lgkmcnt(0)
	v_mul_f64 v[113:114], v[3:4], v[109:110]
	v_mul_f64 v[109:110], v[1:2], v[109:110]
	s_waitcnt vmcnt(0)
	v_fma_f64 v[1:2], v[1:2], v[111:112], -v[113:114]
	v_fma_f64 v[3:4], v[3:4], v[111:112], v[109:110]
.LBB49_404:
	s_and_saveexec_b32 s8, s4
	s_cbranch_execz .LBB49_406
; %bb.405:
	s_clause 0x3
	buffer_load_dword v113, off, s[0:3], 0 offset:24
	buffer_load_dword v114, off, s[0:3], 0 offset:28
	;; [unrolled: 1-line block ×4, first 2 shown]
	v_mov_b32_e32 v8, 0
	ds_read_b128 v[109:112], v8 offset:816
	s_waitcnt vmcnt(2) lgkmcnt(0)
	v_mul_f64 v[117:118], v[111:112], v[113:114]
	v_mul_f64 v[113:114], v[109:110], v[113:114]
	s_waitcnt vmcnt(0)
	v_fma_f64 v[109:110], v[109:110], v[115:116], -v[117:118]
	v_fma_f64 v[111:112], v[111:112], v[115:116], v[113:114]
	v_add_f64 v[1:2], v[1:2], v[109:110]
	v_add_f64 v[3:4], v[3:4], v[111:112]
.LBB49_406:
	s_or_b32 exec_lo, exec_lo, s8
	v_mov_b32_e32 v8, 0
	ds_read_b128 v[109:112], v8 offset:32
	s_waitcnt lgkmcnt(0)
	v_mul_f64 v[113:114], v[3:4], v[111:112]
	v_mul_f64 v[111:112], v[1:2], v[111:112]
	v_fma_f64 v[1:2], v[1:2], v[109:110], -v[113:114]
	v_fma_f64 v[3:4], v[3:4], v[109:110], v[111:112]
	buffer_store_dword v2, off, s[0:3], 0 offset:36
	buffer_store_dword v1, off, s[0:3], 0 offset:32
	buffer_store_dword v4, off, s[0:3], 0 offset:44
	buffer_store_dword v3, off, s[0:3], 0 offset:40
.LBB49_407:
	s_or_b32 exec_lo, exec_lo, s6
	v_mov_b32_e32 v4, s55
	s_mov_b32 s6, exec_lo
	s_clause 0x3
	buffer_load_dword v1, v4, s[0:3], 0 offen
	buffer_load_dword v2, v4, s[0:3], 0 offen offset:4
	buffer_load_dword v3, v4, s[0:3], 0 offen offset:8
	;; [unrolled: 1-line block ×3, first 2 shown]
	s_waitcnt vmcnt(0)
	ds_write_b128 v6, v[1:4]
	s_waitcnt lgkmcnt(0)
	s_waitcnt_vscnt null, 0x0
	s_barrier
	buffer_gl0_inv
	v_cmpx_gt_u32_e32 3, v0
	s_cbranch_execz .LBB49_415
; %bb.408:
	ds_read_b128 v[1:4], v6
	v_cmp_ne_u32_e32 vcc_lo, 1, v7
	s_cbranch_vccnz .LBB49_410
; %bb.409:
	s_clause 0x3
	buffer_load_dword v109, v5, s[0:3], 0 offen offset:8
	buffer_load_dword v110, v5, s[0:3], 0 offen offset:12
	buffer_load_dword v111, v5, s[0:3], 0 offen
	buffer_load_dword v112, v5, s[0:3], 0 offen offset:4
	s_waitcnt vmcnt(2) lgkmcnt(0)
	v_mul_f64 v[113:114], v[3:4], v[109:110]
	v_mul_f64 v[109:110], v[1:2], v[109:110]
	s_waitcnt vmcnt(0)
	v_fma_f64 v[1:2], v[1:2], v[111:112], -v[113:114]
	v_fma_f64 v[3:4], v[3:4], v[111:112], v[109:110]
.LBB49_410:
	s_mov_b32 s8, exec_lo
	v_cmpx_ne_u32_e32 2, v0
	s_cbranch_execz .LBB49_414
; %bb.411:
	s_clause 0x3
	buffer_load_dword v113, v5, s[0:3], 0 offen offset:24
	buffer_load_dword v114, v5, s[0:3], 0 offen offset:28
	;; [unrolled: 1-line block ×4, first 2 shown]
	ds_read_b128 v[109:112], v6 offset:16
	s_waitcnt vmcnt(2) lgkmcnt(0)
	v_mul_f64 v[117:118], v[111:112], v[113:114]
	v_mul_f64 v[113:114], v[109:110], v[113:114]
	s_waitcnt vmcnt(0)
	v_fma_f64 v[109:110], v[109:110], v[115:116], -v[117:118]
	v_fma_f64 v[111:112], v[111:112], v[115:116], v[113:114]
	v_add_f64 v[1:2], v[1:2], v[109:110]
	v_add_f64 v[3:4], v[3:4], v[111:112]
	s_and_saveexec_b32 s58, s4
	s_cbranch_execz .LBB49_413
; %bb.412:
	s_clause 0x3
	buffer_load_dword v113, off, s[0:3], 0 offset:40
	buffer_load_dword v114, off, s[0:3], 0 offset:44
	;; [unrolled: 1-line block ×4, first 2 shown]
	v_mov_b32_e32 v8, 0
	ds_read_b128 v[109:112], v8 offset:832
	s_waitcnt vmcnt(2) lgkmcnt(0)
	v_mul_f64 v[117:118], v[109:110], v[113:114]
	v_mul_f64 v[113:114], v[111:112], v[113:114]
	s_waitcnt vmcnt(0)
	v_fma_f64 v[111:112], v[111:112], v[115:116], v[117:118]
	v_fma_f64 v[109:110], v[109:110], v[115:116], -v[113:114]
	v_add_f64 v[3:4], v[3:4], v[111:112]
	v_add_f64 v[1:2], v[1:2], v[109:110]
.LBB49_413:
	s_or_b32 exec_lo, exec_lo, s58
.LBB49_414:
	s_or_b32 exec_lo, exec_lo, s8
	v_mov_b32_e32 v8, 0
	ds_read_b128 v[109:112], v8 offset:48
	s_waitcnt lgkmcnt(0)
	v_mul_f64 v[113:114], v[3:4], v[111:112]
	v_mul_f64 v[111:112], v[1:2], v[111:112]
	v_fma_f64 v[1:2], v[1:2], v[109:110], -v[113:114]
	v_fma_f64 v[3:4], v[3:4], v[109:110], v[111:112]
	buffer_store_dword v2, off, s[0:3], 0 offset:52
	buffer_store_dword v1, off, s[0:3], 0 offset:48
	;; [unrolled: 1-line block ×4, first 2 shown]
.LBB49_415:
	s_or_b32 exec_lo, exec_lo, s6
	v_mov_b32_e32 v4, s54
	s_mov_b32 s4, exec_lo
	s_clause 0x3
	buffer_load_dword v1, v4, s[0:3], 0 offen
	buffer_load_dword v2, v4, s[0:3], 0 offen offset:4
	buffer_load_dword v3, v4, s[0:3], 0 offen offset:8
	buffer_load_dword v4, v4, s[0:3], 0 offen offset:12
	s_waitcnt vmcnt(0)
	ds_write_b128 v6, v[1:4]
	s_waitcnt lgkmcnt(0)
	s_waitcnt_vscnt null, 0x0
	s_barrier
	buffer_gl0_inv
	v_cmpx_gt_u32_e32 4, v0
	s_cbranch_execz .LBB49_423
; %bb.416:
	ds_read_b128 v[1:4], v6
	v_cmp_ne_u32_e32 vcc_lo, 1, v7
	s_cbranch_vccnz .LBB49_418
; %bb.417:
	s_clause 0x3
	buffer_load_dword v109, v5, s[0:3], 0 offen offset:8
	buffer_load_dword v110, v5, s[0:3], 0 offen offset:12
	buffer_load_dword v111, v5, s[0:3], 0 offen
	buffer_load_dword v112, v5, s[0:3], 0 offen offset:4
	s_waitcnt vmcnt(2) lgkmcnt(0)
	v_mul_f64 v[113:114], v[3:4], v[109:110]
	v_mul_f64 v[109:110], v[1:2], v[109:110]
	s_waitcnt vmcnt(0)
	v_fma_f64 v[1:2], v[1:2], v[111:112], -v[113:114]
	v_fma_f64 v[3:4], v[3:4], v[111:112], v[109:110]
.LBB49_418:
	s_mov_b32 s6, exec_lo
	v_cmpx_ne_u32_e32 3, v0
	s_cbranch_execz .LBB49_422
; %bb.419:
	v_add_nc_u32_e32 v8, 0x330, v129
	v_add3_u32 v109, 0, v129, 16
	v_mov_b32_e32 v110, v0
	s_mov_b32 s8, 0
	.p2align	6
.LBB49_420:                             ; =>This Inner Loop Header: Depth=1
	s_clause 0x3
	buffer_load_dword v115, v109, s[0:3], 0 offen offset:8
	buffer_load_dword v116, v109, s[0:3], 0 offen offset:12
	buffer_load_dword v117, v109, s[0:3], 0 offen
	buffer_load_dword v118, v109, s[0:3], 0 offen offset:4
	ds_read_b128 v[111:114], v8
	v_add_nc_u32_e32 v110, 1, v110
	v_add_nc_u32_e32 v8, 16, v8
	;; [unrolled: 1-line block ×3, first 2 shown]
	v_cmp_lt_u32_e32 vcc_lo, 2, v110
	s_or_b32 s8, vcc_lo, s8
	s_waitcnt vmcnt(2) lgkmcnt(0)
	v_mul_f64 v[119:120], v[113:114], v[115:116]
	v_mul_f64 v[115:116], v[111:112], v[115:116]
	s_waitcnt vmcnt(0)
	v_fma_f64 v[111:112], v[111:112], v[117:118], -v[119:120]
	v_fma_f64 v[113:114], v[113:114], v[117:118], v[115:116]
	v_add_f64 v[1:2], v[1:2], v[111:112]
	v_add_f64 v[3:4], v[3:4], v[113:114]
	s_andn2_b32 exec_lo, exec_lo, s8
	s_cbranch_execnz .LBB49_420
; %bb.421:
	s_or_b32 exec_lo, exec_lo, s8
.LBB49_422:
	s_or_b32 exec_lo, exec_lo, s6
	v_mov_b32_e32 v8, 0
	ds_read_b128 v[109:112], v8 offset:64
	s_waitcnt lgkmcnt(0)
	v_mul_f64 v[113:114], v[3:4], v[111:112]
	v_mul_f64 v[111:112], v[1:2], v[111:112]
	v_fma_f64 v[1:2], v[1:2], v[109:110], -v[113:114]
	v_fma_f64 v[3:4], v[3:4], v[109:110], v[111:112]
	buffer_store_dword v2, off, s[0:3], 0 offset:68
	buffer_store_dword v1, off, s[0:3], 0 offset:64
	;; [unrolled: 1-line block ×4, first 2 shown]
.LBB49_423:
	s_or_b32 exec_lo, exec_lo, s4
	v_mov_b32_e32 v4, s53
	s_mov_b32 s4, exec_lo
	s_clause 0x3
	buffer_load_dword v1, v4, s[0:3], 0 offen
	buffer_load_dword v2, v4, s[0:3], 0 offen offset:4
	buffer_load_dword v3, v4, s[0:3], 0 offen offset:8
	;; [unrolled: 1-line block ×3, first 2 shown]
	s_waitcnt vmcnt(0)
	ds_write_b128 v6, v[1:4]
	s_waitcnt lgkmcnt(0)
	s_waitcnt_vscnt null, 0x0
	s_barrier
	buffer_gl0_inv
	v_cmpx_gt_u32_e32 5, v0
	s_cbranch_execz .LBB49_431
; %bb.424:
	ds_read_b128 v[1:4], v6
	v_cmp_ne_u32_e32 vcc_lo, 1, v7
	s_cbranch_vccnz .LBB49_426
; %bb.425:
	s_clause 0x3
	buffer_load_dword v109, v5, s[0:3], 0 offen offset:8
	buffer_load_dword v110, v5, s[0:3], 0 offen offset:12
	buffer_load_dword v111, v5, s[0:3], 0 offen
	buffer_load_dword v112, v5, s[0:3], 0 offen offset:4
	s_waitcnt vmcnt(2) lgkmcnt(0)
	v_mul_f64 v[113:114], v[3:4], v[109:110]
	v_mul_f64 v[109:110], v[1:2], v[109:110]
	s_waitcnt vmcnt(0)
	v_fma_f64 v[1:2], v[1:2], v[111:112], -v[113:114]
	v_fma_f64 v[3:4], v[3:4], v[111:112], v[109:110]
.LBB49_426:
	s_mov_b32 s6, exec_lo
	v_cmpx_ne_u32_e32 4, v0
	s_cbranch_execz .LBB49_430
; %bb.427:
	v_add_nc_u32_e32 v8, 0x330, v129
	v_add3_u32 v109, 0, v129, 16
	v_mov_b32_e32 v110, v0
	s_mov_b32 s8, 0
	.p2align	6
.LBB49_428:                             ; =>This Inner Loop Header: Depth=1
	s_clause 0x3
	buffer_load_dword v115, v109, s[0:3], 0 offen offset:8
	buffer_load_dword v116, v109, s[0:3], 0 offen offset:12
	buffer_load_dword v117, v109, s[0:3], 0 offen
	buffer_load_dword v118, v109, s[0:3], 0 offen offset:4
	ds_read_b128 v[111:114], v8
	v_add_nc_u32_e32 v110, 1, v110
	v_add_nc_u32_e32 v8, 16, v8
	;; [unrolled: 1-line block ×3, first 2 shown]
	v_cmp_lt_u32_e32 vcc_lo, 3, v110
	s_or_b32 s8, vcc_lo, s8
	s_waitcnt vmcnt(2) lgkmcnt(0)
	v_mul_f64 v[119:120], v[113:114], v[115:116]
	v_mul_f64 v[115:116], v[111:112], v[115:116]
	s_waitcnt vmcnt(0)
	v_fma_f64 v[111:112], v[111:112], v[117:118], -v[119:120]
	v_fma_f64 v[113:114], v[113:114], v[117:118], v[115:116]
	v_add_f64 v[1:2], v[1:2], v[111:112]
	v_add_f64 v[3:4], v[3:4], v[113:114]
	s_andn2_b32 exec_lo, exec_lo, s8
	s_cbranch_execnz .LBB49_428
; %bb.429:
	s_or_b32 exec_lo, exec_lo, s8
.LBB49_430:
	s_or_b32 exec_lo, exec_lo, s6
	v_mov_b32_e32 v8, 0
	ds_read_b128 v[109:112], v8 offset:80
	s_waitcnt lgkmcnt(0)
	v_mul_f64 v[113:114], v[3:4], v[111:112]
	v_mul_f64 v[111:112], v[1:2], v[111:112]
	v_fma_f64 v[1:2], v[1:2], v[109:110], -v[113:114]
	v_fma_f64 v[3:4], v[3:4], v[109:110], v[111:112]
	buffer_store_dword v2, off, s[0:3], 0 offset:84
	buffer_store_dword v1, off, s[0:3], 0 offset:80
	;; [unrolled: 1-line block ×4, first 2 shown]
.LBB49_431:
	s_or_b32 exec_lo, exec_lo, s4
	v_mov_b32_e32 v4, s52
	s_mov_b32 s4, exec_lo
	s_clause 0x3
	buffer_load_dword v1, v4, s[0:3], 0 offen
	buffer_load_dword v2, v4, s[0:3], 0 offen offset:4
	buffer_load_dword v3, v4, s[0:3], 0 offen offset:8
	;; [unrolled: 1-line block ×3, first 2 shown]
	s_waitcnt vmcnt(0)
	ds_write_b128 v6, v[1:4]
	s_waitcnt lgkmcnt(0)
	s_waitcnt_vscnt null, 0x0
	s_barrier
	buffer_gl0_inv
	v_cmpx_gt_u32_e32 6, v0
	s_cbranch_execz .LBB49_439
; %bb.432:
	ds_read_b128 v[1:4], v6
	v_cmp_ne_u32_e32 vcc_lo, 1, v7
	s_cbranch_vccnz .LBB49_434
; %bb.433:
	s_clause 0x3
	buffer_load_dword v109, v5, s[0:3], 0 offen offset:8
	buffer_load_dword v110, v5, s[0:3], 0 offen offset:12
	buffer_load_dword v111, v5, s[0:3], 0 offen
	buffer_load_dword v112, v5, s[0:3], 0 offen offset:4
	s_waitcnt vmcnt(2) lgkmcnt(0)
	v_mul_f64 v[113:114], v[3:4], v[109:110]
	v_mul_f64 v[109:110], v[1:2], v[109:110]
	s_waitcnt vmcnt(0)
	v_fma_f64 v[1:2], v[1:2], v[111:112], -v[113:114]
	v_fma_f64 v[3:4], v[3:4], v[111:112], v[109:110]
.LBB49_434:
	s_mov_b32 s6, exec_lo
	v_cmpx_ne_u32_e32 5, v0
	s_cbranch_execz .LBB49_438
; %bb.435:
	v_add_nc_u32_e32 v8, 0x330, v129
	v_add3_u32 v109, 0, v129, 16
	v_mov_b32_e32 v110, v0
	s_mov_b32 s8, 0
	.p2align	6
.LBB49_436:                             ; =>This Inner Loop Header: Depth=1
	s_clause 0x3
	buffer_load_dword v115, v109, s[0:3], 0 offen offset:8
	buffer_load_dword v116, v109, s[0:3], 0 offen offset:12
	buffer_load_dword v117, v109, s[0:3], 0 offen
	buffer_load_dword v118, v109, s[0:3], 0 offen offset:4
	ds_read_b128 v[111:114], v8
	v_add_nc_u32_e32 v110, 1, v110
	v_add_nc_u32_e32 v8, 16, v8
	;; [unrolled: 1-line block ×3, first 2 shown]
	v_cmp_lt_u32_e32 vcc_lo, 4, v110
	s_or_b32 s8, vcc_lo, s8
	s_waitcnt vmcnt(2) lgkmcnt(0)
	v_mul_f64 v[119:120], v[113:114], v[115:116]
	v_mul_f64 v[115:116], v[111:112], v[115:116]
	s_waitcnt vmcnt(0)
	v_fma_f64 v[111:112], v[111:112], v[117:118], -v[119:120]
	v_fma_f64 v[113:114], v[113:114], v[117:118], v[115:116]
	v_add_f64 v[1:2], v[1:2], v[111:112]
	v_add_f64 v[3:4], v[3:4], v[113:114]
	s_andn2_b32 exec_lo, exec_lo, s8
	s_cbranch_execnz .LBB49_436
; %bb.437:
	s_or_b32 exec_lo, exec_lo, s8
.LBB49_438:
	s_or_b32 exec_lo, exec_lo, s6
	v_mov_b32_e32 v8, 0
	ds_read_b128 v[109:112], v8 offset:96
	s_waitcnt lgkmcnt(0)
	v_mul_f64 v[113:114], v[3:4], v[111:112]
	v_mul_f64 v[111:112], v[1:2], v[111:112]
	v_fma_f64 v[1:2], v[1:2], v[109:110], -v[113:114]
	v_fma_f64 v[3:4], v[3:4], v[109:110], v[111:112]
	buffer_store_dword v2, off, s[0:3], 0 offset:100
	buffer_store_dword v1, off, s[0:3], 0 offset:96
	;; [unrolled: 1-line block ×4, first 2 shown]
.LBB49_439:
	s_or_b32 exec_lo, exec_lo, s4
	v_mov_b32_e32 v4, s51
	s_mov_b32 s4, exec_lo
	s_clause 0x3
	buffer_load_dword v1, v4, s[0:3], 0 offen
	buffer_load_dword v2, v4, s[0:3], 0 offen offset:4
	buffer_load_dword v3, v4, s[0:3], 0 offen offset:8
	;; [unrolled: 1-line block ×3, first 2 shown]
	s_waitcnt vmcnt(0)
	ds_write_b128 v6, v[1:4]
	s_waitcnt lgkmcnt(0)
	s_waitcnt_vscnt null, 0x0
	s_barrier
	buffer_gl0_inv
	v_cmpx_gt_u32_e32 7, v0
	s_cbranch_execz .LBB49_447
; %bb.440:
	ds_read_b128 v[1:4], v6
	v_cmp_ne_u32_e32 vcc_lo, 1, v7
	s_cbranch_vccnz .LBB49_442
; %bb.441:
	s_clause 0x3
	buffer_load_dword v109, v5, s[0:3], 0 offen offset:8
	buffer_load_dword v110, v5, s[0:3], 0 offen offset:12
	buffer_load_dword v111, v5, s[0:3], 0 offen
	buffer_load_dword v112, v5, s[0:3], 0 offen offset:4
	s_waitcnt vmcnt(2) lgkmcnt(0)
	v_mul_f64 v[113:114], v[3:4], v[109:110]
	v_mul_f64 v[109:110], v[1:2], v[109:110]
	s_waitcnt vmcnt(0)
	v_fma_f64 v[1:2], v[1:2], v[111:112], -v[113:114]
	v_fma_f64 v[3:4], v[3:4], v[111:112], v[109:110]
.LBB49_442:
	s_mov_b32 s6, exec_lo
	v_cmpx_ne_u32_e32 6, v0
	s_cbranch_execz .LBB49_446
; %bb.443:
	v_add_nc_u32_e32 v8, 0x330, v129
	v_add3_u32 v109, 0, v129, 16
	v_mov_b32_e32 v110, v0
	s_mov_b32 s8, 0
	.p2align	6
.LBB49_444:                             ; =>This Inner Loop Header: Depth=1
	s_clause 0x3
	buffer_load_dword v115, v109, s[0:3], 0 offen offset:8
	buffer_load_dword v116, v109, s[0:3], 0 offen offset:12
	buffer_load_dword v117, v109, s[0:3], 0 offen
	buffer_load_dword v118, v109, s[0:3], 0 offen offset:4
	ds_read_b128 v[111:114], v8
	v_add_nc_u32_e32 v110, 1, v110
	v_add_nc_u32_e32 v8, 16, v8
	;; [unrolled: 1-line block ×3, first 2 shown]
	v_cmp_lt_u32_e32 vcc_lo, 5, v110
	s_or_b32 s8, vcc_lo, s8
	s_waitcnt vmcnt(2) lgkmcnt(0)
	v_mul_f64 v[119:120], v[113:114], v[115:116]
	v_mul_f64 v[115:116], v[111:112], v[115:116]
	s_waitcnt vmcnt(0)
	v_fma_f64 v[111:112], v[111:112], v[117:118], -v[119:120]
	v_fma_f64 v[113:114], v[113:114], v[117:118], v[115:116]
	v_add_f64 v[1:2], v[1:2], v[111:112]
	v_add_f64 v[3:4], v[3:4], v[113:114]
	s_andn2_b32 exec_lo, exec_lo, s8
	s_cbranch_execnz .LBB49_444
; %bb.445:
	s_or_b32 exec_lo, exec_lo, s8
.LBB49_446:
	s_or_b32 exec_lo, exec_lo, s6
	v_mov_b32_e32 v8, 0
	ds_read_b128 v[109:112], v8 offset:112
	s_waitcnt lgkmcnt(0)
	v_mul_f64 v[113:114], v[3:4], v[111:112]
	v_mul_f64 v[111:112], v[1:2], v[111:112]
	v_fma_f64 v[1:2], v[1:2], v[109:110], -v[113:114]
	v_fma_f64 v[3:4], v[3:4], v[109:110], v[111:112]
	buffer_store_dword v2, off, s[0:3], 0 offset:116
	buffer_store_dword v1, off, s[0:3], 0 offset:112
	;; [unrolled: 1-line block ×4, first 2 shown]
.LBB49_447:
	s_or_b32 exec_lo, exec_lo, s4
	v_mov_b32_e32 v4, s50
	s_mov_b32 s4, exec_lo
	s_clause 0x3
	buffer_load_dword v1, v4, s[0:3], 0 offen
	buffer_load_dword v2, v4, s[0:3], 0 offen offset:4
	buffer_load_dword v3, v4, s[0:3], 0 offen offset:8
	;; [unrolled: 1-line block ×3, first 2 shown]
	s_waitcnt vmcnt(0)
	ds_write_b128 v6, v[1:4]
	s_waitcnt lgkmcnt(0)
	s_waitcnt_vscnt null, 0x0
	s_barrier
	buffer_gl0_inv
	v_cmpx_gt_u32_e32 8, v0
	s_cbranch_execz .LBB49_455
; %bb.448:
	ds_read_b128 v[1:4], v6
	v_cmp_ne_u32_e32 vcc_lo, 1, v7
	s_cbranch_vccnz .LBB49_450
; %bb.449:
	s_clause 0x3
	buffer_load_dword v109, v5, s[0:3], 0 offen offset:8
	buffer_load_dword v110, v5, s[0:3], 0 offen offset:12
	buffer_load_dword v111, v5, s[0:3], 0 offen
	buffer_load_dword v112, v5, s[0:3], 0 offen offset:4
	s_waitcnt vmcnt(2) lgkmcnt(0)
	v_mul_f64 v[113:114], v[3:4], v[109:110]
	v_mul_f64 v[109:110], v[1:2], v[109:110]
	s_waitcnt vmcnt(0)
	v_fma_f64 v[1:2], v[1:2], v[111:112], -v[113:114]
	v_fma_f64 v[3:4], v[3:4], v[111:112], v[109:110]
.LBB49_450:
	s_mov_b32 s6, exec_lo
	v_cmpx_ne_u32_e32 7, v0
	s_cbranch_execz .LBB49_454
; %bb.451:
	v_add_nc_u32_e32 v8, 0x330, v129
	v_add3_u32 v109, 0, v129, 16
	v_mov_b32_e32 v110, v0
	s_mov_b32 s8, 0
	.p2align	6
.LBB49_452:                             ; =>This Inner Loop Header: Depth=1
	s_clause 0x3
	buffer_load_dword v115, v109, s[0:3], 0 offen offset:8
	buffer_load_dword v116, v109, s[0:3], 0 offen offset:12
	buffer_load_dword v117, v109, s[0:3], 0 offen
	buffer_load_dword v118, v109, s[0:3], 0 offen offset:4
	ds_read_b128 v[111:114], v8
	v_add_nc_u32_e32 v110, 1, v110
	v_add_nc_u32_e32 v8, 16, v8
	v_add_nc_u32_e32 v109, 16, v109
	v_cmp_lt_u32_e32 vcc_lo, 6, v110
	s_or_b32 s8, vcc_lo, s8
	s_waitcnt vmcnt(2) lgkmcnt(0)
	v_mul_f64 v[119:120], v[113:114], v[115:116]
	v_mul_f64 v[115:116], v[111:112], v[115:116]
	s_waitcnt vmcnt(0)
	v_fma_f64 v[111:112], v[111:112], v[117:118], -v[119:120]
	v_fma_f64 v[113:114], v[113:114], v[117:118], v[115:116]
	v_add_f64 v[1:2], v[1:2], v[111:112]
	v_add_f64 v[3:4], v[3:4], v[113:114]
	s_andn2_b32 exec_lo, exec_lo, s8
	s_cbranch_execnz .LBB49_452
; %bb.453:
	s_or_b32 exec_lo, exec_lo, s8
.LBB49_454:
	s_or_b32 exec_lo, exec_lo, s6
	v_mov_b32_e32 v8, 0
	ds_read_b128 v[109:112], v8 offset:128
	s_waitcnt lgkmcnt(0)
	v_mul_f64 v[113:114], v[3:4], v[111:112]
	v_mul_f64 v[111:112], v[1:2], v[111:112]
	v_fma_f64 v[1:2], v[1:2], v[109:110], -v[113:114]
	v_fma_f64 v[3:4], v[3:4], v[109:110], v[111:112]
	buffer_store_dword v2, off, s[0:3], 0 offset:132
	buffer_store_dword v1, off, s[0:3], 0 offset:128
	;; [unrolled: 1-line block ×4, first 2 shown]
.LBB49_455:
	s_or_b32 exec_lo, exec_lo, s4
	v_mov_b32_e32 v4, s49
	s_mov_b32 s4, exec_lo
	s_clause 0x3
	buffer_load_dword v1, v4, s[0:3], 0 offen
	buffer_load_dword v2, v4, s[0:3], 0 offen offset:4
	buffer_load_dword v3, v4, s[0:3], 0 offen offset:8
	;; [unrolled: 1-line block ×3, first 2 shown]
	s_waitcnt vmcnt(0)
	ds_write_b128 v6, v[1:4]
	s_waitcnt lgkmcnt(0)
	s_waitcnt_vscnt null, 0x0
	s_barrier
	buffer_gl0_inv
	v_cmpx_gt_u32_e32 9, v0
	s_cbranch_execz .LBB49_463
; %bb.456:
	ds_read_b128 v[1:4], v6
	v_cmp_ne_u32_e32 vcc_lo, 1, v7
	s_cbranch_vccnz .LBB49_458
; %bb.457:
	s_clause 0x3
	buffer_load_dword v109, v5, s[0:3], 0 offen offset:8
	buffer_load_dword v110, v5, s[0:3], 0 offen offset:12
	buffer_load_dword v111, v5, s[0:3], 0 offen
	buffer_load_dword v112, v5, s[0:3], 0 offen offset:4
	s_waitcnt vmcnt(2) lgkmcnt(0)
	v_mul_f64 v[113:114], v[3:4], v[109:110]
	v_mul_f64 v[109:110], v[1:2], v[109:110]
	s_waitcnt vmcnt(0)
	v_fma_f64 v[1:2], v[1:2], v[111:112], -v[113:114]
	v_fma_f64 v[3:4], v[3:4], v[111:112], v[109:110]
.LBB49_458:
	s_mov_b32 s6, exec_lo
	v_cmpx_ne_u32_e32 8, v0
	s_cbranch_execz .LBB49_462
; %bb.459:
	v_add_nc_u32_e32 v8, 0x330, v129
	v_add3_u32 v109, 0, v129, 16
	v_mov_b32_e32 v110, v0
	s_mov_b32 s8, 0
	.p2align	6
.LBB49_460:                             ; =>This Inner Loop Header: Depth=1
	s_clause 0x3
	buffer_load_dword v115, v109, s[0:3], 0 offen offset:8
	buffer_load_dword v116, v109, s[0:3], 0 offen offset:12
	buffer_load_dword v117, v109, s[0:3], 0 offen
	buffer_load_dword v118, v109, s[0:3], 0 offen offset:4
	ds_read_b128 v[111:114], v8
	v_add_nc_u32_e32 v110, 1, v110
	v_add_nc_u32_e32 v8, 16, v8
	;; [unrolled: 1-line block ×3, first 2 shown]
	v_cmp_lt_u32_e32 vcc_lo, 7, v110
	s_or_b32 s8, vcc_lo, s8
	s_waitcnt vmcnt(2) lgkmcnt(0)
	v_mul_f64 v[119:120], v[113:114], v[115:116]
	v_mul_f64 v[115:116], v[111:112], v[115:116]
	s_waitcnt vmcnt(0)
	v_fma_f64 v[111:112], v[111:112], v[117:118], -v[119:120]
	v_fma_f64 v[113:114], v[113:114], v[117:118], v[115:116]
	v_add_f64 v[1:2], v[1:2], v[111:112]
	v_add_f64 v[3:4], v[3:4], v[113:114]
	s_andn2_b32 exec_lo, exec_lo, s8
	s_cbranch_execnz .LBB49_460
; %bb.461:
	s_or_b32 exec_lo, exec_lo, s8
.LBB49_462:
	s_or_b32 exec_lo, exec_lo, s6
	v_mov_b32_e32 v8, 0
	ds_read_b128 v[109:112], v8 offset:144
	s_waitcnt lgkmcnt(0)
	v_mul_f64 v[113:114], v[3:4], v[111:112]
	v_mul_f64 v[111:112], v[1:2], v[111:112]
	v_fma_f64 v[1:2], v[1:2], v[109:110], -v[113:114]
	v_fma_f64 v[3:4], v[3:4], v[109:110], v[111:112]
	buffer_store_dword v2, off, s[0:3], 0 offset:148
	buffer_store_dword v1, off, s[0:3], 0 offset:144
	;; [unrolled: 1-line block ×4, first 2 shown]
.LBB49_463:
	s_or_b32 exec_lo, exec_lo, s4
	v_mov_b32_e32 v4, s48
	s_mov_b32 s4, exec_lo
	s_clause 0x3
	buffer_load_dword v1, v4, s[0:3], 0 offen
	buffer_load_dword v2, v4, s[0:3], 0 offen offset:4
	buffer_load_dword v3, v4, s[0:3], 0 offen offset:8
	;; [unrolled: 1-line block ×3, first 2 shown]
	s_waitcnt vmcnt(0)
	ds_write_b128 v6, v[1:4]
	s_waitcnt lgkmcnt(0)
	s_waitcnt_vscnt null, 0x0
	s_barrier
	buffer_gl0_inv
	v_cmpx_gt_u32_e32 10, v0
	s_cbranch_execz .LBB49_471
; %bb.464:
	ds_read_b128 v[1:4], v6
	v_cmp_ne_u32_e32 vcc_lo, 1, v7
	s_cbranch_vccnz .LBB49_466
; %bb.465:
	s_clause 0x3
	buffer_load_dword v109, v5, s[0:3], 0 offen offset:8
	buffer_load_dword v110, v5, s[0:3], 0 offen offset:12
	buffer_load_dword v111, v5, s[0:3], 0 offen
	buffer_load_dword v112, v5, s[0:3], 0 offen offset:4
	s_waitcnt vmcnt(2) lgkmcnt(0)
	v_mul_f64 v[113:114], v[3:4], v[109:110]
	v_mul_f64 v[109:110], v[1:2], v[109:110]
	s_waitcnt vmcnt(0)
	v_fma_f64 v[1:2], v[1:2], v[111:112], -v[113:114]
	v_fma_f64 v[3:4], v[3:4], v[111:112], v[109:110]
.LBB49_466:
	s_mov_b32 s6, exec_lo
	v_cmpx_ne_u32_e32 9, v0
	s_cbranch_execz .LBB49_470
; %bb.467:
	v_add_nc_u32_e32 v8, 0x330, v129
	v_add3_u32 v109, 0, v129, 16
	v_mov_b32_e32 v110, v0
	s_mov_b32 s8, 0
	.p2align	6
.LBB49_468:                             ; =>This Inner Loop Header: Depth=1
	s_clause 0x3
	buffer_load_dword v115, v109, s[0:3], 0 offen offset:8
	buffer_load_dword v116, v109, s[0:3], 0 offen offset:12
	buffer_load_dword v117, v109, s[0:3], 0 offen
	buffer_load_dword v118, v109, s[0:3], 0 offen offset:4
	ds_read_b128 v[111:114], v8
	v_add_nc_u32_e32 v110, 1, v110
	v_add_nc_u32_e32 v8, 16, v8
	;; [unrolled: 1-line block ×3, first 2 shown]
	v_cmp_lt_u32_e32 vcc_lo, 8, v110
	s_or_b32 s8, vcc_lo, s8
	s_waitcnt vmcnt(2) lgkmcnt(0)
	v_mul_f64 v[119:120], v[113:114], v[115:116]
	v_mul_f64 v[115:116], v[111:112], v[115:116]
	s_waitcnt vmcnt(0)
	v_fma_f64 v[111:112], v[111:112], v[117:118], -v[119:120]
	v_fma_f64 v[113:114], v[113:114], v[117:118], v[115:116]
	v_add_f64 v[1:2], v[1:2], v[111:112]
	v_add_f64 v[3:4], v[3:4], v[113:114]
	s_andn2_b32 exec_lo, exec_lo, s8
	s_cbranch_execnz .LBB49_468
; %bb.469:
	s_or_b32 exec_lo, exec_lo, s8
.LBB49_470:
	s_or_b32 exec_lo, exec_lo, s6
	v_mov_b32_e32 v8, 0
	ds_read_b128 v[109:112], v8 offset:160
	s_waitcnt lgkmcnt(0)
	v_mul_f64 v[113:114], v[3:4], v[111:112]
	v_mul_f64 v[111:112], v[1:2], v[111:112]
	v_fma_f64 v[1:2], v[1:2], v[109:110], -v[113:114]
	v_fma_f64 v[3:4], v[3:4], v[109:110], v[111:112]
	buffer_store_dword v2, off, s[0:3], 0 offset:164
	buffer_store_dword v1, off, s[0:3], 0 offset:160
	;; [unrolled: 1-line block ×4, first 2 shown]
.LBB49_471:
	s_or_b32 exec_lo, exec_lo, s4
	v_mov_b32_e32 v4, s47
	s_mov_b32 s4, exec_lo
	s_clause 0x3
	buffer_load_dword v1, v4, s[0:3], 0 offen
	buffer_load_dword v2, v4, s[0:3], 0 offen offset:4
	buffer_load_dword v3, v4, s[0:3], 0 offen offset:8
	buffer_load_dword v4, v4, s[0:3], 0 offen offset:12
	s_waitcnt vmcnt(0)
	ds_write_b128 v6, v[1:4]
	s_waitcnt lgkmcnt(0)
	s_waitcnt_vscnt null, 0x0
	s_barrier
	buffer_gl0_inv
	v_cmpx_gt_u32_e32 11, v0
	s_cbranch_execz .LBB49_479
; %bb.472:
	ds_read_b128 v[1:4], v6
	v_cmp_ne_u32_e32 vcc_lo, 1, v7
	s_cbranch_vccnz .LBB49_474
; %bb.473:
	s_clause 0x3
	buffer_load_dword v109, v5, s[0:3], 0 offen offset:8
	buffer_load_dword v110, v5, s[0:3], 0 offen offset:12
	buffer_load_dword v111, v5, s[0:3], 0 offen
	buffer_load_dword v112, v5, s[0:3], 0 offen offset:4
	s_waitcnt vmcnt(2) lgkmcnt(0)
	v_mul_f64 v[113:114], v[3:4], v[109:110]
	v_mul_f64 v[109:110], v[1:2], v[109:110]
	s_waitcnt vmcnt(0)
	v_fma_f64 v[1:2], v[1:2], v[111:112], -v[113:114]
	v_fma_f64 v[3:4], v[3:4], v[111:112], v[109:110]
.LBB49_474:
	s_mov_b32 s6, exec_lo
	v_cmpx_ne_u32_e32 10, v0
	s_cbranch_execz .LBB49_478
; %bb.475:
	v_add_nc_u32_e32 v8, 0x330, v129
	v_add3_u32 v109, 0, v129, 16
	v_mov_b32_e32 v110, v0
	s_mov_b32 s8, 0
	.p2align	6
.LBB49_476:                             ; =>This Inner Loop Header: Depth=1
	s_clause 0x3
	buffer_load_dword v115, v109, s[0:3], 0 offen offset:8
	buffer_load_dword v116, v109, s[0:3], 0 offen offset:12
	buffer_load_dword v117, v109, s[0:3], 0 offen
	buffer_load_dword v118, v109, s[0:3], 0 offen offset:4
	ds_read_b128 v[111:114], v8
	v_add_nc_u32_e32 v110, 1, v110
	v_add_nc_u32_e32 v8, 16, v8
	;; [unrolled: 1-line block ×3, first 2 shown]
	v_cmp_lt_u32_e32 vcc_lo, 9, v110
	s_or_b32 s8, vcc_lo, s8
	s_waitcnt vmcnt(2) lgkmcnt(0)
	v_mul_f64 v[119:120], v[113:114], v[115:116]
	v_mul_f64 v[115:116], v[111:112], v[115:116]
	s_waitcnt vmcnt(0)
	v_fma_f64 v[111:112], v[111:112], v[117:118], -v[119:120]
	v_fma_f64 v[113:114], v[113:114], v[117:118], v[115:116]
	v_add_f64 v[1:2], v[1:2], v[111:112]
	v_add_f64 v[3:4], v[3:4], v[113:114]
	s_andn2_b32 exec_lo, exec_lo, s8
	s_cbranch_execnz .LBB49_476
; %bb.477:
	s_or_b32 exec_lo, exec_lo, s8
.LBB49_478:
	s_or_b32 exec_lo, exec_lo, s6
	v_mov_b32_e32 v8, 0
	ds_read_b128 v[109:112], v8 offset:176
	s_waitcnt lgkmcnt(0)
	v_mul_f64 v[113:114], v[3:4], v[111:112]
	v_mul_f64 v[111:112], v[1:2], v[111:112]
	v_fma_f64 v[1:2], v[1:2], v[109:110], -v[113:114]
	v_fma_f64 v[3:4], v[3:4], v[109:110], v[111:112]
	buffer_store_dword v2, off, s[0:3], 0 offset:180
	buffer_store_dword v1, off, s[0:3], 0 offset:176
	;; [unrolled: 1-line block ×4, first 2 shown]
.LBB49_479:
	s_or_b32 exec_lo, exec_lo, s4
	v_mov_b32_e32 v4, s46
	s_mov_b32 s4, exec_lo
	s_clause 0x3
	buffer_load_dword v1, v4, s[0:3], 0 offen
	buffer_load_dword v2, v4, s[0:3], 0 offen offset:4
	buffer_load_dword v3, v4, s[0:3], 0 offen offset:8
	;; [unrolled: 1-line block ×3, first 2 shown]
	s_waitcnt vmcnt(0)
	ds_write_b128 v6, v[1:4]
	s_waitcnt lgkmcnt(0)
	s_waitcnt_vscnt null, 0x0
	s_barrier
	buffer_gl0_inv
	v_cmpx_gt_u32_e32 12, v0
	s_cbranch_execz .LBB49_487
; %bb.480:
	ds_read_b128 v[1:4], v6
	v_cmp_ne_u32_e32 vcc_lo, 1, v7
	s_cbranch_vccnz .LBB49_482
; %bb.481:
	s_clause 0x3
	buffer_load_dword v109, v5, s[0:3], 0 offen offset:8
	buffer_load_dword v110, v5, s[0:3], 0 offen offset:12
	buffer_load_dword v111, v5, s[0:3], 0 offen
	buffer_load_dword v112, v5, s[0:3], 0 offen offset:4
	s_waitcnt vmcnt(2) lgkmcnt(0)
	v_mul_f64 v[113:114], v[3:4], v[109:110]
	v_mul_f64 v[109:110], v[1:2], v[109:110]
	s_waitcnt vmcnt(0)
	v_fma_f64 v[1:2], v[1:2], v[111:112], -v[113:114]
	v_fma_f64 v[3:4], v[3:4], v[111:112], v[109:110]
.LBB49_482:
	s_mov_b32 s6, exec_lo
	v_cmpx_ne_u32_e32 11, v0
	s_cbranch_execz .LBB49_486
; %bb.483:
	v_add_nc_u32_e32 v8, 0x330, v129
	v_add3_u32 v109, 0, v129, 16
	v_mov_b32_e32 v110, v0
	s_mov_b32 s8, 0
	.p2align	6
.LBB49_484:                             ; =>This Inner Loop Header: Depth=1
	s_clause 0x3
	buffer_load_dword v115, v109, s[0:3], 0 offen offset:8
	buffer_load_dword v116, v109, s[0:3], 0 offen offset:12
	buffer_load_dword v117, v109, s[0:3], 0 offen
	buffer_load_dword v118, v109, s[0:3], 0 offen offset:4
	ds_read_b128 v[111:114], v8
	v_add_nc_u32_e32 v110, 1, v110
	v_add_nc_u32_e32 v8, 16, v8
	;; [unrolled: 1-line block ×3, first 2 shown]
	v_cmp_lt_u32_e32 vcc_lo, 10, v110
	s_or_b32 s8, vcc_lo, s8
	s_waitcnt vmcnt(2) lgkmcnt(0)
	v_mul_f64 v[119:120], v[113:114], v[115:116]
	v_mul_f64 v[115:116], v[111:112], v[115:116]
	s_waitcnt vmcnt(0)
	v_fma_f64 v[111:112], v[111:112], v[117:118], -v[119:120]
	v_fma_f64 v[113:114], v[113:114], v[117:118], v[115:116]
	v_add_f64 v[1:2], v[1:2], v[111:112]
	v_add_f64 v[3:4], v[3:4], v[113:114]
	s_andn2_b32 exec_lo, exec_lo, s8
	s_cbranch_execnz .LBB49_484
; %bb.485:
	s_or_b32 exec_lo, exec_lo, s8
.LBB49_486:
	s_or_b32 exec_lo, exec_lo, s6
	v_mov_b32_e32 v8, 0
	ds_read_b128 v[109:112], v8 offset:192
	s_waitcnt lgkmcnt(0)
	v_mul_f64 v[113:114], v[3:4], v[111:112]
	v_mul_f64 v[111:112], v[1:2], v[111:112]
	v_fma_f64 v[1:2], v[1:2], v[109:110], -v[113:114]
	v_fma_f64 v[3:4], v[3:4], v[109:110], v[111:112]
	buffer_store_dword v2, off, s[0:3], 0 offset:196
	buffer_store_dword v1, off, s[0:3], 0 offset:192
	;; [unrolled: 1-line block ×4, first 2 shown]
.LBB49_487:
	s_or_b32 exec_lo, exec_lo, s4
	v_mov_b32_e32 v4, s45
	s_mov_b32 s4, exec_lo
	s_clause 0x3
	buffer_load_dword v1, v4, s[0:3], 0 offen
	buffer_load_dword v2, v4, s[0:3], 0 offen offset:4
	buffer_load_dword v3, v4, s[0:3], 0 offen offset:8
	buffer_load_dword v4, v4, s[0:3], 0 offen offset:12
	s_waitcnt vmcnt(0)
	ds_write_b128 v6, v[1:4]
	s_waitcnt lgkmcnt(0)
	s_waitcnt_vscnt null, 0x0
	s_barrier
	buffer_gl0_inv
	v_cmpx_gt_u32_e32 13, v0
	s_cbranch_execz .LBB49_495
; %bb.488:
	ds_read_b128 v[1:4], v6
	v_cmp_ne_u32_e32 vcc_lo, 1, v7
	s_cbranch_vccnz .LBB49_490
; %bb.489:
	s_clause 0x3
	buffer_load_dword v109, v5, s[0:3], 0 offen offset:8
	buffer_load_dword v110, v5, s[0:3], 0 offen offset:12
	buffer_load_dword v111, v5, s[0:3], 0 offen
	buffer_load_dword v112, v5, s[0:3], 0 offen offset:4
	s_waitcnt vmcnt(2) lgkmcnt(0)
	v_mul_f64 v[113:114], v[3:4], v[109:110]
	v_mul_f64 v[109:110], v[1:2], v[109:110]
	s_waitcnt vmcnt(0)
	v_fma_f64 v[1:2], v[1:2], v[111:112], -v[113:114]
	v_fma_f64 v[3:4], v[3:4], v[111:112], v[109:110]
.LBB49_490:
	s_mov_b32 s6, exec_lo
	v_cmpx_ne_u32_e32 12, v0
	s_cbranch_execz .LBB49_494
; %bb.491:
	v_add_nc_u32_e32 v8, 0x330, v129
	v_add3_u32 v109, 0, v129, 16
	v_mov_b32_e32 v110, v0
	s_mov_b32 s8, 0
	.p2align	6
.LBB49_492:                             ; =>This Inner Loop Header: Depth=1
	s_clause 0x3
	buffer_load_dword v115, v109, s[0:3], 0 offen offset:8
	buffer_load_dword v116, v109, s[0:3], 0 offen offset:12
	buffer_load_dword v117, v109, s[0:3], 0 offen
	buffer_load_dword v118, v109, s[0:3], 0 offen offset:4
	ds_read_b128 v[111:114], v8
	v_add_nc_u32_e32 v110, 1, v110
	v_add_nc_u32_e32 v8, 16, v8
	;; [unrolled: 1-line block ×3, first 2 shown]
	v_cmp_lt_u32_e32 vcc_lo, 11, v110
	s_or_b32 s8, vcc_lo, s8
	s_waitcnt vmcnt(2) lgkmcnt(0)
	v_mul_f64 v[119:120], v[113:114], v[115:116]
	v_mul_f64 v[115:116], v[111:112], v[115:116]
	s_waitcnt vmcnt(0)
	v_fma_f64 v[111:112], v[111:112], v[117:118], -v[119:120]
	v_fma_f64 v[113:114], v[113:114], v[117:118], v[115:116]
	v_add_f64 v[1:2], v[1:2], v[111:112]
	v_add_f64 v[3:4], v[3:4], v[113:114]
	s_andn2_b32 exec_lo, exec_lo, s8
	s_cbranch_execnz .LBB49_492
; %bb.493:
	s_or_b32 exec_lo, exec_lo, s8
.LBB49_494:
	s_or_b32 exec_lo, exec_lo, s6
	v_mov_b32_e32 v8, 0
	ds_read_b128 v[109:112], v8 offset:208
	s_waitcnt lgkmcnt(0)
	v_mul_f64 v[113:114], v[3:4], v[111:112]
	v_mul_f64 v[111:112], v[1:2], v[111:112]
	v_fma_f64 v[1:2], v[1:2], v[109:110], -v[113:114]
	v_fma_f64 v[3:4], v[3:4], v[109:110], v[111:112]
	buffer_store_dword v2, off, s[0:3], 0 offset:212
	buffer_store_dword v1, off, s[0:3], 0 offset:208
	;; [unrolled: 1-line block ×4, first 2 shown]
.LBB49_495:
	s_or_b32 exec_lo, exec_lo, s4
	v_mov_b32_e32 v4, s44
	s_mov_b32 s4, exec_lo
	s_clause 0x3
	buffer_load_dword v1, v4, s[0:3], 0 offen
	buffer_load_dword v2, v4, s[0:3], 0 offen offset:4
	buffer_load_dword v3, v4, s[0:3], 0 offen offset:8
	;; [unrolled: 1-line block ×3, first 2 shown]
	s_waitcnt vmcnt(0)
	ds_write_b128 v6, v[1:4]
	s_waitcnt lgkmcnt(0)
	s_waitcnt_vscnt null, 0x0
	s_barrier
	buffer_gl0_inv
	v_cmpx_gt_u32_e32 14, v0
	s_cbranch_execz .LBB49_503
; %bb.496:
	ds_read_b128 v[1:4], v6
	v_cmp_ne_u32_e32 vcc_lo, 1, v7
	s_cbranch_vccnz .LBB49_498
; %bb.497:
	s_clause 0x3
	buffer_load_dword v109, v5, s[0:3], 0 offen offset:8
	buffer_load_dword v110, v5, s[0:3], 0 offen offset:12
	buffer_load_dword v111, v5, s[0:3], 0 offen
	buffer_load_dword v112, v5, s[0:3], 0 offen offset:4
	s_waitcnt vmcnt(2) lgkmcnt(0)
	v_mul_f64 v[113:114], v[3:4], v[109:110]
	v_mul_f64 v[109:110], v[1:2], v[109:110]
	s_waitcnt vmcnt(0)
	v_fma_f64 v[1:2], v[1:2], v[111:112], -v[113:114]
	v_fma_f64 v[3:4], v[3:4], v[111:112], v[109:110]
.LBB49_498:
	s_mov_b32 s6, exec_lo
	v_cmpx_ne_u32_e32 13, v0
	s_cbranch_execz .LBB49_502
; %bb.499:
	v_add_nc_u32_e32 v8, 0x330, v129
	v_add3_u32 v109, 0, v129, 16
	v_mov_b32_e32 v110, v0
	s_mov_b32 s8, 0
	.p2align	6
.LBB49_500:                             ; =>This Inner Loop Header: Depth=1
	s_clause 0x3
	buffer_load_dword v115, v109, s[0:3], 0 offen offset:8
	buffer_load_dword v116, v109, s[0:3], 0 offen offset:12
	buffer_load_dword v117, v109, s[0:3], 0 offen
	buffer_load_dword v118, v109, s[0:3], 0 offen offset:4
	ds_read_b128 v[111:114], v8
	v_add_nc_u32_e32 v110, 1, v110
	v_add_nc_u32_e32 v8, 16, v8
	;; [unrolled: 1-line block ×3, first 2 shown]
	v_cmp_lt_u32_e32 vcc_lo, 12, v110
	s_or_b32 s8, vcc_lo, s8
	s_waitcnt vmcnt(2) lgkmcnt(0)
	v_mul_f64 v[119:120], v[113:114], v[115:116]
	v_mul_f64 v[115:116], v[111:112], v[115:116]
	s_waitcnt vmcnt(0)
	v_fma_f64 v[111:112], v[111:112], v[117:118], -v[119:120]
	v_fma_f64 v[113:114], v[113:114], v[117:118], v[115:116]
	v_add_f64 v[1:2], v[1:2], v[111:112]
	v_add_f64 v[3:4], v[3:4], v[113:114]
	s_andn2_b32 exec_lo, exec_lo, s8
	s_cbranch_execnz .LBB49_500
; %bb.501:
	s_or_b32 exec_lo, exec_lo, s8
.LBB49_502:
	s_or_b32 exec_lo, exec_lo, s6
	v_mov_b32_e32 v8, 0
	ds_read_b128 v[109:112], v8 offset:224
	s_waitcnt lgkmcnt(0)
	v_mul_f64 v[113:114], v[3:4], v[111:112]
	v_mul_f64 v[111:112], v[1:2], v[111:112]
	v_fma_f64 v[1:2], v[1:2], v[109:110], -v[113:114]
	v_fma_f64 v[3:4], v[3:4], v[109:110], v[111:112]
	buffer_store_dword v2, off, s[0:3], 0 offset:228
	buffer_store_dword v1, off, s[0:3], 0 offset:224
	;; [unrolled: 1-line block ×4, first 2 shown]
.LBB49_503:
	s_or_b32 exec_lo, exec_lo, s4
	v_mov_b32_e32 v4, s43
	s_mov_b32 s4, exec_lo
	s_clause 0x3
	buffer_load_dword v1, v4, s[0:3], 0 offen
	buffer_load_dword v2, v4, s[0:3], 0 offen offset:4
	buffer_load_dword v3, v4, s[0:3], 0 offen offset:8
	;; [unrolled: 1-line block ×3, first 2 shown]
	s_waitcnt vmcnt(0)
	ds_write_b128 v6, v[1:4]
	s_waitcnt lgkmcnt(0)
	s_waitcnt_vscnt null, 0x0
	s_barrier
	buffer_gl0_inv
	v_cmpx_gt_u32_e32 15, v0
	s_cbranch_execz .LBB49_511
; %bb.504:
	ds_read_b128 v[1:4], v6
	v_cmp_ne_u32_e32 vcc_lo, 1, v7
	s_cbranch_vccnz .LBB49_506
; %bb.505:
	s_clause 0x3
	buffer_load_dword v109, v5, s[0:3], 0 offen offset:8
	buffer_load_dword v110, v5, s[0:3], 0 offen offset:12
	buffer_load_dword v111, v5, s[0:3], 0 offen
	buffer_load_dword v112, v5, s[0:3], 0 offen offset:4
	s_waitcnt vmcnt(2) lgkmcnt(0)
	v_mul_f64 v[113:114], v[3:4], v[109:110]
	v_mul_f64 v[109:110], v[1:2], v[109:110]
	s_waitcnt vmcnt(0)
	v_fma_f64 v[1:2], v[1:2], v[111:112], -v[113:114]
	v_fma_f64 v[3:4], v[3:4], v[111:112], v[109:110]
.LBB49_506:
	s_mov_b32 s6, exec_lo
	v_cmpx_ne_u32_e32 14, v0
	s_cbranch_execz .LBB49_510
; %bb.507:
	v_add_nc_u32_e32 v8, 0x330, v129
	v_add3_u32 v109, 0, v129, 16
	v_mov_b32_e32 v110, v0
	s_mov_b32 s8, 0
	.p2align	6
.LBB49_508:                             ; =>This Inner Loop Header: Depth=1
	s_clause 0x3
	buffer_load_dword v115, v109, s[0:3], 0 offen offset:8
	buffer_load_dword v116, v109, s[0:3], 0 offen offset:12
	buffer_load_dword v117, v109, s[0:3], 0 offen
	buffer_load_dword v118, v109, s[0:3], 0 offen offset:4
	ds_read_b128 v[111:114], v8
	v_add_nc_u32_e32 v110, 1, v110
	v_add_nc_u32_e32 v8, 16, v8
	v_add_nc_u32_e32 v109, 16, v109
	v_cmp_lt_u32_e32 vcc_lo, 13, v110
	s_or_b32 s8, vcc_lo, s8
	s_waitcnt vmcnt(2) lgkmcnt(0)
	v_mul_f64 v[119:120], v[113:114], v[115:116]
	v_mul_f64 v[115:116], v[111:112], v[115:116]
	s_waitcnt vmcnt(0)
	v_fma_f64 v[111:112], v[111:112], v[117:118], -v[119:120]
	v_fma_f64 v[113:114], v[113:114], v[117:118], v[115:116]
	v_add_f64 v[1:2], v[1:2], v[111:112]
	v_add_f64 v[3:4], v[3:4], v[113:114]
	s_andn2_b32 exec_lo, exec_lo, s8
	s_cbranch_execnz .LBB49_508
; %bb.509:
	s_or_b32 exec_lo, exec_lo, s8
.LBB49_510:
	s_or_b32 exec_lo, exec_lo, s6
	v_mov_b32_e32 v8, 0
	ds_read_b128 v[109:112], v8 offset:240
	s_waitcnt lgkmcnt(0)
	v_mul_f64 v[113:114], v[3:4], v[111:112]
	v_mul_f64 v[111:112], v[1:2], v[111:112]
	v_fma_f64 v[1:2], v[1:2], v[109:110], -v[113:114]
	v_fma_f64 v[3:4], v[3:4], v[109:110], v[111:112]
	buffer_store_dword v2, off, s[0:3], 0 offset:244
	buffer_store_dword v1, off, s[0:3], 0 offset:240
	;; [unrolled: 1-line block ×4, first 2 shown]
.LBB49_511:
	s_or_b32 exec_lo, exec_lo, s4
	v_mov_b32_e32 v4, s42
	s_mov_b32 s4, exec_lo
	s_clause 0x3
	buffer_load_dword v1, v4, s[0:3], 0 offen
	buffer_load_dword v2, v4, s[0:3], 0 offen offset:4
	buffer_load_dword v3, v4, s[0:3], 0 offen offset:8
	buffer_load_dword v4, v4, s[0:3], 0 offen offset:12
	s_waitcnt vmcnt(0)
	ds_write_b128 v6, v[1:4]
	s_waitcnt lgkmcnt(0)
	s_waitcnt_vscnt null, 0x0
	s_barrier
	buffer_gl0_inv
	v_cmpx_gt_u32_e32 16, v0
	s_cbranch_execz .LBB49_519
; %bb.512:
	ds_read_b128 v[1:4], v6
	v_cmp_ne_u32_e32 vcc_lo, 1, v7
	s_cbranch_vccnz .LBB49_514
; %bb.513:
	s_clause 0x3
	buffer_load_dword v109, v5, s[0:3], 0 offen offset:8
	buffer_load_dword v110, v5, s[0:3], 0 offen offset:12
	buffer_load_dword v111, v5, s[0:3], 0 offen
	buffer_load_dword v112, v5, s[0:3], 0 offen offset:4
	s_waitcnt vmcnt(2) lgkmcnt(0)
	v_mul_f64 v[113:114], v[3:4], v[109:110]
	v_mul_f64 v[109:110], v[1:2], v[109:110]
	s_waitcnt vmcnt(0)
	v_fma_f64 v[1:2], v[1:2], v[111:112], -v[113:114]
	v_fma_f64 v[3:4], v[3:4], v[111:112], v[109:110]
.LBB49_514:
	s_mov_b32 s6, exec_lo
	v_cmpx_ne_u32_e32 15, v0
	s_cbranch_execz .LBB49_518
; %bb.515:
	v_add_nc_u32_e32 v8, 0x330, v129
	v_add3_u32 v109, 0, v129, 16
	v_mov_b32_e32 v110, v0
	s_mov_b32 s8, 0
	.p2align	6
.LBB49_516:                             ; =>This Inner Loop Header: Depth=1
	s_clause 0x3
	buffer_load_dword v115, v109, s[0:3], 0 offen offset:8
	buffer_load_dword v116, v109, s[0:3], 0 offen offset:12
	buffer_load_dword v117, v109, s[0:3], 0 offen
	buffer_load_dword v118, v109, s[0:3], 0 offen offset:4
	ds_read_b128 v[111:114], v8
	v_add_nc_u32_e32 v110, 1, v110
	v_add_nc_u32_e32 v8, 16, v8
	v_add_nc_u32_e32 v109, 16, v109
	v_cmp_lt_u32_e32 vcc_lo, 14, v110
	s_or_b32 s8, vcc_lo, s8
	s_waitcnt vmcnt(2) lgkmcnt(0)
	v_mul_f64 v[119:120], v[113:114], v[115:116]
	v_mul_f64 v[115:116], v[111:112], v[115:116]
	s_waitcnt vmcnt(0)
	v_fma_f64 v[111:112], v[111:112], v[117:118], -v[119:120]
	v_fma_f64 v[113:114], v[113:114], v[117:118], v[115:116]
	v_add_f64 v[1:2], v[1:2], v[111:112]
	v_add_f64 v[3:4], v[3:4], v[113:114]
	s_andn2_b32 exec_lo, exec_lo, s8
	s_cbranch_execnz .LBB49_516
; %bb.517:
	s_or_b32 exec_lo, exec_lo, s8
.LBB49_518:
	s_or_b32 exec_lo, exec_lo, s6
	v_mov_b32_e32 v8, 0
	ds_read_b128 v[109:112], v8 offset:256
	s_waitcnt lgkmcnt(0)
	v_mul_f64 v[113:114], v[3:4], v[111:112]
	v_mul_f64 v[111:112], v[1:2], v[111:112]
	v_fma_f64 v[1:2], v[1:2], v[109:110], -v[113:114]
	v_fma_f64 v[3:4], v[3:4], v[109:110], v[111:112]
	buffer_store_dword v2, off, s[0:3], 0 offset:260
	buffer_store_dword v1, off, s[0:3], 0 offset:256
	;; [unrolled: 1-line block ×4, first 2 shown]
.LBB49_519:
	s_or_b32 exec_lo, exec_lo, s4
	v_mov_b32_e32 v4, s41
	s_mov_b32 s4, exec_lo
	s_clause 0x3
	buffer_load_dword v1, v4, s[0:3], 0 offen
	buffer_load_dword v2, v4, s[0:3], 0 offen offset:4
	buffer_load_dword v3, v4, s[0:3], 0 offen offset:8
	;; [unrolled: 1-line block ×3, first 2 shown]
	s_waitcnt vmcnt(0)
	ds_write_b128 v6, v[1:4]
	s_waitcnt lgkmcnt(0)
	s_waitcnt_vscnt null, 0x0
	s_barrier
	buffer_gl0_inv
	v_cmpx_gt_u32_e32 17, v0
	s_cbranch_execz .LBB49_527
; %bb.520:
	ds_read_b128 v[1:4], v6
	v_cmp_ne_u32_e32 vcc_lo, 1, v7
	s_cbranch_vccnz .LBB49_522
; %bb.521:
	s_clause 0x3
	buffer_load_dword v109, v5, s[0:3], 0 offen offset:8
	buffer_load_dword v110, v5, s[0:3], 0 offen offset:12
	buffer_load_dword v111, v5, s[0:3], 0 offen
	buffer_load_dword v112, v5, s[0:3], 0 offen offset:4
	s_waitcnt vmcnt(2) lgkmcnt(0)
	v_mul_f64 v[113:114], v[3:4], v[109:110]
	v_mul_f64 v[109:110], v[1:2], v[109:110]
	s_waitcnt vmcnt(0)
	v_fma_f64 v[1:2], v[1:2], v[111:112], -v[113:114]
	v_fma_f64 v[3:4], v[3:4], v[111:112], v[109:110]
.LBB49_522:
	s_mov_b32 s6, exec_lo
	v_cmpx_ne_u32_e32 16, v0
	s_cbranch_execz .LBB49_526
; %bb.523:
	v_add_nc_u32_e32 v8, 0x330, v129
	v_add3_u32 v109, 0, v129, 16
	v_mov_b32_e32 v110, v0
	s_mov_b32 s8, 0
	.p2align	6
.LBB49_524:                             ; =>This Inner Loop Header: Depth=1
	s_clause 0x3
	buffer_load_dword v115, v109, s[0:3], 0 offen offset:8
	buffer_load_dword v116, v109, s[0:3], 0 offen offset:12
	buffer_load_dword v117, v109, s[0:3], 0 offen
	buffer_load_dword v118, v109, s[0:3], 0 offen offset:4
	ds_read_b128 v[111:114], v8
	v_add_nc_u32_e32 v110, 1, v110
	v_add_nc_u32_e32 v8, 16, v8
	;; [unrolled: 1-line block ×3, first 2 shown]
	v_cmp_lt_u32_e32 vcc_lo, 15, v110
	s_or_b32 s8, vcc_lo, s8
	s_waitcnt vmcnt(2) lgkmcnt(0)
	v_mul_f64 v[119:120], v[113:114], v[115:116]
	v_mul_f64 v[115:116], v[111:112], v[115:116]
	s_waitcnt vmcnt(0)
	v_fma_f64 v[111:112], v[111:112], v[117:118], -v[119:120]
	v_fma_f64 v[113:114], v[113:114], v[117:118], v[115:116]
	v_add_f64 v[1:2], v[1:2], v[111:112]
	v_add_f64 v[3:4], v[3:4], v[113:114]
	s_andn2_b32 exec_lo, exec_lo, s8
	s_cbranch_execnz .LBB49_524
; %bb.525:
	s_or_b32 exec_lo, exec_lo, s8
.LBB49_526:
	s_or_b32 exec_lo, exec_lo, s6
	v_mov_b32_e32 v8, 0
	ds_read_b128 v[109:112], v8 offset:272
	s_waitcnt lgkmcnt(0)
	v_mul_f64 v[113:114], v[3:4], v[111:112]
	v_mul_f64 v[111:112], v[1:2], v[111:112]
	v_fma_f64 v[1:2], v[1:2], v[109:110], -v[113:114]
	v_fma_f64 v[3:4], v[3:4], v[109:110], v[111:112]
	buffer_store_dword v2, off, s[0:3], 0 offset:276
	buffer_store_dword v1, off, s[0:3], 0 offset:272
	;; [unrolled: 1-line block ×4, first 2 shown]
.LBB49_527:
	s_or_b32 exec_lo, exec_lo, s4
	v_mov_b32_e32 v4, s40
	s_mov_b32 s4, exec_lo
	s_clause 0x3
	buffer_load_dword v1, v4, s[0:3], 0 offen
	buffer_load_dword v2, v4, s[0:3], 0 offen offset:4
	buffer_load_dword v3, v4, s[0:3], 0 offen offset:8
	;; [unrolled: 1-line block ×3, first 2 shown]
	s_waitcnt vmcnt(0)
	ds_write_b128 v6, v[1:4]
	s_waitcnt lgkmcnt(0)
	s_waitcnt_vscnt null, 0x0
	s_barrier
	buffer_gl0_inv
	v_cmpx_gt_u32_e32 18, v0
	s_cbranch_execz .LBB49_535
; %bb.528:
	ds_read_b128 v[1:4], v6
	v_cmp_ne_u32_e32 vcc_lo, 1, v7
	s_cbranch_vccnz .LBB49_530
; %bb.529:
	s_clause 0x3
	buffer_load_dword v109, v5, s[0:3], 0 offen offset:8
	buffer_load_dword v110, v5, s[0:3], 0 offen offset:12
	buffer_load_dword v111, v5, s[0:3], 0 offen
	buffer_load_dword v112, v5, s[0:3], 0 offen offset:4
	s_waitcnt vmcnt(2) lgkmcnt(0)
	v_mul_f64 v[113:114], v[3:4], v[109:110]
	v_mul_f64 v[109:110], v[1:2], v[109:110]
	s_waitcnt vmcnt(0)
	v_fma_f64 v[1:2], v[1:2], v[111:112], -v[113:114]
	v_fma_f64 v[3:4], v[3:4], v[111:112], v[109:110]
.LBB49_530:
	s_mov_b32 s6, exec_lo
	v_cmpx_ne_u32_e32 17, v0
	s_cbranch_execz .LBB49_534
; %bb.531:
	v_add_nc_u32_e32 v8, 0x330, v129
	v_add3_u32 v109, 0, v129, 16
	v_mov_b32_e32 v110, v0
	s_mov_b32 s8, 0
	.p2align	6
.LBB49_532:                             ; =>This Inner Loop Header: Depth=1
	s_clause 0x3
	buffer_load_dword v115, v109, s[0:3], 0 offen offset:8
	buffer_load_dword v116, v109, s[0:3], 0 offen offset:12
	buffer_load_dword v117, v109, s[0:3], 0 offen
	buffer_load_dword v118, v109, s[0:3], 0 offen offset:4
	ds_read_b128 v[111:114], v8
	v_add_nc_u32_e32 v110, 1, v110
	v_add_nc_u32_e32 v8, 16, v8
	;; [unrolled: 1-line block ×3, first 2 shown]
	v_cmp_lt_u32_e32 vcc_lo, 16, v110
	s_or_b32 s8, vcc_lo, s8
	s_waitcnt vmcnt(2) lgkmcnt(0)
	v_mul_f64 v[119:120], v[113:114], v[115:116]
	v_mul_f64 v[115:116], v[111:112], v[115:116]
	s_waitcnt vmcnt(0)
	v_fma_f64 v[111:112], v[111:112], v[117:118], -v[119:120]
	v_fma_f64 v[113:114], v[113:114], v[117:118], v[115:116]
	v_add_f64 v[1:2], v[1:2], v[111:112]
	v_add_f64 v[3:4], v[3:4], v[113:114]
	s_andn2_b32 exec_lo, exec_lo, s8
	s_cbranch_execnz .LBB49_532
; %bb.533:
	s_or_b32 exec_lo, exec_lo, s8
.LBB49_534:
	s_or_b32 exec_lo, exec_lo, s6
	v_mov_b32_e32 v8, 0
	ds_read_b128 v[109:112], v8 offset:288
	s_waitcnt lgkmcnt(0)
	v_mul_f64 v[113:114], v[3:4], v[111:112]
	v_mul_f64 v[111:112], v[1:2], v[111:112]
	v_fma_f64 v[1:2], v[1:2], v[109:110], -v[113:114]
	v_fma_f64 v[3:4], v[3:4], v[109:110], v[111:112]
	buffer_store_dword v2, off, s[0:3], 0 offset:292
	buffer_store_dword v1, off, s[0:3], 0 offset:288
	buffer_store_dword v4, off, s[0:3], 0 offset:300
	buffer_store_dword v3, off, s[0:3], 0 offset:296
.LBB49_535:
	s_or_b32 exec_lo, exec_lo, s4
	v_mov_b32_e32 v4, s39
	s_mov_b32 s4, exec_lo
	s_clause 0x3
	buffer_load_dword v1, v4, s[0:3], 0 offen
	buffer_load_dword v2, v4, s[0:3], 0 offen offset:4
	buffer_load_dword v3, v4, s[0:3], 0 offen offset:8
	;; [unrolled: 1-line block ×3, first 2 shown]
	s_waitcnt vmcnt(0)
	ds_write_b128 v6, v[1:4]
	s_waitcnt lgkmcnt(0)
	s_waitcnt_vscnt null, 0x0
	s_barrier
	buffer_gl0_inv
	v_cmpx_gt_u32_e32 19, v0
	s_cbranch_execz .LBB49_543
; %bb.536:
	ds_read_b128 v[1:4], v6
	v_cmp_ne_u32_e32 vcc_lo, 1, v7
	s_cbranch_vccnz .LBB49_538
; %bb.537:
	s_clause 0x3
	buffer_load_dword v109, v5, s[0:3], 0 offen offset:8
	buffer_load_dword v110, v5, s[0:3], 0 offen offset:12
	buffer_load_dword v111, v5, s[0:3], 0 offen
	buffer_load_dword v112, v5, s[0:3], 0 offen offset:4
	s_waitcnt vmcnt(2) lgkmcnt(0)
	v_mul_f64 v[113:114], v[3:4], v[109:110]
	v_mul_f64 v[109:110], v[1:2], v[109:110]
	s_waitcnt vmcnt(0)
	v_fma_f64 v[1:2], v[1:2], v[111:112], -v[113:114]
	v_fma_f64 v[3:4], v[3:4], v[111:112], v[109:110]
.LBB49_538:
	s_mov_b32 s6, exec_lo
	v_cmpx_ne_u32_e32 18, v0
	s_cbranch_execz .LBB49_542
; %bb.539:
	v_add_nc_u32_e32 v8, 0x330, v129
	v_add3_u32 v109, 0, v129, 16
	v_mov_b32_e32 v110, v0
	s_mov_b32 s8, 0
	.p2align	6
.LBB49_540:                             ; =>This Inner Loop Header: Depth=1
	s_clause 0x3
	buffer_load_dword v115, v109, s[0:3], 0 offen offset:8
	buffer_load_dword v116, v109, s[0:3], 0 offen offset:12
	buffer_load_dword v117, v109, s[0:3], 0 offen
	buffer_load_dword v118, v109, s[0:3], 0 offen offset:4
	ds_read_b128 v[111:114], v8
	v_add_nc_u32_e32 v110, 1, v110
	v_add_nc_u32_e32 v8, 16, v8
	;; [unrolled: 1-line block ×3, first 2 shown]
	v_cmp_lt_u32_e32 vcc_lo, 17, v110
	s_or_b32 s8, vcc_lo, s8
	s_waitcnt vmcnt(2) lgkmcnt(0)
	v_mul_f64 v[119:120], v[113:114], v[115:116]
	v_mul_f64 v[115:116], v[111:112], v[115:116]
	s_waitcnt vmcnt(0)
	v_fma_f64 v[111:112], v[111:112], v[117:118], -v[119:120]
	v_fma_f64 v[113:114], v[113:114], v[117:118], v[115:116]
	v_add_f64 v[1:2], v[1:2], v[111:112]
	v_add_f64 v[3:4], v[3:4], v[113:114]
	s_andn2_b32 exec_lo, exec_lo, s8
	s_cbranch_execnz .LBB49_540
; %bb.541:
	s_or_b32 exec_lo, exec_lo, s8
.LBB49_542:
	s_or_b32 exec_lo, exec_lo, s6
	v_mov_b32_e32 v8, 0
	ds_read_b128 v[109:112], v8 offset:304
	s_waitcnt lgkmcnt(0)
	v_mul_f64 v[113:114], v[3:4], v[111:112]
	v_mul_f64 v[111:112], v[1:2], v[111:112]
	v_fma_f64 v[1:2], v[1:2], v[109:110], -v[113:114]
	v_fma_f64 v[3:4], v[3:4], v[109:110], v[111:112]
	buffer_store_dword v2, off, s[0:3], 0 offset:308
	buffer_store_dword v1, off, s[0:3], 0 offset:304
	;; [unrolled: 1-line block ×4, first 2 shown]
.LBB49_543:
	s_or_b32 exec_lo, exec_lo, s4
	v_mov_b32_e32 v4, s38
	s_mov_b32 s4, exec_lo
	s_clause 0x3
	buffer_load_dword v1, v4, s[0:3], 0 offen
	buffer_load_dword v2, v4, s[0:3], 0 offen offset:4
	buffer_load_dword v3, v4, s[0:3], 0 offen offset:8
	buffer_load_dword v4, v4, s[0:3], 0 offen offset:12
	s_waitcnt vmcnt(0)
	ds_write_b128 v6, v[1:4]
	s_waitcnt lgkmcnt(0)
	s_waitcnt_vscnt null, 0x0
	s_barrier
	buffer_gl0_inv
	v_cmpx_gt_u32_e32 20, v0
	s_cbranch_execz .LBB49_551
; %bb.544:
	ds_read_b128 v[1:4], v6
	v_cmp_ne_u32_e32 vcc_lo, 1, v7
	s_cbranch_vccnz .LBB49_546
; %bb.545:
	s_clause 0x3
	buffer_load_dword v109, v5, s[0:3], 0 offen offset:8
	buffer_load_dword v110, v5, s[0:3], 0 offen offset:12
	buffer_load_dword v111, v5, s[0:3], 0 offen
	buffer_load_dword v112, v5, s[0:3], 0 offen offset:4
	s_waitcnt vmcnt(2) lgkmcnt(0)
	v_mul_f64 v[113:114], v[3:4], v[109:110]
	v_mul_f64 v[109:110], v[1:2], v[109:110]
	s_waitcnt vmcnt(0)
	v_fma_f64 v[1:2], v[1:2], v[111:112], -v[113:114]
	v_fma_f64 v[3:4], v[3:4], v[111:112], v[109:110]
.LBB49_546:
	s_mov_b32 s6, exec_lo
	v_cmpx_ne_u32_e32 19, v0
	s_cbranch_execz .LBB49_550
; %bb.547:
	v_add_nc_u32_e32 v8, 0x330, v129
	v_add3_u32 v109, 0, v129, 16
	v_mov_b32_e32 v110, v0
	s_mov_b32 s8, 0
	.p2align	6
.LBB49_548:                             ; =>This Inner Loop Header: Depth=1
	s_clause 0x3
	buffer_load_dword v115, v109, s[0:3], 0 offen offset:8
	buffer_load_dword v116, v109, s[0:3], 0 offen offset:12
	buffer_load_dword v117, v109, s[0:3], 0 offen
	buffer_load_dword v118, v109, s[0:3], 0 offen offset:4
	ds_read_b128 v[111:114], v8
	v_add_nc_u32_e32 v110, 1, v110
	v_add_nc_u32_e32 v8, 16, v8
	;; [unrolled: 1-line block ×3, first 2 shown]
	v_cmp_lt_u32_e32 vcc_lo, 18, v110
	s_or_b32 s8, vcc_lo, s8
	s_waitcnt vmcnt(2) lgkmcnt(0)
	v_mul_f64 v[119:120], v[113:114], v[115:116]
	v_mul_f64 v[115:116], v[111:112], v[115:116]
	s_waitcnt vmcnt(0)
	v_fma_f64 v[111:112], v[111:112], v[117:118], -v[119:120]
	v_fma_f64 v[113:114], v[113:114], v[117:118], v[115:116]
	v_add_f64 v[1:2], v[1:2], v[111:112]
	v_add_f64 v[3:4], v[3:4], v[113:114]
	s_andn2_b32 exec_lo, exec_lo, s8
	s_cbranch_execnz .LBB49_548
; %bb.549:
	s_or_b32 exec_lo, exec_lo, s8
.LBB49_550:
	s_or_b32 exec_lo, exec_lo, s6
	v_mov_b32_e32 v8, 0
	ds_read_b128 v[109:112], v8 offset:320
	s_waitcnt lgkmcnt(0)
	v_mul_f64 v[113:114], v[3:4], v[111:112]
	v_mul_f64 v[111:112], v[1:2], v[111:112]
	v_fma_f64 v[1:2], v[1:2], v[109:110], -v[113:114]
	v_fma_f64 v[3:4], v[3:4], v[109:110], v[111:112]
	buffer_store_dword v2, off, s[0:3], 0 offset:324
	buffer_store_dword v1, off, s[0:3], 0 offset:320
	;; [unrolled: 1-line block ×4, first 2 shown]
.LBB49_551:
	s_or_b32 exec_lo, exec_lo, s4
	v_mov_b32_e32 v4, s37
	s_mov_b32 s4, exec_lo
	s_clause 0x3
	buffer_load_dword v1, v4, s[0:3], 0 offen
	buffer_load_dword v2, v4, s[0:3], 0 offen offset:4
	buffer_load_dword v3, v4, s[0:3], 0 offen offset:8
	;; [unrolled: 1-line block ×3, first 2 shown]
	s_waitcnt vmcnt(0)
	ds_write_b128 v6, v[1:4]
	s_waitcnt lgkmcnt(0)
	s_waitcnt_vscnt null, 0x0
	s_barrier
	buffer_gl0_inv
	v_cmpx_gt_u32_e32 21, v0
	s_cbranch_execz .LBB49_559
; %bb.552:
	ds_read_b128 v[1:4], v6
	v_cmp_ne_u32_e32 vcc_lo, 1, v7
	s_cbranch_vccnz .LBB49_554
; %bb.553:
	s_clause 0x3
	buffer_load_dword v109, v5, s[0:3], 0 offen offset:8
	buffer_load_dword v110, v5, s[0:3], 0 offen offset:12
	buffer_load_dword v111, v5, s[0:3], 0 offen
	buffer_load_dword v112, v5, s[0:3], 0 offen offset:4
	s_waitcnt vmcnt(2) lgkmcnt(0)
	v_mul_f64 v[113:114], v[3:4], v[109:110]
	v_mul_f64 v[109:110], v[1:2], v[109:110]
	s_waitcnt vmcnt(0)
	v_fma_f64 v[1:2], v[1:2], v[111:112], -v[113:114]
	v_fma_f64 v[3:4], v[3:4], v[111:112], v[109:110]
.LBB49_554:
	s_mov_b32 s6, exec_lo
	v_cmpx_ne_u32_e32 20, v0
	s_cbranch_execz .LBB49_558
; %bb.555:
	v_add_nc_u32_e32 v8, 0x330, v129
	v_add3_u32 v109, 0, v129, 16
	v_mov_b32_e32 v110, v0
	s_mov_b32 s8, 0
	.p2align	6
.LBB49_556:                             ; =>This Inner Loop Header: Depth=1
	s_clause 0x3
	buffer_load_dword v115, v109, s[0:3], 0 offen offset:8
	buffer_load_dword v116, v109, s[0:3], 0 offen offset:12
	buffer_load_dword v117, v109, s[0:3], 0 offen
	buffer_load_dword v118, v109, s[0:3], 0 offen offset:4
	ds_read_b128 v[111:114], v8
	v_add_nc_u32_e32 v110, 1, v110
	v_add_nc_u32_e32 v8, 16, v8
	;; [unrolled: 1-line block ×3, first 2 shown]
	v_cmp_lt_u32_e32 vcc_lo, 19, v110
	s_or_b32 s8, vcc_lo, s8
	s_waitcnt vmcnt(2) lgkmcnt(0)
	v_mul_f64 v[119:120], v[113:114], v[115:116]
	v_mul_f64 v[115:116], v[111:112], v[115:116]
	s_waitcnt vmcnt(0)
	v_fma_f64 v[111:112], v[111:112], v[117:118], -v[119:120]
	v_fma_f64 v[113:114], v[113:114], v[117:118], v[115:116]
	v_add_f64 v[1:2], v[1:2], v[111:112]
	v_add_f64 v[3:4], v[3:4], v[113:114]
	s_andn2_b32 exec_lo, exec_lo, s8
	s_cbranch_execnz .LBB49_556
; %bb.557:
	s_or_b32 exec_lo, exec_lo, s8
.LBB49_558:
	s_or_b32 exec_lo, exec_lo, s6
	v_mov_b32_e32 v8, 0
	ds_read_b128 v[109:112], v8 offset:336
	s_waitcnt lgkmcnt(0)
	v_mul_f64 v[113:114], v[3:4], v[111:112]
	v_mul_f64 v[111:112], v[1:2], v[111:112]
	v_fma_f64 v[1:2], v[1:2], v[109:110], -v[113:114]
	v_fma_f64 v[3:4], v[3:4], v[109:110], v[111:112]
	buffer_store_dword v2, off, s[0:3], 0 offset:340
	buffer_store_dword v1, off, s[0:3], 0 offset:336
	;; [unrolled: 1-line block ×4, first 2 shown]
.LBB49_559:
	s_or_b32 exec_lo, exec_lo, s4
	v_mov_b32_e32 v4, s36
	s_mov_b32 s4, exec_lo
	s_clause 0x3
	buffer_load_dword v1, v4, s[0:3], 0 offen
	buffer_load_dword v2, v4, s[0:3], 0 offen offset:4
	buffer_load_dword v3, v4, s[0:3], 0 offen offset:8
	buffer_load_dword v4, v4, s[0:3], 0 offen offset:12
	s_waitcnt vmcnt(0)
	ds_write_b128 v6, v[1:4]
	s_waitcnt lgkmcnt(0)
	s_waitcnt_vscnt null, 0x0
	s_barrier
	buffer_gl0_inv
	v_cmpx_gt_u32_e32 22, v0
	s_cbranch_execz .LBB49_567
; %bb.560:
	ds_read_b128 v[1:4], v6
	v_cmp_ne_u32_e32 vcc_lo, 1, v7
	s_cbranch_vccnz .LBB49_562
; %bb.561:
	s_clause 0x3
	buffer_load_dword v109, v5, s[0:3], 0 offen offset:8
	buffer_load_dword v110, v5, s[0:3], 0 offen offset:12
	buffer_load_dword v111, v5, s[0:3], 0 offen
	buffer_load_dword v112, v5, s[0:3], 0 offen offset:4
	s_waitcnt vmcnt(2) lgkmcnt(0)
	v_mul_f64 v[113:114], v[3:4], v[109:110]
	v_mul_f64 v[109:110], v[1:2], v[109:110]
	s_waitcnt vmcnt(0)
	v_fma_f64 v[1:2], v[1:2], v[111:112], -v[113:114]
	v_fma_f64 v[3:4], v[3:4], v[111:112], v[109:110]
.LBB49_562:
	s_mov_b32 s6, exec_lo
	v_cmpx_ne_u32_e32 21, v0
	s_cbranch_execz .LBB49_566
; %bb.563:
	v_add_nc_u32_e32 v8, 0x330, v129
	v_add3_u32 v109, 0, v129, 16
	v_mov_b32_e32 v110, v0
	s_mov_b32 s8, 0
	.p2align	6
.LBB49_564:                             ; =>This Inner Loop Header: Depth=1
	s_clause 0x3
	buffer_load_dword v115, v109, s[0:3], 0 offen offset:8
	buffer_load_dword v116, v109, s[0:3], 0 offen offset:12
	buffer_load_dword v117, v109, s[0:3], 0 offen
	buffer_load_dword v118, v109, s[0:3], 0 offen offset:4
	ds_read_b128 v[111:114], v8
	v_add_nc_u32_e32 v110, 1, v110
	v_add_nc_u32_e32 v8, 16, v8
	;; [unrolled: 1-line block ×3, first 2 shown]
	v_cmp_lt_u32_e32 vcc_lo, 20, v110
	s_or_b32 s8, vcc_lo, s8
	s_waitcnt vmcnt(2) lgkmcnt(0)
	v_mul_f64 v[119:120], v[113:114], v[115:116]
	v_mul_f64 v[115:116], v[111:112], v[115:116]
	s_waitcnt vmcnt(0)
	v_fma_f64 v[111:112], v[111:112], v[117:118], -v[119:120]
	v_fma_f64 v[113:114], v[113:114], v[117:118], v[115:116]
	v_add_f64 v[1:2], v[1:2], v[111:112]
	v_add_f64 v[3:4], v[3:4], v[113:114]
	s_andn2_b32 exec_lo, exec_lo, s8
	s_cbranch_execnz .LBB49_564
; %bb.565:
	s_or_b32 exec_lo, exec_lo, s8
.LBB49_566:
	s_or_b32 exec_lo, exec_lo, s6
	v_mov_b32_e32 v8, 0
	ds_read_b128 v[109:112], v8 offset:352
	s_waitcnt lgkmcnt(0)
	v_mul_f64 v[113:114], v[3:4], v[111:112]
	v_mul_f64 v[111:112], v[1:2], v[111:112]
	v_fma_f64 v[1:2], v[1:2], v[109:110], -v[113:114]
	v_fma_f64 v[3:4], v[3:4], v[109:110], v[111:112]
	buffer_store_dword v2, off, s[0:3], 0 offset:356
	buffer_store_dword v1, off, s[0:3], 0 offset:352
	;; [unrolled: 1-line block ×4, first 2 shown]
.LBB49_567:
	s_or_b32 exec_lo, exec_lo, s4
	v_mov_b32_e32 v4, s35
	s_mov_b32 s4, exec_lo
	s_clause 0x3
	buffer_load_dword v1, v4, s[0:3], 0 offen
	buffer_load_dword v2, v4, s[0:3], 0 offen offset:4
	buffer_load_dword v3, v4, s[0:3], 0 offen offset:8
	;; [unrolled: 1-line block ×3, first 2 shown]
	s_waitcnt vmcnt(0)
	ds_write_b128 v6, v[1:4]
	s_waitcnt lgkmcnt(0)
	s_waitcnt_vscnt null, 0x0
	s_barrier
	buffer_gl0_inv
	v_cmpx_gt_u32_e32 23, v0
	s_cbranch_execz .LBB49_575
; %bb.568:
	ds_read_b128 v[1:4], v6
	v_cmp_ne_u32_e32 vcc_lo, 1, v7
	s_cbranch_vccnz .LBB49_570
; %bb.569:
	s_clause 0x3
	buffer_load_dword v109, v5, s[0:3], 0 offen offset:8
	buffer_load_dword v110, v5, s[0:3], 0 offen offset:12
	buffer_load_dword v111, v5, s[0:3], 0 offen
	buffer_load_dword v112, v5, s[0:3], 0 offen offset:4
	s_waitcnt vmcnt(2) lgkmcnt(0)
	v_mul_f64 v[113:114], v[3:4], v[109:110]
	v_mul_f64 v[109:110], v[1:2], v[109:110]
	s_waitcnt vmcnt(0)
	v_fma_f64 v[1:2], v[1:2], v[111:112], -v[113:114]
	v_fma_f64 v[3:4], v[3:4], v[111:112], v[109:110]
.LBB49_570:
	s_mov_b32 s6, exec_lo
	v_cmpx_ne_u32_e32 22, v0
	s_cbranch_execz .LBB49_574
; %bb.571:
	v_add_nc_u32_e32 v8, 0x330, v129
	v_add3_u32 v109, 0, v129, 16
	v_mov_b32_e32 v110, v0
	s_mov_b32 s8, 0
	.p2align	6
.LBB49_572:                             ; =>This Inner Loop Header: Depth=1
	s_clause 0x3
	buffer_load_dword v115, v109, s[0:3], 0 offen offset:8
	buffer_load_dword v116, v109, s[0:3], 0 offen offset:12
	buffer_load_dword v117, v109, s[0:3], 0 offen
	buffer_load_dword v118, v109, s[0:3], 0 offen offset:4
	ds_read_b128 v[111:114], v8
	v_add_nc_u32_e32 v110, 1, v110
	v_add_nc_u32_e32 v8, 16, v8
	;; [unrolled: 1-line block ×3, first 2 shown]
	v_cmp_lt_u32_e32 vcc_lo, 21, v110
	s_or_b32 s8, vcc_lo, s8
	s_waitcnt vmcnt(2) lgkmcnt(0)
	v_mul_f64 v[119:120], v[113:114], v[115:116]
	v_mul_f64 v[115:116], v[111:112], v[115:116]
	s_waitcnt vmcnt(0)
	v_fma_f64 v[111:112], v[111:112], v[117:118], -v[119:120]
	v_fma_f64 v[113:114], v[113:114], v[117:118], v[115:116]
	v_add_f64 v[1:2], v[1:2], v[111:112]
	v_add_f64 v[3:4], v[3:4], v[113:114]
	s_andn2_b32 exec_lo, exec_lo, s8
	s_cbranch_execnz .LBB49_572
; %bb.573:
	s_or_b32 exec_lo, exec_lo, s8
.LBB49_574:
	s_or_b32 exec_lo, exec_lo, s6
	v_mov_b32_e32 v8, 0
	ds_read_b128 v[109:112], v8 offset:368
	s_waitcnt lgkmcnt(0)
	v_mul_f64 v[113:114], v[3:4], v[111:112]
	v_mul_f64 v[111:112], v[1:2], v[111:112]
	v_fma_f64 v[1:2], v[1:2], v[109:110], -v[113:114]
	v_fma_f64 v[3:4], v[3:4], v[109:110], v[111:112]
	buffer_store_dword v2, off, s[0:3], 0 offset:372
	buffer_store_dword v1, off, s[0:3], 0 offset:368
	;; [unrolled: 1-line block ×4, first 2 shown]
.LBB49_575:
	s_or_b32 exec_lo, exec_lo, s4
	v_mov_b32_e32 v4, s34
	s_mov_b32 s4, exec_lo
	s_clause 0x3
	buffer_load_dword v1, v4, s[0:3], 0 offen
	buffer_load_dword v2, v4, s[0:3], 0 offen offset:4
	buffer_load_dword v3, v4, s[0:3], 0 offen offset:8
	;; [unrolled: 1-line block ×3, first 2 shown]
	s_waitcnt vmcnt(0)
	ds_write_b128 v6, v[1:4]
	s_waitcnt lgkmcnt(0)
	s_waitcnt_vscnt null, 0x0
	s_barrier
	buffer_gl0_inv
	v_cmpx_gt_u32_e32 24, v0
	s_cbranch_execz .LBB49_583
; %bb.576:
	ds_read_b128 v[1:4], v6
	v_cmp_ne_u32_e32 vcc_lo, 1, v7
	s_cbranch_vccnz .LBB49_578
; %bb.577:
	s_clause 0x3
	buffer_load_dword v109, v5, s[0:3], 0 offen offset:8
	buffer_load_dword v110, v5, s[0:3], 0 offen offset:12
	buffer_load_dword v111, v5, s[0:3], 0 offen
	buffer_load_dword v112, v5, s[0:3], 0 offen offset:4
	s_waitcnt vmcnt(2) lgkmcnt(0)
	v_mul_f64 v[113:114], v[3:4], v[109:110]
	v_mul_f64 v[109:110], v[1:2], v[109:110]
	s_waitcnt vmcnt(0)
	v_fma_f64 v[1:2], v[1:2], v[111:112], -v[113:114]
	v_fma_f64 v[3:4], v[3:4], v[111:112], v[109:110]
.LBB49_578:
	s_mov_b32 s6, exec_lo
	v_cmpx_ne_u32_e32 23, v0
	s_cbranch_execz .LBB49_582
; %bb.579:
	v_add_nc_u32_e32 v8, 0x330, v129
	v_add3_u32 v109, 0, v129, 16
	v_mov_b32_e32 v110, v0
	s_mov_b32 s8, 0
	.p2align	6
.LBB49_580:                             ; =>This Inner Loop Header: Depth=1
	s_clause 0x3
	buffer_load_dword v115, v109, s[0:3], 0 offen offset:8
	buffer_load_dword v116, v109, s[0:3], 0 offen offset:12
	buffer_load_dword v117, v109, s[0:3], 0 offen
	buffer_load_dword v118, v109, s[0:3], 0 offen offset:4
	ds_read_b128 v[111:114], v8
	v_add_nc_u32_e32 v110, 1, v110
	v_add_nc_u32_e32 v8, 16, v8
	;; [unrolled: 1-line block ×3, first 2 shown]
	v_cmp_lt_u32_e32 vcc_lo, 22, v110
	s_or_b32 s8, vcc_lo, s8
	s_waitcnt vmcnt(2) lgkmcnt(0)
	v_mul_f64 v[119:120], v[113:114], v[115:116]
	v_mul_f64 v[115:116], v[111:112], v[115:116]
	s_waitcnt vmcnt(0)
	v_fma_f64 v[111:112], v[111:112], v[117:118], -v[119:120]
	v_fma_f64 v[113:114], v[113:114], v[117:118], v[115:116]
	v_add_f64 v[1:2], v[1:2], v[111:112]
	v_add_f64 v[3:4], v[3:4], v[113:114]
	s_andn2_b32 exec_lo, exec_lo, s8
	s_cbranch_execnz .LBB49_580
; %bb.581:
	s_or_b32 exec_lo, exec_lo, s8
.LBB49_582:
	s_or_b32 exec_lo, exec_lo, s6
	v_mov_b32_e32 v8, 0
	ds_read_b128 v[109:112], v8 offset:384
	s_waitcnt lgkmcnt(0)
	v_mul_f64 v[113:114], v[3:4], v[111:112]
	v_mul_f64 v[111:112], v[1:2], v[111:112]
	v_fma_f64 v[1:2], v[1:2], v[109:110], -v[113:114]
	v_fma_f64 v[3:4], v[3:4], v[109:110], v[111:112]
	buffer_store_dword v2, off, s[0:3], 0 offset:388
	buffer_store_dword v1, off, s[0:3], 0 offset:384
	;; [unrolled: 1-line block ×4, first 2 shown]
.LBB49_583:
	s_or_b32 exec_lo, exec_lo, s4
	v_mov_b32_e32 v4, s33
	s_mov_b32 s4, exec_lo
	s_clause 0x3
	buffer_load_dword v1, v4, s[0:3], 0 offen
	buffer_load_dword v2, v4, s[0:3], 0 offen offset:4
	buffer_load_dword v3, v4, s[0:3], 0 offen offset:8
	;; [unrolled: 1-line block ×3, first 2 shown]
	s_waitcnt vmcnt(0)
	ds_write_b128 v6, v[1:4]
	s_waitcnt lgkmcnt(0)
	s_waitcnt_vscnt null, 0x0
	s_barrier
	buffer_gl0_inv
	v_cmpx_gt_u32_e32 25, v0
	s_cbranch_execz .LBB49_591
; %bb.584:
	ds_read_b128 v[1:4], v6
	v_cmp_ne_u32_e32 vcc_lo, 1, v7
	s_cbranch_vccnz .LBB49_586
; %bb.585:
	s_clause 0x3
	buffer_load_dword v109, v5, s[0:3], 0 offen offset:8
	buffer_load_dword v110, v5, s[0:3], 0 offen offset:12
	buffer_load_dword v111, v5, s[0:3], 0 offen
	buffer_load_dword v112, v5, s[0:3], 0 offen offset:4
	s_waitcnt vmcnt(2) lgkmcnt(0)
	v_mul_f64 v[113:114], v[3:4], v[109:110]
	v_mul_f64 v[109:110], v[1:2], v[109:110]
	s_waitcnt vmcnt(0)
	v_fma_f64 v[1:2], v[1:2], v[111:112], -v[113:114]
	v_fma_f64 v[3:4], v[3:4], v[111:112], v[109:110]
.LBB49_586:
	s_mov_b32 s6, exec_lo
	v_cmpx_ne_u32_e32 24, v0
	s_cbranch_execz .LBB49_590
; %bb.587:
	v_add_nc_u32_e32 v8, 0x330, v129
	v_add3_u32 v109, 0, v129, 16
	v_mov_b32_e32 v110, v0
	s_mov_b32 s8, 0
	.p2align	6
.LBB49_588:                             ; =>This Inner Loop Header: Depth=1
	s_clause 0x3
	buffer_load_dword v115, v109, s[0:3], 0 offen offset:8
	buffer_load_dword v116, v109, s[0:3], 0 offen offset:12
	buffer_load_dword v117, v109, s[0:3], 0 offen
	buffer_load_dword v118, v109, s[0:3], 0 offen offset:4
	ds_read_b128 v[111:114], v8
	v_add_nc_u32_e32 v110, 1, v110
	v_add_nc_u32_e32 v8, 16, v8
	;; [unrolled: 1-line block ×3, first 2 shown]
	v_cmp_lt_u32_e32 vcc_lo, 23, v110
	s_or_b32 s8, vcc_lo, s8
	s_waitcnt vmcnt(2) lgkmcnt(0)
	v_mul_f64 v[119:120], v[113:114], v[115:116]
	v_mul_f64 v[115:116], v[111:112], v[115:116]
	s_waitcnt vmcnt(0)
	v_fma_f64 v[111:112], v[111:112], v[117:118], -v[119:120]
	v_fma_f64 v[113:114], v[113:114], v[117:118], v[115:116]
	v_add_f64 v[1:2], v[1:2], v[111:112]
	v_add_f64 v[3:4], v[3:4], v[113:114]
	s_andn2_b32 exec_lo, exec_lo, s8
	s_cbranch_execnz .LBB49_588
; %bb.589:
	s_or_b32 exec_lo, exec_lo, s8
.LBB49_590:
	s_or_b32 exec_lo, exec_lo, s6
	v_mov_b32_e32 v8, 0
	ds_read_b128 v[109:112], v8 offset:400
	s_waitcnt lgkmcnt(0)
	v_mul_f64 v[113:114], v[3:4], v[111:112]
	v_mul_f64 v[111:112], v[1:2], v[111:112]
	v_fma_f64 v[1:2], v[1:2], v[109:110], -v[113:114]
	v_fma_f64 v[3:4], v[3:4], v[109:110], v[111:112]
	buffer_store_dword v2, off, s[0:3], 0 offset:404
	buffer_store_dword v1, off, s[0:3], 0 offset:400
	buffer_store_dword v4, off, s[0:3], 0 offset:412
	buffer_store_dword v3, off, s[0:3], 0 offset:408
.LBB49_591:
	s_or_b32 exec_lo, exec_lo, s4
	v_mov_b32_e32 v4, s31
	s_mov_b32 s4, exec_lo
	s_clause 0x3
	buffer_load_dword v1, v4, s[0:3], 0 offen
	buffer_load_dword v2, v4, s[0:3], 0 offen offset:4
	buffer_load_dword v3, v4, s[0:3], 0 offen offset:8
	;; [unrolled: 1-line block ×3, first 2 shown]
	s_waitcnt vmcnt(0)
	ds_write_b128 v6, v[1:4]
	s_waitcnt lgkmcnt(0)
	s_waitcnt_vscnt null, 0x0
	s_barrier
	buffer_gl0_inv
	v_cmpx_gt_u32_e32 26, v0
	s_cbranch_execz .LBB49_599
; %bb.592:
	ds_read_b128 v[1:4], v6
	v_cmp_ne_u32_e32 vcc_lo, 1, v7
	s_cbranch_vccnz .LBB49_594
; %bb.593:
	s_clause 0x3
	buffer_load_dword v109, v5, s[0:3], 0 offen offset:8
	buffer_load_dword v110, v5, s[0:3], 0 offen offset:12
	buffer_load_dword v111, v5, s[0:3], 0 offen
	buffer_load_dword v112, v5, s[0:3], 0 offen offset:4
	s_waitcnt vmcnt(2) lgkmcnt(0)
	v_mul_f64 v[113:114], v[3:4], v[109:110]
	v_mul_f64 v[109:110], v[1:2], v[109:110]
	s_waitcnt vmcnt(0)
	v_fma_f64 v[1:2], v[1:2], v[111:112], -v[113:114]
	v_fma_f64 v[3:4], v[3:4], v[111:112], v[109:110]
.LBB49_594:
	s_mov_b32 s6, exec_lo
	v_cmpx_ne_u32_e32 25, v0
	s_cbranch_execz .LBB49_598
; %bb.595:
	v_add_nc_u32_e32 v8, 0x330, v129
	v_add3_u32 v109, 0, v129, 16
	v_mov_b32_e32 v110, v0
	s_mov_b32 s8, 0
	.p2align	6
.LBB49_596:                             ; =>This Inner Loop Header: Depth=1
	s_clause 0x3
	buffer_load_dword v115, v109, s[0:3], 0 offen offset:8
	buffer_load_dword v116, v109, s[0:3], 0 offen offset:12
	buffer_load_dword v117, v109, s[0:3], 0 offen
	buffer_load_dword v118, v109, s[0:3], 0 offen offset:4
	ds_read_b128 v[111:114], v8
	v_add_nc_u32_e32 v110, 1, v110
	v_add_nc_u32_e32 v8, 16, v8
	;; [unrolled: 1-line block ×3, first 2 shown]
	v_cmp_lt_u32_e32 vcc_lo, 24, v110
	s_or_b32 s8, vcc_lo, s8
	s_waitcnt vmcnt(2) lgkmcnt(0)
	v_mul_f64 v[119:120], v[113:114], v[115:116]
	v_mul_f64 v[115:116], v[111:112], v[115:116]
	s_waitcnt vmcnt(0)
	v_fma_f64 v[111:112], v[111:112], v[117:118], -v[119:120]
	v_fma_f64 v[113:114], v[113:114], v[117:118], v[115:116]
	v_add_f64 v[1:2], v[1:2], v[111:112]
	v_add_f64 v[3:4], v[3:4], v[113:114]
	s_andn2_b32 exec_lo, exec_lo, s8
	s_cbranch_execnz .LBB49_596
; %bb.597:
	s_or_b32 exec_lo, exec_lo, s8
.LBB49_598:
	s_or_b32 exec_lo, exec_lo, s6
	v_mov_b32_e32 v8, 0
	ds_read_b128 v[109:112], v8 offset:416
	s_waitcnt lgkmcnt(0)
	v_mul_f64 v[113:114], v[3:4], v[111:112]
	v_mul_f64 v[111:112], v[1:2], v[111:112]
	v_fma_f64 v[1:2], v[1:2], v[109:110], -v[113:114]
	v_fma_f64 v[3:4], v[3:4], v[109:110], v[111:112]
	buffer_store_dword v2, off, s[0:3], 0 offset:420
	buffer_store_dword v1, off, s[0:3], 0 offset:416
	;; [unrolled: 1-line block ×4, first 2 shown]
.LBB49_599:
	s_or_b32 exec_lo, exec_lo, s4
	v_mov_b32_e32 v4, s30
	s_mov_b32 s4, exec_lo
	s_clause 0x3
	buffer_load_dword v1, v4, s[0:3], 0 offen
	buffer_load_dword v2, v4, s[0:3], 0 offen offset:4
	buffer_load_dword v3, v4, s[0:3], 0 offen offset:8
	;; [unrolled: 1-line block ×3, first 2 shown]
	s_waitcnt vmcnt(0)
	ds_write_b128 v6, v[1:4]
	s_waitcnt lgkmcnt(0)
	s_waitcnt_vscnt null, 0x0
	s_barrier
	buffer_gl0_inv
	v_cmpx_gt_u32_e32 27, v0
	s_cbranch_execz .LBB49_607
; %bb.600:
	ds_read_b128 v[1:4], v6
	v_cmp_ne_u32_e32 vcc_lo, 1, v7
	s_cbranch_vccnz .LBB49_602
; %bb.601:
	s_clause 0x3
	buffer_load_dword v109, v5, s[0:3], 0 offen offset:8
	buffer_load_dword v110, v5, s[0:3], 0 offen offset:12
	buffer_load_dword v111, v5, s[0:3], 0 offen
	buffer_load_dword v112, v5, s[0:3], 0 offen offset:4
	s_waitcnt vmcnt(2) lgkmcnt(0)
	v_mul_f64 v[113:114], v[3:4], v[109:110]
	v_mul_f64 v[109:110], v[1:2], v[109:110]
	s_waitcnt vmcnt(0)
	v_fma_f64 v[1:2], v[1:2], v[111:112], -v[113:114]
	v_fma_f64 v[3:4], v[3:4], v[111:112], v[109:110]
.LBB49_602:
	s_mov_b32 s6, exec_lo
	v_cmpx_ne_u32_e32 26, v0
	s_cbranch_execz .LBB49_606
; %bb.603:
	v_add_nc_u32_e32 v8, 0x330, v129
	v_add3_u32 v109, 0, v129, 16
	v_mov_b32_e32 v110, v0
	s_mov_b32 s8, 0
	.p2align	6
.LBB49_604:                             ; =>This Inner Loop Header: Depth=1
	s_clause 0x3
	buffer_load_dword v115, v109, s[0:3], 0 offen offset:8
	buffer_load_dword v116, v109, s[0:3], 0 offen offset:12
	buffer_load_dword v117, v109, s[0:3], 0 offen
	buffer_load_dword v118, v109, s[0:3], 0 offen offset:4
	ds_read_b128 v[111:114], v8
	v_add_nc_u32_e32 v110, 1, v110
	v_add_nc_u32_e32 v8, 16, v8
	;; [unrolled: 1-line block ×3, first 2 shown]
	v_cmp_lt_u32_e32 vcc_lo, 25, v110
	s_or_b32 s8, vcc_lo, s8
	s_waitcnt vmcnt(2) lgkmcnt(0)
	v_mul_f64 v[119:120], v[113:114], v[115:116]
	v_mul_f64 v[115:116], v[111:112], v[115:116]
	s_waitcnt vmcnt(0)
	v_fma_f64 v[111:112], v[111:112], v[117:118], -v[119:120]
	v_fma_f64 v[113:114], v[113:114], v[117:118], v[115:116]
	v_add_f64 v[1:2], v[1:2], v[111:112]
	v_add_f64 v[3:4], v[3:4], v[113:114]
	s_andn2_b32 exec_lo, exec_lo, s8
	s_cbranch_execnz .LBB49_604
; %bb.605:
	s_or_b32 exec_lo, exec_lo, s8
.LBB49_606:
	s_or_b32 exec_lo, exec_lo, s6
	v_mov_b32_e32 v8, 0
	ds_read_b128 v[109:112], v8 offset:432
	s_waitcnt lgkmcnt(0)
	v_mul_f64 v[113:114], v[3:4], v[111:112]
	v_mul_f64 v[111:112], v[1:2], v[111:112]
	v_fma_f64 v[1:2], v[1:2], v[109:110], -v[113:114]
	v_fma_f64 v[3:4], v[3:4], v[109:110], v[111:112]
	buffer_store_dword v2, off, s[0:3], 0 offset:436
	buffer_store_dword v1, off, s[0:3], 0 offset:432
	;; [unrolled: 1-line block ×4, first 2 shown]
.LBB49_607:
	s_or_b32 exec_lo, exec_lo, s4
	v_mov_b32_e32 v4, s29
	s_mov_b32 s4, exec_lo
	s_clause 0x3
	buffer_load_dword v1, v4, s[0:3], 0 offen
	buffer_load_dword v2, v4, s[0:3], 0 offen offset:4
	buffer_load_dword v3, v4, s[0:3], 0 offen offset:8
	;; [unrolled: 1-line block ×3, first 2 shown]
	s_waitcnt vmcnt(0)
	ds_write_b128 v6, v[1:4]
	s_waitcnt lgkmcnt(0)
	s_waitcnt_vscnt null, 0x0
	s_barrier
	buffer_gl0_inv
	v_cmpx_gt_u32_e32 28, v0
	s_cbranch_execz .LBB49_615
; %bb.608:
	ds_read_b128 v[1:4], v6
	v_cmp_ne_u32_e32 vcc_lo, 1, v7
	s_cbranch_vccnz .LBB49_610
; %bb.609:
	s_clause 0x3
	buffer_load_dword v109, v5, s[0:3], 0 offen offset:8
	buffer_load_dword v110, v5, s[0:3], 0 offen offset:12
	buffer_load_dword v111, v5, s[0:3], 0 offen
	buffer_load_dword v112, v5, s[0:3], 0 offen offset:4
	s_waitcnt vmcnt(2) lgkmcnt(0)
	v_mul_f64 v[113:114], v[3:4], v[109:110]
	v_mul_f64 v[109:110], v[1:2], v[109:110]
	s_waitcnt vmcnt(0)
	v_fma_f64 v[1:2], v[1:2], v[111:112], -v[113:114]
	v_fma_f64 v[3:4], v[3:4], v[111:112], v[109:110]
.LBB49_610:
	s_mov_b32 s6, exec_lo
	v_cmpx_ne_u32_e32 27, v0
	s_cbranch_execz .LBB49_614
; %bb.611:
	v_add_nc_u32_e32 v8, 0x330, v129
	v_add3_u32 v109, 0, v129, 16
	v_mov_b32_e32 v110, v0
	s_mov_b32 s8, 0
	.p2align	6
.LBB49_612:                             ; =>This Inner Loop Header: Depth=1
	s_clause 0x3
	buffer_load_dword v115, v109, s[0:3], 0 offen offset:8
	buffer_load_dword v116, v109, s[0:3], 0 offen offset:12
	buffer_load_dword v117, v109, s[0:3], 0 offen
	buffer_load_dword v118, v109, s[0:3], 0 offen offset:4
	ds_read_b128 v[111:114], v8
	v_add_nc_u32_e32 v110, 1, v110
	v_add_nc_u32_e32 v8, 16, v8
	;; [unrolled: 1-line block ×3, first 2 shown]
	v_cmp_lt_u32_e32 vcc_lo, 26, v110
	s_or_b32 s8, vcc_lo, s8
	s_waitcnt vmcnt(2) lgkmcnt(0)
	v_mul_f64 v[119:120], v[113:114], v[115:116]
	v_mul_f64 v[115:116], v[111:112], v[115:116]
	s_waitcnt vmcnt(0)
	v_fma_f64 v[111:112], v[111:112], v[117:118], -v[119:120]
	v_fma_f64 v[113:114], v[113:114], v[117:118], v[115:116]
	v_add_f64 v[1:2], v[1:2], v[111:112]
	v_add_f64 v[3:4], v[3:4], v[113:114]
	s_andn2_b32 exec_lo, exec_lo, s8
	s_cbranch_execnz .LBB49_612
; %bb.613:
	s_or_b32 exec_lo, exec_lo, s8
.LBB49_614:
	s_or_b32 exec_lo, exec_lo, s6
	v_mov_b32_e32 v8, 0
	ds_read_b128 v[109:112], v8 offset:448
	s_waitcnt lgkmcnt(0)
	v_mul_f64 v[113:114], v[3:4], v[111:112]
	v_mul_f64 v[111:112], v[1:2], v[111:112]
	v_fma_f64 v[1:2], v[1:2], v[109:110], -v[113:114]
	v_fma_f64 v[3:4], v[3:4], v[109:110], v[111:112]
	buffer_store_dword v2, off, s[0:3], 0 offset:452
	buffer_store_dword v1, off, s[0:3], 0 offset:448
	;; [unrolled: 1-line block ×4, first 2 shown]
.LBB49_615:
	s_or_b32 exec_lo, exec_lo, s4
	v_mov_b32_e32 v4, s28
	s_mov_b32 s4, exec_lo
	s_clause 0x3
	buffer_load_dword v1, v4, s[0:3], 0 offen
	buffer_load_dword v2, v4, s[0:3], 0 offen offset:4
	buffer_load_dword v3, v4, s[0:3], 0 offen offset:8
	;; [unrolled: 1-line block ×3, first 2 shown]
	s_waitcnt vmcnt(0)
	ds_write_b128 v6, v[1:4]
	s_waitcnt lgkmcnt(0)
	s_waitcnt_vscnt null, 0x0
	s_barrier
	buffer_gl0_inv
	v_cmpx_gt_u32_e32 29, v0
	s_cbranch_execz .LBB49_623
; %bb.616:
	ds_read_b128 v[1:4], v6
	v_cmp_ne_u32_e32 vcc_lo, 1, v7
	s_cbranch_vccnz .LBB49_618
; %bb.617:
	s_clause 0x3
	buffer_load_dword v109, v5, s[0:3], 0 offen offset:8
	buffer_load_dword v110, v5, s[0:3], 0 offen offset:12
	buffer_load_dword v111, v5, s[0:3], 0 offen
	buffer_load_dword v112, v5, s[0:3], 0 offen offset:4
	s_waitcnt vmcnt(2) lgkmcnt(0)
	v_mul_f64 v[113:114], v[3:4], v[109:110]
	v_mul_f64 v[109:110], v[1:2], v[109:110]
	s_waitcnt vmcnt(0)
	v_fma_f64 v[1:2], v[1:2], v[111:112], -v[113:114]
	v_fma_f64 v[3:4], v[3:4], v[111:112], v[109:110]
.LBB49_618:
	s_mov_b32 s6, exec_lo
	v_cmpx_ne_u32_e32 28, v0
	s_cbranch_execz .LBB49_622
; %bb.619:
	v_add_nc_u32_e32 v8, 0x330, v129
	v_add3_u32 v109, 0, v129, 16
	v_mov_b32_e32 v110, v0
	s_mov_b32 s8, 0
	.p2align	6
.LBB49_620:                             ; =>This Inner Loop Header: Depth=1
	s_clause 0x3
	buffer_load_dword v115, v109, s[0:3], 0 offen offset:8
	buffer_load_dword v116, v109, s[0:3], 0 offen offset:12
	buffer_load_dword v117, v109, s[0:3], 0 offen
	buffer_load_dword v118, v109, s[0:3], 0 offen offset:4
	ds_read_b128 v[111:114], v8
	v_add_nc_u32_e32 v110, 1, v110
	v_add_nc_u32_e32 v8, 16, v8
	;; [unrolled: 1-line block ×3, first 2 shown]
	v_cmp_lt_u32_e32 vcc_lo, 27, v110
	s_or_b32 s8, vcc_lo, s8
	s_waitcnt vmcnt(2) lgkmcnt(0)
	v_mul_f64 v[119:120], v[113:114], v[115:116]
	v_mul_f64 v[115:116], v[111:112], v[115:116]
	s_waitcnt vmcnt(0)
	v_fma_f64 v[111:112], v[111:112], v[117:118], -v[119:120]
	v_fma_f64 v[113:114], v[113:114], v[117:118], v[115:116]
	v_add_f64 v[1:2], v[1:2], v[111:112]
	v_add_f64 v[3:4], v[3:4], v[113:114]
	s_andn2_b32 exec_lo, exec_lo, s8
	s_cbranch_execnz .LBB49_620
; %bb.621:
	s_or_b32 exec_lo, exec_lo, s8
.LBB49_622:
	s_or_b32 exec_lo, exec_lo, s6
	v_mov_b32_e32 v8, 0
	ds_read_b128 v[109:112], v8 offset:464
	s_waitcnt lgkmcnt(0)
	v_mul_f64 v[113:114], v[3:4], v[111:112]
	v_mul_f64 v[111:112], v[1:2], v[111:112]
	v_fma_f64 v[1:2], v[1:2], v[109:110], -v[113:114]
	v_fma_f64 v[3:4], v[3:4], v[109:110], v[111:112]
	buffer_store_dword v2, off, s[0:3], 0 offset:468
	buffer_store_dword v1, off, s[0:3], 0 offset:464
	;; [unrolled: 1-line block ×4, first 2 shown]
.LBB49_623:
	s_or_b32 exec_lo, exec_lo, s4
	v_mov_b32_e32 v4, s27
	s_mov_b32 s4, exec_lo
	s_clause 0x3
	buffer_load_dword v1, v4, s[0:3], 0 offen
	buffer_load_dword v2, v4, s[0:3], 0 offen offset:4
	buffer_load_dword v3, v4, s[0:3], 0 offen offset:8
	;; [unrolled: 1-line block ×3, first 2 shown]
	s_waitcnt vmcnt(0)
	ds_write_b128 v6, v[1:4]
	s_waitcnt lgkmcnt(0)
	s_waitcnt_vscnt null, 0x0
	s_barrier
	buffer_gl0_inv
	v_cmpx_gt_u32_e32 30, v0
	s_cbranch_execz .LBB49_631
; %bb.624:
	ds_read_b128 v[1:4], v6
	v_cmp_ne_u32_e32 vcc_lo, 1, v7
	s_cbranch_vccnz .LBB49_626
; %bb.625:
	s_clause 0x3
	buffer_load_dword v109, v5, s[0:3], 0 offen offset:8
	buffer_load_dword v110, v5, s[0:3], 0 offen offset:12
	buffer_load_dword v111, v5, s[0:3], 0 offen
	buffer_load_dword v112, v5, s[0:3], 0 offen offset:4
	s_waitcnt vmcnt(2) lgkmcnt(0)
	v_mul_f64 v[113:114], v[3:4], v[109:110]
	v_mul_f64 v[109:110], v[1:2], v[109:110]
	s_waitcnt vmcnt(0)
	v_fma_f64 v[1:2], v[1:2], v[111:112], -v[113:114]
	v_fma_f64 v[3:4], v[3:4], v[111:112], v[109:110]
.LBB49_626:
	s_mov_b32 s6, exec_lo
	v_cmpx_ne_u32_e32 29, v0
	s_cbranch_execz .LBB49_630
; %bb.627:
	v_add_nc_u32_e32 v8, 0x330, v129
	v_add3_u32 v109, 0, v129, 16
	v_mov_b32_e32 v110, v0
	s_mov_b32 s8, 0
	.p2align	6
.LBB49_628:                             ; =>This Inner Loop Header: Depth=1
	s_clause 0x3
	buffer_load_dword v115, v109, s[0:3], 0 offen offset:8
	buffer_load_dword v116, v109, s[0:3], 0 offen offset:12
	buffer_load_dword v117, v109, s[0:3], 0 offen
	buffer_load_dword v118, v109, s[0:3], 0 offen offset:4
	ds_read_b128 v[111:114], v8
	v_add_nc_u32_e32 v110, 1, v110
	v_add_nc_u32_e32 v8, 16, v8
	;; [unrolled: 1-line block ×3, first 2 shown]
	v_cmp_lt_u32_e32 vcc_lo, 28, v110
	s_or_b32 s8, vcc_lo, s8
	s_waitcnt vmcnt(2) lgkmcnt(0)
	v_mul_f64 v[119:120], v[113:114], v[115:116]
	v_mul_f64 v[115:116], v[111:112], v[115:116]
	s_waitcnt vmcnt(0)
	v_fma_f64 v[111:112], v[111:112], v[117:118], -v[119:120]
	v_fma_f64 v[113:114], v[113:114], v[117:118], v[115:116]
	v_add_f64 v[1:2], v[1:2], v[111:112]
	v_add_f64 v[3:4], v[3:4], v[113:114]
	s_andn2_b32 exec_lo, exec_lo, s8
	s_cbranch_execnz .LBB49_628
; %bb.629:
	s_or_b32 exec_lo, exec_lo, s8
.LBB49_630:
	s_or_b32 exec_lo, exec_lo, s6
	v_mov_b32_e32 v8, 0
	ds_read_b128 v[109:112], v8 offset:480
	s_waitcnt lgkmcnt(0)
	v_mul_f64 v[113:114], v[3:4], v[111:112]
	v_mul_f64 v[111:112], v[1:2], v[111:112]
	v_fma_f64 v[1:2], v[1:2], v[109:110], -v[113:114]
	v_fma_f64 v[3:4], v[3:4], v[109:110], v[111:112]
	buffer_store_dword v2, off, s[0:3], 0 offset:484
	buffer_store_dword v1, off, s[0:3], 0 offset:480
	;; [unrolled: 1-line block ×4, first 2 shown]
.LBB49_631:
	s_or_b32 exec_lo, exec_lo, s4
	v_mov_b32_e32 v4, s26
	s_mov_b32 s4, exec_lo
	s_clause 0x3
	buffer_load_dword v1, v4, s[0:3], 0 offen
	buffer_load_dword v2, v4, s[0:3], 0 offen offset:4
	buffer_load_dword v3, v4, s[0:3], 0 offen offset:8
	buffer_load_dword v4, v4, s[0:3], 0 offen offset:12
	s_waitcnt vmcnt(0)
	ds_write_b128 v6, v[1:4]
	s_waitcnt lgkmcnt(0)
	s_waitcnt_vscnt null, 0x0
	s_barrier
	buffer_gl0_inv
	v_cmpx_gt_u32_e32 31, v0
	s_cbranch_execz .LBB49_639
; %bb.632:
	ds_read_b128 v[1:4], v6
	v_cmp_ne_u32_e32 vcc_lo, 1, v7
	s_cbranch_vccnz .LBB49_634
; %bb.633:
	s_clause 0x3
	buffer_load_dword v109, v5, s[0:3], 0 offen offset:8
	buffer_load_dword v110, v5, s[0:3], 0 offen offset:12
	buffer_load_dword v111, v5, s[0:3], 0 offen
	buffer_load_dword v112, v5, s[0:3], 0 offen offset:4
	s_waitcnt vmcnt(2) lgkmcnt(0)
	v_mul_f64 v[113:114], v[3:4], v[109:110]
	v_mul_f64 v[109:110], v[1:2], v[109:110]
	s_waitcnt vmcnt(0)
	v_fma_f64 v[1:2], v[1:2], v[111:112], -v[113:114]
	v_fma_f64 v[3:4], v[3:4], v[111:112], v[109:110]
.LBB49_634:
	s_mov_b32 s6, exec_lo
	v_cmpx_ne_u32_e32 30, v0
	s_cbranch_execz .LBB49_638
; %bb.635:
	v_add_nc_u32_e32 v8, 0x330, v129
	v_add3_u32 v109, 0, v129, 16
	v_mov_b32_e32 v110, v0
	s_mov_b32 s8, 0
	.p2align	6
.LBB49_636:                             ; =>This Inner Loop Header: Depth=1
	s_clause 0x3
	buffer_load_dword v115, v109, s[0:3], 0 offen offset:8
	buffer_load_dword v116, v109, s[0:3], 0 offen offset:12
	buffer_load_dword v117, v109, s[0:3], 0 offen
	buffer_load_dword v118, v109, s[0:3], 0 offen offset:4
	ds_read_b128 v[111:114], v8
	v_add_nc_u32_e32 v110, 1, v110
	v_add_nc_u32_e32 v8, 16, v8
	;; [unrolled: 1-line block ×3, first 2 shown]
	v_cmp_lt_u32_e32 vcc_lo, 29, v110
	s_or_b32 s8, vcc_lo, s8
	s_waitcnt vmcnt(2) lgkmcnt(0)
	v_mul_f64 v[119:120], v[113:114], v[115:116]
	v_mul_f64 v[115:116], v[111:112], v[115:116]
	s_waitcnt vmcnt(0)
	v_fma_f64 v[111:112], v[111:112], v[117:118], -v[119:120]
	v_fma_f64 v[113:114], v[113:114], v[117:118], v[115:116]
	v_add_f64 v[1:2], v[1:2], v[111:112]
	v_add_f64 v[3:4], v[3:4], v[113:114]
	s_andn2_b32 exec_lo, exec_lo, s8
	s_cbranch_execnz .LBB49_636
; %bb.637:
	s_or_b32 exec_lo, exec_lo, s8
.LBB49_638:
	s_or_b32 exec_lo, exec_lo, s6
	v_mov_b32_e32 v8, 0
	ds_read_b128 v[109:112], v8 offset:496
	s_waitcnt lgkmcnt(0)
	v_mul_f64 v[113:114], v[3:4], v[111:112]
	v_mul_f64 v[111:112], v[1:2], v[111:112]
	v_fma_f64 v[1:2], v[1:2], v[109:110], -v[113:114]
	v_fma_f64 v[3:4], v[3:4], v[109:110], v[111:112]
	buffer_store_dword v2, off, s[0:3], 0 offset:500
	buffer_store_dword v1, off, s[0:3], 0 offset:496
	;; [unrolled: 1-line block ×4, first 2 shown]
.LBB49_639:
	s_or_b32 exec_lo, exec_lo, s4
	v_mov_b32_e32 v4, s25
	s_mov_b32 s4, exec_lo
	s_clause 0x3
	buffer_load_dword v1, v4, s[0:3], 0 offen
	buffer_load_dword v2, v4, s[0:3], 0 offen offset:4
	buffer_load_dword v3, v4, s[0:3], 0 offen offset:8
	buffer_load_dword v4, v4, s[0:3], 0 offen offset:12
	s_waitcnt vmcnt(0)
	ds_write_b128 v6, v[1:4]
	s_waitcnt lgkmcnt(0)
	s_waitcnt_vscnt null, 0x0
	s_barrier
	buffer_gl0_inv
	v_cmpx_gt_u32_e32 32, v0
	s_cbranch_execz .LBB49_647
; %bb.640:
	ds_read_b128 v[1:4], v6
	v_cmp_ne_u32_e32 vcc_lo, 1, v7
	s_cbranch_vccnz .LBB49_642
; %bb.641:
	s_clause 0x3
	buffer_load_dword v109, v5, s[0:3], 0 offen offset:8
	buffer_load_dword v110, v5, s[0:3], 0 offen offset:12
	buffer_load_dword v111, v5, s[0:3], 0 offen
	buffer_load_dword v112, v5, s[0:3], 0 offen offset:4
	s_waitcnt vmcnt(2) lgkmcnt(0)
	v_mul_f64 v[113:114], v[3:4], v[109:110]
	v_mul_f64 v[109:110], v[1:2], v[109:110]
	s_waitcnt vmcnt(0)
	v_fma_f64 v[1:2], v[1:2], v[111:112], -v[113:114]
	v_fma_f64 v[3:4], v[3:4], v[111:112], v[109:110]
.LBB49_642:
	s_mov_b32 s6, exec_lo
	v_cmpx_ne_u32_e32 31, v0
	s_cbranch_execz .LBB49_646
; %bb.643:
	v_add_nc_u32_e32 v8, 0x330, v129
	v_add3_u32 v109, 0, v129, 16
	v_mov_b32_e32 v110, v0
	s_mov_b32 s8, 0
	.p2align	6
.LBB49_644:                             ; =>This Inner Loop Header: Depth=1
	s_clause 0x3
	buffer_load_dword v115, v109, s[0:3], 0 offen offset:8
	buffer_load_dword v116, v109, s[0:3], 0 offen offset:12
	buffer_load_dword v117, v109, s[0:3], 0 offen
	buffer_load_dword v118, v109, s[0:3], 0 offen offset:4
	ds_read_b128 v[111:114], v8
	v_add_nc_u32_e32 v110, 1, v110
	v_add_nc_u32_e32 v8, 16, v8
	;; [unrolled: 1-line block ×3, first 2 shown]
	v_cmp_lt_u32_e32 vcc_lo, 30, v110
	s_or_b32 s8, vcc_lo, s8
	s_waitcnt vmcnt(2) lgkmcnt(0)
	v_mul_f64 v[119:120], v[113:114], v[115:116]
	v_mul_f64 v[115:116], v[111:112], v[115:116]
	s_waitcnt vmcnt(0)
	v_fma_f64 v[111:112], v[111:112], v[117:118], -v[119:120]
	v_fma_f64 v[113:114], v[113:114], v[117:118], v[115:116]
	v_add_f64 v[1:2], v[1:2], v[111:112]
	v_add_f64 v[3:4], v[3:4], v[113:114]
	s_andn2_b32 exec_lo, exec_lo, s8
	s_cbranch_execnz .LBB49_644
; %bb.645:
	s_or_b32 exec_lo, exec_lo, s8
.LBB49_646:
	s_or_b32 exec_lo, exec_lo, s6
	v_mov_b32_e32 v8, 0
	ds_read_b128 v[109:112], v8 offset:512
	s_waitcnt lgkmcnt(0)
	v_mul_f64 v[113:114], v[3:4], v[111:112]
	v_mul_f64 v[111:112], v[1:2], v[111:112]
	v_fma_f64 v[1:2], v[1:2], v[109:110], -v[113:114]
	v_fma_f64 v[3:4], v[3:4], v[109:110], v[111:112]
	buffer_store_dword v2, off, s[0:3], 0 offset:516
	buffer_store_dword v1, off, s[0:3], 0 offset:512
	;; [unrolled: 1-line block ×4, first 2 shown]
.LBB49_647:
	s_or_b32 exec_lo, exec_lo, s4
	v_mov_b32_e32 v4, s24
	s_mov_b32 s4, exec_lo
	s_clause 0x3
	buffer_load_dword v1, v4, s[0:3], 0 offen
	buffer_load_dword v2, v4, s[0:3], 0 offen offset:4
	buffer_load_dword v3, v4, s[0:3], 0 offen offset:8
	;; [unrolled: 1-line block ×3, first 2 shown]
	s_waitcnt vmcnt(0)
	ds_write_b128 v6, v[1:4]
	s_waitcnt lgkmcnt(0)
	s_waitcnt_vscnt null, 0x0
	s_barrier
	buffer_gl0_inv
	v_cmpx_gt_u32_e32 33, v0
	s_cbranch_execz .LBB49_655
; %bb.648:
	ds_read_b128 v[1:4], v6
	v_cmp_ne_u32_e32 vcc_lo, 1, v7
	s_cbranch_vccnz .LBB49_650
; %bb.649:
	s_clause 0x3
	buffer_load_dword v109, v5, s[0:3], 0 offen offset:8
	buffer_load_dword v110, v5, s[0:3], 0 offen offset:12
	buffer_load_dword v111, v5, s[0:3], 0 offen
	buffer_load_dword v112, v5, s[0:3], 0 offen offset:4
	s_waitcnt vmcnt(2) lgkmcnt(0)
	v_mul_f64 v[113:114], v[3:4], v[109:110]
	v_mul_f64 v[109:110], v[1:2], v[109:110]
	s_waitcnt vmcnt(0)
	v_fma_f64 v[1:2], v[1:2], v[111:112], -v[113:114]
	v_fma_f64 v[3:4], v[3:4], v[111:112], v[109:110]
.LBB49_650:
	s_mov_b32 s6, exec_lo
	v_cmpx_ne_u32_e32 32, v0
	s_cbranch_execz .LBB49_654
; %bb.651:
	v_add_nc_u32_e32 v8, 0x330, v129
	v_add3_u32 v109, 0, v129, 16
	v_mov_b32_e32 v110, v0
	s_mov_b32 s8, 0
	.p2align	6
.LBB49_652:                             ; =>This Inner Loop Header: Depth=1
	s_clause 0x3
	buffer_load_dword v115, v109, s[0:3], 0 offen offset:8
	buffer_load_dword v116, v109, s[0:3], 0 offen offset:12
	buffer_load_dword v117, v109, s[0:3], 0 offen
	buffer_load_dword v118, v109, s[0:3], 0 offen offset:4
	ds_read_b128 v[111:114], v8
	v_add_nc_u32_e32 v110, 1, v110
	v_add_nc_u32_e32 v8, 16, v8
	;; [unrolled: 1-line block ×3, first 2 shown]
	v_cmp_lt_u32_e32 vcc_lo, 31, v110
	s_or_b32 s8, vcc_lo, s8
	s_waitcnt vmcnt(2) lgkmcnt(0)
	v_mul_f64 v[119:120], v[113:114], v[115:116]
	v_mul_f64 v[115:116], v[111:112], v[115:116]
	s_waitcnt vmcnt(0)
	v_fma_f64 v[111:112], v[111:112], v[117:118], -v[119:120]
	v_fma_f64 v[113:114], v[113:114], v[117:118], v[115:116]
	v_add_f64 v[1:2], v[1:2], v[111:112]
	v_add_f64 v[3:4], v[3:4], v[113:114]
	s_andn2_b32 exec_lo, exec_lo, s8
	s_cbranch_execnz .LBB49_652
; %bb.653:
	s_or_b32 exec_lo, exec_lo, s8
.LBB49_654:
	s_or_b32 exec_lo, exec_lo, s6
	v_mov_b32_e32 v8, 0
	ds_read_b128 v[109:112], v8 offset:528
	s_waitcnt lgkmcnt(0)
	v_mul_f64 v[113:114], v[3:4], v[111:112]
	v_mul_f64 v[111:112], v[1:2], v[111:112]
	v_fma_f64 v[1:2], v[1:2], v[109:110], -v[113:114]
	v_fma_f64 v[3:4], v[3:4], v[109:110], v[111:112]
	buffer_store_dword v2, off, s[0:3], 0 offset:532
	buffer_store_dword v1, off, s[0:3], 0 offset:528
	;; [unrolled: 1-line block ×4, first 2 shown]
.LBB49_655:
	s_or_b32 exec_lo, exec_lo, s4
	v_mov_b32_e32 v4, s23
	s_mov_b32 s4, exec_lo
	s_clause 0x3
	buffer_load_dword v1, v4, s[0:3], 0 offen
	buffer_load_dword v2, v4, s[0:3], 0 offen offset:4
	buffer_load_dword v3, v4, s[0:3], 0 offen offset:8
	;; [unrolled: 1-line block ×3, first 2 shown]
	s_waitcnt vmcnt(0)
	ds_write_b128 v6, v[1:4]
	s_waitcnt lgkmcnt(0)
	s_waitcnt_vscnt null, 0x0
	s_barrier
	buffer_gl0_inv
	v_cmpx_gt_u32_e32 34, v0
	s_cbranch_execz .LBB49_663
; %bb.656:
	ds_read_b128 v[1:4], v6
	v_cmp_ne_u32_e32 vcc_lo, 1, v7
	s_cbranch_vccnz .LBB49_658
; %bb.657:
	s_clause 0x3
	buffer_load_dword v109, v5, s[0:3], 0 offen offset:8
	buffer_load_dword v110, v5, s[0:3], 0 offen offset:12
	buffer_load_dword v111, v5, s[0:3], 0 offen
	buffer_load_dword v112, v5, s[0:3], 0 offen offset:4
	s_waitcnt vmcnt(2) lgkmcnt(0)
	v_mul_f64 v[113:114], v[3:4], v[109:110]
	v_mul_f64 v[109:110], v[1:2], v[109:110]
	s_waitcnt vmcnt(0)
	v_fma_f64 v[1:2], v[1:2], v[111:112], -v[113:114]
	v_fma_f64 v[3:4], v[3:4], v[111:112], v[109:110]
.LBB49_658:
	s_mov_b32 s6, exec_lo
	v_cmpx_ne_u32_e32 33, v0
	s_cbranch_execz .LBB49_662
; %bb.659:
	v_add_nc_u32_e32 v8, 0x330, v129
	v_add3_u32 v109, 0, v129, 16
	v_mov_b32_e32 v110, v0
	s_mov_b32 s8, 0
	.p2align	6
.LBB49_660:                             ; =>This Inner Loop Header: Depth=1
	s_clause 0x3
	buffer_load_dword v115, v109, s[0:3], 0 offen offset:8
	buffer_load_dword v116, v109, s[0:3], 0 offen offset:12
	buffer_load_dword v117, v109, s[0:3], 0 offen
	buffer_load_dword v118, v109, s[0:3], 0 offen offset:4
	ds_read_b128 v[111:114], v8
	v_add_nc_u32_e32 v110, 1, v110
	v_add_nc_u32_e32 v8, 16, v8
	;; [unrolled: 1-line block ×3, first 2 shown]
	v_cmp_lt_u32_e32 vcc_lo, 32, v110
	s_or_b32 s8, vcc_lo, s8
	s_waitcnt vmcnt(2) lgkmcnt(0)
	v_mul_f64 v[119:120], v[113:114], v[115:116]
	v_mul_f64 v[115:116], v[111:112], v[115:116]
	s_waitcnt vmcnt(0)
	v_fma_f64 v[111:112], v[111:112], v[117:118], -v[119:120]
	v_fma_f64 v[113:114], v[113:114], v[117:118], v[115:116]
	v_add_f64 v[1:2], v[1:2], v[111:112]
	v_add_f64 v[3:4], v[3:4], v[113:114]
	s_andn2_b32 exec_lo, exec_lo, s8
	s_cbranch_execnz .LBB49_660
; %bb.661:
	s_or_b32 exec_lo, exec_lo, s8
.LBB49_662:
	s_or_b32 exec_lo, exec_lo, s6
	v_mov_b32_e32 v8, 0
	ds_read_b128 v[109:112], v8 offset:544
	s_waitcnt lgkmcnt(0)
	v_mul_f64 v[113:114], v[3:4], v[111:112]
	v_mul_f64 v[111:112], v[1:2], v[111:112]
	v_fma_f64 v[1:2], v[1:2], v[109:110], -v[113:114]
	v_fma_f64 v[3:4], v[3:4], v[109:110], v[111:112]
	buffer_store_dword v2, off, s[0:3], 0 offset:548
	buffer_store_dword v1, off, s[0:3], 0 offset:544
	;; [unrolled: 1-line block ×4, first 2 shown]
.LBB49_663:
	s_or_b32 exec_lo, exec_lo, s4
	v_mov_b32_e32 v4, s22
	s_mov_b32 s4, exec_lo
	s_clause 0x3
	buffer_load_dword v1, v4, s[0:3], 0 offen
	buffer_load_dword v2, v4, s[0:3], 0 offen offset:4
	buffer_load_dword v3, v4, s[0:3], 0 offen offset:8
	;; [unrolled: 1-line block ×3, first 2 shown]
	s_waitcnt vmcnt(0)
	ds_write_b128 v6, v[1:4]
	s_waitcnt lgkmcnt(0)
	s_waitcnt_vscnt null, 0x0
	s_barrier
	buffer_gl0_inv
	v_cmpx_gt_u32_e32 35, v0
	s_cbranch_execz .LBB49_671
; %bb.664:
	ds_read_b128 v[1:4], v6
	v_cmp_ne_u32_e32 vcc_lo, 1, v7
	s_cbranch_vccnz .LBB49_666
; %bb.665:
	s_clause 0x3
	buffer_load_dword v109, v5, s[0:3], 0 offen offset:8
	buffer_load_dword v110, v5, s[0:3], 0 offen offset:12
	buffer_load_dword v111, v5, s[0:3], 0 offen
	buffer_load_dword v112, v5, s[0:3], 0 offen offset:4
	s_waitcnt vmcnt(2) lgkmcnt(0)
	v_mul_f64 v[113:114], v[3:4], v[109:110]
	v_mul_f64 v[109:110], v[1:2], v[109:110]
	s_waitcnt vmcnt(0)
	v_fma_f64 v[1:2], v[1:2], v[111:112], -v[113:114]
	v_fma_f64 v[3:4], v[3:4], v[111:112], v[109:110]
.LBB49_666:
	s_mov_b32 s6, exec_lo
	v_cmpx_ne_u32_e32 34, v0
	s_cbranch_execz .LBB49_670
; %bb.667:
	v_add_nc_u32_e32 v8, 0x330, v129
	v_add3_u32 v109, 0, v129, 16
	v_mov_b32_e32 v110, v0
	s_mov_b32 s8, 0
	.p2align	6
.LBB49_668:                             ; =>This Inner Loop Header: Depth=1
	s_clause 0x3
	buffer_load_dword v115, v109, s[0:3], 0 offen offset:8
	buffer_load_dword v116, v109, s[0:3], 0 offen offset:12
	buffer_load_dword v117, v109, s[0:3], 0 offen
	buffer_load_dword v118, v109, s[0:3], 0 offen offset:4
	ds_read_b128 v[111:114], v8
	v_add_nc_u32_e32 v110, 1, v110
	v_add_nc_u32_e32 v8, 16, v8
	;; [unrolled: 1-line block ×3, first 2 shown]
	v_cmp_lt_u32_e32 vcc_lo, 33, v110
	s_or_b32 s8, vcc_lo, s8
	s_waitcnt vmcnt(2) lgkmcnt(0)
	v_mul_f64 v[119:120], v[113:114], v[115:116]
	v_mul_f64 v[115:116], v[111:112], v[115:116]
	s_waitcnt vmcnt(0)
	v_fma_f64 v[111:112], v[111:112], v[117:118], -v[119:120]
	v_fma_f64 v[113:114], v[113:114], v[117:118], v[115:116]
	v_add_f64 v[1:2], v[1:2], v[111:112]
	v_add_f64 v[3:4], v[3:4], v[113:114]
	s_andn2_b32 exec_lo, exec_lo, s8
	s_cbranch_execnz .LBB49_668
; %bb.669:
	s_or_b32 exec_lo, exec_lo, s8
.LBB49_670:
	s_or_b32 exec_lo, exec_lo, s6
	v_mov_b32_e32 v8, 0
	ds_read_b128 v[109:112], v8 offset:560
	s_waitcnt lgkmcnt(0)
	v_mul_f64 v[113:114], v[3:4], v[111:112]
	v_mul_f64 v[111:112], v[1:2], v[111:112]
	v_fma_f64 v[1:2], v[1:2], v[109:110], -v[113:114]
	v_fma_f64 v[3:4], v[3:4], v[109:110], v[111:112]
	buffer_store_dword v2, off, s[0:3], 0 offset:564
	buffer_store_dword v1, off, s[0:3], 0 offset:560
	;; [unrolled: 1-line block ×4, first 2 shown]
.LBB49_671:
	s_or_b32 exec_lo, exec_lo, s4
	v_mov_b32_e32 v4, s21
	s_mov_b32 s4, exec_lo
	s_clause 0x3
	buffer_load_dword v1, v4, s[0:3], 0 offen
	buffer_load_dword v2, v4, s[0:3], 0 offen offset:4
	buffer_load_dword v3, v4, s[0:3], 0 offen offset:8
	;; [unrolled: 1-line block ×3, first 2 shown]
	s_waitcnt vmcnt(0)
	ds_write_b128 v6, v[1:4]
	s_waitcnt lgkmcnt(0)
	s_waitcnt_vscnt null, 0x0
	s_barrier
	buffer_gl0_inv
	v_cmpx_gt_u32_e32 36, v0
	s_cbranch_execz .LBB49_679
; %bb.672:
	ds_read_b128 v[1:4], v6
	v_cmp_ne_u32_e32 vcc_lo, 1, v7
	s_cbranch_vccnz .LBB49_674
; %bb.673:
	s_clause 0x3
	buffer_load_dword v109, v5, s[0:3], 0 offen offset:8
	buffer_load_dword v110, v5, s[0:3], 0 offen offset:12
	buffer_load_dword v111, v5, s[0:3], 0 offen
	buffer_load_dword v112, v5, s[0:3], 0 offen offset:4
	s_waitcnt vmcnt(2) lgkmcnt(0)
	v_mul_f64 v[113:114], v[3:4], v[109:110]
	v_mul_f64 v[109:110], v[1:2], v[109:110]
	s_waitcnt vmcnt(0)
	v_fma_f64 v[1:2], v[1:2], v[111:112], -v[113:114]
	v_fma_f64 v[3:4], v[3:4], v[111:112], v[109:110]
.LBB49_674:
	s_mov_b32 s6, exec_lo
	v_cmpx_ne_u32_e32 35, v0
	s_cbranch_execz .LBB49_678
; %bb.675:
	v_add_nc_u32_e32 v8, 0x330, v129
	v_add3_u32 v109, 0, v129, 16
	v_mov_b32_e32 v110, v0
	s_mov_b32 s8, 0
	.p2align	6
.LBB49_676:                             ; =>This Inner Loop Header: Depth=1
	s_clause 0x3
	buffer_load_dword v115, v109, s[0:3], 0 offen offset:8
	buffer_load_dword v116, v109, s[0:3], 0 offen offset:12
	buffer_load_dword v117, v109, s[0:3], 0 offen
	buffer_load_dword v118, v109, s[0:3], 0 offen offset:4
	ds_read_b128 v[111:114], v8
	v_add_nc_u32_e32 v110, 1, v110
	v_add_nc_u32_e32 v8, 16, v8
	;; [unrolled: 1-line block ×3, first 2 shown]
	v_cmp_lt_u32_e32 vcc_lo, 34, v110
	s_or_b32 s8, vcc_lo, s8
	s_waitcnt vmcnt(2) lgkmcnt(0)
	v_mul_f64 v[119:120], v[113:114], v[115:116]
	v_mul_f64 v[115:116], v[111:112], v[115:116]
	s_waitcnt vmcnt(0)
	v_fma_f64 v[111:112], v[111:112], v[117:118], -v[119:120]
	v_fma_f64 v[113:114], v[113:114], v[117:118], v[115:116]
	v_add_f64 v[1:2], v[1:2], v[111:112]
	v_add_f64 v[3:4], v[3:4], v[113:114]
	s_andn2_b32 exec_lo, exec_lo, s8
	s_cbranch_execnz .LBB49_676
; %bb.677:
	s_or_b32 exec_lo, exec_lo, s8
.LBB49_678:
	s_or_b32 exec_lo, exec_lo, s6
	v_mov_b32_e32 v8, 0
	ds_read_b128 v[109:112], v8 offset:576
	s_waitcnt lgkmcnt(0)
	v_mul_f64 v[113:114], v[3:4], v[111:112]
	v_mul_f64 v[111:112], v[1:2], v[111:112]
	v_fma_f64 v[1:2], v[1:2], v[109:110], -v[113:114]
	v_fma_f64 v[3:4], v[3:4], v[109:110], v[111:112]
	buffer_store_dword v2, off, s[0:3], 0 offset:580
	buffer_store_dword v1, off, s[0:3], 0 offset:576
	;; [unrolled: 1-line block ×4, first 2 shown]
.LBB49_679:
	s_or_b32 exec_lo, exec_lo, s4
	v_mov_b32_e32 v4, s20
	s_mov_b32 s4, exec_lo
	s_clause 0x3
	buffer_load_dword v1, v4, s[0:3], 0 offen
	buffer_load_dword v2, v4, s[0:3], 0 offen offset:4
	buffer_load_dword v3, v4, s[0:3], 0 offen offset:8
	;; [unrolled: 1-line block ×3, first 2 shown]
	s_waitcnt vmcnt(0)
	ds_write_b128 v6, v[1:4]
	s_waitcnt lgkmcnt(0)
	s_waitcnt_vscnt null, 0x0
	s_barrier
	buffer_gl0_inv
	v_cmpx_gt_u32_e32 37, v0
	s_cbranch_execz .LBB49_687
; %bb.680:
	ds_read_b128 v[1:4], v6
	v_cmp_ne_u32_e32 vcc_lo, 1, v7
	s_cbranch_vccnz .LBB49_682
; %bb.681:
	s_clause 0x3
	buffer_load_dword v109, v5, s[0:3], 0 offen offset:8
	buffer_load_dword v110, v5, s[0:3], 0 offen offset:12
	buffer_load_dword v111, v5, s[0:3], 0 offen
	buffer_load_dword v112, v5, s[0:3], 0 offen offset:4
	s_waitcnt vmcnt(2) lgkmcnt(0)
	v_mul_f64 v[113:114], v[3:4], v[109:110]
	v_mul_f64 v[109:110], v[1:2], v[109:110]
	s_waitcnt vmcnt(0)
	v_fma_f64 v[1:2], v[1:2], v[111:112], -v[113:114]
	v_fma_f64 v[3:4], v[3:4], v[111:112], v[109:110]
.LBB49_682:
	s_mov_b32 s6, exec_lo
	v_cmpx_ne_u32_e32 36, v0
	s_cbranch_execz .LBB49_686
; %bb.683:
	v_add_nc_u32_e32 v8, 0x330, v129
	v_add3_u32 v109, 0, v129, 16
	v_mov_b32_e32 v110, v0
	s_mov_b32 s8, 0
	.p2align	6
.LBB49_684:                             ; =>This Inner Loop Header: Depth=1
	s_clause 0x3
	buffer_load_dword v115, v109, s[0:3], 0 offen offset:8
	buffer_load_dword v116, v109, s[0:3], 0 offen offset:12
	buffer_load_dword v117, v109, s[0:3], 0 offen
	buffer_load_dword v118, v109, s[0:3], 0 offen offset:4
	ds_read_b128 v[111:114], v8
	v_add_nc_u32_e32 v110, 1, v110
	v_add_nc_u32_e32 v8, 16, v8
	;; [unrolled: 1-line block ×3, first 2 shown]
	v_cmp_lt_u32_e32 vcc_lo, 35, v110
	s_or_b32 s8, vcc_lo, s8
	s_waitcnt vmcnt(2) lgkmcnt(0)
	v_mul_f64 v[119:120], v[113:114], v[115:116]
	v_mul_f64 v[115:116], v[111:112], v[115:116]
	s_waitcnt vmcnt(0)
	v_fma_f64 v[111:112], v[111:112], v[117:118], -v[119:120]
	v_fma_f64 v[113:114], v[113:114], v[117:118], v[115:116]
	v_add_f64 v[1:2], v[1:2], v[111:112]
	v_add_f64 v[3:4], v[3:4], v[113:114]
	s_andn2_b32 exec_lo, exec_lo, s8
	s_cbranch_execnz .LBB49_684
; %bb.685:
	s_or_b32 exec_lo, exec_lo, s8
.LBB49_686:
	s_or_b32 exec_lo, exec_lo, s6
	v_mov_b32_e32 v8, 0
	ds_read_b128 v[109:112], v8 offset:592
	s_waitcnt lgkmcnt(0)
	v_mul_f64 v[113:114], v[3:4], v[111:112]
	v_mul_f64 v[111:112], v[1:2], v[111:112]
	v_fma_f64 v[1:2], v[1:2], v[109:110], -v[113:114]
	v_fma_f64 v[3:4], v[3:4], v[109:110], v[111:112]
	buffer_store_dword v2, off, s[0:3], 0 offset:596
	buffer_store_dword v1, off, s[0:3], 0 offset:592
	;; [unrolled: 1-line block ×4, first 2 shown]
.LBB49_687:
	s_or_b32 exec_lo, exec_lo, s4
	v_mov_b32_e32 v4, s19
	s_mov_b32 s4, exec_lo
	s_clause 0x3
	buffer_load_dword v1, v4, s[0:3], 0 offen
	buffer_load_dword v2, v4, s[0:3], 0 offen offset:4
	buffer_load_dword v3, v4, s[0:3], 0 offen offset:8
	;; [unrolled: 1-line block ×3, first 2 shown]
	s_waitcnt vmcnt(0)
	ds_write_b128 v6, v[1:4]
	s_waitcnt lgkmcnt(0)
	s_waitcnt_vscnt null, 0x0
	s_barrier
	buffer_gl0_inv
	v_cmpx_gt_u32_e32 38, v0
	s_cbranch_execz .LBB49_695
; %bb.688:
	ds_read_b128 v[1:4], v6
	v_cmp_ne_u32_e32 vcc_lo, 1, v7
	s_cbranch_vccnz .LBB49_690
; %bb.689:
	s_clause 0x3
	buffer_load_dword v109, v5, s[0:3], 0 offen offset:8
	buffer_load_dword v110, v5, s[0:3], 0 offen offset:12
	buffer_load_dword v111, v5, s[0:3], 0 offen
	buffer_load_dword v112, v5, s[0:3], 0 offen offset:4
	s_waitcnt vmcnt(2) lgkmcnt(0)
	v_mul_f64 v[113:114], v[3:4], v[109:110]
	v_mul_f64 v[109:110], v[1:2], v[109:110]
	s_waitcnt vmcnt(0)
	v_fma_f64 v[1:2], v[1:2], v[111:112], -v[113:114]
	v_fma_f64 v[3:4], v[3:4], v[111:112], v[109:110]
.LBB49_690:
	s_mov_b32 s6, exec_lo
	v_cmpx_ne_u32_e32 37, v0
	s_cbranch_execz .LBB49_694
; %bb.691:
	v_add_nc_u32_e32 v8, 0x330, v129
	v_add3_u32 v109, 0, v129, 16
	v_mov_b32_e32 v110, v0
	s_mov_b32 s8, 0
	.p2align	6
.LBB49_692:                             ; =>This Inner Loop Header: Depth=1
	s_clause 0x3
	buffer_load_dword v115, v109, s[0:3], 0 offen offset:8
	buffer_load_dword v116, v109, s[0:3], 0 offen offset:12
	buffer_load_dword v117, v109, s[0:3], 0 offen
	buffer_load_dword v118, v109, s[0:3], 0 offen offset:4
	ds_read_b128 v[111:114], v8
	v_add_nc_u32_e32 v110, 1, v110
	v_add_nc_u32_e32 v8, 16, v8
	;; [unrolled: 1-line block ×3, first 2 shown]
	v_cmp_lt_u32_e32 vcc_lo, 36, v110
	s_or_b32 s8, vcc_lo, s8
	s_waitcnt vmcnt(2) lgkmcnt(0)
	v_mul_f64 v[119:120], v[113:114], v[115:116]
	v_mul_f64 v[115:116], v[111:112], v[115:116]
	s_waitcnt vmcnt(0)
	v_fma_f64 v[111:112], v[111:112], v[117:118], -v[119:120]
	v_fma_f64 v[113:114], v[113:114], v[117:118], v[115:116]
	v_add_f64 v[1:2], v[1:2], v[111:112]
	v_add_f64 v[3:4], v[3:4], v[113:114]
	s_andn2_b32 exec_lo, exec_lo, s8
	s_cbranch_execnz .LBB49_692
; %bb.693:
	s_or_b32 exec_lo, exec_lo, s8
.LBB49_694:
	s_or_b32 exec_lo, exec_lo, s6
	v_mov_b32_e32 v8, 0
	ds_read_b128 v[109:112], v8 offset:608
	s_waitcnt lgkmcnt(0)
	v_mul_f64 v[113:114], v[3:4], v[111:112]
	v_mul_f64 v[111:112], v[1:2], v[111:112]
	v_fma_f64 v[1:2], v[1:2], v[109:110], -v[113:114]
	v_fma_f64 v[3:4], v[3:4], v[109:110], v[111:112]
	buffer_store_dword v2, off, s[0:3], 0 offset:612
	buffer_store_dword v1, off, s[0:3], 0 offset:608
	buffer_store_dword v4, off, s[0:3], 0 offset:620
	buffer_store_dword v3, off, s[0:3], 0 offset:616
.LBB49_695:
	s_or_b32 exec_lo, exec_lo, s4
	v_mov_b32_e32 v4, s18
	s_mov_b32 s4, exec_lo
	s_clause 0x3
	buffer_load_dword v1, v4, s[0:3], 0 offen
	buffer_load_dword v2, v4, s[0:3], 0 offen offset:4
	buffer_load_dword v3, v4, s[0:3], 0 offen offset:8
	;; [unrolled: 1-line block ×3, first 2 shown]
	s_waitcnt vmcnt(0)
	ds_write_b128 v6, v[1:4]
	s_waitcnt lgkmcnt(0)
	s_waitcnt_vscnt null, 0x0
	s_barrier
	buffer_gl0_inv
	v_cmpx_gt_u32_e32 39, v0
	s_cbranch_execz .LBB49_703
; %bb.696:
	ds_read_b128 v[1:4], v6
	v_cmp_ne_u32_e32 vcc_lo, 1, v7
	s_cbranch_vccnz .LBB49_698
; %bb.697:
	s_clause 0x3
	buffer_load_dword v109, v5, s[0:3], 0 offen offset:8
	buffer_load_dword v110, v5, s[0:3], 0 offen offset:12
	buffer_load_dword v111, v5, s[0:3], 0 offen
	buffer_load_dword v112, v5, s[0:3], 0 offen offset:4
	s_waitcnt vmcnt(2) lgkmcnt(0)
	v_mul_f64 v[113:114], v[3:4], v[109:110]
	v_mul_f64 v[109:110], v[1:2], v[109:110]
	s_waitcnt vmcnt(0)
	v_fma_f64 v[1:2], v[1:2], v[111:112], -v[113:114]
	v_fma_f64 v[3:4], v[3:4], v[111:112], v[109:110]
.LBB49_698:
	s_mov_b32 s6, exec_lo
	v_cmpx_ne_u32_e32 38, v0
	s_cbranch_execz .LBB49_702
; %bb.699:
	v_add_nc_u32_e32 v8, 0x330, v129
	v_add3_u32 v109, 0, v129, 16
	v_mov_b32_e32 v110, v0
	s_mov_b32 s8, 0
	.p2align	6
.LBB49_700:                             ; =>This Inner Loop Header: Depth=1
	s_clause 0x3
	buffer_load_dword v115, v109, s[0:3], 0 offen offset:8
	buffer_load_dword v116, v109, s[0:3], 0 offen offset:12
	buffer_load_dword v117, v109, s[0:3], 0 offen
	buffer_load_dword v118, v109, s[0:3], 0 offen offset:4
	ds_read_b128 v[111:114], v8
	v_add_nc_u32_e32 v110, 1, v110
	v_add_nc_u32_e32 v8, 16, v8
	;; [unrolled: 1-line block ×3, first 2 shown]
	v_cmp_lt_u32_e32 vcc_lo, 37, v110
	s_or_b32 s8, vcc_lo, s8
	s_waitcnt vmcnt(2) lgkmcnt(0)
	v_mul_f64 v[119:120], v[113:114], v[115:116]
	v_mul_f64 v[115:116], v[111:112], v[115:116]
	s_waitcnt vmcnt(0)
	v_fma_f64 v[111:112], v[111:112], v[117:118], -v[119:120]
	v_fma_f64 v[113:114], v[113:114], v[117:118], v[115:116]
	v_add_f64 v[1:2], v[1:2], v[111:112]
	v_add_f64 v[3:4], v[3:4], v[113:114]
	s_andn2_b32 exec_lo, exec_lo, s8
	s_cbranch_execnz .LBB49_700
; %bb.701:
	s_or_b32 exec_lo, exec_lo, s8
.LBB49_702:
	s_or_b32 exec_lo, exec_lo, s6
	v_mov_b32_e32 v8, 0
	ds_read_b128 v[109:112], v8 offset:624
	s_waitcnt lgkmcnt(0)
	v_mul_f64 v[113:114], v[3:4], v[111:112]
	v_mul_f64 v[111:112], v[1:2], v[111:112]
	v_fma_f64 v[1:2], v[1:2], v[109:110], -v[113:114]
	v_fma_f64 v[3:4], v[3:4], v[109:110], v[111:112]
	buffer_store_dword v2, off, s[0:3], 0 offset:628
	buffer_store_dword v1, off, s[0:3], 0 offset:624
	;; [unrolled: 1-line block ×4, first 2 shown]
.LBB49_703:
	s_or_b32 exec_lo, exec_lo, s4
	v_mov_b32_e32 v4, s17
	s_mov_b32 s4, exec_lo
	s_clause 0x3
	buffer_load_dword v1, v4, s[0:3], 0 offen
	buffer_load_dword v2, v4, s[0:3], 0 offen offset:4
	buffer_load_dword v3, v4, s[0:3], 0 offen offset:8
	buffer_load_dword v4, v4, s[0:3], 0 offen offset:12
	s_waitcnt vmcnt(0)
	ds_write_b128 v6, v[1:4]
	s_waitcnt lgkmcnt(0)
	s_waitcnt_vscnt null, 0x0
	s_barrier
	buffer_gl0_inv
	v_cmpx_gt_u32_e32 40, v0
	s_cbranch_execz .LBB49_711
; %bb.704:
	ds_read_b128 v[1:4], v6
	v_cmp_ne_u32_e32 vcc_lo, 1, v7
	s_cbranch_vccnz .LBB49_706
; %bb.705:
	s_clause 0x3
	buffer_load_dword v109, v5, s[0:3], 0 offen offset:8
	buffer_load_dword v110, v5, s[0:3], 0 offen offset:12
	buffer_load_dword v111, v5, s[0:3], 0 offen
	buffer_load_dword v112, v5, s[0:3], 0 offen offset:4
	s_waitcnt vmcnt(2) lgkmcnt(0)
	v_mul_f64 v[113:114], v[3:4], v[109:110]
	v_mul_f64 v[109:110], v[1:2], v[109:110]
	s_waitcnt vmcnt(0)
	v_fma_f64 v[1:2], v[1:2], v[111:112], -v[113:114]
	v_fma_f64 v[3:4], v[3:4], v[111:112], v[109:110]
.LBB49_706:
	s_mov_b32 s6, exec_lo
	v_cmpx_ne_u32_e32 39, v0
	s_cbranch_execz .LBB49_710
; %bb.707:
	v_add_nc_u32_e32 v8, 0x330, v129
	v_add3_u32 v109, 0, v129, 16
	v_mov_b32_e32 v110, v0
	s_mov_b32 s8, 0
	.p2align	6
.LBB49_708:                             ; =>This Inner Loop Header: Depth=1
	s_clause 0x3
	buffer_load_dword v115, v109, s[0:3], 0 offen offset:8
	buffer_load_dword v116, v109, s[0:3], 0 offen offset:12
	buffer_load_dword v117, v109, s[0:3], 0 offen
	buffer_load_dword v118, v109, s[0:3], 0 offen offset:4
	ds_read_b128 v[111:114], v8
	v_add_nc_u32_e32 v110, 1, v110
	v_add_nc_u32_e32 v8, 16, v8
	;; [unrolled: 1-line block ×3, first 2 shown]
	v_cmp_lt_u32_e32 vcc_lo, 38, v110
	s_or_b32 s8, vcc_lo, s8
	s_waitcnt vmcnt(2) lgkmcnt(0)
	v_mul_f64 v[119:120], v[113:114], v[115:116]
	v_mul_f64 v[115:116], v[111:112], v[115:116]
	s_waitcnt vmcnt(0)
	v_fma_f64 v[111:112], v[111:112], v[117:118], -v[119:120]
	v_fma_f64 v[113:114], v[113:114], v[117:118], v[115:116]
	v_add_f64 v[1:2], v[1:2], v[111:112]
	v_add_f64 v[3:4], v[3:4], v[113:114]
	s_andn2_b32 exec_lo, exec_lo, s8
	s_cbranch_execnz .LBB49_708
; %bb.709:
	s_or_b32 exec_lo, exec_lo, s8
.LBB49_710:
	s_or_b32 exec_lo, exec_lo, s6
	v_mov_b32_e32 v8, 0
	ds_read_b128 v[109:112], v8 offset:640
	s_waitcnt lgkmcnt(0)
	v_mul_f64 v[113:114], v[3:4], v[111:112]
	v_mul_f64 v[111:112], v[1:2], v[111:112]
	v_fma_f64 v[1:2], v[1:2], v[109:110], -v[113:114]
	v_fma_f64 v[3:4], v[3:4], v[109:110], v[111:112]
	buffer_store_dword v2, off, s[0:3], 0 offset:644
	buffer_store_dword v1, off, s[0:3], 0 offset:640
	;; [unrolled: 1-line block ×4, first 2 shown]
.LBB49_711:
	s_or_b32 exec_lo, exec_lo, s4
	v_mov_b32_e32 v4, s16
	s_mov_b32 s4, exec_lo
	s_clause 0x3
	buffer_load_dword v1, v4, s[0:3], 0 offen
	buffer_load_dword v2, v4, s[0:3], 0 offen offset:4
	buffer_load_dword v3, v4, s[0:3], 0 offen offset:8
	;; [unrolled: 1-line block ×3, first 2 shown]
	s_waitcnt vmcnt(0)
	ds_write_b128 v6, v[1:4]
	s_waitcnt lgkmcnt(0)
	s_waitcnt_vscnt null, 0x0
	s_barrier
	buffer_gl0_inv
	v_cmpx_gt_u32_e32 41, v0
	s_cbranch_execz .LBB49_719
; %bb.712:
	ds_read_b128 v[1:4], v6
	v_cmp_ne_u32_e32 vcc_lo, 1, v7
	s_cbranch_vccnz .LBB49_714
; %bb.713:
	s_clause 0x3
	buffer_load_dword v109, v5, s[0:3], 0 offen offset:8
	buffer_load_dword v110, v5, s[0:3], 0 offen offset:12
	buffer_load_dword v111, v5, s[0:3], 0 offen
	buffer_load_dword v112, v5, s[0:3], 0 offen offset:4
	s_waitcnt vmcnt(2) lgkmcnt(0)
	v_mul_f64 v[113:114], v[3:4], v[109:110]
	v_mul_f64 v[109:110], v[1:2], v[109:110]
	s_waitcnt vmcnt(0)
	v_fma_f64 v[1:2], v[1:2], v[111:112], -v[113:114]
	v_fma_f64 v[3:4], v[3:4], v[111:112], v[109:110]
.LBB49_714:
	s_mov_b32 s6, exec_lo
	v_cmpx_ne_u32_e32 40, v0
	s_cbranch_execz .LBB49_718
; %bb.715:
	v_add_nc_u32_e32 v8, 0x330, v129
	v_add3_u32 v109, 0, v129, 16
	v_mov_b32_e32 v110, v0
	s_mov_b32 s8, 0
	.p2align	6
.LBB49_716:                             ; =>This Inner Loop Header: Depth=1
	s_clause 0x3
	buffer_load_dword v115, v109, s[0:3], 0 offen offset:8
	buffer_load_dword v116, v109, s[0:3], 0 offen offset:12
	buffer_load_dword v117, v109, s[0:3], 0 offen
	buffer_load_dword v118, v109, s[0:3], 0 offen offset:4
	ds_read_b128 v[111:114], v8
	v_add_nc_u32_e32 v110, 1, v110
	v_add_nc_u32_e32 v8, 16, v8
	;; [unrolled: 1-line block ×3, first 2 shown]
	v_cmp_lt_u32_e32 vcc_lo, 39, v110
	s_or_b32 s8, vcc_lo, s8
	s_waitcnt vmcnt(2) lgkmcnt(0)
	v_mul_f64 v[119:120], v[113:114], v[115:116]
	v_mul_f64 v[115:116], v[111:112], v[115:116]
	s_waitcnt vmcnt(0)
	v_fma_f64 v[111:112], v[111:112], v[117:118], -v[119:120]
	v_fma_f64 v[113:114], v[113:114], v[117:118], v[115:116]
	v_add_f64 v[1:2], v[1:2], v[111:112]
	v_add_f64 v[3:4], v[3:4], v[113:114]
	s_andn2_b32 exec_lo, exec_lo, s8
	s_cbranch_execnz .LBB49_716
; %bb.717:
	s_or_b32 exec_lo, exec_lo, s8
.LBB49_718:
	s_or_b32 exec_lo, exec_lo, s6
	v_mov_b32_e32 v8, 0
	ds_read_b128 v[109:112], v8 offset:656
	s_waitcnt lgkmcnt(0)
	v_mul_f64 v[113:114], v[3:4], v[111:112]
	v_mul_f64 v[111:112], v[1:2], v[111:112]
	v_fma_f64 v[1:2], v[1:2], v[109:110], -v[113:114]
	v_fma_f64 v[3:4], v[3:4], v[109:110], v[111:112]
	buffer_store_dword v2, off, s[0:3], 0 offset:660
	buffer_store_dword v1, off, s[0:3], 0 offset:656
	;; [unrolled: 1-line block ×4, first 2 shown]
.LBB49_719:
	s_or_b32 exec_lo, exec_lo, s4
	v_mov_b32_e32 v4, s15
	s_mov_b32 s4, exec_lo
	s_clause 0x3
	buffer_load_dword v1, v4, s[0:3], 0 offen
	buffer_load_dword v2, v4, s[0:3], 0 offen offset:4
	buffer_load_dword v3, v4, s[0:3], 0 offen offset:8
	buffer_load_dword v4, v4, s[0:3], 0 offen offset:12
	s_waitcnt vmcnt(0)
	ds_write_b128 v6, v[1:4]
	s_waitcnt lgkmcnt(0)
	s_waitcnt_vscnt null, 0x0
	s_barrier
	buffer_gl0_inv
	v_cmpx_gt_u32_e32 42, v0
	s_cbranch_execz .LBB49_727
; %bb.720:
	ds_read_b128 v[1:4], v6
	v_cmp_ne_u32_e32 vcc_lo, 1, v7
	s_cbranch_vccnz .LBB49_722
; %bb.721:
	s_clause 0x3
	buffer_load_dword v109, v5, s[0:3], 0 offen offset:8
	buffer_load_dword v110, v5, s[0:3], 0 offen offset:12
	buffer_load_dword v111, v5, s[0:3], 0 offen
	buffer_load_dword v112, v5, s[0:3], 0 offen offset:4
	s_waitcnt vmcnt(2) lgkmcnt(0)
	v_mul_f64 v[113:114], v[3:4], v[109:110]
	v_mul_f64 v[109:110], v[1:2], v[109:110]
	s_waitcnt vmcnt(0)
	v_fma_f64 v[1:2], v[1:2], v[111:112], -v[113:114]
	v_fma_f64 v[3:4], v[3:4], v[111:112], v[109:110]
.LBB49_722:
	s_mov_b32 s6, exec_lo
	v_cmpx_ne_u32_e32 41, v0
	s_cbranch_execz .LBB49_726
; %bb.723:
	v_add_nc_u32_e32 v8, 0x330, v129
	v_add3_u32 v109, 0, v129, 16
	v_mov_b32_e32 v110, v0
	s_mov_b32 s8, 0
	.p2align	6
.LBB49_724:                             ; =>This Inner Loop Header: Depth=1
	s_clause 0x3
	buffer_load_dword v115, v109, s[0:3], 0 offen offset:8
	buffer_load_dword v116, v109, s[0:3], 0 offen offset:12
	buffer_load_dword v117, v109, s[0:3], 0 offen
	buffer_load_dword v118, v109, s[0:3], 0 offen offset:4
	ds_read_b128 v[111:114], v8
	v_add_nc_u32_e32 v110, 1, v110
	v_add_nc_u32_e32 v8, 16, v8
	;; [unrolled: 1-line block ×3, first 2 shown]
	v_cmp_lt_u32_e32 vcc_lo, 40, v110
	s_or_b32 s8, vcc_lo, s8
	s_waitcnt vmcnt(2) lgkmcnt(0)
	v_mul_f64 v[119:120], v[113:114], v[115:116]
	v_mul_f64 v[115:116], v[111:112], v[115:116]
	s_waitcnt vmcnt(0)
	v_fma_f64 v[111:112], v[111:112], v[117:118], -v[119:120]
	v_fma_f64 v[113:114], v[113:114], v[117:118], v[115:116]
	v_add_f64 v[1:2], v[1:2], v[111:112]
	v_add_f64 v[3:4], v[3:4], v[113:114]
	s_andn2_b32 exec_lo, exec_lo, s8
	s_cbranch_execnz .LBB49_724
; %bb.725:
	s_or_b32 exec_lo, exec_lo, s8
.LBB49_726:
	s_or_b32 exec_lo, exec_lo, s6
	v_mov_b32_e32 v8, 0
	ds_read_b128 v[109:112], v8 offset:672
	s_waitcnt lgkmcnt(0)
	v_mul_f64 v[113:114], v[3:4], v[111:112]
	v_mul_f64 v[111:112], v[1:2], v[111:112]
	v_fma_f64 v[1:2], v[1:2], v[109:110], -v[113:114]
	v_fma_f64 v[3:4], v[3:4], v[109:110], v[111:112]
	buffer_store_dword v2, off, s[0:3], 0 offset:676
	buffer_store_dword v1, off, s[0:3], 0 offset:672
	;; [unrolled: 1-line block ×4, first 2 shown]
.LBB49_727:
	s_or_b32 exec_lo, exec_lo, s4
	v_mov_b32_e32 v4, s14
	s_mov_b32 s4, exec_lo
	s_clause 0x3
	buffer_load_dword v1, v4, s[0:3], 0 offen
	buffer_load_dword v2, v4, s[0:3], 0 offen offset:4
	buffer_load_dword v3, v4, s[0:3], 0 offen offset:8
	;; [unrolled: 1-line block ×3, first 2 shown]
	s_waitcnt vmcnt(0)
	ds_write_b128 v6, v[1:4]
	s_waitcnt lgkmcnt(0)
	s_waitcnt_vscnt null, 0x0
	s_barrier
	buffer_gl0_inv
	v_cmpx_gt_u32_e32 43, v0
	s_cbranch_execz .LBB49_735
; %bb.728:
	ds_read_b128 v[1:4], v6
	v_cmp_ne_u32_e32 vcc_lo, 1, v7
	s_cbranch_vccnz .LBB49_730
; %bb.729:
	s_clause 0x3
	buffer_load_dword v109, v5, s[0:3], 0 offen offset:8
	buffer_load_dword v110, v5, s[0:3], 0 offen offset:12
	buffer_load_dword v111, v5, s[0:3], 0 offen
	buffer_load_dword v112, v5, s[0:3], 0 offen offset:4
	s_waitcnt vmcnt(2) lgkmcnt(0)
	v_mul_f64 v[113:114], v[3:4], v[109:110]
	v_mul_f64 v[109:110], v[1:2], v[109:110]
	s_waitcnt vmcnt(0)
	v_fma_f64 v[1:2], v[1:2], v[111:112], -v[113:114]
	v_fma_f64 v[3:4], v[3:4], v[111:112], v[109:110]
.LBB49_730:
	s_mov_b32 s6, exec_lo
	v_cmpx_ne_u32_e32 42, v0
	s_cbranch_execz .LBB49_734
; %bb.731:
	v_add_nc_u32_e32 v8, 0x330, v129
	v_add3_u32 v109, 0, v129, 16
	v_mov_b32_e32 v110, v0
	s_mov_b32 s8, 0
	.p2align	6
.LBB49_732:                             ; =>This Inner Loop Header: Depth=1
	s_clause 0x3
	buffer_load_dword v115, v109, s[0:3], 0 offen offset:8
	buffer_load_dword v116, v109, s[0:3], 0 offen offset:12
	buffer_load_dword v117, v109, s[0:3], 0 offen
	buffer_load_dword v118, v109, s[0:3], 0 offen offset:4
	ds_read_b128 v[111:114], v8
	v_add_nc_u32_e32 v110, 1, v110
	v_add_nc_u32_e32 v8, 16, v8
	;; [unrolled: 1-line block ×3, first 2 shown]
	v_cmp_lt_u32_e32 vcc_lo, 41, v110
	s_or_b32 s8, vcc_lo, s8
	s_waitcnt vmcnt(2) lgkmcnt(0)
	v_mul_f64 v[119:120], v[113:114], v[115:116]
	v_mul_f64 v[115:116], v[111:112], v[115:116]
	s_waitcnt vmcnt(0)
	v_fma_f64 v[111:112], v[111:112], v[117:118], -v[119:120]
	v_fma_f64 v[113:114], v[113:114], v[117:118], v[115:116]
	v_add_f64 v[1:2], v[1:2], v[111:112]
	v_add_f64 v[3:4], v[3:4], v[113:114]
	s_andn2_b32 exec_lo, exec_lo, s8
	s_cbranch_execnz .LBB49_732
; %bb.733:
	s_or_b32 exec_lo, exec_lo, s8
.LBB49_734:
	s_or_b32 exec_lo, exec_lo, s6
	v_mov_b32_e32 v8, 0
	ds_read_b128 v[109:112], v8 offset:688
	s_waitcnt lgkmcnt(0)
	v_mul_f64 v[113:114], v[3:4], v[111:112]
	v_mul_f64 v[111:112], v[1:2], v[111:112]
	v_fma_f64 v[1:2], v[1:2], v[109:110], -v[113:114]
	v_fma_f64 v[3:4], v[3:4], v[109:110], v[111:112]
	buffer_store_dword v2, off, s[0:3], 0 offset:692
	buffer_store_dword v1, off, s[0:3], 0 offset:688
	;; [unrolled: 1-line block ×4, first 2 shown]
.LBB49_735:
	s_or_b32 exec_lo, exec_lo, s4
	v_mov_b32_e32 v4, s13
	s_mov_b32 s4, exec_lo
	s_clause 0x3
	buffer_load_dword v1, v4, s[0:3], 0 offen
	buffer_load_dword v2, v4, s[0:3], 0 offen offset:4
	buffer_load_dword v3, v4, s[0:3], 0 offen offset:8
	buffer_load_dword v4, v4, s[0:3], 0 offen offset:12
	s_waitcnt vmcnt(0)
	ds_write_b128 v6, v[1:4]
	s_waitcnt lgkmcnt(0)
	s_waitcnt_vscnt null, 0x0
	s_barrier
	buffer_gl0_inv
	v_cmpx_gt_u32_e32 44, v0
	s_cbranch_execz .LBB49_743
; %bb.736:
	ds_read_b128 v[1:4], v6
	v_cmp_ne_u32_e32 vcc_lo, 1, v7
	s_cbranch_vccnz .LBB49_738
; %bb.737:
	s_clause 0x3
	buffer_load_dword v109, v5, s[0:3], 0 offen offset:8
	buffer_load_dword v110, v5, s[0:3], 0 offen offset:12
	buffer_load_dword v111, v5, s[0:3], 0 offen
	buffer_load_dword v112, v5, s[0:3], 0 offen offset:4
	s_waitcnt vmcnt(2) lgkmcnt(0)
	v_mul_f64 v[113:114], v[3:4], v[109:110]
	v_mul_f64 v[109:110], v[1:2], v[109:110]
	s_waitcnt vmcnt(0)
	v_fma_f64 v[1:2], v[1:2], v[111:112], -v[113:114]
	v_fma_f64 v[3:4], v[3:4], v[111:112], v[109:110]
.LBB49_738:
	s_mov_b32 s6, exec_lo
	v_cmpx_ne_u32_e32 43, v0
	s_cbranch_execz .LBB49_742
; %bb.739:
	v_add_nc_u32_e32 v8, 0x330, v129
	v_add3_u32 v109, 0, v129, 16
	v_mov_b32_e32 v110, v0
	s_mov_b32 s8, 0
	.p2align	6
.LBB49_740:                             ; =>This Inner Loop Header: Depth=1
	s_clause 0x3
	buffer_load_dword v115, v109, s[0:3], 0 offen offset:8
	buffer_load_dword v116, v109, s[0:3], 0 offen offset:12
	buffer_load_dword v117, v109, s[0:3], 0 offen
	buffer_load_dword v118, v109, s[0:3], 0 offen offset:4
	ds_read_b128 v[111:114], v8
	v_add_nc_u32_e32 v110, 1, v110
	v_add_nc_u32_e32 v8, 16, v8
	;; [unrolled: 1-line block ×3, first 2 shown]
	v_cmp_lt_u32_e32 vcc_lo, 42, v110
	s_or_b32 s8, vcc_lo, s8
	s_waitcnt vmcnt(2) lgkmcnt(0)
	v_mul_f64 v[119:120], v[113:114], v[115:116]
	v_mul_f64 v[115:116], v[111:112], v[115:116]
	s_waitcnt vmcnt(0)
	v_fma_f64 v[111:112], v[111:112], v[117:118], -v[119:120]
	v_fma_f64 v[113:114], v[113:114], v[117:118], v[115:116]
	v_add_f64 v[1:2], v[1:2], v[111:112]
	v_add_f64 v[3:4], v[3:4], v[113:114]
	s_andn2_b32 exec_lo, exec_lo, s8
	s_cbranch_execnz .LBB49_740
; %bb.741:
	s_or_b32 exec_lo, exec_lo, s8
.LBB49_742:
	s_or_b32 exec_lo, exec_lo, s6
	v_mov_b32_e32 v8, 0
	ds_read_b128 v[109:112], v8 offset:704
	s_waitcnt lgkmcnt(0)
	v_mul_f64 v[113:114], v[3:4], v[111:112]
	v_mul_f64 v[111:112], v[1:2], v[111:112]
	v_fma_f64 v[1:2], v[1:2], v[109:110], -v[113:114]
	v_fma_f64 v[3:4], v[3:4], v[109:110], v[111:112]
	buffer_store_dword v2, off, s[0:3], 0 offset:708
	buffer_store_dword v1, off, s[0:3], 0 offset:704
	;; [unrolled: 1-line block ×4, first 2 shown]
.LBB49_743:
	s_or_b32 exec_lo, exec_lo, s4
	v_mov_b32_e32 v4, s12
	s_mov_b32 s4, exec_lo
	s_clause 0x3
	buffer_load_dword v1, v4, s[0:3], 0 offen
	buffer_load_dword v2, v4, s[0:3], 0 offen offset:4
	buffer_load_dword v3, v4, s[0:3], 0 offen offset:8
	buffer_load_dword v4, v4, s[0:3], 0 offen offset:12
	s_waitcnt vmcnt(0)
	ds_write_b128 v6, v[1:4]
	s_waitcnt lgkmcnt(0)
	s_waitcnt_vscnt null, 0x0
	s_barrier
	buffer_gl0_inv
	v_cmpx_gt_u32_e32 45, v0
	s_cbranch_execz .LBB49_751
; %bb.744:
	ds_read_b128 v[1:4], v6
	v_cmp_ne_u32_e32 vcc_lo, 1, v7
	s_cbranch_vccnz .LBB49_746
; %bb.745:
	s_clause 0x3
	buffer_load_dword v109, v5, s[0:3], 0 offen offset:8
	buffer_load_dword v110, v5, s[0:3], 0 offen offset:12
	buffer_load_dword v111, v5, s[0:3], 0 offen
	buffer_load_dword v112, v5, s[0:3], 0 offen offset:4
	s_waitcnt vmcnt(2) lgkmcnt(0)
	v_mul_f64 v[113:114], v[3:4], v[109:110]
	v_mul_f64 v[109:110], v[1:2], v[109:110]
	s_waitcnt vmcnt(0)
	v_fma_f64 v[1:2], v[1:2], v[111:112], -v[113:114]
	v_fma_f64 v[3:4], v[3:4], v[111:112], v[109:110]
.LBB49_746:
	s_mov_b32 s6, exec_lo
	v_cmpx_ne_u32_e32 44, v0
	s_cbranch_execz .LBB49_750
; %bb.747:
	v_add_nc_u32_e32 v8, 0x330, v129
	v_add3_u32 v109, 0, v129, 16
	v_mov_b32_e32 v110, v0
	s_mov_b32 s8, 0
	.p2align	6
.LBB49_748:                             ; =>This Inner Loop Header: Depth=1
	s_clause 0x3
	buffer_load_dword v115, v109, s[0:3], 0 offen offset:8
	buffer_load_dword v116, v109, s[0:3], 0 offen offset:12
	buffer_load_dword v117, v109, s[0:3], 0 offen
	buffer_load_dword v118, v109, s[0:3], 0 offen offset:4
	ds_read_b128 v[111:114], v8
	v_add_nc_u32_e32 v110, 1, v110
	v_add_nc_u32_e32 v8, 16, v8
	;; [unrolled: 1-line block ×3, first 2 shown]
	v_cmp_lt_u32_e32 vcc_lo, 43, v110
	s_or_b32 s8, vcc_lo, s8
	s_waitcnt vmcnt(2) lgkmcnt(0)
	v_mul_f64 v[119:120], v[113:114], v[115:116]
	v_mul_f64 v[115:116], v[111:112], v[115:116]
	s_waitcnt vmcnt(0)
	v_fma_f64 v[111:112], v[111:112], v[117:118], -v[119:120]
	v_fma_f64 v[113:114], v[113:114], v[117:118], v[115:116]
	v_add_f64 v[1:2], v[1:2], v[111:112]
	v_add_f64 v[3:4], v[3:4], v[113:114]
	s_andn2_b32 exec_lo, exec_lo, s8
	s_cbranch_execnz .LBB49_748
; %bb.749:
	s_or_b32 exec_lo, exec_lo, s8
.LBB49_750:
	s_or_b32 exec_lo, exec_lo, s6
	v_mov_b32_e32 v8, 0
	ds_read_b128 v[109:112], v8 offset:720
	s_waitcnt lgkmcnt(0)
	v_mul_f64 v[113:114], v[3:4], v[111:112]
	v_mul_f64 v[111:112], v[1:2], v[111:112]
	v_fma_f64 v[1:2], v[1:2], v[109:110], -v[113:114]
	v_fma_f64 v[3:4], v[3:4], v[109:110], v[111:112]
	buffer_store_dword v2, off, s[0:3], 0 offset:724
	buffer_store_dword v1, off, s[0:3], 0 offset:720
	;; [unrolled: 1-line block ×4, first 2 shown]
.LBB49_751:
	s_or_b32 exec_lo, exec_lo, s4
	v_mov_b32_e32 v4, s11
	s_mov_b32 s4, exec_lo
	s_clause 0x3
	buffer_load_dword v1, v4, s[0:3], 0 offen
	buffer_load_dword v2, v4, s[0:3], 0 offen offset:4
	buffer_load_dword v3, v4, s[0:3], 0 offen offset:8
	;; [unrolled: 1-line block ×3, first 2 shown]
	s_waitcnt vmcnt(0)
	ds_write_b128 v6, v[1:4]
	s_waitcnt lgkmcnt(0)
	s_waitcnt_vscnt null, 0x0
	s_barrier
	buffer_gl0_inv
	v_cmpx_gt_u32_e32 46, v0
	s_cbranch_execz .LBB49_759
; %bb.752:
	ds_read_b128 v[1:4], v6
	v_cmp_ne_u32_e32 vcc_lo, 1, v7
	s_cbranch_vccnz .LBB49_754
; %bb.753:
	s_clause 0x3
	buffer_load_dword v109, v5, s[0:3], 0 offen offset:8
	buffer_load_dword v110, v5, s[0:3], 0 offen offset:12
	buffer_load_dword v111, v5, s[0:3], 0 offen
	buffer_load_dword v112, v5, s[0:3], 0 offen offset:4
	s_waitcnt vmcnt(2) lgkmcnt(0)
	v_mul_f64 v[113:114], v[3:4], v[109:110]
	v_mul_f64 v[109:110], v[1:2], v[109:110]
	s_waitcnt vmcnt(0)
	v_fma_f64 v[1:2], v[1:2], v[111:112], -v[113:114]
	v_fma_f64 v[3:4], v[3:4], v[111:112], v[109:110]
.LBB49_754:
	s_mov_b32 s6, exec_lo
	v_cmpx_ne_u32_e32 45, v0
	s_cbranch_execz .LBB49_758
; %bb.755:
	v_add_nc_u32_e32 v8, 0x330, v129
	v_add3_u32 v109, 0, v129, 16
	v_mov_b32_e32 v110, v0
	s_mov_b32 s8, 0
	.p2align	6
.LBB49_756:                             ; =>This Inner Loop Header: Depth=1
	s_clause 0x3
	buffer_load_dword v115, v109, s[0:3], 0 offen offset:8
	buffer_load_dword v116, v109, s[0:3], 0 offen offset:12
	buffer_load_dword v117, v109, s[0:3], 0 offen
	buffer_load_dword v118, v109, s[0:3], 0 offen offset:4
	ds_read_b128 v[111:114], v8
	v_add_nc_u32_e32 v110, 1, v110
	v_add_nc_u32_e32 v8, 16, v8
	;; [unrolled: 1-line block ×3, first 2 shown]
	v_cmp_lt_u32_e32 vcc_lo, 44, v110
	s_or_b32 s8, vcc_lo, s8
	s_waitcnt vmcnt(2) lgkmcnt(0)
	v_mul_f64 v[119:120], v[113:114], v[115:116]
	v_mul_f64 v[115:116], v[111:112], v[115:116]
	s_waitcnt vmcnt(0)
	v_fma_f64 v[111:112], v[111:112], v[117:118], -v[119:120]
	v_fma_f64 v[113:114], v[113:114], v[117:118], v[115:116]
	v_add_f64 v[1:2], v[1:2], v[111:112]
	v_add_f64 v[3:4], v[3:4], v[113:114]
	s_andn2_b32 exec_lo, exec_lo, s8
	s_cbranch_execnz .LBB49_756
; %bb.757:
	s_or_b32 exec_lo, exec_lo, s8
.LBB49_758:
	s_or_b32 exec_lo, exec_lo, s6
	v_mov_b32_e32 v8, 0
	ds_read_b128 v[109:112], v8 offset:736
	s_waitcnt lgkmcnt(0)
	v_mul_f64 v[113:114], v[3:4], v[111:112]
	v_mul_f64 v[111:112], v[1:2], v[111:112]
	v_fma_f64 v[1:2], v[1:2], v[109:110], -v[113:114]
	v_fma_f64 v[3:4], v[3:4], v[109:110], v[111:112]
	buffer_store_dword v2, off, s[0:3], 0 offset:740
	buffer_store_dword v1, off, s[0:3], 0 offset:736
	;; [unrolled: 1-line block ×4, first 2 shown]
.LBB49_759:
	s_or_b32 exec_lo, exec_lo, s4
	v_mov_b32_e32 v4, s10
	s_mov_b32 s4, exec_lo
	s_clause 0x3
	buffer_load_dword v1, v4, s[0:3], 0 offen
	buffer_load_dword v2, v4, s[0:3], 0 offen offset:4
	buffer_load_dword v3, v4, s[0:3], 0 offen offset:8
	;; [unrolled: 1-line block ×3, first 2 shown]
	s_waitcnt vmcnt(0)
	ds_write_b128 v6, v[1:4]
	s_waitcnt lgkmcnt(0)
	s_waitcnt_vscnt null, 0x0
	s_barrier
	buffer_gl0_inv
	v_cmpx_gt_u32_e32 47, v0
	s_cbranch_execz .LBB49_767
; %bb.760:
	ds_read_b128 v[1:4], v6
	v_cmp_ne_u32_e32 vcc_lo, 1, v7
	s_cbranch_vccnz .LBB49_762
; %bb.761:
	s_clause 0x3
	buffer_load_dword v109, v5, s[0:3], 0 offen offset:8
	buffer_load_dword v110, v5, s[0:3], 0 offen offset:12
	buffer_load_dword v111, v5, s[0:3], 0 offen
	buffer_load_dword v112, v5, s[0:3], 0 offen offset:4
	s_waitcnt vmcnt(2) lgkmcnt(0)
	v_mul_f64 v[113:114], v[3:4], v[109:110]
	v_mul_f64 v[109:110], v[1:2], v[109:110]
	s_waitcnt vmcnt(0)
	v_fma_f64 v[1:2], v[1:2], v[111:112], -v[113:114]
	v_fma_f64 v[3:4], v[3:4], v[111:112], v[109:110]
.LBB49_762:
	s_mov_b32 s6, exec_lo
	v_cmpx_ne_u32_e32 46, v0
	s_cbranch_execz .LBB49_766
; %bb.763:
	v_add_nc_u32_e32 v8, 0x330, v129
	v_add3_u32 v109, 0, v129, 16
	v_mov_b32_e32 v110, v0
	s_mov_b32 s8, 0
	.p2align	6
.LBB49_764:                             ; =>This Inner Loop Header: Depth=1
	s_clause 0x3
	buffer_load_dword v115, v109, s[0:3], 0 offen offset:8
	buffer_load_dword v116, v109, s[0:3], 0 offen offset:12
	buffer_load_dword v117, v109, s[0:3], 0 offen
	buffer_load_dword v118, v109, s[0:3], 0 offen offset:4
	ds_read_b128 v[111:114], v8
	v_add_nc_u32_e32 v110, 1, v110
	v_add_nc_u32_e32 v8, 16, v8
	;; [unrolled: 1-line block ×3, first 2 shown]
	v_cmp_lt_u32_e32 vcc_lo, 45, v110
	s_or_b32 s8, vcc_lo, s8
	s_waitcnt vmcnt(2) lgkmcnt(0)
	v_mul_f64 v[119:120], v[113:114], v[115:116]
	v_mul_f64 v[115:116], v[111:112], v[115:116]
	s_waitcnt vmcnt(0)
	v_fma_f64 v[111:112], v[111:112], v[117:118], -v[119:120]
	v_fma_f64 v[113:114], v[113:114], v[117:118], v[115:116]
	v_add_f64 v[1:2], v[1:2], v[111:112]
	v_add_f64 v[3:4], v[3:4], v[113:114]
	s_andn2_b32 exec_lo, exec_lo, s8
	s_cbranch_execnz .LBB49_764
; %bb.765:
	s_or_b32 exec_lo, exec_lo, s8
.LBB49_766:
	s_or_b32 exec_lo, exec_lo, s6
	v_mov_b32_e32 v8, 0
	ds_read_b128 v[109:112], v8 offset:752
	s_waitcnt lgkmcnt(0)
	v_mul_f64 v[113:114], v[3:4], v[111:112]
	v_mul_f64 v[111:112], v[1:2], v[111:112]
	v_fma_f64 v[1:2], v[1:2], v[109:110], -v[113:114]
	v_fma_f64 v[3:4], v[3:4], v[109:110], v[111:112]
	buffer_store_dword v2, off, s[0:3], 0 offset:756
	buffer_store_dword v1, off, s[0:3], 0 offset:752
	;; [unrolled: 1-line block ×4, first 2 shown]
.LBB49_767:
	s_or_b32 exec_lo, exec_lo, s4
	v_mov_b32_e32 v4, s9
	v_cmp_gt_u32_e64 s4, 48, v0
	s_clause 0x3
	buffer_load_dword v1, v4, s[0:3], 0 offen
	buffer_load_dword v2, v4, s[0:3], 0 offen offset:4
	buffer_load_dword v3, v4, s[0:3], 0 offen offset:8
	;; [unrolled: 1-line block ×3, first 2 shown]
	s_waitcnt vmcnt(0)
	ds_write_b128 v6, v[1:4]
	s_waitcnt lgkmcnt(0)
	s_waitcnt_vscnt null, 0x0
	s_barrier
	buffer_gl0_inv
	s_and_saveexec_b32 s6, s4
	s_cbranch_execz .LBB49_775
; %bb.768:
	ds_read_b128 v[1:4], v6
	v_cmp_ne_u32_e32 vcc_lo, 1, v7
	s_cbranch_vccnz .LBB49_770
; %bb.769:
	s_clause 0x3
	buffer_load_dword v109, v5, s[0:3], 0 offen offset:8
	buffer_load_dword v110, v5, s[0:3], 0 offen offset:12
	buffer_load_dword v111, v5, s[0:3], 0 offen
	buffer_load_dword v112, v5, s[0:3], 0 offen offset:4
	s_waitcnt vmcnt(2) lgkmcnt(0)
	v_mul_f64 v[113:114], v[3:4], v[109:110]
	v_mul_f64 v[109:110], v[1:2], v[109:110]
	s_waitcnt vmcnt(0)
	v_fma_f64 v[1:2], v[1:2], v[111:112], -v[113:114]
	v_fma_f64 v[3:4], v[3:4], v[111:112], v[109:110]
.LBB49_770:
	s_mov_b32 s8, exec_lo
	v_cmpx_ne_u32_e32 47, v0
	s_cbranch_execz .LBB49_774
; %bb.771:
	v_add_nc_u32_e32 v8, 0x330, v129
	v_add3_u32 v109, 0, v129, 16
	v_mov_b32_e32 v110, v0
	s_mov_b32 s58, 0
	.p2align	6
.LBB49_772:                             ; =>This Inner Loop Header: Depth=1
	s_clause 0x3
	buffer_load_dword v115, v109, s[0:3], 0 offen offset:8
	buffer_load_dword v116, v109, s[0:3], 0 offen offset:12
	buffer_load_dword v117, v109, s[0:3], 0 offen
	buffer_load_dword v118, v109, s[0:3], 0 offen offset:4
	ds_read_b128 v[111:114], v8
	v_add_nc_u32_e32 v110, 1, v110
	v_add_nc_u32_e32 v8, 16, v8
	;; [unrolled: 1-line block ×3, first 2 shown]
	v_cmp_lt_u32_e32 vcc_lo, 46, v110
	s_or_b32 s58, vcc_lo, s58
	s_waitcnt vmcnt(2) lgkmcnt(0)
	v_mul_f64 v[119:120], v[113:114], v[115:116]
	v_mul_f64 v[115:116], v[111:112], v[115:116]
	s_waitcnt vmcnt(0)
	v_fma_f64 v[111:112], v[111:112], v[117:118], -v[119:120]
	v_fma_f64 v[113:114], v[113:114], v[117:118], v[115:116]
	v_add_f64 v[1:2], v[1:2], v[111:112]
	v_add_f64 v[3:4], v[3:4], v[113:114]
	s_andn2_b32 exec_lo, exec_lo, s58
	s_cbranch_execnz .LBB49_772
; %bb.773:
	s_or_b32 exec_lo, exec_lo, s58
.LBB49_774:
	s_or_b32 exec_lo, exec_lo, s8
	v_mov_b32_e32 v8, 0
	ds_read_b128 v[109:112], v8 offset:768
	s_waitcnt lgkmcnt(0)
	v_mul_f64 v[113:114], v[3:4], v[111:112]
	v_mul_f64 v[111:112], v[1:2], v[111:112]
	v_fma_f64 v[1:2], v[1:2], v[109:110], -v[113:114]
	v_fma_f64 v[3:4], v[3:4], v[109:110], v[111:112]
	buffer_store_dword v2, off, s[0:3], 0 offset:772
	buffer_store_dword v1, off, s[0:3], 0 offset:768
	;; [unrolled: 1-line block ×4, first 2 shown]
.LBB49_775:
	s_or_b32 exec_lo, exec_lo, s6
	v_mov_b32_e32 v4, s7
	s_mov_b32 s6, exec_lo
                                        ; implicit-def: $sgpr59
	s_clause 0x3
	buffer_load_dword v1, v4, s[0:3], 0 offen
	buffer_load_dword v2, v4, s[0:3], 0 offen offset:4
	buffer_load_dword v3, v4, s[0:3], 0 offen offset:8
	;; [unrolled: 1-line block ×3, first 2 shown]
	s_waitcnt vmcnt(0)
	ds_write_b128 v6, v[1:4]
	s_waitcnt lgkmcnt(0)
	s_waitcnt_vscnt null, 0x0
	s_barrier
	buffer_gl0_inv
                                        ; implicit-def: $vgpr1_vgpr2
	v_cmpx_ne_u32_e32 49, v0
	s_cbranch_execz .LBB49_783
; %bb.776:
	ds_read_b128 v[1:4], v6
	v_cmp_ne_u32_e32 vcc_lo, 1, v7
	s_cbranch_vccnz .LBB49_778
; %bb.777:
	s_clause 0x3
	buffer_load_dword v6, v5, s[0:3], 0 offen offset:8
	buffer_load_dword v7, v5, s[0:3], 0 offen offset:12
	buffer_load_dword v109, v5, s[0:3], 0 offen
	buffer_load_dword v110, v5, s[0:3], 0 offen offset:4
	s_waitcnt vmcnt(2) lgkmcnt(0)
	v_mul_f64 v[111:112], v[3:4], v[6:7]
	v_mul_f64 v[5:6], v[1:2], v[6:7]
	s_waitcnt vmcnt(0)
	v_fma_f64 v[1:2], v[1:2], v[109:110], -v[111:112]
	v_fma_f64 v[3:4], v[3:4], v[109:110], v[5:6]
.LBB49_778:
	s_and_saveexec_b32 s8, s4
	s_cbranch_execz .LBB49_782
; %bb.779:
	v_add_nc_u32_e32 v5, 0x330, v129
	v_add3_u32 v6, 0, v129, 16
	s_mov_b32 s4, 0
	.p2align	6
.LBB49_780:                             ; =>This Inner Loop Header: Depth=1
	s_clause 0x3
	buffer_load_dword v7, v6, s[0:3], 0 offen offset:8
	buffer_load_dword v8, v6, s[0:3], 0 offen offset:12
	buffer_load_dword v113, v6, s[0:3], 0 offen
	buffer_load_dword v114, v6, s[0:3], 0 offen offset:4
	ds_read_b128 v[109:112], v5
	v_add_nc_u32_e32 v0, 1, v0
	v_add_nc_u32_e32 v5, 16, v5
	;; [unrolled: 1-line block ×3, first 2 shown]
	v_cmp_lt_u32_e32 vcc_lo, 47, v0
	s_or_b32 s4, vcc_lo, s4
	s_waitcnt vmcnt(2) lgkmcnt(0)
	v_mul_f64 v[115:116], v[111:112], v[7:8]
	v_mul_f64 v[7:8], v[109:110], v[7:8]
	s_waitcnt vmcnt(0)
	v_fma_f64 v[109:110], v[109:110], v[113:114], -v[115:116]
	v_fma_f64 v[7:8], v[111:112], v[113:114], v[7:8]
	v_add_f64 v[1:2], v[1:2], v[109:110]
	v_add_f64 v[3:4], v[3:4], v[7:8]
	s_andn2_b32 exec_lo, exec_lo, s4
	s_cbranch_execnz .LBB49_780
; %bb.781:
	s_or_b32 exec_lo, exec_lo, s4
.LBB49_782:
	s_or_b32 exec_lo, exec_lo, s8
	v_mov_b32_e32 v0, 0
	s_movk_i32 s59, 0x318
	s_or_b32 s5, s5, exec_lo
	ds_read_b128 v[5:8], v0 offset:784
	s_waitcnt lgkmcnt(0)
	v_mul_f64 v[109:110], v[3:4], v[7:8]
	v_mul_f64 v[7:8], v[1:2], v[7:8]
	v_fma_f64 v[109:110], v[1:2], v[5:6], -v[109:110]
	v_fma_f64 v[1:2], v[3:4], v[5:6], v[7:8]
	buffer_store_dword v110, off, s[0:3], 0 offset:788
	buffer_store_dword v109, off, s[0:3], 0 offset:784
.LBB49_783:
	s_or_b32 exec_lo, exec_lo, s6
.LBB49_784:
	s_and_saveexec_b32 s4, s5
	s_cbranch_execz .LBB49_786
; %bb.785:
	v_mov_b32_e32 v0, s59
	buffer_store_dword v2, v0, s[0:3], 0 offen offset:4
	buffer_store_dword v1, v0, s[0:3], 0 offen
.LBB49_786:
	s_or_b32 exec_lo, exec_lo, s4
	v_mov_b32_e32 v3, s57
	v_mov_b32_e32 v112, s54
	;; [unrolled: 1-line block ×5, first 2 shown]
	s_clause 0x17
	buffer_load_dword v0, v3, s[0:3], 0 offen
	buffer_load_dword v1, v3, s[0:3], 0 offen offset:4
	buffer_load_dword v2, v3, s[0:3], 0 offen offset:8
	buffer_load_dword v3, v3, s[0:3], 0 offen offset:12
	buffer_load_dword v4, v7, s[0:3], 0 offen
	buffer_load_dword v5, v7, s[0:3], 0 offen offset:4
	buffer_load_dword v6, v7, s[0:3], 0 offen offset:8
	buffer_load_dword v7, v7, s[0:3], 0 offen offset:12
	;; [unrolled: 4-line block ×5, first 2 shown]
	buffer_load_dword v121, off, s[0:3], 0
	buffer_load_dword v122, off, s[0:3], 0 offset:4
	buffer_load_dword v123, off, s[0:3], 0 offset:8
	buffer_load_dword v124, off, s[0:3], 0 offset:12
	v_mov_b32_e32 v8, s52
	v_mov_b32_e32 v125, s50
	;; [unrolled: 1-line block ×10, first 2 shown]
	s_waitcnt vmcnt(0)
	global_store_dwordx4 v[79:80], v[121:124], off
	s_clause 0x3
	buffer_load_dword v121, v8, s[0:3], 0 offen
	buffer_load_dword v122, v8, s[0:3], 0 offen offset:4
	buffer_load_dword v123, v8, s[0:3], 0 offen offset:8
	;; [unrolled: 1-line block ×3, first 2 shown]
	v_mov_b32_e32 v8, s51
	global_store_dwordx4 v[81:82], v[117:120], off
	s_clause 0x7
	buffer_load_dword v79, v8, s[0:3], 0 offen
	buffer_load_dword v80, v8, s[0:3], 0 offen offset:4
	buffer_load_dword v81, v8, s[0:3], 0 offen offset:8
	;; [unrolled: 1-line block ×3, first 2 shown]
	buffer_load_dword v117, v125, s[0:3], 0 offen
	buffer_load_dword v118, v125, s[0:3], 0 offen offset:4
	buffer_load_dword v119, v125, s[0:3], 0 offen offset:8
	;; [unrolled: 1-line block ×3, first 2 shown]
	global_store_dwordx4 v[95:96], v[0:3], off
	v_mov_b32_e32 v3, s49
	v_mov_b32_e32 v8, s48
	s_clause 0x3
	buffer_load_dword v0, v3, s[0:3], 0 offen
	buffer_load_dword v1, v3, s[0:3], 0 offen offset:4
	buffer_load_dword v2, v3, s[0:3], 0 offen offset:8
	;; [unrolled: 1-line block ×3, first 2 shown]
	global_store_dwordx4 v[103:104], v[4:7], off
	s_clause 0x3
	buffer_load_dword v4, v8, s[0:3], 0 offen
	buffer_load_dword v5, v8, s[0:3], 0 offen offset:4
	buffer_load_dword v6, v8, s[0:3], 0 offen offset:8
	;; [unrolled: 1-line block ×3, first 2 shown]
	v_mov_b32_e32 v8, s47
	s_clause 0x3
	buffer_load_dword v125, v8, s[0:3], 0 offen
	buffer_load_dword v126, v8, s[0:3], 0 offen offset:4
	buffer_load_dword v127, v8, s[0:3], 0 offen offset:8
	;; [unrolled: 1-line block ×3, first 2 shown]
	v_mov_b32_e32 v8, s46
	global_store_dwordx4 v[105:106], v[109:112], off
	s_clause 0x3
	buffer_load_dword v103, v8, s[0:3], 0 offen
	buffer_load_dword v104, v8, s[0:3], 0 offen offset:4
	buffer_load_dword v105, v8, s[0:3], 0 offen offset:8
	buffer_load_dword v106, v8, s[0:3], 0 offen offset:12
	v_mov_b32_e32 v8, s45
	global_store_dwordx4 v[107:108], v[113:116], off
	s_clause 0x3
	buffer_load_dword v107, v8, s[0:3], 0 offen
	buffer_load_dword v108, v8, s[0:3], 0 offen offset:4
	buffer_load_dword v109, v8, s[0:3], 0 offen offset:8
	;; [unrolled: 1-line block ×3, first 2 shown]
	v_mov_b32_e32 v8, s44
	s_clause 0x3
	buffer_load_dword v111, v8, s[0:3], 0 offen
	buffer_load_dword v112, v8, s[0:3], 0 offen offset:4
	buffer_load_dword v113, v8, s[0:3], 0 offen offset:8
	;; [unrolled: 1-line block ×3, first 2 shown]
	v_mov_b32_e32 v8, s43
	v_mov_b32_e32 v115, s39
	s_waitcnt vmcnt(32)
	global_store_dwordx4 v[101:102], v[121:124], off
	s_clause 0x3
	buffer_load_dword v121, v8, s[0:3], 0 offen
	buffer_load_dword v122, v8, s[0:3], 0 offen offset:4
	buffer_load_dword v123, v8, s[0:3], 0 offen offset:8
	;; [unrolled: 1-line block ×3, first 2 shown]
	v_mov_b32_e32 v8, s42
	s_waitcnt vmcnt(32)
	global_store_dwordx4 v[99:100], v[79:82], off
	v_mov_b32_e32 v101, s41
	s_clause 0x3
	buffer_load_dword v79, v8, s[0:3], 0 offen
	buffer_load_dword v80, v8, s[0:3], 0 offen offset:4
	buffer_load_dword v81, v8, s[0:3], 0 offen offset:8
	buffer_load_dword v82, v8, s[0:3], 0 offen offset:12
	v_mov_b32_e32 v8, s40
	s_waitcnt vmcnt(32)
	global_store_dwordx4 v[97:98], v[117:120], off
	s_clause 0x7
	buffer_load_dword v95, v101, s[0:3], 0 offen
	buffer_load_dword v96, v101, s[0:3], 0 offen offset:4
	buffer_load_dword v97, v101, s[0:3], 0 offen offset:8
	;; [unrolled: 1-line block ×3, first 2 shown]
	buffer_load_dword v99, v8, s[0:3], 0 offen
	buffer_load_dword v100, v8, s[0:3], 0 offen offset:4
	buffer_load_dword v101, v8, s[0:3], 0 offen offset:8
	;; [unrolled: 1-line block ×3, first 2 shown]
	v_mov_b32_e32 v8, s38
	s_waitcnt vmcnt(36)
	global_store_dwordx4 v[93:94], v[0:3], off
	s_clause 0x7
	buffer_load_dword v0, v115, s[0:3], 0 offen
	buffer_load_dword v1, v115, s[0:3], 0 offen offset:4
	buffer_load_dword v2, v115, s[0:3], 0 offen offset:8
	;; [unrolled: 1-line block ×3, first 2 shown]
	buffer_load_dword v115, v8, s[0:3], 0 offen
	buffer_load_dword v116, v8, s[0:3], 0 offen offset:4
	buffer_load_dword v117, v8, s[0:3], 0 offen offset:8
	;; [unrolled: 1-line block ×3, first 2 shown]
	s_waitcnt vmcnt(40)
	global_store_dwordx4 v[91:92], v[4:7], off
	v_mov_b32_e32 v7, s37
	v_mov_b32_e32 v8, s36
	s_clause 0x3
	buffer_load_dword v4, v7, s[0:3], 0 offen
	buffer_load_dword v5, v7, s[0:3], 0 offen offset:4
	buffer_load_dword v6, v7, s[0:3], 0 offen offset:8
	;; [unrolled: 1-line block ×3, first 2 shown]
	v_mov_b32_e32 v119, s35
	s_waitcnt vmcnt(40)
	global_store_dwordx4 v[87:88], v[125:128], off
	s_clause 0x7
	buffer_load_dword v91, v8, s[0:3], 0 offen
	buffer_load_dword v92, v8, s[0:3], 0 offen offset:4
	buffer_load_dword v93, v8, s[0:3], 0 offen offset:8
	;; [unrolled: 1-line block ×3, first 2 shown]
	buffer_load_dword v125, v119, s[0:3], 0 offen
	buffer_load_dword v126, v119, s[0:3], 0 offen offset:4
	buffer_load_dword v127, v119, s[0:3], 0 offen offset:8
	buffer_load_dword v128, v119, s[0:3], 0 offen offset:12
	v_mov_b32_e32 v8, s34
	s_waitcnt vmcnt(44)
	global_store_dwordx4 v[89:90], v[103:106], off
	s_clause 0x3
	buffer_load_dword v87, v8, s[0:3], 0 offen
	buffer_load_dword v88, v8, s[0:3], 0 offen offset:4
	buffer_load_dword v89, v8, s[0:3], 0 offen offset:8
	;; [unrolled: 1-line block ×3, first 2 shown]
	v_mov_b32_e32 v8, s33
	v_mov_b32_e32 v119, s31
	s_waitcnt vmcnt(44)
	global_store_dwordx4 v[85:86], v[107:110], off
	s_clause 0x7
	buffer_load_dword v103, v8, s[0:3], 0 offen
	buffer_load_dword v104, v8, s[0:3], 0 offen offset:4
	buffer_load_dword v105, v8, s[0:3], 0 offen offset:8
	;; [unrolled: 1-line block ×3, first 2 shown]
	buffer_load_dword v107, v119, s[0:3], 0 offen
	buffer_load_dword v108, v119, s[0:3], 0 offen offset:4
	buffer_load_dword v109, v119, s[0:3], 0 offen offset:8
	;; [unrolled: 1-line block ×3, first 2 shown]
	v_mov_b32_e32 v8, s30
	s_waitcnt vmcnt(48)
	global_store_dwordx4 v[83:84], v[111:114], off
	s_clause 0x3
	buffer_load_dword v83, v8, s[0:3], 0 offen
	buffer_load_dword v84, v8, s[0:3], 0 offen offset:4
	buffer_load_dword v85, v8, s[0:3], 0 offen offset:8
	;; [unrolled: 1-line block ×3, first 2 shown]
	v_mov_b32_e32 v8, s29
	s_waitcnt vmcnt(48)
	global_store_dwordx4 v[77:78], v[121:124], off
	s_clause 0x3
	buffer_load_dword v111, v8, s[0:3], 0 offen
	buffer_load_dword v112, v8, s[0:3], 0 offen offset:4
	buffer_load_dword v113, v8, s[0:3], 0 offen offset:8
	;; [unrolled: 1-line block ×3, first 2 shown]
	v_mov_b32_e32 v8, s28
	v_mov_b32_e32 v123, s23
	;; [unrolled: 1-line block ×3, first 2 shown]
	s_clause 0x3
	buffer_load_dword v119, v8, s[0:3], 0 offen
	buffer_load_dword v120, v8, s[0:3], 0 offen offset:4
	buffer_load_dword v121, v8, s[0:3], 0 offen offset:8
	;; [unrolled: 1-line block ×3, first 2 shown]
	v_mov_b32_e32 v8, s27
	s_waitcnt vmcnt(52)
	global_store_dwordx4 v[75:76], v[79:82], off
	v_mov_b32_e32 v79, s25
	s_waitcnt vmcnt(48)
	global_store_dwordx4 v[65:66], v[95:98], off
	;; [unrolled: 3-line block ×3, first 2 shown]
	s_waitcnt vmcnt(40)
	global_store_dwordx4 v[35:36], v[0:3], off
	s_waitcnt vmcnt(36)
	global_store_dwordx4 v[11:12], v[115:118], off
	v_mov_b32_e32 v82, s24
	s_clause 0x7
	buffer_load_dword v0, v8, s[0:3], 0 offen
	buffer_load_dword v1, v8, s[0:3], 0 offen offset:4
	buffer_load_dword v2, v8, s[0:3], 0 offen offset:8
	;; [unrolled: 1-line block ×3, first 2 shown]
	buffer_load_dword v75, v78, s[0:3], 0 offen
	buffer_load_dword v76, v78, s[0:3], 0 offen offset:4
	buffer_load_dword v77, v78, s[0:3], 0 offen offset:8
	;; [unrolled: 1-line block ×3, first 2 shown]
	v_mov_b32_e32 v124, s22
	v_mov_b32_e32 v49, s15
	;; [unrolled: 1-line block ×4, first 2 shown]
	s_waitcnt vmcnt(40)
	global_store_dwordx4 v[27:28], v[4:7], off
	s_clause 0x7
	buffer_load_dword v4, v79, s[0:3], 0 offen
	buffer_load_dword v5, v79, s[0:3], 0 offen offset:4
	buffer_load_dword v6, v79, s[0:3], 0 offen offset:8
	buffer_load_dword v7, v79, s[0:3], 0 offen offset:12
	buffer_load_dword v79, v82, s[0:3], 0 offen
	buffer_load_dword v80, v82, s[0:3], 0 offen offset:4
	buffer_load_dword v81, v82, s[0:3], 0 offen offset:8
	buffer_load_dword v82, v82, s[0:3], 0 offen offset:12
	s_waitcnt vmcnt(44)
	global_store_dwordx4 v[21:22], v[91:94], off
	s_clause 0x7
	buffer_load_dword v91, v123, s[0:3], 0 offen
	buffer_load_dword v92, v123, s[0:3], 0 offen offset:4
	buffer_load_dword v93, v123, s[0:3], 0 offen offset:8
	buffer_load_dword v94, v123, s[0:3], 0 offen offset:12
	buffer_load_dword v95, v124, s[0:3], 0 offen
	buffer_load_dword v96, v124, s[0:3], 0 offen offset:4
	buffer_load_dword v97, v124, s[0:3], 0 offen offset:8
	buffer_load_dword v98, v124, s[0:3], 0 offen offset:12
	;; [unrolled: 11-line block ×3, first 2 shown]
	v_mov_b32_e32 v50, s14
	v_mov_b32_e32 v36, s7
	s_waitcnt vmcnt(52)
	global_store_dwordx4 v[15:16], v[87:90], off
	s_clause 0x7
	buffer_load_dword v87, v129, s[0:3], 0 offen
	buffer_load_dword v88, v129, s[0:3], 0 offen offset:4
	buffer_load_dword v89, v129, s[0:3], 0 offen offset:8
	buffer_load_dword v90, v129, s[0:3], 0 offen offset:12
	buffer_load_dword v115, v130, s[0:3], 0 offen
	buffer_load_dword v116, v130, s[0:3], 0 offen offset:4
	buffer_load_dword v117, v130, s[0:3], 0 offen offset:8
	buffer_load_dword v118, v130, s[0:3], 0 offen offset:12
	s_waitcnt vmcnt(56)
	global_store_dwordx4 v[29:30], v[103:106], off
	s_clause 0x7
	buffer_load_dword v27, v131, s[0:3], 0 offen
	buffer_load_dword v28, v131, s[0:3], 0 offen offset:4
	buffer_load_dword v29, v131, s[0:3], 0 offen offset:8
	buffer_load_dword v30, v131, s[0:3], 0 offen offset:12
	buffer_load_dword v103, v132, s[0:3], 0 offen
	buffer_load_dword v104, v132, s[0:3], 0 offen offset:4
	buffer_load_dword v105, v132, s[0:3], 0 offen offset:8
	buffer_load_dword v106, v132, s[0:3], 0 offen offset:12
	;; [unrolled: 11-line block ×5, first 2 shown]
	global_store_dwordx4 v[31:32], v[119:122], off
	s_clause 0x7
	buffer_load_dword v119, v35, s[0:3], 0 offen
	buffer_load_dword v120, v35, s[0:3], 0 offen offset:4
	buffer_load_dword v121, v35, s[0:3], 0 offen offset:8
	;; [unrolled: 1-line block ×3, first 2 shown]
	buffer_load_dword v127, v36, s[0:3], 0 offen
	buffer_load_dword v128, v36, s[0:3], 0 offen offset:4
	buffer_load_dword v129, v36, s[0:3], 0 offen offset:8
	;; [unrolled: 1-line block ×3, first 2 shown]
	s_waitcnt vmcnt(62)
	global_store_dwordx4 v[25:26], v[0:3], off
	global_store_dwordx4 v[33:34], v[75:78], off
	;; [unrolled: 1-line block ×4, first 2 shown]
	s_waitcnt vmcnt(60)
	global_store_dwordx4 v[41:42], v[91:94], off
	s_waitcnt vmcnt(56)
	global_store_dwordx4 v[43:44], v[95:98], off
	;; [unrolled: 2-line block ×16, first 2 shown]
.LBB49_787:
	s_endpgm
	.section	.rodata,"a",@progbits
	.p2align	6, 0x0
	.amdhsa_kernel _ZN9rocsolver6v33100L18trti2_kernel_smallILi50E19rocblas_complex_numIdEPS3_EEv13rocblas_fill_17rocblas_diagonal_T1_iil
		.amdhsa_group_segment_fixed_size 1600
		.amdhsa_private_segment_fixed_size 816
		.amdhsa_kernarg_size 32
		.amdhsa_user_sgpr_count 6
		.amdhsa_user_sgpr_private_segment_buffer 1
		.amdhsa_user_sgpr_dispatch_ptr 0
		.amdhsa_user_sgpr_queue_ptr 0
		.amdhsa_user_sgpr_kernarg_segment_ptr 1
		.amdhsa_user_sgpr_dispatch_id 0
		.amdhsa_user_sgpr_flat_scratch_init 0
		.amdhsa_user_sgpr_private_segment_size 0
		.amdhsa_wavefront_size32 1
		.amdhsa_uses_dynamic_stack 0
		.amdhsa_system_sgpr_private_segment_wavefront_offset 1
		.amdhsa_system_sgpr_workgroup_id_x 1
		.amdhsa_system_sgpr_workgroup_id_y 0
		.amdhsa_system_sgpr_workgroup_id_z 0
		.amdhsa_system_sgpr_workgroup_info 0
		.amdhsa_system_vgpr_workitem_id 0
		.amdhsa_next_free_vgpr 138
		.amdhsa_next_free_sgpr 80
		.amdhsa_reserve_vcc 1
		.amdhsa_reserve_flat_scratch 0
		.amdhsa_float_round_mode_32 0
		.amdhsa_float_round_mode_16_64 0
		.amdhsa_float_denorm_mode_32 3
		.amdhsa_float_denorm_mode_16_64 3
		.amdhsa_dx10_clamp 1
		.amdhsa_ieee_mode 1
		.amdhsa_fp16_overflow 0
		.amdhsa_workgroup_processor_mode 1
		.amdhsa_memory_ordered 1
		.amdhsa_forward_progress 1
		.amdhsa_shared_vgpr_count 0
		.amdhsa_exception_fp_ieee_invalid_op 0
		.amdhsa_exception_fp_denorm_src 0
		.amdhsa_exception_fp_ieee_div_zero 0
		.amdhsa_exception_fp_ieee_overflow 0
		.amdhsa_exception_fp_ieee_underflow 0
		.amdhsa_exception_fp_ieee_inexact 0
		.amdhsa_exception_int_div_zero 0
	.end_amdhsa_kernel
	.section	.text._ZN9rocsolver6v33100L18trti2_kernel_smallILi50E19rocblas_complex_numIdEPS3_EEv13rocblas_fill_17rocblas_diagonal_T1_iil,"axG",@progbits,_ZN9rocsolver6v33100L18trti2_kernel_smallILi50E19rocblas_complex_numIdEPS3_EEv13rocblas_fill_17rocblas_diagonal_T1_iil,comdat
.Lfunc_end49:
	.size	_ZN9rocsolver6v33100L18trti2_kernel_smallILi50E19rocblas_complex_numIdEPS3_EEv13rocblas_fill_17rocblas_diagonal_T1_iil, .Lfunc_end49-_ZN9rocsolver6v33100L18trti2_kernel_smallILi50E19rocblas_complex_numIdEPS3_EEv13rocblas_fill_17rocblas_diagonal_T1_iil
                                        ; -- End function
	.set _ZN9rocsolver6v33100L18trti2_kernel_smallILi50E19rocblas_complex_numIdEPS3_EEv13rocblas_fill_17rocblas_diagonal_T1_iil.num_vgpr, 138
	.set _ZN9rocsolver6v33100L18trti2_kernel_smallILi50E19rocblas_complex_numIdEPS3_EEv13rocblas_fill_17rocblas_diagonal_T1_iil.num_agpr, 0
	.set _ZN9rocsolver6v33100L18trti2_kernel_smallILi50E19rocblas_complex_numIdEPS3_EEv13rocblas_fill_17rocblas_diagonal_T1_iil.numbered_sgpr, 80
	.set _ZN9rocsolver6v33100L18trti2_kernel_smallILi50E19rocblas_complex_numIdEPS3_EEv13rocblas_fill_17rocblas_diagonal_T1_iil.num_named_barrier, 0
	.set _ZN9rocsolver6v33100L18trti2_kernel_smallILi50E19rocblas_complex_numIdEPS3_EEv13rocblas_fill_17rocblas_diagonal_T1_iil.private_seg_size, 816
	.set _ZN9rocsolver6v33100L18trti2_kernel_smallILi50E19rocblas_complex_numIdEPS3_EEv13rocblas_fill_17rocblas_diagonal_T1_iil.uses_vcc, 1
	.set _ZN9rocsolver6v33100L18trti2_kernel_smallILi50E19rocblas_complex_numIdEPS3_EEv13rocblas_fill_17rocblas_diagonal_T1_iil.uses_flat_scratch, 0
	.set _ZN9rocsolver6v33100L18trti2_kernel_smallILi50E19rocblas_complex_numIdEPS3_EEv13rocblas_fill_17rocblas_diagonal_T1_iil.has_dyn_sized_stack, 0
	.set _ZN9rocsolver6v33100L18trti2_kernel_smallILi50E19rocblas_complex_numIdEPS3_EEv13rocblas_fill_17rocblas_diagonal_T1_iil.has_recursion, 0
	.set _ZN9rocsolver6v33100L18trti2_kernel_smallILi50E19rocblas_complex_numIdEPS3_EEv13rocblas_fill_17rocblas_diagonal_T1_iil.has_indirect_call, 0
	.section	.AMDGPU.csdata,"",@progbits
; Kernel info:
; codeLenInByte = 50792
; TotalNumSgprs: 82
; NumVgprs: 138
; ScratchSize: 816
; MemoryBound: 0
; FloatMode: 240
; IeeeMode: 1
; LDSByteSize: 1600 bytes/workgroup (compile time only)
; SGPRBlocks: 0
; VGPRBlocks: 17
; NumSGPRsForWavesPerEU: 82
; NumVGPRsForWavesPerEU: 138
; Occupancy: 7
; WaveLimiterHint : 0
; COMPUTE_PGM_RSRC2:SCRATCH_EN: 1
; COMPUTE_PGM_RSRC2:USER_SGPR: 6
; COMPUTE_PGM_RSRC2:TRAP_HANDLER: 0
; COMPUTE_PGM_RSRC2:TGID_X_EN: 1
; COMPUTE_PGM_RSRC2:TGID_Y_EN: 0
; COMPUTE_PGM_RSRC2:TGID_Z_EN: 0
; COMPUTE_PGM_RSRC2:TIDIG_COMP_CNT: 0
	.section	.text._ZN9rocsolver6v33100L18trti2_kernel_smallILi51E19rocblas_complex_numIdEPS3_EEv13rocblas_fill_17rocblas_diagonal_T1_iil,"axG",@progbits,_ZN9rocsolver6v33100L18trti2_kernel_smallILi51E19rocblas_complex_numIdEPS3_EEv13rocblas_fill_17rocblas_diagonal_T1_iil,comdat
	.globl	_ZN9rocsolver6v33100L18trti2_kernel_smallILi51E19rocblas_complex_numIdEPS3_EEv13rocblas_fill_17rocblas_diagonal_T1_iil ; -- Begin function _ZN9rocsolver6v33100L18trti2_kernel_smallILi51E19rocblas_complex_numIdEPS3_EEv13rocblas_fill_17rocblas_diagonal_T1_iil
	.p2align	8
	.type	_ZN9rocsolver6v33100L18trti2_kernel_smallILi51E19rocblas_complex_numIdEPS3_EEv13rocblas_fill_17rocblas_diagonal_T1_iil,@function
_ZN9rocsolver6v33100L18trti2_kernel_smallILi51E19rocblas_complex_numIdEPS3_EEv13rocblas_fill_17rocblas_diagonal_T1_iil: ; @_ZN9rocsolver6v33100L18trti2_kernel_smallILi51E19rocblas_complex_numIdEPS3_EEv13rocblas_fill_17rocblas_diagonal_T1_iil
; %bb.0:
	s_add_u32 s0, s0, s7
	s_addc_u32 s1, s1, 0
	s_mov_b32 s7, exec_lo
	v_cmpx_gt_u32_e32 51, v0
	s_cbranch_execz .LBB50_803
; %bb.1:
	s_load_dwordx8 s[8:15], s[4:5], 0x0
	s_ashr_i32 s4, s6, 31
	v_lshlrev_b32_e32 v117, 4, v0
	s_movk_i32 s17, 0x100
	s_movk_i32 s18, 0x110
	;; [unrolled: 1-line block ×17, first 2 shown]
	s_waitcnt lgkmcnt(0)
	s_mul_hi_u32 s5, s14, s6
	s_mul_i32 s16, s14, s4
	s_mul_i32 s15, s15, s6
	s_add_i32 s5, s5, s16
	s_mul_i32 s4, s14, s6
	v_add3_u32 v1, s13, s13, v0
	s_add_i32 s5, s5, s15
	s_ashr_i32 s7, s12, 31
	s_lshl_b64 s[4:5], s[4:5], 4
	s_mov_b32 s6, s12
	s_add_u32 s10, s10, s4
	v_ashrrev_i32_e32 v2, 31, v1
	s_addc_u32 s11, s11, s5
	s_lshl_b64 s[4:5], s[6:7], 4
	s_mov_b32 s14, s13
	s_add_u32 s4, s10, s4
	s_addc_u32 s5, s11, s5
	v_add_co_u32 v29, s6, s4, v117
	v_lshlrev_b64 v[5:6], 4, v[1:2]
	s_ashr_i32 s15, s13, 31
	v_add_co_ci_u32_e64 v30, null, s5, 0, s6
	s_lshl_b64 s[6:7], s[14:15], 4
	v_add_nc_u32_e32 v13, s13, v1
	v_add_co_u32 v31, vcc_lo, v29, s6
	v_add_co_ci_u32_e64 v32, null, s7, v30, vcc_lo
	v_add_co_u32 v25, vcc_lo, s4, v5
	v_add_co_ci_u32_e64 v26, null, s5, v6, vcc_lo
	s_clause 0x1
	global_load_dwordx4 v[1:4], v117, s[4:5]
	global_load_dwordx4 v[5:8], v[31:32], off
	v_ashrrev_i32_e32 v14, 31, v13
	global_load_dwordx4 v[9:12], v[25:26], off
	v_add_nc_u32_e32 v15, s13, v13
	s_cmpk_lg_i32 s9, 0x84
	s_movk_i32 s6, 0x70
	v_lshlrev_b64 v[13:14], 4, v[13:14]
	s_movk_i32 s7, 0x80
	v_ashrrev_i32_e32 v16, 31, v15
	v_add_nc_u32_e32 v17, s13, v15
	s_movk_i32 s10, 0x90
	s_movk_i32 s11, 0xa0
	v_add_co_u32 v99, vcc_lo, s4, v13
	v_add_co_ci_u32_e64 v100, null, s5, v14, vcc_lo
	v_lshlrev_b64 v[21:22], 4, v[15:16]
	v_add_nc_u32_e32 v19, s13, v17
	v_ashrrev_i32_e32 v18, 31, v17
	global_load_dwordx4 v[13:16], v[99:100], off
	s_movk_i32 s12, 0xb0
	s_movk_i32 s14, 0xd0
	v_add_nc_u32_e32 v23, s13, v19
	v_ashrrev_i32_e32 v20, 31, v19
	v_lshlrev_b64 v[17:18], 4, v[17:18]
	v_add_co_u32 v95, vcc_lo, s4, v21
	v_add_nc_u32_e32 v27, s13, v23
	v_ashrrev_i32_e32 v24, 31, v23
	v_add_co_ci_u32_e64 v96, null, s5, v22, vcc_lo
	v_lshlrev_b64 v[21:22], 4, v[19:20]
	v_add_nc_u32_e32 v35, s13, v27
	v_lshlrev_b64 v[33:34], 4, v[23:24]
	v_ashrrev_i32_e32 v28, 31, v27
	v_add_co_u32 v93, vcc_lo, s4, v17
	v_ashrrev_i32_e32 v36, 31, v35
	v_add_co_ci_u32_e64 v94, null, s5, v18, vcc_lo
	v_add_co_u32 v89, vcc_lo, s4, v21
	v_add_co_ci_u32_e64 v90, null, s5, v22, vcc_lo
	v_lshlrev_b64 v[27:28], 4, v[27:28]
	v_add_co_u32 v87, vcc_lo, s4, v33
	v_add_co_ci_u32_e64 v88, null, s5, v34, vcc_lo
	v_lshlrev_b64 v[33:34], 4, v[35:36]
	s_clause 0x1
	global_load_dwordx4 v[17:20], v[95:96], off
	global_load_dwordx4 v[21:24], v[93:94], off
	v_add_co_u32 v83, vcc_lo, s4, v27
	v_add_co_ci_u32_e64 v84, null, s5, v28, vcc_lo
	v_add_co_u32 v79, vcc_lo, s4, v33
	v_add_nc_u32_e32 v37, s13, v35
	v_add_co_ci_u32_e64 v80, null, s5, v34, vcc_lo
	global_load_dwordx4 v[118:121], v[89:90], off
	s_movk_i32 s15, 0xe0
	v_ashrrev_i32_e32 v38, 31, v37
	v_add_nc_u32_e32 v35, s13, v37
	s_movk_i32 s16, 0xf0
	s_movk_i32 s63, 0x210
	;; [unrolled: 1-line block ×3, first 2 shown]
	v_lshlrev_b64 v[27:28], 4, v[37:38]
	v_ashrrev_i32_e32 v36, 31, v35
	v_add_nc_u32_e32 v37, s13, v35
	s_movk_i32 s65, 0x230
	s_movk_i32 s66, 0x240
	;; [unrolled: 1-line block ×3, first 2 shown]
	v_add_co_u32 v75, vcc_lo, s4, v27
	v_add_co_ci_u32_e64 v76, null, s5, v28, vcc_lo
	v_lshlrev_b64 v[33:34], 4, v[35:36]
	v_ashrrev_i32_e32 v38, 31, v37
	v_add_nc_u32_e32 v35, s13, v37
	s_movk_i32 s68, 0x260
	s_movk_i32 s69, 0x270
	;; [unrolled: 1-line block ×3, first 2 shown]
	v_lshlrev_b64 v[27:28], 4, v[37:38]
	v_ashrrev_i32_e32 v36, 31, v35
	v_add_nc_u32_e32 v37, s13, v35
	v_add_co_u32 v73, vcc_lo, s4, v33
	v_add_co_ci_u32_e64 v74, null, s5, v34, vcc_lo
	v_lshlrev_b64 v[33:34], 4, v[35:36]
	v_ashrrev_i32_e32 v38, 31, v37
	v_add_nc_u32_e32 v35, s13, v37
	v_add_co_u32 v69, vcc_lo, s4, v27
	v_add_co_ci_u32_e64 v70, null, s5, v28, vcc_lo
	v_lshlrev_b64 v[27:28], 4, v[37:38]
	v_add_nc_u32_e32 v37, s13, v35
	v_ashrrev_i32_e32 v36, 31, v35
	v_add_co_u32 v67, vcc_lo, s4, v33
	v_add_co_ci_u32_e64 v68, null, s5, v34, vcc_lo
	v_ashrrev_i32_e32 v38, 31, v37
	v_lshlrev_b64 v[33:34], 4, v[35:36]
	v_add_co_u32 v61, vcc_lo, s4, v27
	v_add_co_ci_u32_e64 v62, null, s5, v28, vcc_lo
	v_lshlrev_b64 v[27:28], 4, v[37:38]
	v_add_co_u32 v59, vcc_lo, s4, v33
	v_add_co_ci_u32_e64 v60, null, s5, v34, vcc_lo
	v_add_nc_u32_e32 v35, s13, v37
	v_add_co_u32 v55, vcc_lo, s4, v27
	v_add_co_ci_u32_e64 v56, null, s5, v28, vcc_lo
	v_ashrrev_i32_e32 v36, 31, v35
	v_add_nc_u32_e32 v37, s13, v35
	s_movk_i32 s71, 0x290
	s_movk_i32 s72, 0x2a0
	;; [unrolled: 1-line block ×3, first 2 shown]
	v_lshlrev_b64 v[33:34], 4, v[35:36]
	v_ashrrev_i32_e32 v38, 31, v37
	v_add_nc_u32_e32 v35, s13, v37
	s_movk_i32 s74, 0x2c0
	s_movk_i32 s75, 0x2d0
	;; [unrolled: 1-line block ×3, first 2 shown]
	v_add_co_u32 v51, vcc_lo, s4, v33
	v_add_co_ci_u32_e64 v52, null, s5, v34, vcc_lo
	v_lshlrev_b64 v[27:28], 4, v[37:38]
	v_ashrrev_i32_e32 v36, 31, v35
	v_add_nc_u32_e32 v37, s13, v35
	s_movk_i32 s77, 0x2f0
	s_movk_i32 s78, 0x300
	;; [unrolled: 1-line block ×3, first 2 shown]
	v_lshlrev_b64 v[33:34], 4, v[35:36]
	v_ashrrev_i32_e32 v38, 31, v37
	v_add_nc_u32_e32 v35, s13, v37
	v_add_co_u32 v41, vcc_lo, s4, v27
	v_add_co_ci_u32_e64 v42, null, s5, v28, vcc_lo
	v_lshlrev_b64 v[27:28], 4, v[37:38]
	v_add_nc_u32_e32 v37, s13, v35
	v_ashrrev_i32_e32 v36, 31, v35
	v_add_co_u32 v33, vcc_lo, s4, v33
	v_add_co_ci_u32_e64 v34, null, s5, v34, vcc_lo
	v_add_nc_u32_e32 v39, s13, v37
	v_ashrrev_i32_e32 v38, 31, v37
	v_lshlrev_b64 v[35:36], 4, v[35:36]
	v_add_co_u32 v27, vcc_lo, s4, v27
	v_ashrrev_i32_e32 v40, 31, v39
	v_lshlrev_b64 v[37:38], 4, v[37:38]
	v_add_nc_u32_e32 v43, s13, v39
	v_add_co_ci_u32_e64 v28, null, s5, v28, vcc_lo
	v_lshlrev_b64 v[39:40], 4, v[39:40]
	v_add_co_u32 v35, vcc_lo, s4, v35
	v_add_co_ci_u32_e64 v36, null, s5, v36, vcc_lo
	v_add_co_u32 v37, vcc_lo, s4, v37
	v_add_co_ci_u32_e64 v38, null, s5, v38, vcc_lo
	;; [unrolled: 2-line block ×3, first 2 shown]
	v_ashrrev_i32_e32 v44, 31, v43
	v_add_nc_u32_e32 v45, s13, v43
	s_cselect_b32 s58, -1, 0
	s_cmpk_eq_i32 s9, 0x84
	s_movk_i32 s80, 0x320
	v_lshlrev_b64 v[43:44], 4, v[43:44]
	v_add_nc_u32_e32 v47, s13, v45
	v_ashrrev_i32_e32 v46, 31, v45
	s_waitcnt vmcnt(6)
	buffer_store_dword v4, off, s[0:3], 0 offset:12
	buffer_store_dword v3, off, s[0:3], 0 offset:8
	buffer_store_dword v2, off, s[0:3], 0 offset:4
	buffer_store_dword v1, off, s[0:3], 0
	global_load_dwordx4 v[1:4], v[87:88], off
	s_waitcnt vmcnt(6)
	buffer_store_dword v8, off, s[0:3], 0 offset:28
	buffer_store_dword v7, off, s[0:3], 0 offset:24
	buffer_store_dword v6, off, s[0:3], 0 offset:20
	buffer_store_dword v5, off, s[0:3], 0 offset:16
	global_load_dwordx4 v[5:8], v[83:84], off
	s_waitcnt vmcnt(6)
	buffer_store_dword v12, off, s[0:3], 0 offset:44
	buffer_store_dword v11, off, s[0:3], 0 offset:40
	buffer_store_dword v10, off, s[0:3], 0 offset:36
	buffer_store_dword v9, off, s[0:3], 0 offset:32
	;; [unrolled: 6-line block ×6, first 2 shown]
	global_load_dwordx4 v[118:121], v[67:68], off
	v_add_co_u32 v43, vcc_lo, s4, v43
	v_add_co_ci_u32_e64 v44, null, s5, v44, vcc_lo
	v_add_nc_u32_e32 v49, s13, v47
	v_ashrrev_i32_e32 v48, 31, v47
	v_lshlrev_b64 v[45:46], 4, v[45:46]
	s_waitcnt vmcnt(6)
	buffer_store_dword v4, off, s[0:3], 0 offset:124
	buffer_store_dword v3, off, s[0:3], 0 offset:120
	buffer_store_dword v2, off, s[0:3], 0 offset:116
	buffer_store_dword v1, off, s[0:3], 0 offset:112
	global_load_dwordx4 v[1:4], v[61:62], off
	s_waitcnt vmcnt(6)
	buffer_store_dword v8, off, s[0:3], 0 offset:140
	buffer_store_dword v7, off, s[0:3], 0 offset:136
	buffer_store_dword v6, off, s[0:3], 0 offset:132
	buffer_store_dword v5, off, s[0:3], 0 offset:128
	global_load_dwordx4 v[5:8], v[59:60], off
	;; [unrolled: 6-line block ×7, first 2 shown]
	v_add_nc_u32_e32 v53, s13, v49
	v_ashrrev_i32_e32 v50, 31, v49
	v_lshlrev_b64 v[47:48], 4, v[47:48]
	v_add_co_u32 v45, vcc_lo, s4, v45
	v_add_nc_u32_e32 v57, s13, v53
	v_ashrrev_i32_e32 v54, 31, v53
	v_lshlrev_b64 v[49:50], 4, v[49:50]
	v_add_co_ci_u32_e64 v46, null, s5, v46, vcc_lo
	v_add_nc_u32_e32 v63, s13, v57
	v_ashrrev_i32_e32 v58, 31, v57
	v_lshlrev_b64 v[53:54], 4, v[53:54]
	v_add_co_u32 v47, vcc_lo, s4, v47
	v_ashrrev_i32_e32 v64, 31, v63
	v_lshlrev_b64 v[57:58], 4, v[57:58]
	v_add_co_ci_u32_e64 v48, null, s5, v48, vcc_lo
	v_add_co_u32 v49, vcc_lo, s4, v49
	v_add_nc_u32_e32 v65, s13, v63
	v_lshlrev_b64 v[63:64], 4, v[63:64]
	v_add_co_ci_u32_e64 v50, null, s5, v50, vcc_lo
	v_add_co_u32 v53, vcc_lo, s4, v53
	v_add_co_ci_u32_e64 v54, null, s5, v54, vcc_lo
	v_add_co_u32 v57, vcc_lo, s4, v57
	;; [unrolled: 2-line block ×3, first 2 shown]
	v_add_co_ci_u32_e64 v64, null, s5, v64, vcc_lo
	v_ashrrev_i32_e32 v66, 31, v65
	v_add_nc_u32_e32 v71, s13, v65
	s_waitcnt vmcnt(6)
	buffer_store_dword v4, off, s[0:3], 0 offset:236
	buffer_store_dword v3, off, s[0:3], 0 offset:232
	buffer_store_dword v2, off, s[0:3], 0 offset:228
	buffer_store_dword v1, off, s[0:3], 0 offset:224
	global_load_dwordx4 v[1:4], v[35:36], off
	s_waitcnt vmcnt(6)
	buffer_store_dword v8, off, s[0:3], 0 offset:252
	buffer_store_dword v7, off, s[0:3], 0 offset:248
	buffer_store_dword v6, off, s[0:3], 0 offset:244
	buffer_store_dword v5, off, s[0:3], 0 offset:240
	global_load_dwordx4 v[5:8], v[37:38], off
	;; [unrolled: 6-line block ×7, first 2 shown]
	v_lshlrev_b64 v[65:66], 4, v[65:66]
	v_add_nc_u32_e32 v77, s13, v71
	v_ashrrev_i32_e32 v72, 31, v71
	s_waitcnt vmcnt(6)
	buffer_store_dword v4, off, s[0:3], 0 offset:348
	buffer_store_dword v3, off, s[0:3], 0 offset:344
	buffer_store_dword v2, off, s[0:3], 0 offset:340
	buffer_store_dword v1, off, s[0:3], 0 offset:336
	global_load_dwordx4 v[1:4], v[53:54], off
	s_waitcnt vmcnt(6)
	buffer_store_dword v8, off, s[0:3], 0 offset:364
	buffer_store_dword v7, off, s[0:3], 0 offset:360
	buffer_store_dword v6, off, s[0:3], 0 offset:356
	buffer_store_dword v5, off, s[0:3], 0 offset:352
	global_load_dwordx4 v[5:8], v[57:58], off
	s_waitcnt vmcnt(6)
	buffer_store_dword v12, off, s[0:3], 0 offset:380
	buffer_store_dword v11, off, s[0:3], 0 offset:376
	buffer_store_dword v10, off, s[0:3], 0 offset:372
	buffer_store_dword v9, off, s[0:3], 0 offset:368
	global_load_dwordx4 v[9:12], v[63:64], off
	v_add_co_u32 v65, vcc_lo, s4, v65
	v_add_co_ci_u32_e64 v66, null, s5, v66, vcc_lo
	s_waitcnt vmcnt(6)
	buffer_store_dword v16, off, s[0:3], 0 offset:396
	buffer_store_dword v15, off, s[0:3], 0 offset:392
	;; [unrolled: 1-line block ×4, first 2 shown]
	global_load_dwordx4 v[13:16], v[65:66], off
	v_add_nc_u32_e32 v81, s13, v77
	v_ashrrev_i32_e32 v78, 31, v77
	v_lshlrev_b64 v[71:72], 4, v[71:72]
	s_waitcnt vmcnt(6)
	buffer_store_dword v20, off, s[0:3], 0 offset:412
	buffer_store_dword v19, off, s[0:3], 0 offset:408
	;; [unrolled: 1-line block ×4, first 2 shown]
	v_add_nc_u32_e32 v85, s13, v81
	v_ashrrev_i32_e32 v82, 31, v81
	v_lshlrev_b64 v[77:78], 4, v[77:78]
	v_add_co_u32 v71, vcc_lo, s4, v71
	v_add_nc_u32_e32 v91, s13, v85
	v_ashrrev_i32_e32 v86, 31, v85
	v_lshlrev_b64 v[81:82], 4, v[81:82]
	v_add_co_ci_u32_e64 v72, null, s5, v72, vcc_lo
	v_add_nc_u32_e32 v97, s13, v91
	v_ashrrev_i32_e32 v92, 31, v91
	v_lshlrev_b64 v[85:86], 4, v[85:86]
	v_add_co_u32 v77, vcc_lo, s4, v77
	v_ashrrev_i32_e32 v98, 31, v97
	v_lshlrev_b64 v[91:92], 4, v[91:92]
	v_add_co_ci_u32_e64 v78, null, s5, v78, vcc_lo
	v_add_co_u32 v81, vcc_lo, s4, v81
	v_add_nc_u32_e32 v101, s13, v97
	v_lshlrev_b64 v[97:98], 4, v[97:98]
	v_add_co_ci_u32_e64 v82, null, s5, v82, vcc_lo
	v_add_co_u32 v85, vcc_lo, s4, v85
	v_add_co_ci_u32_e64 v86, null, s5, v86, vcc_lo
	v_add_co_u32 v91, vcc_lo, s4, v91
	global_load_dwordx4 v[17:20], v[71:72], off
	s_waitcnt vmcnt(6)
	buffer_store_dword v24, off, s[0:3], 0 offset:428
	buffer_store_dword v23, off, s[0:3], 0 offset:424
	;; [unrolled: 1-line block ×4, first 2 shown]
	global_load_dwordx4 v[21:24], v[77:78], off
	v_add_co_ci_u32_e64 v92, null, s5, v92, vcc_lo
	v_add_co_u32 v97, vcc_lo, s4, v97
	v_add_co_ci_u32_e64 v98, null, s5, v98, vcc_lo
	s_waitcnt vmcnt(6)
	buffer_store_dword v121, off, s[0:3], 0 offset:444
	buffer_store_dword v120, off, s[0:3], 0 offset:440
	;; [unrolled: 1-line block ×4, first 2 shown]
	global_load_dwordx4 v[118:121], v[81:82], off
	v_ashrrev_i32_e32 v102, 31, v101
	v_add_nc_u32_e32 v103, s13, v101
	s_waitcnt vmcnt(6)
	buffer_store_dword v4, off, s[0:3], 0 offset:460
	buffer_store_dword v3, off, s[0:3], 0 offset:456
	buffer_store_dword v2, off, s[0:3], 0 offset:452
	buffer_store_dword v1, off, s[0:3], 0 offset:448
	global_load_dwordx4 v[1:4], v[85:86], off
	s_waitcnt vmcnt(6)
	buffer_store_dword v8, off, s[0:3], 0 offset:476
	buffer_store_dword v7, off, s[0:3], 0 offset:472
	buffer_store_dword v6, off, s[0:3], 0 offset:468
	buffer_store_dword v5, off, s[0:3], 0 offset:464
	global_load_dwordx4 v[5:8], v[91:92], off
	s_waitcnt vmcnt(6)
	buffer_store_dword v12, off, s[0:3], 0 offset:492
	buffer_store_dword v11, off, s[0:3], 0 offset:488
	buffer_store_dword v10, off, s[0:3], 0 offset:484
	buffer_store_dword v9, off, s[0:3], 0 offset:480
	global_load_dwordx4 v[9:12], v[97:98], off
	v_lshlrev_b64 v[101:102], 4, v[101:102]
	s_waitcnt vmcnt(6)
	buffer_store_dword v16, off, s[0:3], 0 offset:508
	buffer_store_dword v15, off, s[0:3], 0 offset:504
	;; [unrolled: 1-line block ×4, first 2 shown]
	v_add_co_u32 v101, vcc_lo, s4, v101
	v_add_co_ci_u32_e64 v102, null, s5, v102, vcc_lo
	v_add_nc_u32_e32 v105, s13, v103
	v_ashrrev_i32_e32 v104, 31, v103
	global_load_dwordx4 v[13:16], v[101:102], off
	s_waitcnt vmcnt(6)
	buffer_store_dword v20, off, s[0:3], 0 offset:524
	buffer_store_dword v19, off, s[0:3], 0 offset:520
	;; [unrolled: 1-line block ×4, first 2 shown]
	v_add_nc_u32_e32 v107, s13, v105
	v_ashrrev_i32_e32 v106, 31, v105
	v_lshlrev_b64 v[103:104], 4, v[103:104]
	v_add_nc_u32_e32 v109, s13, v107
	v_ashrrev_i32_e32 v108, 31, v107
	v_lshlrev_b64 v[105:106], 4, v[105:106]
	v_add_co_u32 v103, vcc_lo, s4, v103
	v_add_nc_u32_e32 v111, s13, v109
	v_ashrrev_i32_e32 v110, 31, v109
	v_lshlrev_b64 v[107:108], 4, v[107:108]
	v_add_co_ci_u32_e64 v104, null, s5, v104, vcc_lo
	v_add_nc_u32_e32 v113, s13, v111
	v_ashrrev_i32_e32 v112, 31, v111
	v_lshlrev_b64 v[109:110], 4, v[109:110]
	v_add_co_u32 v105, vcc_lo, s4, v105
	v_ashrrev_i32_e32 v114, 31, v113
	v_lshlrev_b64 v[111:112], 4, v[111:112]
	v_add_co_ci_u32_e64 v106, null, s5, v106, vcc_lo
	v_add_co_u32 v107, vcc_lo, s4, v107
	v_add_nc_u32_e32 v130, s13, v113
	v_lshlrev_b64 v[113:114], 4, v[113:114]
	v_add_co_ci_u32_e64 v108, null, s5, v108, vcc_lo
	v_add_co_u32 v109, vcc_lo, s4, v109
	v_add_co_ci_u32_e64 v110, null, s5, v110, vcc_lo
	v_add_co_u32 v111, vcc_lo, s4, v111
	global_load_dwordx4 v[17:20], v[103:104], off
	s_waitcnt vmcnt(6)
	buffer_store_dword v24, off, s[0:3], 0 offset:540
	buffer_store_dword v23, off, s[0:3], 0 offset:536
	;; [unrolled: 1-line block ×4, first 2 shown]
	global_load_dwordx4 v[21:24], v[105:106], off
	v_add_co_ci_u32_e64 v112, null, s5, v112, vcc_lo
	v_add_co_u32 v113, vcc_lo, s4, v113
	v_add_co_ci_u32_e64 v114, null, s5, v114, vcc_lo
	s_waitcnt vmcnt(6)
	buffer_store_dword v121, off, s[0:3], 0 offset:556
	buffer_store_dword v120, off, s[0:3], 0 offset:552
	;; [unrolled: 1-line block ×4, first 2 shown]
	global_load_dwordx4 v[118:121], v[107:108], off
	v_ashrrev_i32_e32 v131, 31, v130
	s_waitcnt vmcnt(6)
	buffer_store_dword v4, off, s[0:3], 0 offset:572
	buffer_store_dword v3, off, s[0:3], 0 offset:568
	buffer_store_dword v2, off, s[0:3], 0 offset:564
	buffer_store_dword v1, off, s[0:3], 0 offset:560
	global_load_dwordx4 v[1:4], v[109:110], off
	s_waitcnt vmcnt(6)
	buffer_store_dword v8, off, s[0:3], 0 offset:588
	buffer_store_dword v7, off, s[0:3], 0 offset:584
	buffer_store_dword v6, off, s[0:3], 0 offset:580
	buffer_store_dword v5, off, s[0:3], 0 offset:576
	global_load_dwordx4 v[122:125], v[111:112], off
	;; [unrolled: 6-line block ×3, first 2 shown]
	v_lshlrev_b64 v[115:116], 4, v[130:131]
	s_waitcnt vmcnt(6)
	buffer_store_dword v16, off, s[0:3], 0 offset:620
	buffer_store_dword v15, off, s[0:3], 0 offset:616
	;; [unrolled: 1-line block ×4, first 2 shown]
	v_add_co_u32 v115, vcc_lo, s4, v115
	v_add_co_ci_u32_e64 v116, null, s5, v116, vcc_lo
	v_add_nc_u32_e32 v5, s13, v130
	global_load_dwordx4 v[126:129], v[115:116], off
	s_waitcnt vmcnt(6)
	buffer_store_dword v20, off, s[0:3], 0 offset:636
	buffer_store_dword v19, off, s[0:3], 0 offset:632
	;; [unrolled: 1-line block ×4, first 2 shown]
	v_ashrrev_i32_e32 v6, 31, v5
	v_add_nc_u32_e32 v13, s13, v5
	s_waitcnt vmcnt(5)
	buffer_store_dword v24, off, s[0:3], 0 offset:652
	buffer_store_dword v23, off, s[0:3], 0 offset:648
	buffer_store_dword v22, off, s[0:3], 0 offset:644
	buffer_store_dword v21, off, s[0:3], 0 offset:640
	s_waitcnt vmcnt(4)
	buffer_store_dword v121, off, s[0:3], 0 offset:668
	buffer_store_dword v120, off, s[0:3], 0 offset:664
	buffer_store_dword v119, off, s[0:3], 0 offset:660
	buffer_store_dword v118, off, s[0:3], 0 offset:656
	;; [unrolled: 5-line block ×4, first 2 shown]
	s_waitcnt vmcnt(1)
	buffer_store_dword v10, off, s[0:3], 0 offset:716
	buffer_store_dword v9, off, s[0:3], 0 offset:712
	;; [unrolled: 1-line block ×3, first 2 shown]
	v_lshlrev_b64 v[11:12], 4, v[5:6]
	v_ashrrev_i32_e32 v14, 31, v13
	v_add_co_u32 v5, vcc_lo, s4, v11
	v_add_nc_u32_e32 v11, s13, v13
	v_add_co_ci_u32_e64 v6, null, s5, v12, vcc_lo
	v_lshlrev_b64 v[8:9], 4, v[13:14]
	buffer_store_dword v7, off, s[0:3], 0 offset:704
	v_ashrrev_i32_e32 v12, 31, v11
	v_add_nc_u32_e32 v14, s13, v11
	global_load_dwordx4 v[1:4], v[5:6], off
	v_add_co_u32 v7, vcc_lo, s4, v8
	v_lshlrev_b64 v[12:13], 4, v[11:12]
	v_add_nc_u32_e32 v11, s13, v14
	v_ashrrev_i32_e32 v15, 31, v14
	v_add_co_ci_u32_e64 v8, null, s5, v9, vcc_lo
	s_movk_i32 s13, 0xc0
	v_add_co_u32 v9, vcc_lo, s4, v12
	v_ashrrev_i32_e32 v12, 31, v11
	v_add_co_ci_u32_e64 v10, null, s5, v13, vcc_lo
	v_lshlrev_b64 v[13:14], 4, v[14:15]
	v_lshlrev_b64 v[11:12], 4, v[11:12]
	v_add_co_u32 v13, vcc_lo, s4, v13
	v_add_co_ci_u32_e64 v14, null, s5, v14, vcc_lo
	v_add_co_u32 v11, vcc_lo, s4, v11
	v_add_co_ci_u32_e64 v12, null, s5, v12, vcc_lo
	s_waitcnt vmcnt(1)
	buffer_store_dword v129, off, s[0:3], 0 offset:732
	s_clause 0x2
	global_load_dwordx4 v[15:18], v[7:8], off
	global_load_dwordx4 v[19:22], v[9:10], off
	global_load_dwordx4 v[118:121], v[13:14], off
	buffer_store_dword v128, off, s[0:3], 0 offset:728
	buffer_store_dword v127, off, s[0:3], 0 offset:724
	;; [unrolled: 1-line block ×3, first 2 shown]
	global_load_dwordx4 v[122:125], v[11:12], off
	s_movk_i32 s4, 0x50
	s_movk_i32 s5, 0x60
	s_waitcnt vmcnt(4)
	buffer_store_dword v4, off, s[0:3], 0 offset:748
	buffer_store_dword v3, off, s[0:3], 0 offset:744
	buffer_store_dword v2, off, s[0:3], 0 offset:740
	buffer_store_dword v1, off, s[0:3], 0 offset:736
	s_waitcnt vmcnt(3)
	buffer_store_dword v18, off, s[0:3], 0 offset:764
	buffer_store_dword v17, off, s[0:3], 0 offset:760
	buffer_store_dword v16, off, s[0:3], 0 offset:756
	buffer_store_dword v15, off, s[0:3], 0 offset:752
	s_waitcnt vmcnt(2)
	buffer_store_dword v22, off, s[0:3], 0 offset:780
	buffer_store_dword v21, off, s[0:3], 0 offset:776
	buffer_store_dword v20, off, s[0:3], 0 offset:772
	buffer_store_dword v19, off, s[0:3], 0 offset:768
	s_waitcnt vmcnt(1)
	buffer_store_dword v121, off, s[0:3], 0 offset:796
	buffer_store_dword v120, off, s[0:3], 0 offset:792
	buffer_store_dword v119, off, s[0:3], 0 offset:788
	buffer_store_dword v118, off, s[0:3], 0 offset:784
	s_waitcnt vmcnt(0)
	buffer_store_dword v125, off, s[0:3], 0 offset:812
	buffer_store_dword v124, off, s[0:3], 0 offset:808
	buffer_store_dword v123, off, s[0:3], 0 offset:804
	buffer_store_dword v122, off, s[0:3], 0 offset:800
	s_cbranch_scc1 .LBB50_7
; %bb.2:
	v_lshl_add_u32 v21, v0, 4, 0
                                        ; implicit-def: $vgpr17_vgpr18
                                        ; implicit-def: $vgpr3_vgpr4
	s_clause 0x3
	buffer_load_dword v15, v21, s[0:3], 0 offen
	buffer_load_dword v16, v21, s[0:3], 0 offen offset:4
	buffer_load_dword v19, v21, s[0:3], 0 offen offset:8
	;; [unrolled: 1-line block ×3, first 2 shown]
	s_waitcnt vmcnt(0)
	v_cmp_ngt_f64_e64 s9, |v[15:16]|, |v[19:20]|
	s_and_saveexec_b32 s30, s9
	s_xor_b32 s9, exec_lo, s30
	s_cbranch_execz .LBB50_4
; %bb.3:
	v_div_scale_f64 v[1:2], null, v[19:20], v[19:20], v[15:16]
	v_div_scale_f64 v[22:23], vcc_lo, v[15:16], v[19:20], v[15:16]
	v_rcp_f64_e32 v[3:4], v[1:2]
	v_fma_f64 v[17:18], -v[1:2], v[3:4], 1.0
	v_fma_f64 v[3:4], v[3:4], v[17:18], v[3:4]
	v_fma_f64 v[17:18], -v[1:2], v[3:4], 1.0
	v_fma_f64 v[3:4], v[3:4], v[17:18], v[3:4]
	v_mul_f64 v[17:18], v[22:23], v[3:4]
	v_fma_f64 v[1:2], -v[1:2], v[17:18], v[22:23]
	v_div_fmas_f64 v[1:2], v[1:2], v[3:4], v[17:18]
	v_div_fixup_f64 v[1:2], v[1:2], v[19:20], v[15:16]
	v_fma_f64 v[3:4], v[15:16], v[1:2], v[19:20]
	v_div_scale_f64 v[15:16], null, v[3:4], v[3:4], 1.0
	v_div_scale_f64 v[22:23], vcc_lo, 1.0, v[3:4], 1.0
	v_rcp_f64_e32 v[17:18], v[15:16]
	v_fma_f64 v[19:20], -v[15:16], v[17:18], 1.0
	v_fma_f64 v[17:18], v[17:18], v[19:20], v[17:18]
	v_fma_f64 v[19:20], -v[15:16], v[17:18], 1.0
	v_fma_f64 v[17:18], v[17:18], v[19:20], v[17:18]
	v_mul_f64 v[19:20], v[22:23], v[17:18]
	v_fma_f64 v[15:16], -v[15:16], v[19:20], v[22:23]
	v_div_fmas_f64 v[15:16], v[15:16], v[17:18], v[19:20]
                                        ; implicit-def: $vgpr19_vgpr20
	v_div_fixup_f64 v[3:4], v[15:16], v[3:4], 1.0
                                        ; implicit-def: $vgpr15_vgpr16
	v_mul_f64 v[17:18], v[1:2], v[3:4]
	v_xor_b32_e32 v4, 0x80000000, v4
	v_xor_b32_e32 v2, 0x80000000, v18
	v_mov_b32_e32 v1, v17
.LBB50_4:
	s_andn2_saveexec_b32 s9, s9
	s_cbranch_execz .LBB50_6
; %bb.5:
	v_div_scale_f64 v[1:2], null, v[15:16], v[15:16], v[19:20]
	v_div_scale_f64 v[22:23], vcc_lo, v[19:20], v[15:16], v[19:20]
	v_rcp_f64_e32 v[3:4], v[1:2]
	v_fma_f64 v[17:18], -v[1:2], v[3:4], 1.0
	v_fma_f64 v[3:4], v[3:4], v[17:18], v[3:4]
	v_fma_f64 v[17:18], -v[1:2], v[3:4], 1.0
	v_fma_f64 v[3:4], v[3:4], v[17:18], v[3:4]
	v_mul_f64 v[17:18], v[22:23], v[3:4]
	v_fma_f64 v[1:2], -v[1:2], v[17:18], v[22:23]
	v_div_fmas_f64 v[1:2], v[1:2], v[3:4], v[17:18]
	v_div_fixup_f64 v[1:2], v[1:2], v[15:16], v[19:20]
	v_fma_f64 v[3:4], v[19:20], v[1:2], v[15:16]
	v_div_scale_f64 v[15:16], null, v[3:4], v[3:4], 1.0
	v_rcp_f64_e32 v[17:18], v[15:16]
	v_fma_f64 v[19:20], -v[15:16], v[17:18], 1.0
	v_fma_f64 v[17:18], v[17:18], v[19:20], v[17:18]
	v_fma_f64 v[19:20], -v[15:16], v[17:18], 1.0
	v_fma_f64 v[17:18], v[17:18], v[19:20], v[17:18]
	v_div_scale_f64 v[19:20], vcc_lo, 1.0, v[3:4], 1.0
	v_mul_f64 v[22:23], v[19:20], v[17:18]
	v_fma_f64 v[15:16], -v[15:16], v[22:23], v[19:20]
	v_div_fmas_f64 v[15:16], v[15:16], v[17:18], v[22:23]
	v_div_fixup_f64 v[17:18], v[15:16], v[3:4], 1.0
	v_mul_f64 v[3:4], v[1:2], -v[17:18]
	v_xor_b32_e32 v2, 0x80000000, v18
	v_mov_b32_e32 v1, v17
.LBB50_6:
	s_or_b32 exec_lo, exec_lo, s9
	buffer_store_dword v4, v21, s[0:3], 0 offen offset:12
	v_xor_b32_e32 v4, 0x80000000, v4
	buffer_store_dword v18, v21, s[0:3], 0 offen offset:4
	buffer_store_dword v17, v21, s[0:3], 0 offen
	buffer_store_dword v3, v21, s[0:3], 0 offen offset:8
	s_branch .LBB50_8
.LBB50_7:
	v_mov_b32_e32 v1, 0
	v_mov_b32_e32 v3, 0
	;; [unrolled: 1-line block ×4, first 2 shown]
.LBB50_8:
	v_add_nc_u32_e32 v16, 0x330, v117
	v_mov_b32_e32 v15, v117
	s_mov_b32 s57, 16
	s_mov_b32 s56, 32
	s_mov_b32 s55, 48
	s_mov_b32 s54, 64
	s_mov_b32 s53, s4
	s_mov_b32 s52, s5
	s_mov_b32 s51, s6
	s_mov_b32 s50, s7
	s_mov_b32 s49, s10
	s_mov_b32 s48, s11
	s_mov_b32 s47, s12
	s_mov_b32 s46, s13
	s_mov_b32 s45, s14
	s_mov_b32 s44, s15
	s_mov_b32 s43, s16
	s_mov_b32 s42, s17
	s_mov_b32 s41, s18
	s_mov_b32 s40, s19
	s_mov_b32 s39, s20
	s_mov_b32 s38, s21
	s_mov_b32 s37, s22
	s_mov_b32 s36, s23
	s_mov_b32 s35, s24
	s_mov_b32 s34, s25
	s_mov_b32 s33, s26
	s_mov_b32 s31, s27
	s_mov_b32 s30, s28
	s_mov_b32 s28, s59
	s_mov_b32 s27, s60
	s_mov_b32 s26, s61
	s_mov_b32 s25, s62
	s_mov_b32 s24, s63
	s_mov_b32 s23, s64
	s_mov_b32 s22, s65
	s_mov_b32 s21, s66
	s_mov_b32 s20, s67
	s_mov_b32 s19, s68
	s_mov_b32 s18, s69
	s_mov_b32 s17, s70
	s_mov_b32 s16, s71
	s_mov_b32 s15, s72
	s_mov_b32 s14, s73
	s_mov_b32 s13, s74
	s_mov_b32 s12, s75
	s_mov_b32 s11, s76
	s_mov_b32 s10, s77
	s_mov_b32 s9, s78
	s_mov_b32 s7, s79
	s_mov_b32 s6, s80
	s_cmpk_eq_i32 s8, 0x79
	ds_write_b128 v117, v[1:4]
	s_cbranch_scc1 .LBB50_404
; %bb.9:
	v_mov_b32_e32 v4, s7
	v_cmp_eq_u32_e64 s4, 50, v0
	s_clause 0x3
	buffer_load_dword v1, v4, s[0:3], 0 offen
	buffer_load_dword v2, v4, s[0:3], 0 offen offset:4
	buffer_load_dword v3, v4, s[0:3], 0 offen offset:8
	;; [unrolled: 1-line block ×3, first 2 shown]
	s_waitcnt vmcnt(0)
	ds_write_b128 v16, v[1:4]
	s_waitcnt lgkmcnt(0)
	s_waitcnt_vscnt null, 0x0
	s_barrier
	buffer_gl0_inv
	s_and_saveexec_b32 s5, s4
	s_cbranch_execz .LBB50_13
; %bb.10:
	ds_read_b128 v[1:4], v16
	s_andn2_b32 vcc_lo, exec_lo, s58
	s_cbranch_vccnz .LBB50_12
; %bb.11:
	s_clause 0x3
	buffer_load_dword v17, v15, s[0:3], 0 offen offset:8
	buffer_load_dword v18, v15, s[0:3], 0 offen offset:12
	buffer_load_dword v19, v15, s[0:3], 0 offen
	buffer_load_dword v20, v15, s[0:3], 0 offen offset:4
	s_waitcnt vmcnt(2) lgkmcnt(0)
	v_mul_f64 v[21:22], v[3:4], v[17:18]
	v_mul_f64 v[17:18], v[1:2], v[17:18]
	s_waitcnt vmcnt(0)
	v_fma_f64 v[1:2], v[1:2], v[19:20], -v[21:22]
	v_fma_f64 v[3:4], v[3:4], v[19:20], v[17:18]
.LBB50_12:
	v_mov_b32_e32 v17, 0
	ds_read_b128 v[17:20], v17 offset:784
	s_waitcnt lgkmcnt(0)
	v_mul_f64 v[21:22], v[3:4], v[19:20]
	v_mul_f64 v[19:20], v[1:2], v[19:20]
	v_fma_f64 v[1:2], v[1:2], v[17:18], -v[21:22]
	v_fma_f64 v[3:4], v[3:4], v[17:18], v[19:20]
	buffer_store_dword v2, off, s[0:3], 0 offset:788
	buffer_store_dword v1, off, s[0:3], 0 offset:784
	buffer_store_dword v4, off, s[0:3], 0 offset:796
	buffer_store_dword v3, off, s[0:3], 0 offset:792
.LBB50_13:
	s_or_b32 exec_lo, exec_lo, s5
	v_mov_b32_e32 v4, s9
	v_cmp_lt_u32_e64 s5, 48, v0
	s_clause 0x3
	buffer_load_dword v1, v4, s[0:3], 0 offen
	buffer_load_dword v2, v4, s[0:3], 0 offen offset:4
	buffer_load_dword v3, v4, s[0:3], 0 offen offset:8
	;; [unrolled: 1-line block ×3, first 2 shown]
	s_waitcnt vmcnt(0)
	ds_write_b128 v16, v[1:4]
	s_waitcnt lgkmcnt(0)
	s_waitcnt_vscnt null, 0x0
	s_barrier
	buffer_gl0_inv
	s_and_saveexec_b32 s8, s5
	s_cbranch_execz .LBB50_19
; %bb.14:
	ds_read_b128 v[1:4], v16
	s_andn2_b32 vcc_lo, exec_lo, s58
	s_cbranch_vccnz .LBB50_16
; %bb.15:
	s_clause 0x3
	buffer_load_dword v17, v15, s[0:3], 0 offen offset:8
	buffer_load_dword v18, v15, s[0:3], 0 offen offset:12
	buffer_load_dword v19, v15, s[0:3], 0 offen
	buffer_load_dword v20, v15, s[0:3], 0 offen offset:4
	s_waitcnt vmcnt(2) lgkmcnt(0)
	v_mul_f64 v[21:22], v[3:4], v[17:18]
	v_mul_f64 v[17:18], v[1:2], v[17:18]
	s_waitcnt vmcnt(0)
	v_fma_f64 v[1:2], v[1:2], v[19:20], -v[21:22]
	v_fma_f64 v[3:4], v[3:4], v[19:20], v[17:18]
.LBB50_16:
	s_and_saveexec_b32 s59, s4
	s_cbranch_execz .LBB50_18
; %bb.17:
	s_clause 0x3
	buffer_load_dword v21, off, s[0:3], 0 offset:792
	buffer_load_dword v22, off, s[0:3], 0 offset:796
	buffer_load_dword v23, off, s[0:3], 0 offset:784
	buffer_load_dword v24, off, s[0:3], 0 offset:788
	v_mov_b32_e32 v17, 0
	ds_read_b128 v[17:20], v17 offset:1600
	s_waitcnt vmcnt(2) lgkmcnt(0)
	v_mul_f64 v[118:119], v[17:18], v[21:22]
	v_mul_f64 v[21:22], v[19:20], v[21:22]
	s_waitcnt vmcnt(0)
	v_fma_f64 v[19:20], v[19:20], v[23:24], v[118:119]
	v_fma_f64 v[17:18], v[17:18], v[23:24], -v[21:22]
	v_add_f64 v[3:4], v[3:4], v[19:20]
	v_add_f64 v[1:2], v[1:2], v[17:18]
.LBB50_18:
	s_or_b32 exec_lo, exec_lo, s59
	v_mov_b32_e32 v17, 0
	ds_read_b128 v[17:20], v17 offset:768
	s_waitcnt lgkmcnt(0)
	v_mul_f64 v[21:22], v[3:4], v[19:20]
	v_mul_f64 v[19:20], v[1:2], v[19:20]
	v_fma_f64 v[1:2], v[1:2], v[17:18], -v[21:22]
	v_fma_f64 v[3:4], v[3:4], v[17:18], v[19:20]
	buffer_store_dword v2, off, s[0:3], 0 offset:772
	buffer_store_dword v1, off, s[0:3], 0 offset:768
	;; [unrolled: 1-line block ×4, first 2 shown]
.LBB50_19:
	s_or_b32 exec_lo, exec_lo, s8
	v_mov_b32_e32 v4, s10
	v_cmp_lt_u32_e64 s4, 47, v0
	s_clause 0x3
	buffer_load_dword v1, v4, s[0:3], 0 offen
	buffer_load_dword v2, v4, s[0:3], 0 offen offset:4
	buffer_load_dword v3, v4, s[0:3], 0 offen offset:8
	;; [unrolled: 1-line block ×3, first 2 shown]
	s_waitcnt vmcnt(0)
	ds_write_b128 v16, v[1:4]
	s_waitcnt lgkmcnt(0)
	s_waitcnt_vscnt null, 0x0
	s_barrier
	buffer_gl0_inv
	s_and_saveexec_b32 s8, s4
	s_cbranch_execz .LBB50_27
; %bb.20:
	ds_read_b128 v[1:4], v16
	s_andn2_b32 vcc_lo, exec_lo, s58
	s_cbranch_vccnz .LBB50_22
; %bb.21:
	s_clause 0x3
	buffer_load_dword v17, v15, s[0:3], 0 offen offset:8
	buffer_load_dword v18, v15, s[0:3], 0 offen offset:12
	buffer_load_dword v19, v15, s[0:3], 0 offen
	buffer_load_dword v20, v15, s[0:3], 0 offen offset:4
	s_waitcnt vmcnt(2) lgkmcnt(0)
	v_mul_f64 v[21:22], v[3:4], v[17:18]
	v_mul_f64 v[17:18], v[1:2], v[17:18]
	s_waitcnt vmcnt(0)
	v_fma_f64 v[1:2], v[1:2], v[19:20], -v[21:22]
	v_fma_f64 v[3:4], v[3:4], v[19:20], v[17:18]
.LBB50_22:
	s_and_saveexec_b32 s59, s5
	s_cbranch_execz .LBB50_26
; %bb.23:
	v_subrev_nc_u32_e32 v17, 48, v0
	s_movk_i32 s60, 0x630
	s_mov_b32 s5, 0
	s_mov_b32 s61, s9
	.p2align	6
.LBB50_24:                              ; =>This Inner Loop Header: Depth=1
	v_mov_b32_e32 v18, s61
	v_add_nc_u32_e32 v17, -1, v17
	s_add_i32 s61, s61, 16
	s_clause 0x3
	buffer_load_dword v22, v18, s[0:3], 0 offen offset:8
	buffer_load_dword v23, v18, s[0:3], 0 offen offset:12
	buffer_load_dword v118, v18, s[0:3], 0 offen
	buffer_load_dword v119, v18, s[0:3], 0 offen offset:4
	v_mov_b32_e32 v18, s60
	v_cmp_eq_u32_e32 vcc_lo, 0, v17
	s_add_i32 s60, s60, 16
	ds_read_b128 v[18:21], v18
	s_or_b32 s5, vcc_lo, s5
	s_waitcnt vmcnt(2) lgkmcnt(0)
	v_mul_f64 v[120:121], v[20:21], v[22:23]
	v_mul_f64 v[22:23], v[18:19], v[22:23]
	s_waitcnt vmcnt(0)
	v_fma_f64 v[18:19], v[18:19], v[118:119], -v[120:121]
	v_fma_f64 v[20:21], v[20:21], v[118:119], v[22:23]
	v_add_f64 v[1:2], v[1:2], v[18:19]
	v_add_f64 v[3:4], v[3:4], v[20:21]
	s_andn2_b32 exec_lo, exec_lo, s5
	s_cbranch_execnz .LBB50_24
; %bb.25:
	s_or_b32 exec_lo, exec_lo, s5
.LBB50_26:
	s_or_b32 exec_lo, exec_lo, s59
	v_mov_b32_e32 v17, 0
	ds_read_b128 v[17:20], v17 offset:752
	s_waitcnt lgkmcnt(0)
	v_mul_f64 v[21:22], v[3:4], v[19:20]
	v_mul_f64 v[19:20], v[1:2], v[19:20]
	v_fma_f64 v[1:2], v[1:2], v[17:18], -v[21:22]
	v_fma_f64 v[3:4], v[3:4], v[17:18], v[19:20]
	buffer_store_dword v2, off, s[0:3], 0 offset:756
	buffer_store_dword v1, off, s[0:3], 0 offset:752
	;; [unrolled: 1-line block ×4, first 2 shown]
.LBB50_27:
	s_or_b32 exec_lo, exec_lo, s8
	v_mov_b32_e32 v4, s11
	v_cmp_lt_u32_e64 s5, 46, v0
	s_clause 0x3
	buffer_load_dword v1, v4, s[0:3], 0 offen
	buffer_load_dword v2, v4, s[0:3], 0 offen offset:4
	buffer_load_dword v3, v4, s[0:3], 0 offen offset:8
	;; [unrolled: 1-line block ×3, first 2 shown]
	s_waitcnt vmcnt(0)
	ds_write_b128 v16, v[1:4]
	s_waitcnt lgkmcnt(0)
	s_waitcnt_vscnt null, 0x0
	s_barrier
	buffer_gl0_inv
	s_and_saveexec_b32 s8, s5
	s_cbranch_execz .LBB50_35
; %bb.28:
	ds_read_b128 v[1:4], v16
	s_andn2_b32 vcc_lo, exec_lo, s58
	s_cbranch_vccnz .LBB50_30
; %bb.29:
	s_clause 0x3
	buffer_load_dword v17, v15, s[0:3], 0 offen offset:8
	buffer_load_dword v18, v15, s[0:3], 0 offen offset:12
	buffer_load_dword v19, v15, s[0:3], 0 offen
	buffer_load_dword v20, v15, s[0:3], 0 offen offset:4
	s_waitcnt vmcnt(2) lgkmcnt(0)
	v_mul_f64 v[21:22], v[3:4], v[17:18]
	v_mul_f64 v[17:18], v[1:2], v[17:18]
	s_waitcnt vmcnt(0)
	v_fma_f64 v[1:2], v[1:2], v[19:20], -v[21:22]
	v_fma_f64 v[3:4], v[3:4], v[19:20], v[17:18]
.LBB50_30:
	s_and_saveexec_b32 s59, s4
	s_cbranch_execz .LBB50_34
; %bb.31:
	v_subrev_nc_u32_e32 v17, 47, v0
	s_movk_i32 s60, 0x620
	s_mov_b32 s4, 0
	s_mov_b32 s61, s10
	.p2align	6
.LBB50_32:                              ; =>This Inner Loop Header: Depth=1
	v_mov_b32_e32 v18, s61
	v_add_nc_u32_e32 v17, -1, v17
	s_add_i32 s61, s61, 16
	s_clause 0x3
	buffer_load_dword v22, v18, s[0:3], 0 offen offset:8
	buffer_load_dword v23, v18, s[0:3], 0 offen offset:12
	buffer_load_dword v118, v18, s[0:3], 0 offen
	buffer_load_dword v119, v18, s[0:3], 0 offen offset:4
	v_mov_b32_e32 v18, s60
	v_cmp_eq_u32_e32 vcc_lo, 0, v17
	s_add_i32 s60, s60, 16
	ds_read_b128 v[18:21], v18
	s_or_b32 s4, vcc_lo, s4
	s_waitcnt vmcnt(2) lgkmcnt(0)
	v_mul_f64 v[120:121], v[20:21], v[22:23]
	v_mul_f64 v[22:23], v[18:19], v[22:23]
	s_waitcnt vmcnt(0)
	v_fma_f64 v[18:19], v[18:19], v[118:119], -v[120:121]
	v_fma_f64 v[20:21], v[20:21], v[118:119], v[22:23]
	v_add_f64 v[1:2], v[1:2], v[18:19]
	v_add_f64 v[3:4], v[3:4], v[20:21]
	s_andn2_b32 exec_lo, exec_lo, s4
	s_cbranch_execnz .LBB50_32
; %bb.33:
	s_or_b32 exec_lo, exec_lo, s4
.LBB50_34:
	s_or_b32 exec_lo, exec_lo, s59
	v_mov_b32_e32 v17, 0
	ds_read_b128 v[17:20], v17 offset:736
	s_waitcnt lgkmcnt(0)
	v_mul_f64 v[21:22], v[3:4], v[19:20]
	v_mul_f64 v[19:20], v[1:2], v[19:20]
	v_fma_f64 v[1:2], v[1:2], v[17:18], -v[21:22]
	v_fma_f64 v[3:4], v[3:4], v[17:18], v[19:20]
	buffer_store_dword v2, off, s[0:3], 0 offset:740
	buffer_store_dword v1, off, s[0:3], 0 offset:736
	;; [unrolled: 1-line block ×4, first 2 shown]
.LBB50_35:
	s_or_b32 exec_lo, exec_lo, s8
	v_mov_b32_e32 v4, s12
	v_cmp_lt_u32_e64 s4, 45, v0
	s_clause 0x3
	buffer_load_dword v1, v4, s[0:3], 0 offen
	buffer_load_dword v2, v4, s[0:3], 0 offen offset:4
	buffer_load_dword v3, v4, s[0:3], 0 offen offset:8
	;; [unrolled: 1-line block ×3, first 2 shown]
	s_waitcnt vmcnt(0)
	ds_write_b128 v16, v[1:4]
	s_waitcnt lgkmcnt(0)
	s_waitcnt_vscnt null, 0x0
	s_barrier
	buffer_gl0_inv
	s_and_saveexec_b32 s8, s4
	s_cbranch_execz .LBB50_43
; %bb.36:
	ds_read_b128 v[1:4], v16
	s_andn2_b32 vcc_lo, exec_lo, s58
	s_cbranch_vccnz .LBB50_38
; %bb.37:
	s_clause 0x3
	buffer_load_dword v17, v15, s[0:3], 0 offen offset:8
	buffer_load_dword v18, v15, s[0:3], 0 offen offset:12
	buffer_load_dword v19, v15, s[0:3], 0 offen
	buffer_load_dword v20, v15, s[0:3], 0 offen offset:4
	s_waitcnt vmcnt(2) lgkmcnt(0)
	v_mul_f64 v[21:22], v[3:4], v[17:18]
	v_mul_f64 v[17:18], v[1:2], v[17:18]
	s_waitcnt vmcnt(0)
	v_fma_f64 v[1:2], v[1:2], v[19:20], -v[21:22]
	v_fma_f64 v[3:4], v[3:4], v[19:20], v[17:18]
.LBB50_38:
	s_and_saveexec_b32 s59, s5
	s_cbranch_execz .LBB50_42
; %bb.39:
	v_subrev_nc_u32_e32 v17, 46, v0
	s_movk_i32 s60, 0x610
	s_mov_b32 s5, 0
	s_mov_b32 s61, s11
	.p2align	6
.LBB50_40:                              ; =>This Inner Loop Header: Depth=1
	v_mov_b32_e32 v18, s61
	v_add_nc_u32_e32 v17, -1, v17
	s_add_i32 s61, s61, 16
	s_clause 0x3
	buffer_load_dword v22, v18, s[0:3], 0 offen offset:8
	buffer_load_dword v23, v18, s[0:3], 0 offen offset:12
	buffer_load_dword v118, v18, s[0:3], 0 offen
	buffer_load_dword v119, v18, s[0:3], 0 offen offset:4
	v_mov_b32_e32 v18, s60
	v_cmp_eq_u32_e32 vcc_lo, 0, v17
	s_add_i32 s60, s60, 16
	ds_read_b128 v[18:21], v18
	s_or_b32 s5, vcc_lo, s5
	s_waitcnt vmcnt(2) lgkmcnt(0)
	v_mul_f64 v[120:121], v[20:21], v[22:23]
	v_mul_f64 v[22:23], v[18:19], v[22:23]
	s_waitcnt vmcnt(0)
	v_fma_f64 v[18:19], v[18:19], v[118:119], -v[120:121]
	v_fma_f64 v[20:21], v[20:21], v[118:119], v[22:23]
	v_add_f64 v[1:2], v[1:2], v[18:19]
	v_add_f64 v[3:4], v[3:4], v[20:21]
	s_andn2_b32 exec_lo, exec_lo, s5
	s_cbranch_execnz .LBB50_40
; %bb.41:
	s_or_b32 exec_lo, exec_lo, s5
.LBB50_42:
	s_or_b32 exec_lo, exec_lo, s59
	v_mov_b32_e32 v17, 0
	ds_read_b128 v[17:20], v17 offset:720
	s_waitcnt lgkmcnt(0)
	v_mul_f64 v[21:22], v[3:4], v[19:20]
	v_mul_f64 v[19:20], v[1:2], v[19:20]
	v_fma_f64 v[1:2], v[1:2], v[17:18], -v[21:22]
	v_fma_f64 v[3:4], v[3:4], v[17:18], v[19:20]
	buffer_store_dword v2, off, s[0:3], 0 offset:724
	buffer_store_dword v1, off, s[0:3], 0 offset:720
	;; [unrolled: 1-line block ×4, first 2 shown]
.LBB50_43:
	s_or_b32 exec_lo, exec_lo, s8
	v_mov_b32_e32 v4, s13
	v_cmp_lt_u32_e64 s5, 44, v0
	s_clause 0x3
	buffer_load_dword v1, v4, s[0:3], 0 offen
	buffer_load_dword v2, v4, s[0:3], 0 offen offset:4
	buffer_load_dword v3, v4, s[0:3], 0 offen offset:8
	;; [unrolled: 1-line block ×3, first 2 shown]
	s_waitcnt vmcnt(0)
	ds_write_b128 v16, v[1:4]
	s_waitcnt lgkmcnt(0)
	s_waitcnt_vscnt null, 0x0
	s_barrier
	buffer_gl0_inv
	s_and_saveexec_b32 s8, s5
	s_cbranch_execz .LBB50_51
; %bb.44:
	ds_read_b128 v[1:4], v16
	s_andn2_b32 vcc_lo, exec_lo, s58
	s_cbranch_vccnz .LBB50_46
; %bb.45:
	s_clause 0x3
	buffer_load_dword v17, v15, s[0:3], 0 offen offset:8
	buffer_load_dword v18, v15, s[0:3], 0 offen offset:12
	buffer_load_dword v19, v15, s[0:3], 0 offen
	buffer_load_dword v20, v15, s[0:3], 0 offen offset:4
	s_waitcnt vmcnt(2) lgkmcnt(0)
	v_mul_f64 v[21:22], v[3:4], v[17:18]
	v_mul_f64 v[17:18], v[1:2], v[17:18]
	s_waitcnt vmcnt(0)
	v_fma_f64 v[1:2], v[1:2], v[19:20], -v[21:22]
	v_fma_f64 v[3:4], v[3:4], v[19:20], v[17:18]
.LBB50_46:
	s_and_saveexec_b32 s59, s4
	s_cbranch_execz .LBB50_50
; %bb.47:
	v_subrev_nc_u32_e32 v17, 45, v0
	s_movk_i32 s60, 0x600
	s_mov_b32 s4, 0
	s_mov_b32 s61, s12
	.p2align	6
.LBB50_48:                              ; =>This Inner Loop Header: Depth=1
	v_mov_b32_e32 v18, s61
	v_add_nc_u32_e32 v17, -1, v17
	s_add_i32 s61, s61, 16
	s_clause 0x3
	buffer_load_dword v22, v18, s[0:3], 0 offen offset:8
	buffer_load_dword v23, v18, s[0:3], 0 offen offset:12
	buffer_load_dword v118, v18, s[0:3], 0 offen
	buffer_load_dword v119, v18, s[0:3], 0 offen offset:4
	v_mov_b32_e32 v18, s60
	v_cmp_eq_u32_e32 vcc_lo, 0, v17
	s_add_i32 s60, s60, 16
	ds_read_b128 v[18:21], v18
	s_or_b32 s4, vcc_lo, s4
	s_waitcnt vmcnt(2) lgkmcnt(0)
	v_mul_f64 v[120:121], v[20:21], v[22:23]
	v_mul_f64 v[22:23], v[18:19], v[22:23]
	s_waitcnt vmcnt(0)
	v_fma_f64 v[18:19], v[18:19], v[118:119], -v[120:121]
	v_fma_f64 v[20:21], v[20:21], v[118:119], v[22:23]
	v_add_f64 v[1:2], v[1:2], v[18:19]
	v_add_f64 v[3:4], v[3:4], v[20:21]
	s_andn2_b32 exec_lo, exec_lo, s4
	s_cbranch_execnz .LBB50_48
; %bb.49:
	s_or_b32 exec_lo, exec_lo, s4
.LBB50_50:
	s_or_b32 exec_lo, exec_lo, s59
	v_mov_b32_e32 v17, 0
	ds_read_b128 v[17:20], v17 offset:704
	s_waitcnt lgkmcnt(0)
	v_mul_f64 v[21:22], v[3:4], v[19:20]
	v_mul_f64 v[19:20], v[1:2], v[19:20]
	v_fma_f64 v[1:2], v[1:2], v[17:18], -v[21:22]
	v_fma_f64 v[3:4], v[3:4], v[17:18], v[19:20]
	buffer_store_dword v2, off, s[0:3], 0 offset:708
	buffer_store_dword v1, off, s[0:3], 0 offset:704
	;; [unrolled: 1-line block ×4, first 2 shown]
.LBB50_51:
	s_or_b32 exec_lo, exec_lo, s8
	v_mov_b32_e32 v4, s14
	v_cmp_lt_u32_e64 s4, 43, v0
	s_clause 0x3
	buffer_load_dword v1, v4, s[0:3], 0 offen
	buffer_load_dword v2, v4, s[0:3], 0 offen offset:4
	buffer_load_dword v3, v4, s[0:3], 0 offen offset:8
	;; [unrolled: 1-line block ×3, first 2 shown]
	s_waitcnt vmcnt(0)
	ds_write_b128 v16, v[1:4]
	s_waitcnt lgkmcnt(0)
	s_waitcnt_vscnt null, 0x0
	s_barrier
	buffer_gl0_inv
	s_and_saveexec_b32 s8, s4
	s_cbranch_execz .LBB50_59
; %bb.52:
	ds_read_b128 v[1:4], v16
	s_andn2_b32 vcc_lo, exec_lo, s58
	s_cbranch_vccnz .LBB50_54
; %bb.53:
	s_clause 0x3
	buffer_load_dword v17, v15, s[0:3], 0 offen offset:8
	buffer_load_dword v18, v15, s[0:3], 0 offen offset:12
	buffer_load_dword v19, v15, s[0:3], 0 offen
	buffer_load_dword v20, v15, s[0:3], 0 offen offset:4
	s_waitcnt vmcnt(2) lgkmcnt(0)
	v_mul_f64 v[21:22], v[3:4], v[17:18]
	v_mul_f64 v[17:18], v[1:2], v[17:18]
	s_waitcnt vmcnt(0)
	v_fma_f64 v[1:2], v[1:2], v[19:20], -v[21:22]
	v_fma_f64 v[3:4], v[3:4], v[19:20], v[17:18]
.LBB50_54:
	s_and_saveexec_b32 s59, s5
	s_cbranch_execz .LBB50_58
; %bb.55:
	v_subrev_nc_u32_e32 v17, 44, v0
	s_movk_i32 s60, 0x5f0
	s_mov_b32 s5, 0
	s_mov_b32 s61, s13
	.p2align	6
.LBB50_56:                              ; =>This Inner Loop Header: Depth=1
	v_mov_b32_e32 v18, s61
	v_add_nc_u32_e32 v17, -1, v17
	s_add_i32 s61, s61, 16
	s_clause 0x3
	buffer_load_dword v22, v18, s[0:3], 0 offen offset:8
	buffer_load_dword v23, v18, s[0:3], 0 offen offset:12
	buffer_load_dword v118, v18, s[0:3], 0 offen
	buffer_load_dword v119, v18, s[0:3], 0 offen offset:4
	v_mov_b32_e32 v18, s60
	v_cmp_eq_u32_e32 vcc_lo, 0, v17
	s_add_i32 s60, s60, 16
	ds_read_b128 v[18:21], v18
	s_or_b32 s5, vcc_lo, s5
	s_waitcnt vmcnt(2) lgkmcnt(0)
	v_mul_f64 v[120:121], v[20:21], v[22:23]
	v_mul_f64 v[22:23], v[18:19], v[22:23]
	s_waitcnt vmcnt(0)
	v_fma_f64 v[18:19], v[18:19], v[118:119], -v[120:121]
	v_fma_f64 v[20:21], v[20:21], v[118:119], v[22:23]
	v_add_f64 v[1:2], v[1:2], v[18:19]
	v_add_f64 v[3:4], v[3:4], v[20:21]
	s_andn2_b32 exec_lo, exec_lo, s5
	s_cbranch_execnz .LBB50_56
; %bb.57:
	s_or_b32 exec_lo, exec_lo, s5
.LBB50_58:
	s_or_b32 exec_lo, exec_lo, s59
	v_mov_b32_e32 v17, 0
	ds_read_b128 v[17:20], v17 offset:688
	s_waitcnt lgkmcnt(0)
	v_mul_f64 v[21:22], v[3:4], v[19:20]
	v_mul_f64 v[19:20], v[1:2], v[19:20]
	v_fma_f64 v[1:2], v[1:2], v[17:18], -v[21:22]
	v_fma_f64 v[3:4], v[3:4], v[17:18], v[19:20]
	buffer_store_dword v2, off, s[0:3], 0 offset:692
	buffer_store_dword v1, off, s[0:3], 0 offset:688
	;; [unrolled: 1-line block ×4, first 2 shown]
.LBB50_59:
	s_or_b32 exec_lo, exec_lo, s8
	v_mov_b32_e32 v4, s15
	v_cmp_lt_u32_e64 s5, 42, v0
	s_clause 0x3
	buffer_load_dword v1, v4, s[0:3], 0 offen
	buffer_load_dword v2, v4, s[0:3], 0 offen offset:4
	buffer_load_dword v3, v4, s[0:3], 0 offen offset:8
	;; [unrolled: 1-line block ×3, first 2 shown]
	s_waitcnt vmcnt(0)
	ds_write_b128 v16, v[1:4]
	s_waitcnt lgkmcnt(0)
	s_waitcnt_vscnt null, 0x0
	s_barrier
	buffer_gl0_inv
	s_and_saveexec_b32 s8, s5
	s_cbranch_execz .LBB50_67
; %bb.60:
	ds_read_b128 v[1:4], v16
	s_andn2_b32 vcc_lo, exec_lo, s58
	s_cbranch_vccnz .LBB50_62
; %bb.61:
	s_clause 0x3
	buffer_load_dword v17, v15, s[0:3], 0 offen offset:8
	buffer_load_dword v18, v15, s[0:3], 0 offen offset:12
	buffer_load_dword v19, v15, s[0:3], 0 offen
	buffer_load_dword v20, v15, s[0:3], 0 offen offset:4
	s_waitcnt vmcnt(2) lgkmcnt(0)
	v_mul_f64 v[21:22], v[3:4], v[17:18]
	v_mul_f64 v[17:18], v[1:2], v[17:18]
	s_waitcnt vmcnt(0)
	v_fma_f64 v[1:2], v[1:2], v[19:20], -v[21:22]
	v_fma_f64 v[3:4], v[3:4], v[19:20], v[17:18]
.LBB50_62:
	s_and_saveexec_b32 s59, s4
	s_cbranch_execz .LBB50_66
; %bb.63:
	v_subrev_nc_u32_e32 v17, 43, v0
	s_movk_i32 s60, 0x5e0
	s_mov_b32 s4, 0
	s_mov_b32 s61, s14
	.p2align	6
.LBB50_64:                              ; =>This Inner Loop Header: Depth=1
	v_mov_b32_e32 v18, s61
	v_add_nc_u32_e32 v17, -1, v17
	s_add_i32 s61, s61, 16
	s_clause 0x3
	buffer_load_dword v22, v18, s[0:3], 0 offen offset:8
	buffer_load_dword v23, v18, s[0:3], 0 offen offset:12
	buffer_load_dword v118, v18, s[0:3], 0 offen
	buffer_load_dword v119, v18, s[0:3], 0 offen offset:4
	v_mov_b32_e32 v18, s60
	v_cmp_eq_u32_e32 vcc_lo, 0, v17
	s_add_i32 s60, s60, 16
	ds_read_b128 v[18:21], v18
	s_or_b32 s4, vcc_lo, s4
	s_waitcnt vmcnt(2) lgkmcnt(0)
	v_mul_f64 v[120:121], v[20:21], v[22:23]
	v_mul_f64 v[22:23], v[18:19], v[22:23]
	s_waitcnt vmcnt(0)
	v_fma_f64 v[18:19], v[18:19], v[118:119], -v[120:121]
	v_fma_f64 v[20:21], v[20:21], v[118:119], v[22:23]
	v_add_f64 v[1:2], v[1:2], v[18:19]
	v_add_f64 v[3:4], v[3:4], v[20:21]
	s_andn2_b32 exec_lo, exec_lo, s4
	s_cbranch_execnz .LBB50_64
; %bb.65:
	s_or_b32 exec_lo, exec_lo, s4
.LBB50_66:
	s_or_b32 exec_lo, exec_lo, s59
	v_mov_b32_e32 v17, 0
	ds_read_b128 v[17:20], v17 offset:672
	s_waitcnt lgkmcnt(0)
	v_mul_f64 v[21:22], v[3:4], v[19:20]
	v_mul_f64 v[19:20], v[1:2], v[19:20]
	v_fma_f64 v[1:2], v[1:2], v[17:18], -v[21:22]
	v_fma_f64 v[3:4], v[3:4], v[17:18], v[19:20]
	buffer_store_dword v2, off, s[0:3], 0 offset:676
	buffer_store_dword v1, off, s[0:3], 0 offset:672
	;; [unrolled: 1-line block ×4, first 2 shown]
.LBB50_67:
	s_or_b32 exec_lo, exec_lo, s8
	v_mov_b32_e32 v4, s16
	v_cmp_lt_u32_e64 s4, 41, v0
	s_clause 0x3
	buffer_load_dword v1, v4, s[0:3], 0 offen
	buffer_load_dword v2, v4, s[0:3], 0 offen offset:4
	buffer_load_dword v3, v4, s[0:3], 0 offen offset:8
	buffer_load_dword v4, v4, s[0:3], 0 offen offset:12
	s_waitcnt vmcnt(0)
	ds_write_b128 v16, v[1:4]
	s_waitcnt lgkmcnt(0)
	s_waitcnt_vscnt null, 0x0
	s_barrier
	buffer_gl0_inv
	s_and_saveexec_b32 s8, s4
	s_cbranch_execz .LBB50_75
; %bb.68:
	ds_read_b128 v[1:4], v16
	s_andn2_b32 vcc_lo, exec_lo, s58
	s_cbranch_vccnz .LBB50_70
; %bb.69:
	s_clause 0x3
	buffer_load_dword v17, v15, s[0:3], 0 offen offset:8
	buffer_load_dword v18, v15, s[0:3], 0 offen offset:12
	buffer_load_dword v19, v15, s[0:3], 0 offen
	buffer_load_dword v20, v15, s[0:3], 0 offen offset:4
	s_waitcnt vmcnt(2) lgkmcnt(0)
	v_mul_f64 v[21:22], v[3:4], v[17:18]
	v_mul_f64 v[17:18], v[1:2], v[17:18]
	s_waitcnt vmcnt(0)
	v_fma_f64 v[1:2], v[1:2], v[19:20], -v[21:22]
	v_fma_f64 v[3:4], v[3:4], v[19:20], v[17:18]
.LBB50_70:
	s_and_saveexec_b32 s59, s5
	s_cbranch_execz .LBB50_74
; %bb.71:
	v_subrev_nc_u32_e32 v17, 42, v0
	s_movk_i32 s60, 0x5d0
	s_mov_b32 s5, 0
	s_mov_b32 s61, s15
	.p2align	6
.LBB50_72:                              ; =>This Inner Loop Header: Depth=1
	v_mov_b32_e32 v18, s61
	v_add_nc_u32_e32 v17, -1, v17
	s_add_i32 s61, s61, 16
	s_clause 0x3
	buffer_load_dword v22, v18, s[0:3], 0 offen offset:8
	buffer_load_dword v23, v18, s[0:3], 0 offen offset:12
	buffer_load_dword v118, v18, s[0:3], 0 offen
	buffer_load_dword v119, v18, s[0:3], 0 offen offset:4
	v_mov_b32_e32 v18, s60
	v_cmp_eq_u32_e32 vcc_lo, 0, v17
	s_add_i32 s60, s60, 16
	ds_read_b128 v[18:21], v18
	s_or_b32 s5, vcc_lo, s5
	s_waitcnt vmcnt(2) lgkmcnt(0)
	v_mul_f64 v[120:121], v[20:21], v[22:23]
	v_mul_f64 v[22:23], v[18:19], v[22:23]
	s_waitcnt vmcnt(0)
	v_fma_f64 v[18:19], v[18:19], v[118:119], -v[120:121]
	v_fma_f64 v[20:21], v[20:21], v[118:119], v[22:23]
	v_add_f64 v[1:2], v[1:2], v[18:19]
	v_add_f64 v[3:4], v[3:4], v[20:21]
	s_andn2_b32 exec_lo, exec_lo, s5
	s_cbranch_execnz .LBB50_72
; %bb.73:
	s_or_b32 exec_lo, exec_lo, s5
.LBB50_74:
	s_or_b32 exec_lo, exec_lo, s59
	v_mov_b32_e32 v17, 0
	ds_read_b128 v[17:20], v17 offset:656
	s_waitcnt lgkmcnt(0)
	v_mul_f64 v[21:22], v[3:4], v[19:20]
	v_mul_f64 v[19:20], v[1:2], v[19:20]
	v_fma_f64 v[1:2], v[1:2], v[17:18], -v[21:22]
	v_fma_f64 v[3:4], v[3:4], v[17:18], v[19:20]
	buffer_store_dword v2, off, s[0:3], 0 offset:660
	buffer_store_dword v1, off, s[0:3], 0 offset:656
	buffer_store_dword v4, off, s[0:3], 0 offset:668
	buffer_store_dword v3, off, s[0:3], 0 offset:664
.LBB50_75:
	s_or_b32 exec_lo, exec_lo, s8
	v_mov_b32_e32 v4, s17
	v_cmp_lt_u32_e64 s5, 40, v0
	s_clause 0x3
	buffer_load_dword v1, v4, s[0:3], 0 offen
	buffer_load_dword v2, v4, s[0:3], 0 offen offset:4
	buffer_load_dword v3, v4, s[0:3], 0 offen offset:8
	;; [unrolled: 1-line block ×3, first 2 shown]
	s_waitcnt vmcnt(0)
	ds_write_b128 v16, v[1:4]
	s_waitcnt lgkmcnt(0)
	s_waitcnt_vscnt null, 0x0
	s_barrier
	buffer_gl0_inv
	s_and_saveexec_b32 s8, s5
	s_cbranch_execz .LBB50_83
; %bb.76:
	ds_read_b128 v[1:4], v16
	s_andn2_b32 vcc_lo, exec_lo, s58
	s_cbranch_vccnz .LBB50_78
; %bb.77:
	s_clause 0x3
	buffer_load_dword v17, v15, s[0:3], 0 offen offset:8
	buffer_load_dword v18, v15, s[0:3], 0 offen offset:12
	buffer_load_dword v19, v15, s[0:3], 0 offen
	buffer_load_dword v20, v15, s[0:3], 0 offen offset:4
	s_waitcnt vmcnt(2) lgkmcnt(0)
	v_mul_f64 v[21:22], v[3:4], v[17:18]
	v_mul_f64 v[17:18], v[1:2], v[17:18]
	s_waitcnt vmcnt(0)
	v_fma_f64 v[1:2], v[1:2], v[19:20], -v[21:22]
	v_fma_f64 v[3:4], v[3:4], v[19:20], v[17:18]
.LBB50_78:
	s_and_saveexec_b32 s59, s4
	s_cbranch_execz .LBB50_82
; %bb.79:
	v_subrev_nc_u32_e32 v17, 41, v0
	s_movk_i32 s60, 0x5c0
	s_mov_b32 s4, 0
	s_mov_b32 s61, s16
	.p2align	6
.LBB50_80:                              ; =>This Inner Loop Header: Depth=1
	v_mov_b32_e32 v18, s61
	v_add_nc_u32_e32 v17, -1, v17
	s_add_i32 s61, s61, 16
	s_clause 0x3
	buffer_load_dword v22, v18, s[0:3], 0 offen offset:8
	buffer_load_dword v23, v18, s[0:3], 0 offen offset:12
	buffer_load_dword v118, v18, s[0:3], 0 offen
	buffer_load_dword v119, v18, s[0:3], 0 offen offset:4
	v_mov_b32_e32 v18, s60
	v_cmp_eq_u32_e32 vcc_lo, 0, v17
	s_add_i32 s60, s60, 16
	ds_read_b128 v[18:21], v18
	s_or_b32 s4, vcc_lo, s4
	s_waitcnt vmcnt(2) lgkmcnt(0)
	v_mul_f64 v[120:121], v[20:21], v[22:23]
	v_mul_f64 v[22:23], v[18:19], v[22:23]
	s_waitcnt vmcnt(0)
	v_fma_f64 v[18:19], v[18:19], v[118:119], -v[120:121]
	v_fma_f64 v[20:21], v[20:21], v[118:119], v[22:23]
	v_add_f64 v[1:2], v[1:2], v[18:19]
	v_add_f64 v[3:4], v[3:4], v[20:21]
	s_andn2_b32 exec_lo, exec_lo, s4
	s_cbranch_execnz .LBB50_80
; %bb.81:
	s_or_b32 exec_lo, exec_lo, s4
.LBB50_82:
	s_or_b32 exec_lo, exec_lo, s59
	v_mov_b32_e32 v17, 0
	ds_read_b128 v[17:20], v17 offset:640
	s_waitcnt lgkmcnt(0)
	v_mul_f64 v[21:22], v[3:4], v[19:20]
	v_mul_f64 v[19:20], v[1:2], v[19:20]
	v_fma_f64 v[1:2], v[1:2], v[17:18], -v[21:22]
	v_fma_f64 v[3:4], v[3:4], v[17:18], v[19:20]
	buffer_store_dword v2, off, s[0:3], 0 offset:644
	buffer_store_dword v1, off, s[0:3], 0 offset:640
	;; [unrolled: 1-line block ×4, first 2 shown]
.LBB50_83:
	s_or_b32 exec_lo, exec_lo, s8
	v_mov_b32_e32 v4, s18
	v_cmp_lt_u32_e64 s4, 39, v0
	s_clause 0x3
	buffer_load_dword v1, v4, s[0:3], 0 offen
	buffer_load_dword v2, v4, s[0:3], 0 offen offset:4
	buffer_load_dword v3, v4, s[0:3], 0 offen offset:8
	;; [unrolled: 1-line block ×3, first 2 shown]
	s_waitcnt vmcnt(0)
	ds_write_b128 v16, v[1:4]
	s_waitcnt lgkmcnt(0)
	s_waitcnt_vscnt null, 0x0
	s_barrier
	buffer_gl0_inv
	s_and_saveexec_b32 s8, s4
	s_cbranch_execz .LBB50_91
; %bb.84:
	ds_read_b128 v[1:4], v16
	s_andn2_b32 vcc_lo, exec_lo, s58
	s_cbranch_vccnz .LBB50_86
; %bb.85:
	s_clause 0x3
	buffer_load_dword v17, v15, s[0:3], 0 offen offset:8
	buffer_load_dword v18, v15, s[0:3], 0 offen offset:12
	buffer_load_dword v19, v15, s[0:3], 0 offen
	buffer_load_dword v20, v15, s[0:3], 0 offen offset:4
	s_waitcnt vmcnt(2) lgkmcnt(0)
	v_mul_f64 v[21:22], v[3:4], v[17:18]
	v_mul_f64 v[17:18], v[1:2], v[17:18]
	s_waitcnt vmcnt(0)
	v_fma_f64 v[1:2], v[1:2], v[19:20], -v[21:22]
	v_fma_f64 v[3:4], v[3:4], v[19:20], v[17:18]
.LBB50_86:
	s_and_saveexec_b32 s59, s5
	s_cbranch_execz .LBB50_90
; %bb.87:
	v_subrev_nc_u32_e32 v17, 40, v0
	s_movk_i32 s60, 0x5b0
	s_mov_b32 s5, 0
	s_mov_b32 s61, s17
	.p2align	6
.LBB50_88:                              ; =>This Inner Loop Header: Depth=1
	v_mov_b32_e32 v18, s61
	v_add_nc_u32_e32 v17, -1, v17
	s_add_i32 s61, s61, 16
	s_clause 0x3
	buffer_load_dword v22, v18, s[0:3], 0 offen offset:8
	buffer_load_dword v23, v18, s[0:3], 0 offen offset:12
	buffer_load_dword v118, v18, s[0:3], 0 offen
	buffer_load_dword v119, v18, s[0:3], 0 offen offset:4
	v_mov_b32_e32 v18, s60
	v_cmp_eq_u32_e32 vcc_lo, 0, v17
	s_add_i32 s60, s60, 16
	ds_read_b128 v[18:21], v18
	s_or_b32 s5, vcc_lo, s5
	s_waitcnt vmcnt(2) lgkmcnt(0)
	v_mul_f64 v[120:121], v[20:21], v[22:23]
	v_mul_f64 v[22:23], v[18:19], v[22:23]
	s_waitcnt vmcnt(0)
	v_fma_f64 v[18:19], v[18:19], v[118:119], -v[120:121]
	v_fma_f64 v[20:21], v[20:21], v[118:119], v[22:23]
	v_add_f64 v[1:2], v[1:2], v[18:19]
	v_add_f64 v[3:4], v[3:4], v[20:21]
	s_andn2_b32 exec_lo, exec_lo, s5
	s_cbranch_execnz .LBB50_88
; %bb.89:
	s_or_b32 exec_lo, exec_lo, s5
.LBB50_90:
	s_or_b32 exec_lo, exec_lo, s59
	v_mov_b32_e32 v17, 0
	ds_read_b128 v[17:20], v17 offset:624
	s_waitcnt lgkmcnt(0)
	v_mul_f64 v[21:22], v[3:4], v[19:20]
	v_mul_f64 v[19:20], v[1:2], v[19:20]
	v_fma_f64 v[1:2], v[1:2], v[17:18], -v[21:22]
	v_fma_f64 v[3:4], v[3:4], v[17:18], v[19:20]
	buffer_store_dword v2, off, s[0:3], 0 offset:628
	buffer_store_dword v1, off, s[0:3], 0 offset:624
	;; [unrolled: 1-line block ×4, first 2 shown]
.LBB50_91:
	s_or_b32 exec_lo, exec_lo, s8
	v_mov_b32_e32 v4, s19
	v_cmp_lt_u32_e64 s5, 38, v0
	s_clause 0x3
	buffer_load_dword v1, v4, s[0:3], 0 offen
	buffer_load_dword v2, v4, s[0:3], 0 offen offset:4
	buffer_load_dword v3, v4, s[0:3], 0 offen offset:8
	;; [unrolled: 1-line block ×3, first 2 shown]
	s_waitcnt vmcnt(0)
	ds_write_b128 v16, v[1:4]
	s_waitcnt lgkmcnt(0)
	s_waitcnt_vscnt null, 0x0
	s_barrier
	buffer_gl0_inv
	s_and_saveexec_b32 s8, s5
	s_cbranch_execz .LBB50_99
; %bb.92:
	ds_read_b128 v[1:4], v16
	s_andn2_b32 vcc_lo, exec_lo, s58
	s_cbranch_vccnz .LBB50_94
; %bb.93:
	s_clause 0x3
	buffer_load_dword v17, v15, s[0:3], 0 offen offset:8
	buffer_load_dword v18, v15, s[0:3], 0 offen offset:12
	buffer_load_dword v19, v15, s[0:3], 0 offen
	buffer_load_dword v20, v15, s[0:3], 0 offen offset:4
	s_waitcnt vmcnt(2) lgkmcnt(0)
	v_mul_f64 v[21:22], v[3:4], v[17:18]
	v_mul_f64 v[17:18], v[1:2], v[17:18]
	s_waitcnt vmcnt(0)
	v_fma_f64 v[1:2], v[1:2], v[19:20], -v[21:22]
	v_fma_f64 v[3:4], v[3:4], v[19:20], v[17:18]
.LBB50_94:
	s_and_saveexec_b32 s59, s4
	s_cbranch_execz .LBB50_98
; %bb.95:
	v_subrev_nc_u32_e32 v17, 39, v0
	s_movk_i32 s60, 0x5a0
	s_mov_b32 s4, 0
	s_mov_b32 s61, s18
	.p2align	6
.LBB50_96:                              ; =>This Inner Loop Header: Depth=1
	v_mov_b32_e32 v18, s61
	v_add_nc_u32_e32 v17, -1, v17
	s_add_i32 s61, s61, 16
	s_clause 0x3
	buffer_load_dword v22, v18, s[0:3], 0 offen offset:8
	buffer_load_dword v23, v18, s[0:3], 0 offen offset:12
	buffer_load_dword v118, v18, s[0:3], 0 offen
	buffer_load_dword v119, v18, s[0:3], 0 offen offset:4
	v_mov_b32_e32 v18, s60
	v_cmp_eq_u32_e32 vcc_lo, 0, v17
	s_add_i32 s60, s60, 16
	ds_read_b128 v[18:21], v18
	s_or_b32 s4, vcc_lo, s4
	s_waitcnt vmcnt(2) lgkmcnt(0)
	v_mul_f64 v[120:121], v[20:21], v[22:23]
	v_mul_f64 v[22:23], v[18:19], v[22:23]
	s_waitcnt vmcnt(0)
	v_fma_f64 v[18:19], v[18:19], v[118:119], -v[120:121]
	v_fma_f64 v[20:21], v[20:21], v[118:119], v[22:23]
	v_add_f64 v[1:2], v[1:2], v[18:19]
	v_add_f64 v[3:4], v[3:4], v[20:21]
	s_andn2_b32 exec_lo, exec_lo, s4
	s_cbranch_execnz .LBB50_96
; %bb.97:
	s_or_b32 exec_lo, exec_lo, s4
.LBB50_98:
	s_or_b32 exec_lo, exec_lo, s59
	v_mov_b32_e32 v17, 0
	ds_read_b128 v[17:20], v17 offset:608
	s_waitcnt lgkmcnt(0)
	v_mul_f64 v[21:22], v[3:4], v[19:20]
	v_mul_f64 v[19:20], v[1:2], v[19:20]
	v_fma_f64 v[1:2], v[1:2], v[17:18], -v[21:22]
	v_fma_f64 v[3:4], v[3:4], v[17:18], v[19:20]
	buffer_store_dword v2, off, s[0:3], 0 offset:612
	buffer_store_dword v1, off, s[0:3], 0 offset:608
	;; [unrolled: 1-line block ×4, first 2 shown]
.LBB50_99:
	s_or_b32 exec_lo, exec_lo, s8
	v_mov_b32_e32 v4, s20
	v_cmp_lt_u32_e64 s4, 37, v0
	s_clause 0x3
	buffer_load_dword v1, v4, s[0:3], 0 offen
	buffer_load_dword v2, v4, s[0:3], 0 offen offset:4
	buffer_load_dword v3, v4, s[0:3], 0 offen offset:8
	;; [unrolled: 1-line block ×3, first 2 shown]
	s_waitcnt vmcnt(0)
	ds_write_b128 v16, v[1:4]
	s_waitcnt lgkmcnt(0)
	s_waitcnt_vscnt null, 0x0
	s_barrier
	buffer_gl0_inv
	s_and_saveexec_b32 s8, s4
	s_cbranch_execz .LBB50_107
; %bb.100:
	ds_read_b128 v[1:4], v16
	s_andn2_b32 vcc_lo, exec_lo, s58
	s_cbranch_vccnz .LBB50_102
; %bb.101:
	s_clause 0x3
	buffer_load_dword v17, v15, s[0:3], 0 offen offset:8
	buffer_load_dword v18, v15, s[0:3], 0 offen offset:12
	buffer_load_dword v19, v15, s[0:3], 0 offen
	buffer_load_dword v20, v15, s[0:3], 0 offen offset:4
	s_waitcnt vmcnt(2) lgkmcnt(0)
	v_mul_f64 v[21:22], v[3:4], v[17:18]
	v_mul_f64 v[17:18], v[1:2], v[17:18]
	s_waitcnt vmcnt(0)
	v_fma_f64 v[1:2], v[1:2], v[19:20], -v[21:22]
	v_fma_f64 v[3:4], v[3:4], v[19:20], v[17:18]
.LBB50_102:
	s_and_saveexec_b32 s59, s5
	s_cbranch_execz .LBB50_106
; %bb.103:
	v_subrev_nc_u32_e32 v17, 38, v0
	s_movk_i32 s60, 0x590
	s_mov_b32 s5, 0
	s_mov_b32 s61, s19
	.p2align	6
.LBB50_104:                             ; =>This Inner Loop Header: Depth=1
	v_mov_b32_e32 v18, s61
	v_add_nc_u32_e32 v17, -1, v17
	s_add_i32 s61, s61, 16
	s_clause 0x3
	buffer_load_dword v22, v18, s[0:3], 0 offen offset:8
	buffer_load_dword v23, v18, s[0:3], 0 offen offset:12
	buffer_load_dword v118, v18, s[0:3], 0 offen
	buffer_load_dword v119, v18, s[0:3], 0 offen offset:4
	v_mov_b32_e32 v18, s60
	v_cmp_eq_u32_e32 vcc_lo, 0, v17
	s_add_i32 s60, s60, 16
	ds_read_b128 v[18:21], v18
	s_or_b32 s5, vcc_lo, s5
	s_waitcnt vmcnt(2) lgkmcnt(0)
	v_mul_f64 v[120:121], v[20:21], v[22:23]
	v_mul_f64 v[22:23], v[18:19], v[22:23]
	s_waitcnt vmcnt(0)
	v_fma_f64 v[18:19], v[18:19], v[118:119], -v[120:121]
	v_fma_f64 v[20:21], v[20:21], v[118:119], v[22:23]
	v_add_f64 v[1:2], v[1:2], v[18:19]
	v_add_f64 v[3:4], v[3:4], v[20:21]
	s_andn2_b32 exec_lo, exec_lo, s5
	s_cbranch_execnz .LBB50_104
; %bb.105:
	s_or_b32 exec_lo, exec_lo, s5
.LBB50_106:
	s_or_b32 exec_lo, exec_lo, s59
	v_mov_b32_e32 v17, 0
	ds_read_b128 v[17:20], v17 offset:592
	s_waitcnt lgkmcnt(0)
	v_mul_f64 v[21:22], v[3:4], v[19:20]
	v_mul_f64 v[19:20], v[1:2], v[19:20]
	v_fma_f64 v[1:2], v[1:2], v[17:18], -v[21:22]
	v_fma_f64 v[3:4], v[3:4], v[17:18], v[19:20]
	buffer_store_dword v2, off, s[0:3], 0 offset:596
	buffer_store_dword v1, off, s[0:3], 0 offset:592
	;; [unrolled: 1-line block ×4, first 2 shown]
.LBB50_107:
	s_or_b32 exec_lo, exec_lo, s8
	v_mov_b32_e32 v4, s21
	v_cmp_lt_u32_e64 s5, 36, v0
	s_clause 0x3
	buffer_load_dword v1, v4, s[0:3], 0 offen
	buffer_load_dword v2, v4, s[0:3], 0 offen offset:4
	buffer_load_dword v3, v4, s[0:3], 0 offen offset:8
	;; [unrolled: 1-line block ×3, first 2 shown]
	s_waitcnt vmcnt(0)
	ds_write_b128 v16, v[1:4]
	s_waitcnt lgkmcnt(0)
	s_waitcnt_vscnt null, 0x0
	s_barrier
	buffer_gl0_inv
	s_and_saveexec_b32 s8, s5
	s_cbranch_execz .LBB50_115
; %bb.108:
	ds_read_b128 v[1:4], v16
	s_andn2_b32 vcc_lo, exec_lo, s58
	s_cbranch_vccnz .LBB50_110
; %bb.109:
	s_clause 0x3
	buffer_load_dword v17, v15, s[0:3], 0 offen offset:8
	buffer_load_dword v18, v15, s[0:3], 0 offen offset:12
	buffer_load_dword v19, v15, s[0:3], 0 offen
	buffer_load_dword v20, v15, s[0:3], 0 offen offset:4
	s_waitcnt vmcnt(2) lgkmcnt(0)
	v_mul_f64 v[21:22], v[3:4], v[17:18]
	v_mul_f64 v[17:18], v[1:2], v[17:18]
	s_waitcnt vmcnt(0)
	v_fma_f64 v[1:2], v[1:2], v[19:20], -v[21:22]
	v_fma_f64 v[3:4], v[3:4], v[19:20], v[17:18]
.LBB50_110:
	s_and_saveexec_b32 s59, s4
	s_cbranch_execz .LBB50_114
; %bb.111:
	v_subrev_nc_u32_e32 v17, 37, v0
	s_movk_i32 s60, 0x580
	s_mov_b32 s4, 0
	s_mov_b32 s61, s20
	.p2align	6
.LBB50_112:                             ; =>This Inner Loop Header: Depth=1
	v_mov_b32_e32 v18, s61
	v_add_nc_u32_e32 v17, -1, v17
	s_add_i32 s61, s61, 16
	s_clause 0x3
	buffer_load_dword v22, v18, s[0:3], 0 offen offset:8
	buffer_load_dword v23, v18, s[0:3], 0 offen offset:12
	buffer_load_dword v118, v18, s[0:3], 0 offen
	buffer_load_dword v119, v18, s[0:3], 0 offen offset:4
	v_mov_b32_e32 v18, s60
	v_cmp_eq_u32_e32 vcc_lo, 0, v17
	s_add_i32 s60, s60, 16
	ds_read_b128 v[18:21], v18
	s_or_b32 s4, vcc_lo, s4
	s_waitcnt vmcnt(2) lgkmcnt(0)
	v_mul_f64 v[120:121], v[20:21], v[22:23]
	v_mul_f64 v[22:23], v[18:19], v[22:23]
	s_waitcnt vmcnt(0)
	v_fma_f64 v[18:19], v[18:19], v[118:119], -v[120:121]
	v_fma_f64 v[20:21], v[20:21], v[118:119], v[22:23]
	v_add_f64 v[1:2], v[1:2], v[18:19]
	v_add_f64 v[3:4], v[3:4], v[20:21]
	s_andn2_b32 exec_lo, exec_lo, s4
	s_cbranch_execnz .LBB50_112
; %bb.113:
	s_or_b32 exec_lo, exec_lo, s4
.LBB50_114:
	s_or_b32 exec_lo, exec_lo, s59
	v_mov_b32_e32 v17, 0
	ds_read_b128 v[17:20], v17 offset:576
	s_waitcnt lgkmcnt(0)
	v_mul_f64 v[21:22], v[3:4], v[19:20]
	v_mul_f64 v[19:20], v[1:2], v[19:20]
	v_fma_f64 v[1:2], v[1:2], v[17:18], -v[21:22]
	v_fma_f64 v[3:4], v[3:4], v[17:18], v[19:20]
	buffer_store_dword v2, off, s[0:3], 0 offset:580
	buffer_store_dword v1, off, s[0:3], 0 offset:576
	;; [unrolled: 1-line block ×4, first 2 shown]
.LBB50_115:
	s_or_b32 exec_lo, exec_lo, s8
	v_mov_b32_e32 v4, s22
	v_cmp_lt_u32_e64 s4, 35, v0
	s_clause 0x3
	buffer_load_dword v1, v4, s[0:3], 0 offen
	buffer_load_dword v2, v4, s[0:3], 0 offen offset:4
	buffer_load_dword v3, v4, s[0:3], 0 offen offset:8
	;; [unrolled: 1-line block ×3, first 2 shown]
	s_waitcnt vmcnt(0)
	ds_write_b128 v16, v[1:4]
	s_waitcnt lgkmcnt(0)
	s_waitcnt_vscnt null, 0x0
	s_barrier
	buffer_gl0_inv
	s_and_saveexec_b32 s8, s4
	s_cbranch_execz .LBB50_123
; %bb.116:
	ds_read_b128 v[1:4], v16
	s_andn2_b32 vcc_lo, exec_lo, s58
	s_cbranch_vccnz .LBB50_118
; %bb.117:
	s_clause 0x3
	buffer_load_dword v17, v15, s[0:3], 0 offen offset:8
	buffer_load_dword v18, v15, s[0:3], 0 offen offset:12
	buffer_load_dword v19, v15, s[0:3], 0 offen
	buffer_load_dword v20, v15, s[0:3], 0 offen offset:4
	s_waitcnt vmcnt(2) lgkmcnt(0)
	v_mul_f64 v[21:22], v[3:4], v[17:18]
	v_mul_f64 v[17:18], v[1:2], v[17:18]
	s_waitcnt vmcnt(0)
	v_fma_f64 v[1:2], v[1:2], v[19:20], -v[21:22]
	v_fma_f64 v[3:4], v[3:4], v[19:20], v[17:18]
.LBB50_118:
	s_and_saveexec_b32 s59, s5
	s_cbranch_execz .LBB50_122
; %bb.119:
	v_subrev_nc_u32_e32 v17, 36, v0
	s_movk_i32 s60, 0x570
	s_mov_b32 s5, 0
	s_mov_b32 s61, s21
	.p2align	6
.LBB50_120:                             ; =>This Inner Loop Header: Depth=1
	v_mov_b32_e32 v18, s61
	v_add_nc_u32_e32 v17, -1, v17
	s_add_i32 s61, s61, 16
	s_clause 0x3
	buffer_load_dword v22, v18, s[0:3], 0 offen offset:8
	buffer_load_dword v23, v18, s[0:3], 0 offen offset:12
	buffer_load_dword v118, v18, s[0:3], 0 offen
	buffer_load_dword v119, v18, s[0:3], 0 offen offset:4
	v_mov_b32_e32 v18, s60
	v_cmp_eq_u32_e32 vcc_lo, 0, v17
	s_add_i32 s60, s60, 16
	ds_read_b128 v[18:21], v18
	s_or_b32 s5, vcc_lo, s5
	s_waitcnt vmcnt(2) lgkmcnt(0)
	v_mul_f64 v[120:121], v[20:21], v[22:23]
	v_mul_f64 v[22:23], v[18:19], v[22:23]
	s_waitcnt vmcnt(0)
	v_fma_f64 v[18:19], v[18:19], v[118:119], -v[120:121]
	v_fma_f64 v[20:21], v[20:21], v[118:119], v[22:23]
	v_add_f64 v[1:2], v[1:2], v[18:19]
	v_add_f64 v[3:4], v[3:4], v[20:21]
	s_andn2_b32 exec_lo, exec_lo, s5
	s_cbranch_execnz .LBB50_120
; %bb.121:
	s_or_b32 exec_lo, exec_lo, s5
.LBB50_122:
	s_or_b32 exec_lo, exec_lo, s59
	v_mov_b32_e32 v17, 0
	ds_read_b128 v[17:20], v17 offset:560
	s_waitcnt lgkmcnt(0)
	v_mul_f64 v[21:22], v[3:4], v[19:20]
	v_mul_f64 v[19:20], v[1:2], v[19:20]
	v_fma_f64 v[1:2], v[1:2], v[17:18], -v[21:22]
	v_fma_f64 v[3:4], v[3:4], v[17:18], v[19:20]
	buffer_store_dword v2, off, s[0:3], 0 offset:564
	buffer_store_dword v1, off, s[0:3], 0 offset:560
	;; [unrolled: 1-line block ×4, first 2 shown]
.LBB50_123:
	s_or_b32 exec_lo, exec_lo, s8
	v_mov_b32_e32 v4, s23
	v_cmp_lt_u32_e64 s5, 34, v0
	s_clause 0x3
	buffer_load_dword v1, v4, s[0:3], 0 offen
	buffer_load_dword v2, v4, s[0:3], 0 offen offset:4
	buffer_load_dword v3, v4, s[0:3], 0 offen offset:8
	;; [unrolled: 1-line block ×3, first 2 shown]
	s_waitcnt vmcnt(0)
	ds_write_b128 v16, v[1:4]
	s_waitcnt lgkmcnt(0)
	s_waitcnt_vscnt null, 0x0
	s_barrier
	buffer_gl0_inv
	s_and_saveexec_b32 s8, s5
	s_cbranch_execz .LBB50_131
; %bb.124:
	ds_read_b128 v[1:4], v16
	s_andn2_b32 vcc_lo, exec_lo, s58
	s_cbranch_vccnz .LBB50_126
; %bb.125:
	s_clause 0x3
	buffer_load_dword v17, v15, s[0:3], 0 offen offset:8
	buffer_load_dword v18, v15, s[0:3], 0 offen offset:12
	buffer_load_dword v19, v15, s[0:3], 0 offen
	buffer_load_dword v20, v15, s[0:3], 0 offen offset:4
	s_waitcnt vmcnt(2) lgkmcnt(0)
	v_mul_f64 v[21:22], v[3:4], v[17:18]
	v_mul_f64 v[17:18], v[1:2], v[17:18]
	s_waitcnt vmcnt(0)
	v_fma_f64 v[1:2], v[1:2], v[19:20], -v[21:22]
	v_fma_f64 v[3:4], v[3:4], v[19:20], v[17:18]
.LBB50_126:
	s_and_saveexec_b32 s59, s4
	s_cbranch_execz .LBB50_130
; %bb.127:
	v_subrev_nc_u32_e32 v17, 35, v0
	s_movk_i32 s60, 0x560
	s_mov_b32 s4, 0
	s_mov_b32 s61, s22
	.p2align	6
.LBB50_128:                             ; =>This Inner Loop Header: Depth=1
	v_mov_b32_e32 v18, s61
	v_add_nc_u32_e32 v17, -1, v17
	s_add_i32 s61, s61, 16
	s_clause 0x3
	buffer_load_dword v22, v18, s[0:3], 0 offen offset:8
	buffer_load_dword v23, v18, s[0:3], 0 offen offset:12
	buffer_load_dword v118, v18, s[0:3], 0 offen
	buffer_load_dword v119, v18, s[0:3], 0 offen offset:4
	v_mov_b32_e32 v18, s60
	v_cmp_eq_u32_e32 vcc_lo, 0, v17
	s_add_i32 s60, s60, 16
	ds_read_b128 v[18:21], v18
	s_or_b32 s4, vcc_lo, s4
	s_waitcnt vmcnt(2) lgkmcnt(0)
	v_mul_f64 v[120:121], v[20:21], v[22:23]
	v_mul_f64 v[22:23], v[18:19], v[22:23]
	s_waitcnt vmcnt(0)
	v_fma_f64 v[18:19], v[18:19], v[118:119], -v[120:121]
	v_fma_f64 v[20:21], v[20:21], v[118:119], v[22:23]
	v_add_f64 v[1:2], v[1:2], v[18:19]
	v_add_f64 v[3:4], v[3:4], v[20:21]
	s_andn2_b32 exec_lo, exec_lo, s4
	s_cbranch_execnz .LBB50_128
; %bb.129:
	s_or_b32 exec_lo, exec_lo, s4
.LBB50_130:
	s_or_b32 exec_lo, exec_lo, s59
	v_mov_b32_e32 v17, 0
	ds_read_b128 v[17:20], v17 offset:544
	s_waitcnt lgkmcnt(0)
	v_mul_f64 v[21:22], v[3:4], v[19:20]
	v_mul_f64 v[19:20], v[1:2], v[19:20]
	v_fma_f64 v[1:2], v[1:2], v[17:18], -v[21:22]
	v_fma_f64 v[3:4], v[3:4], v[17:18], v[19:20]
	buffer_store_dword v2, off, s[0:3], 0 offset:548
	buffer_store_dword v1, off, s[0:3], 0 offset:544
	;; [unrolled: 1-line block ×4, first 2 shown]
.LBB50_131:
	s_or_b32 exec_lo, exec_lo, s8
	v_mov_b32_e32 v4, s24
	v_cmp_lt_u32_e64 s4, 33, v0
	s_clause 0x3
	buffer_load_dword v1, v4, s[0:3], 0 offen
	buffer_load_dword v2, v4, s[0:3], 0 offen offset:4
	buffer_load_dword v3, v4, s[0:3], 0 offen offset:8
	;; [unrolled: 1-line block ×3, first 2 shown]
	s_waitcnt vmcnt(0)
	ds_write_b128 v16, v[1:4]
	s_waitcnt lgkmcnt(0)
	s_waitcnt_vscnt null, 0x0
	s_barrier
	buffer_gl0_inv
	s_and_saveexec_b32 s8, s4
	s_cbranch_execz .LBB50_139
; %bb.132:
	ds_read_b128 v[1:4], v16
	s_andn2_b32 vcc_lo, exec_lo, s58
	s_cbranch_vccnz .LBB50_134
; %bb.133:
	s_clause 0x3
	buffer_load_dword v17, v15, s[0:3], 0 offen offset:8
	buffer_load_dword v18, v15, s[0:3], 0 offen offset:12
	buffer_load_dword v19, v15, s[0:3], 0 offen
	buffer_load_dword v20, v15, s[0:3], 0 offen offset:4
	s_waitcnt vmcnt(2) lgkmcnt(0)
	v_mul_f64 v[21:22], v[3:4], v[17:18]
	v_mul_f64 v[17:18], v[1:2], v[17:18]
	s_waitcnt vmcnt(0)
	v_fma_f64 v[1:2], v[1:2], v[19:20], -v[21:22]
	v_fma_f64 v[3:4], v[3:4], v[19:20], v[17:18]
.LBB50_134:
	s_and_saveexec_b32 s59, s5
	s_cbranch_execz .LBB50_138
; %bb.135:
	v_subrev_nc_u32_e32 v17, 34, v0
	s_movk_i32 s60, 0x550
	s_mov_b32 s5, 0
	s_mov_b32 s61, s23
	.p2align	6
.LBB50_136:                             ; =>This Inner Loop Header: Depth=1
	v_mov_b32_e32 v18, s61
	v_add_nc_u32_e32 v17, -1, v17
	s_add_i32 s61, s61, 16
	s_clause 0x3
	buffer_load_dword v22, v18, s[0:3], 0 offen offset:8
	buffer_load_dword v23, v18, s[0:3], 0 offen offset:12
	buffer_load_dword v118, v18, s[0:3], 0 offen
	buffer_load_dword v119, v18, s[0:3], 0 offen offset:4
	v_mov_b32_e32 v18, s60
	v_cmp_eq_u32_e32 vcc_lo, 0, v17
	s_add_i32 s60, s60, 16
	ds_read_b128 v[18:21], v18
	s_or_b32 s5, vcc_lo, s5
	s_waitcnt vmcnt(2) lgkmcnt(0)
	v_mul_f64 v[120:121], v[20:21], v[22:23]
	v_mul_f64 v[22:23], v[18:19], v[22:23]
	s_waitcnt vmcnt(0)
	v_fma_f64 v[18:19], v[18:19], v[118:119], -v[120:121]
	v_fma_f64 v[20:21], v[20:21], v[118:119], v[22:23]
	v_add_f64 v[1:2], v[1:2], v[18:19]
	v_add_f64 v[3:4], v[3:4], v[20:21]
	s_andn2_b32 exec_lo, exec_lo, s5
	s_cbranch_execnz .LBB50_136
; %bb.137:
	s_or_b32 exec_lo, exec_lo, s5
.LBB50_138:
	s_or_b32 exec_lo, exec_lo, s59
	v_mov_b32_e32 v17, 0
	ds_read_b128 v[17:20], v17 offset:528
	s_waitcnt lgkmcnt(0)
	v_mul_f64 v[21:22], v[3:4], v[19:20]
	v_mul_f64 v[19:20], v[1:2], v[19:20]
	v_fma_f64 v[1:2], v[1:2], v[17:18], -v[21:22]
	v_fma_f64 v[3:4], v[3:4], v[17:18], v[19:20]
	buffer_store_dword v2, off, s[0:3], 0 offset:532
	buffer_store_dword v1, off, s[0:3], 0 offset:528
	;; [unrolled: 1-line block ×4, first 2 shown]
.LBB50_139:
	s_or_b32 exec_lo, exec_lo, s8
	v_mov_b32_e32 v4, s25
	v_cmp_lt_u32_e64 s5, 32, v0
	s_clause 0x3
	buffer_load_dword v1, v4, s[0:3], 0 offen
	buffer_load_dword v2, v4, s[0:3], 0 offen offset:4
	buffer_load_dword v3, v4, s[0:3], 0 offen offset:8
	;; [unrolled: 1-line block ×3, first 2 shown]
	s_waitcnt vmcnt(0)
	ds_write_b128 v16, v[1:4]
	s_waitcnt lgkmcnt(0)
	s_waitcnt_vscnt null, 0x0
	s_barrier
	buffer_gl0_inv
	s_and_saveexec_b32 s8, s5
	s_cbranch_execz .LBB50_147
; %bb.140:
	ds_read_b128 v[1:4], v16
	s_andn2_b32 vcc_lo, exec_lo, s58
	s_cbranch_vccnz .LBB50_142
; %bb.141:
	s_clause 0x3
	buffer_load_dword v17, v15, s[0:3], 0 offen offset:8
	buffer_load_dword v18, v15, s[0:3], 0 offen offset:12
	buffer_load_dword v19, v15, s[0:3], 0 offen
	buffer_load_dword v20, v15, s[0:3], 0 offen offset:4
	s_waitcnt vmcnt(2) lgkmcnt(0)
	v_mul_f64 v[21:22], v[3:4], v[17:18]
	v_mul_f64 v[17:18], v[1:2], v[17:18]
	s_waitcnt vmcnt(0)
	v_fma_f64 v[1:2], v[1:2], v[19:20], -v[21:22]
	v_fma_f64 v[3:4], v[3:4], v[19:20], v[17:18]
.LBB50_142:
	s_and_saveexec_b32 s59, s4
	s_cbranch_execz .LBB50_146
; %bb.143:
	v_subrev_nc_u32_e32 v17, 33, v0
	s_movk_i32 s60, 0x540
	s_mov_b32 s4, 0
	s_mov_b32 s61, s24
	.p2align	6
.LBB50_144:                             ; =>This Inner Loop Header: Depth=1
	v_mov_b32_e32 v18, s61
	v_add_nc_u32_e32 v17, -1, v17
	s_add_i32 s61, s61, 16
	s_clause 0x3
	buffer_load_dword v22, v18, s[0:3], 0 offen offset:8
	buffer_load_dword v23, v18, s[0:3], 0 offen offset:12
	buffer_load_dword v118, v18, s[0:3], 0 offen
	buffer_load_dword v119, v18, s[0:3], 0 offen offset:4
	v_mov_b32_e32 v18, s60
	v_cmp_eq_u32_e32 vcc_lo, 0, v17
	s_add_i32 s60, s60, 16
	ds_read_b128 v[18:21], v18
	s_or_b32 s4, vcc_lo, s4
	s_waitcnt vmcnt(2) lgkmcnt(0)
	v_mul_f64 v[120:121], v[20:21], v[22:23]
	v_mul_f64 v[22:23], v[18:19], v[22:23]
	s_waitcnt vmcnt(0)
	v_fma_f64 v[18:19], v[18:19], v[118:119], -v[120:121]
	v_fma_f64 v[20:21], v[20:21], v[118:119], v[22:23]
	v_add_f64 v[1:2], v[1:2], v[18:19]
	v_add_f64 v[3:4], v[3:4], v[20:21]
	s_andn2_b32 exec_lo, exec_lo, s4
	s_cbranch_execnz .LBB50_144
; %bb.145:
	s_or_b32 exec_lo, exec_lo, s4
.LBB50_146:
	s_or_b32 exec_lo, exec_lo, s59
	v_mov_b32_e32 v17, 0
	ds_read_b128 v[17:20], v17 offset:512
	s_waitcnt lgkmcnt(0)
	v_mul_f64 v[21:22], v[3:4], v[19:20]
	v_mul_f64 v[19:20], v[1:2], v[19:20]
	v_fma_f64 v[1:2], v[1:2], v[17:18], -v[21:22]
	v_fma_f64 v[3:4], v[3:4], v[17:18], v[19:20]
	buffer_store_dword v2, off, s[0:3], 0 offset:516
	buffer_store_dword v1, off, s[0:3], 0 offset:512
	;; [unrolled: 1-line block ×4, first 2 shown]
.LBB50_147:
	s_or_b32 exec_lo, exec_lo, s8
	v_mov_b32_e32 v4, s26
	v_cmp_lt_u32_e64 s4, 31, v0
	s_clause 0x3
	buffer_load_dword v1, v4, s[0:3], 0 offen
	buffer_load_dword v2, v4, s[0:3], 0 offen offset:4
	buffer_load_dword v3, v4, s[0:3], 0 offen offset:8
	;; [unrolled: 1-line block ×3, first 2 shown]
	s_waitcnt vmcnt(0)
	ds_write_b128 v16, v[1:4]
	s_waitcnt lgkmcnt(0)
	s_waitcnt_vscnt null, 0x0
	s_barrier
	buffer_gl0_inv
	s_and_saveexec_b32 s8, s4
	s_cbranch_execz .LBB50_155
; %bb.148:
	ds_read_b128 v[1:4], v16
	s_andn2_b32 vcc_lo, exec_lo, s58
	s_cbranch_vccnz .LBB50_150
; %bb.149:
	s_clause 0x3
	buffer_load_dword v17, v15, s[0:3], 0 offen offset:8
	buffer_load_dword v18, v15, s[0:3], 0 offen offset:12
	buffer_load_dword v19, v15, s[0:3], 0 offen
	buffer_load_dword v20, v15, s[0:3], 0 offen offset:4
	s_waitcnt vmcnt(2) lgkmcnt(0)
	v_mul_f64 v[21:22], v[3:4], v[17:18]
	v_mul_f64 v[17:18], v[1:2], v[17:18]
	s_waitcnt vmcnt(0)
	v_fma_f64 v[1:2], v[1:2], v[19:20], -v[21:22]
	v_fma_f64 v[3:4], v[3:4], v[19:20], v[17:18]
.LBB50_150:
	s_and_saveexec_b32 s59, s5
	s_cbranch_execz .LBB50_154
; %bb.151:
	v_subrev_nc_u32_e32 v17, 32, v0
	s_movk_i32 s60, 0x530
	s_mov_b32 s5, 0
	s_mov_b32 s61, s25
	.p2align	6
.LBB50_152:                             ; =>This Inner Loop Header: Depth=1
	v_mov_b32_e32 v18, s61
	v_add_nc_u32_e32 v17, -1, v17
	s_add_i32 s61, s61, 16
	s_clause 0x3
	buffer_load_dword v22, v18, s[0:3], 0 offen offset:8
	buffer_load_dword v23, v18, s[0:3], 0 offen offset:12
	buffer_load_dword v118, v18, s[0:3], 0 offen
	buffer_load_dword v119, v18, s[0:3], 0 offen offset:4
	v_mov_b32_e32 v18, s60
	v_cmp_eq_u32_e32 vcc_lo, 0, v17
	s_add_i32 s60, s60, 16
	ds_read_b128 v[18:21], v18
	s_or_b32 s5, vcc_lo, s5
	s_waitcnt vmcnt(2) lgkmcnt(0)
	v_mul_f64 v[120:121], v[20:21], v[22:23]
	v_mul_f64 v[22:23], v[18:19], v[22:23]
	s_waitcnt vmcnt(0)
	v_fma_f64 v[18:19], v[18:19], v[118:119], -v[120:121]
	v_fma_f64 v[20:21], v[20:21], v[118:119], v[22:23]
	v_add_f64 v[1:2], v[1:2], v[18:19]
	v_add_f64 v[3:4], v[3:4], v[20:21]
	s_andn2_b32 exec_lo, exec_lo, s5
	s_cbranch_execnz .LBB50_152
; %bb.153:
	s_or_b32 exec_lo, exec_lo, s5
.LBB50_154:
	s_or_b32 exec_lo, exec_lo, s59
	v_mov_b32_e32 v17, 0
	ds_read_b128 v[17:20], v17 offset:496
	s_waitcnt lgkmcnt(0)
	v_mul_f64 v[21:22], v[3:4], v[19:20]
	v_mul_f64 v[19:20], v[1:2], v[19:20]
	v_fma_f64 v[1:2], v[1:2], v[17:18], -v[21:22]
	v_fma_f64 v[3:4], v[3:4], v[17:18], v[19:20]
	buffer_store_dword v2, off, s[0:3], 0 offset:500
	buffer_store_dword v1, off, s[0:3], 0 offset:496
	;; [unrolled: 1-line block ×4, first 2 shown]
.LBB50_155:
	s_or_b32 exec_lo, exec_lo, s8
	v_mov_b32_e32 v4, s27
	v_cmp_lt_u32_e64 s5, 30, v0
	s_clause 0x3
	buffer_load_dword v1, v4, s[0:3], 0 offen
	buffer_load_dword v2, v4, s[0:3], 0 offen offset:4
	buffer_load_dword v3, v4, s[0:3], 0 offen offset:8
	;; [unrolled: 1-line block ×3, first 2 shown]
	s_waitcnt vmcnt(0)
	ds_write_b128 v16, v[1:4]
	s_waitcnt lgkmcnt(0)
	s_waitcnt_vscnt null, 0x0
	s_barrier
	buffer_gl0_inv
	s_and_saveexec_b32 s8, s5
	s_cbranch_execz .LBB50_163
; %bb.156:
	ds_read_b128 v[1:4], v16
	s_andn2_b32 vcc_lo, exec_lo, s58
	s_cbranch_vccnz .LBB50_158
; %bb.157:
	s_clause 0x3
	buffer_load_dword v17, v15, s[0:3], 0 offen offset:8
	buffer_load_dword v18, v15, s[0:3], 0 offen offset:12
	buffer_load_dword v19, v15, s[0:3], 0 offen
	buffer_load_dword v20, v15, s[0:3], 0 offen offset:4
	s_waitcnt vmcnt(2) lgkmcnt(0)
	v_mul_f64 v[21:22], v[3:4], v[17:18]
	v_mul_f64 v[17:18], v[1:2], v[17:18]
	s_waitcnt vmcnt(0)
	v_fma_f64 v[1:2], v[1:2], v[19:20], -v[21:22]
	v_fma_f64 v[3:4], v[3:4], v[19:20], v[17:18]
.LBB50_158:
	s_and_saveexec_b32 s59, s4
	s_cbranch_execz .LBB50_162
; %bb.159:
	v_subrev_nc_u32_e32 v17, 31, v0
	s_movk_i32 s60, 0x520
	s_mov_b32 s4, 0
	s_mov_b32 s61, s26
	.p2align	6
.LBB50_160:                             ; =>This Inner Loop Header: Depth=1
	v_mov_b32_e32 v18, s61
	v_add_nc_u32_e32 v17, -1, v17
	s_add_i32 s61, s61, 16
	s_clause 0x3
	buffer_load_dword v22, v18, s[0:3], 0 offen offset:8
	buffer_load_dword v23, v18, s[0:3], 0 offen offset:12
	buffer_load_dword v118, v18, s[0:3], 0 offen
	buffer_load_dword v119, v18, s[0:3], 0 offen offset:4
	v_mov_b32_e32 v18, s60
	v_cmp_eq_u32_e32 vcc_lo, 0, v17
	s_add_i32 s60, s60, 16
	ds_read_b128 v[18:21], v18
	s_or_b32 s4, vcc_lo, s4
	s_waitcnt vmcnt(2) lgkmcnt(0)
	v_mul_f64 v[120:121], v[20:21], v[22:23]
	v_mul_f64 v[22:23], v[18:19], v[22:23]
	s_waitcnt vmcnt(0)
	v_fma_f64 v[18:19], v[18:19], v[118:119], -v[120:121]
	v_fma_f64 v[20:21], v[20:21], v[118:119], v[22:23]
	v_add_f64 v[1:2], v[1:2], v[18:19]
	v_add_f64 v[3:4], v[3:4], v[20:21]
	s_andn2_b32 exec_lo, exec_lo, s4
	s_cbranch_execnz .LBB50_160
; %bb.161:
	s_or_b32 exec_lo, exec_lo, s4
.LBB50_162:
	s_or_b32 exec_lo, exec_lo, s59
	v_mov_b32_e32 v17, 0
	ds_read_b128 v[17:20], v17 offset:480
	s_waitcnt lgkmcnt(0)
	v_mul_f64 v[21:22], v[3:4], v[19:20]
	v_mul_f64 v[19:20], v[1:2], v[19:20]
	v_fma_f64 v[1:2], v[1:2], v[17:18], -v[21:22]
	v_fma_f64 v[3:4], v[3:4], v[17:18], v[19:20]
	buffer_store_dword v2, off, s[0:3], 0 offset:484
	buffer_store_dword v1, off, s[0:3], 0 offset:480
	;; [unrolled: 1-line block ×4, first 2 shown]
.LBB50_163:
	s_or_b32 exec_lo, exec_lo, s8
	v_mov_b32_e32 v4, s28
	v_cmp_lt_u32_e64 s4, 29, v0
	s_clause 0x3
	buffer_load_dword v1, v4, s[0:3], 0 offen
	buffer_load_dword v2, v4, s[0:3], 0 offen offset:4
	buffer_load_dword v3, v4, s[0:3], 0 offen offset:8
	;; [unrolled: 1-line block ×3, first 2 shown]
	s_waitcnt vmcnt(0)
	ds_write_b128 v16, v[1:4]
	s_waitcnt lgkmcnt(0)
	s_waitcnt_vscnt null, 0x0
	s_barrier
	buffer_gl0_inv
	s_and_saveexec_b32 s8, s4
	s_cbranch_execz .LBB50_171
; %bb.164:
	ds_read_b128 v[1:4], v16
	s_andn2_b32 vcc_lo, exec_lo, s58
	s_cbranch_vccnz .LBB50_166
; %bb.165:
	s_clause 0x3
	buffer_load_dword v17, v15, s[0:3], 0 offen offset:8
	buffer_load_dword v18, v15, s[0:3], 0 offen offset:12
	buffer_load_dword v19, v15, s[0:3], 0 offen
	buffer_load_dword v20, v15, s[0:3], 0 offen offset:4
	s_waitcnt vmcnt(2) lgkmcnt(0)
	v_mul_f64 v[21:22], v[3:4], v[17:18]
	v_mul_f64 v[17:18], v[1:2], v[17:18]
	s_waitcnt vmcnt(0)
	v_fma_f64 v[1:2], v[1:2], v[19:20], -v[21:22]
	v_fma_f64 v[3:4], v[3:4], v[19:20], v[17:18]
.LBB50_166:
	s_and_saveexec_b32 s59, s5
	s_cbranch_execz .LBB50_170
; %bb.167:
	v_subrev_nc_u32_e32 v17, 30, v0
	s_movk_i32 s60, 0x510
	s_mov_b32 s5, 0
	s_mov_b32 s61, s27
	.p2align	6
.LBB50_168:                             ; =>This Inner Loop Header: Depth=1
	v_mov_b32_e32 v18, s61
	v_add_nc_u32_e32 v17, -1, v17
	s_add_i32 s61, s61, 16
	s_clause 0x3
	buffer_load_dword v22, v18, s[0:3], 0 offen offset:8
	buffer_load_dword v23, v18, s[0:3], 0 offen offset:12
	buffer_load_dword v118, v18, s[0:3], 0 offen
	buffer_load_dword v119, v18, s[0:3], 0 offen offset:4
	v_mov_b32_e32 v18, s60
	v_cmp_eq_u32_e32 vcc_lo, 0, v17
	s_add_i32 s60, s60, 16
	ds_read_b128 v[18:21], v18
	s_or_b32 s5, vcc_lo, s5
	s_waitcnt vmcnt(2) lgkmcnt(0)
	v_mul_f64 v[120:121], v[20:21], v[22:23]
	v_mul_f64 v[22:23], v[18:19], v[22:23]
	s_waitcnt vmcnt(0)
	v_fma_f64 v[18:19], v[18:19], v[118:119], -v[120:121]
	v_fma_f64 v[20:21], v[20:21], v[118:119], v[22:23]
	v_add_f64 v[1:2], v[1:2], v[18:19]
	v_add_f64 v[3:4], v[3:4], v[20:21]
	s_andn2_b32 exec_lo, exec_lo, s5
	s_cbranch_execnz .LBB50_168
; %bb.169:
	s_or_b32 exec_lo, exec_lo, s5
.LBB50_170:
	s_or_b32 exec_lo, exec_lo, s59
	v_mov_b32_e32 v17, 0
	ds_read_b128 v[17:20], v17 offset:464
	s_waitcnt lgkmcnt(0)
	v_mul_f64 v[21:22], v[3:4], v[19:20]
	v_mul_f64 v[19:20], v[1:2], v[19:20]
	v_fma_f64 v[1:2], v[1:2], v[17:18], -v[21:22]
	v_fma_f64 v[3:4], v[3:4], v[17:18], v[19:20]
	buffer_store_dword v2, off, s[0:3], 0 offset:468
	buffer_store_dword v1, off, s[0:3], 0 offset:464
	;; [unrolled: 1-line block ×4, first 2 shown]
.LBB50_171:
	s_or_b32 exec_lo, exec_lo, s8
	v_mov_b32_e32 v4, s29
	v_cmp_lt_u32_e64 s5, 28, v0
	s_clause 0x3
	buffer_load_dword v1, v4, s[0:3], 0 offen
	buffer_load_dword v2, v4, s[0:3], 0 offen offset:4
	buffer_load_dword v3, v4, s[0:3], 0 offen offset:8
	;; [unrolled: 1-line block ×3, first 2 shown]
	s_waitcnt vmcnt(0)
	ds_write_b128 v16, v[1:4]
	s_waitcnt lgkmcnt(0)
	s_waitcnt_vscnt null, 0x0
	s_barrier
	buffer_gl0_inv
	s_and_saveexec_b32 s8, s5
	s_cbranch_execz .LBB50_179
; %bb.172:
	ds_read_b128 v[1:4], v16
	s_andn2_b32 vcc_lo, exec_lo, s58
	s_cbranch_vccnz .LBB50_174
; %bb.173:
	s_clause 0x3
	buffer_load_dword v17, v15, s[0:3], 0 offen offset:8
	buffer_load_dword v18, v15, s[0:3], 0 offen offset:12
	buffer_load_dword v19, v15, s[0:3], 0 offen
	buffer_load_dword v20, v15, s[0:3], 0 offen offset:4
	s_waitcnt vmcnt(2) lgkmcnt(0)
	v_mul_f64 v[21:22], v[3:4], v[17:18]
	v_mul_f64 v[17:18], v[1:2], v[17:18]
	s_waitcnt vmcnt(0)
	v_fma_f64 v[1:2], v[1:2], v[19:20], -v[21:22]
	v_fma_f64 v[3:4], v[3:4], v[19:20], v[17:18]
.LBB50_174:
	s_and_saveexec_b32 s59, s4
	s_cbranch_execz .LBB50_178
; %bb.175:
	v_subrev_nc_u32_e32 v17, 29, v0
	s_movk_i32 s60, 0x500
	s_mov_b32 s4, 0
	s_mov_b32 s61, s28
	.p2align	6
.LBB50_176:                             ; =>This Inner Loop Header: Depth=1
	v_mov_b32_e32 v18, s61
	v_add_nc_u32_e32 v17, -1, v17
	s_add_i32 s61, s61, 16
	s_clause 0x3
	buffer_load_dword v22, v18, s[0:3], 0 offen offset:8
	buffer_load_dword v23, v18, s[0:3], 0 offen offset:12
	buffer_load_dword v118, v18, s[0:3], 0 offen
	buffer_load_dword v119, v18, s[0:3], 0 offen offset:4
	v_mov_b32_e32 v18, s60
	v_cmp_eq_u32_e32 vcc_lo, 0, v17
	s_add_i32 s60, s60, 16
	ds_read_b128 v[18:21], v18
	s_or_b32 s4, vcc_lo, s4
	s_waitcnt vmcnt(2) lgkmcnt(0)
	v_mul_f64 v[120:121], v[20:21], v[22:23]
	v_mul_f64 v[22:23], v[18:19], v[22:23]
	s_waitcnt vmcnt(0)
	v_fma_f64 v[18:19], v[18:19], v[118:119], -v[120:121]
	v_fma_f64 v[20:21], v[20:21], v[118:119], v[22:23]
	v_add_f64 v[1:2], v[1:2], v[18:19]
	v_add_f64 v[3:4], v[3:4], v[20:21]
	s_andn2_b32 exec_lo, exec_lo, s4
	s_cbranch_execnz .LBB50_176
; %bb.177:
	s_or_b32 exec_lo, exec_lo, s4
.LBB50_178:
	s_or_b32 exec_lo, exec_lo, s59
	v_mov_b32_e32 v17, 0
	ds_read_b128 v[17:20], v17 offset:448
	s_waitcnt lgkmcnt(0)
	v_mul_f64 v[21:22], v[3:4], v[19:20]
	v_mul_f64 v[19:20], v[1:2], v[19:20]
	v_fma_f64 v[1:2], v[1:2], v[17:18], -v[21:22]
	v_fma_f64 v[3:4], v[3:4], v[17:18], v[19:20]
	buffer_store_dword v2, off, s[0:3], 0 offset:452
	buffer_store_dword v1, off, s[0:3], 0 offset:448
	;; [unrolled: 1-line block ×4, first 2 shown]
.LBB50_179:
	s_or_b32 exec_lo, exec_lo, s8
	v_mov_b32_e32 v4, s30
	v_cmp_lt_u32_e64 s4, 27, v0
	s_clause 0x3
	buffer_load_dword v1, v4, s[0:3], 0 offen
	buffer_load_dword v2, v4, s[0:3], 0 offen offset:4
	buffer_load_dword v3, v4, s[0:3], 0 offen offset:8
	;; [unrolled: 1-line block ×3, first 2 shown]
	s_waitcnt vmcnt(0)
	ds_write_b128 v16, v[1:4]
	s_waitcnt lgkmcnt(0)
	s_waitcnt_vscnt null, 0x0
	s_barrier
	buffer_gl0_inv
	s_and_saveexec_b32 s8, s4
	s_cbranch_execz .LBB50_187
; %bb.180:
	ds_read_b128 v[1:4], v16
	s_andn2_b32 vcc_lo, exec_lo, s58
	s_cbranch_vccnz .LBB50_182
; %bb.181:
	s_clause 0x3
	buffer_load_dword v17, v15, s[0:3], 0 offen offset:8
	buffer_load_dword v18, v15, s[0:3], 0 offen offset:12
	buffer_load_dword v19, v15, s[0:3], 0 offen
	buffer_load_dword v20, v15, s[0:3], 0 offen offset:4
	s_waitcnt vmcnt(2) lgkmcnt(0)
	v_mul_f64 v[21:22], v[3:4], v[17:18]
	v_mul_f64 v[17:18], v[1:2], v[17:18]
	s_waitcnt vmcnt(0)
	v_fma_f64 v[1:2], v[1:2], v[19:20], -v[21:22]
	v_fma_f64 v[3:4], v[3:4], v[19:20], v[17:18]
.LBB50_182:
	s_and_saveexec_b32 s59, s5
	s_cbranch_execz .LBB50_186
; %bb.183:
	v_subrev_nc_u32_e32 v17, 28, v0
	s_movk_i32 s60, 0x4f0
	s_mov_b32 s5, 0
	s_mov_b32 s61, s29
	.p2align	6
.LBB50_184:                             ; =>This Inner Loop Header: Depth=1
	v_mov_b32_e32 v18, s61
	v_add_nc_u32_e32 v17, -1, v17
	s_add_i32 s61, s61, 16
	s_clause 0x3
	buffer_load_dword v22, v18, s[0:3], 0 offen offset:8
	buffer_load_dword v23, v18, s[0:3], 0 offen offset:12
	buffer_load_dword v118, v18, s[0:3], 0 offen
	buffer_load_dword v119, v18, s[0:3], 0 offen offset:4
	v_mov_b32_e32 v18, s60
	v_cmp_eq_u32_e32 vcc_lo, 0, v17
	s_add_i32 s60, s60, 16
	ds_read_b128 v[18:21], v18
	s_or_b32 s5, vcc_lo, s5
	s_waitcnt vmcnt(2) lgkmcnt(0)
	v_mul_f64 v[120:121], v[20:21], v[22:23]
	v_mul_f64 v[22:23], v[18:19], v[22:23]
	s_waitcnt vmcnt(0)
	v_fma_f64 v[18:19], v[18:19], v[118:119], -v[120:121]
	v_fma_f64 v[20:21], v[20:21], v[118:119], v[22:23]
	v_add_f64 v[1:2], v[1:2], v[18:19]
	v_add_f64 v[3:4], v[3:4], v[20:21]
	s_andn2_b32 exec_lo, exec_lo, s5
	s_cbranch_execnz .LBB50_184
; %bb.185:
	s_or_b32 exec_lo, exec_lo, s5
.LBB50_186:
	s_or_b32 exec_lo, exec_lo, s59
	v_mov_b32_e32 v17, 0
	ds_read_b128 v[17:20], v17 offset:432
	s_waitcnt lgkmcnt(0)
	v_mul_f64 v[21:22], v[3:4], v[19:20]
	v_mul_f64 v[19:20], v[1:2], v[19:20]
	v_fma_f64 v[1:2], v[1:2], v[17:18], -v[21:22]
	v_fma_f64 v[3:4], v[3:4], v[17:18], v[19:20]
	buffer_store_dword v2, off, s[0:3], 0 offset:436
	buffer_store_dword v1, off, s[0:3], 0 offset:432
	buffer_store_dword v4, off, s[0:3], 0 offset:444
	buffer_store_dword v3, off, s[0:3], 0 offset:440
.LBB50_187:
	s_or_b32 exec_lo, exec_lo, s8
	v_mov_b32_e32 v4, s31
	v_cmp_lt_u32_e64 s5, 26, v0
	s_clause 0x3
	buffer_load_dword v1, v4, s[0:3], 0 offen
	buffer_load_dword v2, v4, s[0:3], 0 offen offset:4
	buffer_load_dword v3, v4, s[0:3], 0 offen offset:8
	;; [unrolled: 1-line block ×3, first 2 shown]
	s_waitcnt vmcnt(0)
	ds_write_b128 v16, v[1:4]
	s_waitcnt lgkmcnt(0)
	s_waitcnt_vscnt null, 0x0
	s_barrier
	buffer_gl0_inv
	s_and_saveexec_b32 s8, s5
	s_cbranch_execz .LBB50_195
; %bb.188:
	ds_read_b128 v[1:4], v16
	s_andn2_b32 vcc_lo, exec_lo, s58
	s_cbranch_vccnz .LBB50_190
; %bb.189:
	s_clause 0x3
	buffer_load_dword v17, v15, s[0:3], 0 offen offset:8
	buffer_load_dword v18, v15, s[0:3], 0 offen offset:12
	buffer_load_dword v19, v15, s[0:3], 0 offen
	buffer_load_dword v20, v15, s[0:3], 0 offen offset:4
	s_waitcnt vmcnt(2) lgkmcnt(0)
	v_mul_f64 v[21:22], v[3:4], v[17:18]
	v_mul_f64 v[17:18], v[1:2], v[17:18]
	s_waitcnt vmcnt(0)
	v_fma_f64 v[1:2], v[1:2], v[19:20], -v[21:22]
	v_fma_f64 v[3:4], v[3:4], v[19:20], v[17:18]
.LBB50_190:
	s_and_saveexec_b32 s59, s4
	s_cbranch_execz .LBB50_194
; %bb.191:
	v_subrev_nc_u32_e32 v17, 27, v0
	s_movk_i32 s60, 0x4e0
	s_mov_b32 s4, 0
	s_mov_b32 s61, s30
	.p2align	6
.LBB50_192:                             ; =>This Inner Loop Header: Depth=1
	v_mov_b32_e32 v18, s61
	v_add_nc_u32_e32 v17, -1, v17
	s_add_i32 s61, s61, 16
	s_clause 0x3
	buffer_load_dword v22, v18, s[0:3], 0 offen offset:8
	buffer_load_dword v23, v18, s[0:3], 0 offen offset:12
	buffer_load_dword v118, v18, s[0:3], 0 offen
	buffer_load_dword v119, v18, s[0:3], 0 offen offset:4
	v_mov_b32_e32 v18, s60
	v_cmp_eq_u32_e32 vcc_lo, 0, v17
	s_add_i32 s60, s60, 16
	ds_read_b128 v[18:21], v18
	s_or_b32 s4, vcc_lo, s4
	s_waitcnt vmcnt(2) lgkmcnt(0)
	v_mul_f64 v[120:121], v[20:21], v[22:23]
	v_mul_f64 v[22:23], v[18:19], v[22:23]
	s_waitcnt vmcnt(0)
	v_fma_f64 v[18:19], v[18:19], v[118:119], -v[120:121]
	v_fma_f64 v[20:21], v[20:21], v[118:119], v[22:23]
	v_add_f64 v[1:2], v[1:2], v[18:19]
	v_add_f64 v[3:4], v[3:4], v[20:21]
	s_andn2_b32 exec_lo, exec_lo, s4
	s_cbranch_execnz .LBB50_192
; %bb.193:
	s_or_b32 exec_lo, exec_lo, s4
.LBB50_194:
	s_or_b32 exec_lo, exec_lo, s59
	v_mov_b32_e32 v17, 0
	ds_read_b128 v[17:20], v17 offset:416
	s_waitcnt lgkmcnt(0)
	v_mul_f64 v[21:22], v[3:4], v[19:20]
	v_mul_f64 v[19:20], v[1:2], v[19:20]
	v_fma_f64 v[1:2], v[1:2], v[17:18], -v[21:22]
	v_fma_f64 v[3:4], v[3:4], v[17:18], v[19:20]
	buffer_store_dword v2, off, s[0:3], 0 offset:420
	buffer_store_dword v1, off, s[0:3], 0 offset:416
	buffer_store_dword v4, off, s[0:3], 0 offset:428
	buffer_store_dword v3, off, s[0:3], 0 offset:424
.LBB50_195:
	s_or_b32 exec_lo, exec_lo, s8
	v_mov_b32_e32 v4, s33
	v_cmp_lt_u32_e64 s4, 25, v0
	s_clause 0x3
	buffer_load_dword v1, v4, s[0:3], 0 offen
	buffer_load_dword v2, v4, s[0:3], 0 offen offset:4
	buffer_load_dword v3, v4, s[0:3], 0 offen offset:8
	buffer_load_dword v4, v4, s[0:3], 0 offen offset:12
	s_waitcnt vmcnt(0)
	ds_write_b128 v16, v[1:4]
	s_waitcnt lgkmcnt(0)
	s_waitcnt_vscnt null, 0x0
	s_barrier
	buffer_gl0_inv
	s_and_saveexec_b32 s8, s4
	s_cbranch_execz .LBB50_203
; %bb.196:
	ds_read_b128 v[1:4], v16
	s_andn2_b32 vcc_lo, exec_lo, s58
	s_cbranch_vccnz .LBB50_198
; %bb.197:
	s_clause 0x3
	buffer_load_dword v17, v15, s[0:3], 0 offen offset:8
	buffer_load_dword v18, v15, s[0:3], 0 offen offset:12
	buffer_load_dword v19, v15, s[0:3], 0 offen
	buffer_load_dword v20, v15, s[0:3], 0 offen offset:4
	s_waitcnt vmcnt(2) lgkmcnt(0)
	v_mul_f64 v[21:22], v[3:4], v[17:18]
	v_mul_f64 v[17:18], v[1:2], v[17:18]
	s_waitcnt vmcnt(0)
	v_fma_f64 v[1:2], v[1:2], v[19:20], -v[21:22]
	v_fma_f64 v[3:4], v[3:4], v[19:20], v[17:18]
.LBB50_198:
	s_and_saveexec_b32 s59, s5
	s_cbranch_execz .LBB50_202
; %bb.199:
	v_subrev_nc_u32_e32 v17, 26, v0
	s_movk_i32 s60, 0x4d0
	s_mov_b32 s5, 0
	s_mov_b32 s61, s31
	.p2align	6
.LBB50_200:                             ; =>This Inner Loop Header: Depth=1
	v_mov_b32_e32 v18, s61
	v_add_nc_u32_e32 v17, -1, v17
	s_add_i32 s61, s61, 16
	s_clause 0x3
	buffer_load_dword v22, v18, s[0:3], 0 offen offset:8
	buffer_load_dword v23, v18, s[0:3], 0 offen offset:12
	buffer_load_dword v118, v18, s[0:3], 0 offen
	buffer_load_dword v119, v18, s[0:3], 0 offen offset:4
	v_mov_b32_e32 v18, s60
	v_cmp_eq_u32_e32 vcc_lo, 0, v17
	s_add_i32 s60, s60, 16
	ds_read_b128 v[18:21], v18
	s_or_b32 s5, vcc_lo, s5
	s_waitcnt vmcnt(2) lgkmcnt(0)
	v_mul_f64 v[120:121], v[20:21], v[22:23]
	v_mul_f64 v[22:23], v[18:19], v[22:23]
	s_waitcnt vmcnt(0)
	v_fma_f64 v[18:19], v[18:19], v[118:119], -v[120:121]
	v_fma_f64 v[20:21], v[20:21], v[118:119], v[22:23]
	v_add_f64 v[1:2], v[1:2], v[18:19]
	v_add_f64 v[3:4], v[3:4], v[20:21]
	s_andn2_b32 exec_lo, exec_lo, s5
	s_cbranch_execnz .LBB50_200
; %bb.201:
	s_or_b32 exec_lo, exec_lo, s5
.LBB50_202:
	s_or_b32 exec_lo, exec_lo, s59
	v_mov_b32_e32 v17, 0
	ds_read_b128 v[17:20], v17 offset:400
	s_waitcnt lgkmcnt(0)
	v_mul_f64 v[21:22], v[3:4], v[19:20]
	v_mul_f64 v[19:20], v[1:2], v[19:20]
	v_fma_f64 v[1:2], v[1:2], v[17:18], -v[21:22]
	v_fma_f64 v[3:4], v[3:4], v[17:18], v[19:20]
	buffer_store_dword v2, off, s[0:3], 0 offset:404
	buffer_store_dword v1, off, s[0:3], 0 offset:400
	;; [unrolled: 1-line block ×4, first 2 shown]
.LBB50_203:
	s_or_b32 exec_lo, exec_lo, s8
	v_mov_b32_e32 v4, s34
	v_cmp_lt_u32_e64 s5, 24, v0
	s_clause 0x3
	buffer_load_dword v1, v4, s[0:3], 0 offen
	buffer_load_dword v2, v4, s[0:3], 0 offen offset:4
	buffer_load_dword v3, v4, s[0:3], 0 offen offset:8
	;; [unrolled: 1-line block ×3, first 2 shown]
	s_waitcnt vmcnt(0)
	ds_write_b128 v16, v[1:4]
	s_waitcnt lgkmcnt(0)
	s_waitcnt_vscnt null, 0x0
	s_barrier
	buffer_gl0_inv
	s_and_saveexec_b32 s8, s5
	s_cbranch_execz .LBB50_211
; %bb.204:
	ds_read_b128 v[1:4], v16
	s_andn2_b32 vcc_lo, exec_lo, s58
	s_cbranch_vccnz .LBB50_206
; %bb.205:
	s_clause 0x3
	buffer_load_dword v17, v15, s[0:3], 0 offen offset:8
	buffer_load_dword v18, v15, s[0:3], 0 offen offset:12
	buffer_load_dword v19, v15, s[0:3], 0 offen
	buffer_load_dword v20, v15, s[0:3], 0 offen offset:4
	s_waitcnt vmcnt(2) lgkmcnt(0)
	v_mul_f64 v[21:22], v[3:4], v[17:18]
	v_mul_f64 v[17:18], v[1:2], v[17:18]
	s_waitcnt vmcnt(0)
	v_fma_f64 v[1:2], v[1:2], v[19:20], -v[21:22]
	v_fma_f64 v[3:4], v[3:4], v[19:20], v[17:18]
.LBB50_206:
	s_and_saveexec_b32 s59, s4
	s_cbranch_execz .LBB50_210
; %bb.207:
	v_subrev_nc_u32_e32 v17, 25, v0
	s_movk_i32 s60, 0x4c0
	s_mov_b32 s4, 0
	s_mov_b32 s61, s33
	.p2align	6
.LBB50_208:                             ; =>This Inner Loop Header: Depth=1
	v_mov_b32_e32 v18, s61
	v_add_nc_u32_e32 v17, -1, v17
	s_add_i32 s61, s61, 16
	s_clause 0x3
	buffer_load_dword v22, v18, s[0:3], 0 offen offset:8
	buffer_load_dword v23, v18, s[0:3], 0 offen offset:12
	buffer_load_dword v118, v18, s[0:3], 0 offen
	buffer_load_dword v119, v18, s[0:3], 0 offen offset:4
	v_mov_b32_e32 v18, s60
	v_cmp_eq_u32_e32 vcc_lo, 0, v17
	s_add_i32 s60, s60, 16
	ds_read_b128 v[18:21], v18
	s_or_b32 s4, vcc_lo, s4
	s_waitcnt vmcnt(2) lgkmcnt(0)
	v_mul_f64 v[120:121], v[20:21], v[22:23]
	v_mul_f64 v[22:23], v[18:19], v[22:23]
	s_waitcnt vmcnt(0)
	v_fma_f64 v[18:19], v[18:19], v[118:119], -v[120:121]
	v_fma_f64 v[20:21], v[20:21], v[118:119], v[22:23]
	v_add_f64 v[1:2], v[1:2], v[18:19]
	v_add_f64 v[3:4], v[3:4], v[20:21]
	s_andn2_b32 exec_lo, exec_lo, s4
	s_cbranch_execnz .LBB50_208
; %bb.209:
	s_or_b32 exec_lo, exec_lo, s4
.LBB50_210:
	s_or_b32 exec_lo, exec_lo, s59
	v_mov_b32_e32 v17, 0
	ds_read_b128 v[17:20], v17 offset:384
	s_waitcnt lgkmcnt(0)
	v_mul_f64 v[21:22], v[3:4], v[19:20]
	v_mul_f64 v[19:20], v[1:2], v[19:20]
	v_fma_f64 v[1:2], v[1:2], v[17:18], -v[21:22]
	v_fma_f64 v[3:4], v[3:4], v[17:18], v[19:20]
	buffer_store_dword v2, off, s[0:3], 0 offset:388
	buffer_store_dword v1, off, s[0:3], 0 offset:384
	;; [unrolled: 1-line block ×4, first 2 shown]
.LBB50_211:
	s_or_b32 exec_lo, exec_lo, s8
	v_mov_b32_e32 v4, s35
	v_cmp_lt_u32_e64 s4, 23, v0
	s_clause 0x3
	buffer_load_dword v1, v4, s[0:3], 0 offen
	buffer_load_dword v2, v4, s[0:3], 0 offen offset:4
	buffer_load_dword v3, v4, s[0:3], 0 offen offset:8
	;; [unrolled: 1-line block ×3, first 2 shown]
	s_waitcnt vmcnt(0)
	ds_write_b128 v16, v[1:4]
	s_waitcnt lgkmcnt(0)
	s_waitcnt_vscnt null, 0x0
	s_barrier
	buffer_gl0_inv
	s_and_saveexec_b32 s8, s4
	s_cbranch_execz .LBB50_219
; %bb.212:
	ds_read_b128 v[1:4], v16
	s_andn2_b32 vcc_lo, exec_lo, s58
	s_cbranch_vccnz .LBB50_214
; %bb.213:
	s_clause 0x3
	buffer_load_dword v17, v15, s[0:3], 0 offen offset:8
	buffer_load_dword v18, v15, s[0:3], 0 offen offset:12
	buffer_load_dword v19, v15, s[0:3], 0 offen
	buffer_load_dword v20, v15, s[0:3], 0 offen offset:4
	s_waitcnt vmcnt(2) lgkmcnt(0)
	v_mul_f64 v[21:22], v[3:4], v[17:18]
	v_mul_f64 v[17:18], v[1:2], v[17:18]
	s_waitcnt vmcnt(0)
	v_fma_f64 v[1:2], v[1:2], v[19:20], -v[21:22]
	v_fma_f64 v[3:4], v[3:4], v[19:20], v[17:18]
.LBB50_214:
	s_and_saveexec_b32 s59, s5
	s_cbranch_execz .LBB50_218
; %bb.215:
	v_subrev_nc_u32_e32 v17, 24, v0
	s_movk_i32 s60, 0x4b0
	s_mov_b32 s5, 0
	s_mov_b32 s61, s34
	.p2align	6
.LBB50_216:                             ; =>This Inner Loop Header: Depth=1
	v_mov_b32_e32 v18, s61
	v_add_nc_u32_e32 v17, -1, v17
	s_add_i32 s61, s61, 16
	s_clause 0x3
	buffer_load_dword v22, v18, s[0:3], 0 offen offset:8
	buffer_load_dword v23, v18, s[0:3], 0 offen offset:12
	buffer_load_dword v118, v18, s[0:3], 0 offen
	buffer_load_dword v119, v18, s[0:3], 0 offen offset:4
	v_mov_b32_e32 v18, s60
	v_cmp_eq_u32_e32 vcc_lo, 0, v17
	s_add_i32 s60, s60, 16
	ds_read_b128 v[18:21], v18
	s_or_b32 s5, vcc_lo, s5
	s_waitcnt vmcnt(2) lgkmcnt(0)
	v_mul_f64 v[120:121], v[20:21], v[22:23]
	v_mul_f64 v[22:23], v[18:19], v[22:23]
	s_waitcnt vmcnt(0)
	v_fma_f64 v[18:19], v[18:19], v[118:119], -v[120:121]
	v_fma_f64 v[20:21], v[20:21], v[118:119], v[22:23]
	v_add_f64 v[1:2], v[1:2], v[18:19]
	v_add_f64 v[3:4], v[3:4], v[20:21]
	s_andn2_b32 exec_lo, exec_lo, s5
	s_cbranch_execnz .LBB50_216
; %bb.217:
	s_or_b32 exec_lo, exec_lo, s5
.LBB50_218:
	s_or_b32 exec_lo, exec_lo, s59
	v_mov_b32_e32 v17, 0
	ds_read_b128 v[17:20], v17 offset:368
	s_waitcnt lgkmcnt(0)
	v_mul_f64 v[21:22], v[3:4], v[19:20]
	v_mul_f64 v[19:20], v[1:2], v[19:20]
	v_fma_f64 v[1:2], v[1:2], v[17:18], -v[21:22]
	v_fma_f64 v[3:4], v[3:4], v[17:18], v[19:20]
	buffer_store_dword v2, off, s[0:3], 0 offset:372
	buffer_store_dword v1, off, s[0:3], 0 offset:368
	;; [unrolled: 1-line block ×4, first 2 shown]
.LBB50_219:
	s_or_b32 exec_lo, exec_lo, s8
	v_mov_b32_e32 v4, s36
	v_cmp_lt_u32_e64 s5, 22, v0
	s_clause 0x3
	buffer_load_dword v1, v4, s[0:3], 0 offen
	buffer_load_dword v2, v4, s[0:3], 0 offen offset:4
	buffer_load_dword v3, v4, s[0:3], 0 offen offset:8
	;; [unrolled: 1-line block ×3, first 2 shown]
	s_waitcnt vmcnt(0)
	ds_write_b128 v16, v[1:4]
	s_waitcnt lgkmcnt(0)
	s_waitcnt_vscnt null, 0x0
	s_barrier
	buffer_gl0_inv
	s_and_saveexec_b32 s8, s5
	s_cbranch_execz .LBB50_227
; %bb.220:
	ds_read_b128 v[1:4], v16
	s_andn2_b32 vcc_lo, exec_lo, s58
	s_cbranch_vccnz .LBB50_222
; %bb.221:
	s_clause 0x3
	buffer_load_dword v17, v15, s[0:3], 0 offen offset:8
	buffer_load_dword v18, v15, s[0:3], 0 offen offset:12
	buffer_load_dword v19, v15, s[0:3], 0 offen
	buffer_load_dword v20, v15, s[0:3], 0 offen offset:4
	s_waitcnt vmcnt(2) lgkmcnt(0)
	v_mul_f64 v[21:22], v[3:4], v[17:18]
	v_mul_f64 v[17:18], v[1:2], v[17:18]
	s_waitcnt vmcnt(0)
	v_fma_f64 v[1:2], v[1:2], v[19:20], -v[21:22]
	v_fma_f64 v[3:4], v[3:4], v[19:20], v[17:18]
.LBB50_222:
	s_and_saveexec_b32 s59, s4
	s_cbranch_execz .LBB50_226
; %bb.223:
	v_subrev_nc_u32_e32 v17, 23, v0
	s_movk_i32 s60, 0x4a0
	s_mov_b32 s4, 0
	s_mov_b32 s61, s35
	.p2align	6
.LBB50_224:                             ; =>This Inner Loop Header: Depth=1
	v_mov_b32_e32 v18, s61
	v_add_nc_u32_e32 v17, -1, v17
	s_add_i32 s61, s61, 16
	s_clause 0x3
	buffer_load_dword v22, v18, s[0:3], 0 offen offset:8
	buffer_load_dword v23, v18, s[0:3], 0 offen offset:12
	buffer_load_dword v118, v18, s[0:3], 0 offen
	buffer_load_dword v119, v18, s[0:3], 0 offen offset:4
	v_mov_b32_e32 v18, s60
	v_cmp_eq_u32_e32 vcc_lo, 0, v17
	s_add_i32 s60, s60, 16
	ds_read_b128 v[18:21], v18
	s_or_b32 s4, vcc_lo, s4
	s_waitcnt vmcnt(2) lgkmcnt(0)
	v_mul_f64 v[120:121], v[20:21], v[22:23]
	v_mul_f64 v[22:23], v[18:19], v[22:23]
	s_waitcnt vmcnt(0)
	v_fma_f64 v[18:19], v[18:19], v[118:119], -v[120:121]
	v_fma_f64 v[20:21], v[20:21], v[118:119], v[22:23]
	v_add_f64 v[1:2], v[1:2], v[18:19]
	v_add_f64 v[3:4], v[3:4], v[20:21]
	s_andn2_b32 exec_lo, exec_lo, s4
	s_cbranch_execnz .LBB50_224
; %bb.225:
	s_or_b32 exec_lo, exec_lo, s4
.LBB50_226:
	s_or_b32 exec_lo, exec_lo, s59
	v_mov_b32_e32 v17, 0
	ds_read_b128 v[17:20], v17 offset:352
	s_waitcnt lgkmcnt(0)
	v_mul_f64 v[21:22], v[3:4], v[19:20]
	v_mul_f64 v[19:20], v[1:2], v[19:20]
	v_fma_f64 v[1:2], v[1:2], v[17:18], -v[21:22]
	v_fma_f64 v[3:4], v[3:4], v[17:18], v[19:20]
	buffer_store_dword v2, off, s[0:3], 0 offset:356
	buffer_store_dword v1, off, s[0:3], 0 offset:352
	;; [unrolled: 1-line block ×4, first 2 shown]
.LBB50_227:
	s_or_b32 exec_lo, exec_lo, s8
	v_mov_b32_e32 v4, s37
	v_cmp_lt_u32_e64 s4, 21, v0
	s_clause 0x3
	buffer_load_dword v1, v4, s[0:3], 0 offen
	buffer_load_dword v2, v4, s[0:3], 0 offen offset:4
	buffer_load_dword v3, v4, s[0:3], 0 offen offset:8
	;; [unrolled: 1-line block ×3, first 2 shown]
	s_waitcnt vmcnt(0)
	ds_write_b128 v16, v[1:4]
	s_waitcnt lgkmcnt(0)
	s_waitcnt_vscnt null, 0x0
	s_barrier
	buffer_gl0_inv
	s_and_saveexec_b32 s8, s4
	s_cbranch_execz .LBB50_235
; %bb.228:
	ds_read_b128 v[1:4], v16
	s_andn2_b32 vcc_lo, exec_lo, s58
	s_cbranch_vccnz .LBB50_230
; %bb.229:
	s_clause 0x3
	buffer_load_dword v17, v15, s[0:3], 0 offen offset:8
	buffer_load_dword v18, v15, s[0:3], 0 offen offset:12
	buffer_load_dword v19, v15, s[0:3], 0 offen
	buffer_load_dword v20, v15, s[0:3], 0 offen offset:4
	s_waitcnt vmcnt(2) lgkmcnt(0)
	v_mul_f64 v[21:22], v[3:4], v[17:18]
	v_mul_f64 v[17:18], v[1:2], v[17:18]
	s_waitcnt vmcnt(0)
	v_fma_f64 v[1:2], v[1:2], v[19:20], -v[21:22]
	v_fma_f64 v[3:4], v[3:4], v[19:20], v[17:18]
.LBB50_230:
	s_and_saveexec_b32 s59, s5
	s_cbranch_execz .LBB50_234
; %bb.231:
	v_subrev_nc_u32_e32 v17, 22, v0
	s_movk_i32 s60, 0x490
	s_mov_b32 s5, 0
	s_mov_b32 s61, s36
	.p2align	6
.LBB50_232:                             ; =>This Inner Loop Header: Depth=1
	v_mov_b32_e32 v18, s61
	v_add_nc_u32_e32 v17, -1, v17
	s_add_i32 s61, s61, 16
	s_clause 0x3
	buffer_load_dword v22, v18, s[0:3], 0 offen offset:8
	buffer_load_dword v23, v18, s[0:3], 0 offen offset:12
	buffer_load_dword v118, v18, s[0:3], 0 offen
	buffer_load_dword v119, v18, s[0:3], 0 offen offset:4
	v_mov_b32_e32 v18, s60
	v_cmp_eq_u32_e32 vcc_lo, 0, v17
	s_add_i32 s60, s60, 16
	ds_read_b128 v[18:21], v18
	s_or_b32 s5, vcc_lo, s5
	s_waitcnt vmcnt(2) lgkmcnt(0)
	v_mul_f64 v[120:121], v[20:21], v[22:23]
	v_mul_f64 v[22:23], v[18:19], v[22:23]
	s_waitcnt vmcnt(0)
	v_fma_f64 v[18:19], v[18:19], v[118:119], -v[120:121]
	v_fma_f64 v[20:21], v[20:21], v[118:119], v[22:23]
	v_add_f64 v[1:2], v[1:2], v[18:19]
	v_add_f64 v[3:4], v[3:4], v[20:21]
	s_andn2_b32 exec_lo, exec_lo, s5
	s_cbranch_execnz .LBB50_232
; %bb.233:
	s_or_b32 exec_lo, exec_lo, s5
.LBB50_234:
	s_or_b32 exec_lo, exec_lo, s59
	v_mov_b32_e32 v17, 0
	ds_read_b128 v[17:20], v17 offset:336
	s_waitcnt lgkmcnt(0)
	v_mul_f64 v[21:22], v[3:4], v[19:20]
	v_mul_f64 v[19:20], v[1:2], v[19:20]
	v_fma_f64 v[1:2], v[1:2], v[17:18], -v[21:22]
	v_fma_f64 v[3:4], v[3:4], v[17:18], v[19:20]
	buffer_store_dword v2, off, s[0:3], 0 offset:340
	buffer_store_dword v1, off, s[0:3], 0 offset:336
	;; [unrolled: 1-line block ×4, first 2 shown]
.LBB50_235:
	s_or_b32 exec_lo, exec_lo, s8
	v_mov_b32_e32 v4, s38
	v_cmp_lt_u32_e64 s5, 20, v0
	s_clause 0x3
	buffer_load_dword v1, v4, s[0:3], 0 offen
	buffer_load_dword v2, v4, s[0:3], 0 offen offset:4
	buffer_load_dword v3, v4, s[0:3], 0 offen offset:8
	;; [unrolled: 1-line block ×3, first 2 shown]
	s_waitcnt vmcnt(0)
	ds_write_b128 v16, v[1:4]
	s_waitcnt lgkmcnt(0)
	s_waitcnt_vscnt null, 0x0
	s_barrier
	buffer_gl0_inv
	s_and_saveexec_b32 s8, s5
	s_cbranch_execz .LBB50_243
; %bb.236:
	ds_read_b128 v[1:4], v16
	s_andn2_b32 vcc_lo, exec_lo, s58
	s_cbranch_vccnz .LBB50_238
; %bb.237:
	s_clause 0x3
	buffer_load_dword v17, v15, s[0:3], 0 offen offset:8
	buffer_load_dword v18, v15, s[0:3], 0 offen offset:12
	buffer_load_dword v19, v15, s[0:3], 0 offen
	buffer_load_dword v20, v15, s[0:3], 0 offen offset:4
	s_waitcnt vmcnt(2) lgkmcnt(0)
	v_mul_f64 v[21:22], v[3:4], v[17:18]
	v_mul_f64 v[17:18], v[1:2], v[17:18]
	s_waitcnt vmcnt(0)
	v_fma_f64 v[1:2], v[1:2], v[19:20], -v[21:22]
	v_fma_f64 v[3:4], v[3:4], v[19:20], v[17:18]
.LBB50_238:
	s_and_saveexec_b32 s59, s4
	s_cbranch_execz .LBB50_242
; %bb.239:
	v_subrev_nc_u32_e32 v17, 21, v0
	s_movk_i32 s60, 0x480
	s_mov_b32 s4, 0
	s_mov_b32 s61, s37
	.p2align	6
.LBB50_240:                             ; =>This Inner Loop Header: Depth=1
	v_mov_b32_e32 v18, s61
	v_add_nc_u32_e32 v17, -1, v17
	s_add_i32 s61, s61, 16
	s_clause 0x3
	buffer_load_dword v22, v18, s[0:3], 0 offen offset:8
	buffer_load_dword v23, v18, s[0:3], 0 offen offset:12
	buffer_load_dword v118, v18, s[0:3], 0 offen
	buffer_load_dword v119, v18, s[0:3], 0 offen offset:4
	v_mov_b32_e32 v18, s60
	v_cmp_eq_u32_e32 vcc_lo, 0, v17
	s_add_i32 s60, s60, 16
	ds_read_b128 v[18:21], v18
	s_or_b32 s4, vcc_lo, s4
	s_waitcnt vmcnt(2) lgkmcnt(0)
	v_mul_f64 v[120:121], v[20:21], v[22:23]
	v_mul_f64 v[22:23], v[18:19], v[22:23]
	s_waitcnt vmcnt(0)
	v_fma_f64 v[18:19], v[18:19], v[118:119], -v[120:121]
	v_fma_f64 v[20:21], v[20:21], v[118:119], v[22:23]
	v_add_f64 v[1:2], v[1:2], v[18:19]
	v_add_f64 v[3:4], v[3:4], v[20:21]
	s_andn2_b32 exec_lo, exec_lo, s4
	s_cbranch_execnz .LBB50_240
; %bb.241:
	s_or_b32 exec_lo, exec_lo, s4
.LBB50_242:
	s_or_b32 exec_lo, exec_lo, s59
	v_mov_b32_e32 v17, 0
	ds_read_b128 v[17:20], v17 offset:320
	s_waitcnt lgkmcnt(0)
	v_mul_f64 v[21:22], v[3:4], v[19:20]
	v_mul_f64 v[19:20], v[1:2], v[19:20]
	v_fma_f64 v[1:2], v[1:2], v[17:18], -v[21:22]
	v_fma_f64 v[3:4], v[3:4], v[17:18], v[19:20]
	buffer_store_dword v2, off, s[0:3], 0 offset:324
	buffer_store_dword v1, off, s[0:3], 0 offset:320
	;; [unrolled: 1-line block ×4, first 2 shown]
.LBB50_243:
	s_or_b32 exec_lo, exec_lo, s8
	v_mov_b32_e32 v4, s39
	v_cmp_lt_u32_e64 s4, 19, v0
	s_clause 0x3
	buffer_load_dword v1, v4, s[0:3], 0 offen
	buffer_load_dword v2, v4, s[0:3], 0 offen offset:4
	buffer_load_dword v3, v4, s[0:3], 0 offen offset:8
	buffer_load_dword v4, v4, s[0:3], 0 offen offset:12
	s_waitcnt vmcnt(0)
	ds_write_b128 v16, v[1:4]
	s_waitcnt lgkmcnt(0)
	s_waitcnt_vscnt null, 0x0
	s_barrier
	buffer_gl0_inv
	s_and_saveexec_b32 s8, s4
	s_cbranch_execz .LBB50_251
; %bb.244:
	ds_read_b128 v[1:4], v16
	s_andn2_b32 vcc_lo, exec_lo, s58
	s_cbranch_vccnz .LBB50_246
; %bb.245:
	s_clause 0x3
	buffer_load_dword v17, v15, s[0:3], 0 offen offset:8
	buffer_load_dword v18, v15, s[0:3], 0 offen offset:12
	buffer_load_dword v19, v15, s[0:3], 0 offen
	buffer_load_dword v20, v15, s[0:3], 0 offen offset:4
	s_waitcnt vmcnt(2) lgkmcnt(0)
	v_mul_f64 v[21:22], v[3:4], v[17:18]
	v_mul_f64 v[17:18], v[1:2], v[17:18]
	s_waitcnt vmcnt(0)
	v_fma_f64 v[1:2], v[1:2], v[19:20], -v[21:22]
	v_fma_f64 v[3:4], v[3:4], v[19:20], v[17:18]
.LBB50_246:
	s_and_saveexec_b32 s59, s5
	s_cbranch_execz .LBB50_250
; %bb.247:
	v_subrev_nc_u32_e32 v17, 20, v0
	s_movk_i32 s60, 0x470
	s_mov_b32 s5, 0
	s_mov_b32 s61, s38
	.p2align	6
.LBB50_248:                             ; =>This Inner Loop Header: Depth=1
	v_mov_b32_e32 v18, s61
	v_add_nc_u32_e32 v17, -1, v17
	s_add_i32 s61, s61, 16
	s_clause 0x3
	buffer_load_dword v22, v18, s[0:3], 0 offen offset:8
	buffer_load_dword v23, v18, s[0:3], 0 offen offset:12
	buffer_load_dword v118, v18, s[0:3], 0 offen
	buffer_load_dword v119, v18, s[0:3], 0 offen offset:4
	v_mov_b32_e32 v18, s60
	v_cmp_eq_u32_e32 vcc_lo, 0, v17
	s_add_i32 s60, s60, 16
	ds_read_b128 v[18:21], v18
	s_or_b32 s5, vcc_lo, s5
	s_waitcnt vmcnt(2) lgkmcnt(0)
	v_mul_f64 v[120:121], v[20:21], v[22:23]
	v_mul_f64 v[22:23], v[18:19], v[22:23]
	s_waitcnt vmcnt(0)
	v_fma_f64 v[18:19], v[18:19], v[118:119], -v[120:121]
	v_fma_f64 v[20:21], v[20:21], v[118:119], v[22:23]
	v_add_f64 v[1:2], v[1:2], v[18:19]
	v_add_f64 v[3:4], v[3:4], v[20:21]
	s_andn2_b32 exec_lo, exec_lo, s5
	s_cbranch_execnz .LBB50_248
; %bb.249:
	s_or_b32 exec_lo, exec_lo, s5
.LBB50_250:
	s_or_b32 exec_lo, exec_lo, s59
	v_mov_b32_e32 v17, 0
	ds_read_b128 v[17:20], v17 offset:304
	s_waitcnt lgkmcnt(0)
	v_mul_f64 v[21:22], v[3:4], v[19:20]
	v_mul_f64 v[19:20], v[1:2], v[19:20]
	v_fma_f64 v[1:2], v[1:2], v[17:18], -v[21:22]
	v_fma_f64 v[3:4], v[3:4], v[17:18], v[19:20]
	buffer_store_dword v2, off, s[0:3], 0 offset:308
	buffer_store_dword v1, off, s[0:3], 0 offset:304
	buffer_store_dword v4, off, s[0:3], 0 offset:316
	buffer_store_dword v3, off, s[0:3], 0 offset:312
.LBB50_251:
	s_or_b32 exec_lo, exec_lo, s8
	v_mov_b32_e32 v4, s40
	v_cmp_lt_u32_e64 s5, 18, v0
	s_clause 0x3
	buffer_load_dword v1, v4, s[0:3], 0 offen
	buffer_load_dword v2, v4, s[0:3], 0 offen offset:4
	buffer_load_dword v3, v4, s[0:3], 0 offen offset:8
	buffer_load_dword v4, v4, s[0:3], 0 offen offset:12
	s_waitcnt vmcnt(0)
	ds_write_b128 v16, v[1:4]
	s_waitcnt lgkmcnt(0)
	s_waitcnt_vscnt null, 0x0
	s_barrier
	buffer_gl0_inv
	s_and_saveexec_b32 s8, s5
	s_cbranch_execz .LBB50_259
; %bb.252:
	ds_read_b128 v[1:4], v16
	s_andn2_b32 vcc_lo, exec_lo, s58
	s_cbranch_vccnz .LBB50_254
; %bb.253:
	s_clause 0x3
	buffer_load_dword v17, v15, s[0:3], 0 offen offset:8
	buffer_load_dword v18, v15, s[0:3], 0 offen offset:12
	buffer_load_dword v19, v15, s[0:3], 0 offen
	buffer_load_dword v20, v15, s[0:3], 0 offen offset:4
	s_waitcnt vmcnt(2) lgkmcnt(0)
	v_mul_f64 v[21:22], v[3:4], v[17:18]
	v_mul_f64 v[17:18], v[1:2], v[17:18]
	s_waitcnt vmcnt(0)
	v_fma_f64 v[1:2], v[1:2], v[19:20], -v[21:22]
	v_fma_f64 v[3:4], v[3:4], v[19:20], v[17:18]
.LBB50_254:
	s_and_saveexec_b32 s59, s4
	s_cbranch_execz .LBB50_258
; %bb.255:
	v_subrev_nc_u32_e32 v17, 19, v0
	s_movk_i32 s60, 0x460
	s_mov_b32 s4, 0
	s_mov_b32 s61, s39
	.p2align	6
.LBB50_256:                             ; =>This Inner Loop Header: Depth=1
	v_mov_b32_e32 v18, s61
	v_add_nc_u32_e32 v17, -1, v17
	s_add_i32 s61, s61, 16
	s_clause 0x3
	buffer_load_dword v22, v18, s[0:3], 0 offen offset:8
	buffer_load_dword v23, v18, s[0:3], 0 offen offset:12
	buffer_load_dword v118, v18, s[0:3], 0 offen
	buffer_load_dword v119, v18, s[0:3], 0 offen offset:4
	v_mov_b32_e32 v18, s60
	v_cmp_eq_u32_e32 vcc_lo, 0, v17
	s_add_i32 s60, s60, 16
	ds_read_b128 v[18:21], v18
	s_or_b32 s4, vcc_lo, s4
	s_waitcnt vmcnt(2) lgkmcnt(0)
	v_mul_f64 v[120:121], v[20:21], v[22:23]
	v_mul_f64 v[22:23], v[18:19], v[22:23]
	s_waitcnt vmcnt(0)
	v_fma_f64 v[18:19], v[18:19], v[118:119], -v[120:121]
	v_fma_f64 v[20:21], v[20:21], v[118:119], v[22:23]
	v_add_f64 v[1:2], v[1:2], v[18:19]
	v_add_f64 v[3:4], v[3:4], v[20:21]
	s_andn2_b32 exec_lo, exec_lo, s4
	s_cbranch_execnz .LBB50_256
; %bb.257:
	s_or_b32 exec_lo, exec_lo, s4
.LBB50_258:
	s_or_b32 exec_lo, exec_lo, s59
	v_mov_b32_e32 v17, 0
	ds_read_b128 v[17:20], v17 offset:288
	s_waitcnt lgkmcnt(0)
	v_mul_f64 v[21:22], v[3:4], v[19:20]
	v_mul_f64 v[19:20], v[1:2], v[19:20]
	v_fma_f64 v[1:2], v[1:2], v[17:18], -v[21:22]
	v_fma_f64 v[3:4], v[3:4], v[17:18], v[19:20]
	buffer_store_dword v2, off, s[0:3], 0 offset:292
	buffer_store_dword v1, off, s[0:3], 0 offset:288
	;; [unrolled: 1-line block ×4, first 2 shown]
.LBB50_259:
	s_or_b32 exec_lo, exec_lo, s8
	v_mov_b32_e32 v4, s41
	v_cmp_lt_u32_e64 s4, 17, v0
	s_clause 0x3
	buffer_load_dword v1, v4, s[0:3], 0 offen
	buffer_load_dword v2, v4, s[0:3], 0 offen offset:4
	buffer_load_dword v3, v4, s[0:3], 0 offen offset:8
	;; [unrolled: 1-line block ×3, first 2 shown]
	s_waitcnt vmcnt(0)
	ds_write_b128 v16, v[1:4]
	s_waitcnt lgkmcnt(0)
	s_waitcnt_vscnt null, 0x0
	s_barrier
	buffer_gl0_inv
	s_and_saveexec_b32 s8, s4
	s_cbranch_execz .LBB50_267
; %bb.260:
	ds_read_b128 v[1:4], v16
	s_andn2_b32 vcc_lo, exec_lo, s58
	s_cbranch_vccnz .LBB50_262
; %bb.261:
	s_clause 0x3
	buffer_load_dword v17, v15, s[0:3], 0 offen offset:8
	buffer_load_dword v18, v15, s[0:3], 0 offen offset:12
	buffer_load_dword v19, v15, s[0:3], 0 offen
	buffer_load_dword v20, v15, s[0:3], 0 offen offset:4
	s_waitcnt vmcnt(2) lgkmcnt(0)
	v_mul_f64 v[21:22], v[3:4], v[17:18]
	v_mul_f64 v[17:18], v[1:2], v[17:18]
	s_waitcnt vmcnt(0)
	v_fma_f64 v[1:2], v[1:2], v[19:20], -v[21:22]
	v_fma_f64 v[3:4], v[3:4], v[19:20], v[17:18]
.LBB50_262:
	s_and_saveexec_b32 s59, s5
	s_cbranch_execz .LBB50_266
; %bb.263:
	v_subrev_nc_u32_e32 v17, 18, v0
	s_movk_i32 s60, 0x450
	s_mov_b32 s5, 0
	s_mov_b32 s61, s40
	.p2align	6
.LBB50_264:                             ; =>This Inner Loop Header: Depth=1
	v_mov_b32_e32 v18, s61
	v_add_nc_u32_e32 v17, -1, v17
	s_add_i32 s61, s61, 16
	s_clause 0x3
	buffer_load_dword v22, v18, s[0:3], 0 offen offset:8
	buffer_load_dword v23, v18, s[0:3], 0 offen offset:12
	buffer_load_dword v118, v18, s[0:3], 0 offen
	buffer_load_dword v119, v18, s[0:3], 0 offen offset:4
	v_mov_b32_e32 v18, s60
	v_cmp_eq_u32_e32 vcc_lo, 0, v17
	s_add_i32 s60, s60, 16
	ds_read_b128 v[18:21], v18
	s_or_b32 s5, vcc_lo, s5
	s_waitcnt vmcnt(2) lgkmcnt(0)
	v_mul_f64 v[120:121], v[20:21], v[22:23]
	v_mul_f64 v[22:23], v[18:19], v[22:23]
	s_waitcnt vmcnt(0)
	v_fma_f64 v[18:19], v[18:19], v[118:119], -v[120:121]
	v_fma_f64 v[20:21], v[20:21], v[118:119], v[22:23]
	v_add_f64 v[1:2], v[1:2], v[18:19]
	v_add_f64 v[3:4], v[3:4], v[20:21]
	s_andn2_b32 exec_lo, exec_lo, s5
	s_cbranch_execnz .LBB50_264
; %bb.265:
	s_or_b32 exec_lo, exec_lo, s5
.LBB50_266:
	s_or_b32 exec_lo, exec_lo, s59
	v_mov_b32_e32 v17, 0
	ds_read_b128 v[17:20], v17 offset:272
	s_waitcnt lgkmcnt(0)
	v_mul_f64 v[21:22], v[3:4], v[19:20]
	v_mul_f64 v[19:20], v[1:2], v[19:20]
	v_fma_f64 v[1:2], v[1:2], v[17:18], -v[21:22]
	v_fma_f64 v[3:4], v[3:4], v[17:18], v[19:20]
	buffer_store_dword v2, off, s[0:3], 0 offset:276
	buffer_store_dword v1, off, s[0:3], 0 offset:272
	;; [unrolled: 1-line block ×4, first 2 shown]
.LBB50_267:
	s_or_b32 exec_lo, exec_lo, s8
	v_mov_b32_e32 v4, s42
	v_cmp_lt_u32_e64 s5, 16, v0
	s_clause 0x3
	buffer_load_dword v1, v4, s[0:3], 0 offen
	buffer_load_dword v2, v4, s[0:3], 0 offen offset:4
	buffer_load_dword v3, v4, s[0:3], 0 offen offset:8
	;; [unrolled: 1-line block ×3, first 2 shown]
	s_waitcnt vmcnt(0)
	ds_write_b128 v16, v[1:4]
	s_waitcnt lgkmcnt(0)
	s_waitcnt_vscnt null, 0x0
	s_barrier
	buffer_gl0_inv
	s_and_saveexec_b32 s8, s5
	s_cbranch_execz .LBB50_275
; %bb.268:
	ds_read_b128 v[1:4], v16
	s_andn2_b32 vcc_lo, exec_lo, s58
	s_cbranch_vccnz .LBB50_270
; %bb.269:
	s_clause 0x3
	buffer_load_dword v17, v15, s[0:3], 0 offen offset:8
	buffer_load_dword v18, v15, s[0:3], 0 offen offset:12
	buffer_load_dword v19, v15, s[0:3], 0 offen
	buffer_load_dword v20, v15, s[0:3], 0 offen offset:4
	s_waitcnt vmcnt(2) lgkmcnt(0)
	v_mul_f64 v[21:22], v[3:4], v[17:18]
	v_mul_f64 v[17:18], v[1:2], v[17:18]
	s_waitcnt vmcnt(0)
	v_fma_f64 v[1:2], v[1:2], v[19:20], -v[21:22]
	v_fma_f64 v[3:4], v[3:4], v[19:20], v[17:18]
.LBB50_270:
	s_and_saveexec_b32 s59, s4
	s_cbranch_execz .LBB50_274
; %bb.271:
	v_subrev_nc_u32_e32 v17, 17, v0
	s_movk_i32 s60, 0x440
	s_mov_b32 s4, 0
	s_mov_b32 s61, s41
	.p2align	6
.LBB50_272:                             ; =>This Inner Loop Header: Depth=1
	v_mov_b32_e32 v18, s61
	v_add_nc_u32_e32 v17, -1, v17
	s_add_i32 s61, s61, 16
	s_clause 0x3
	buffer_load_dword v22, v18, s[0:3], 0 offen offset:8
	buffer_load_dword v23, v18, s[0:3], 0 offen offset:12
	buffer_load_dword v118, v18, s[0:3], 0 offen
	buffer_load_dword v119, v18, s[0:3], 0 offen offset:4
	v_mov_b32_e32 v18, s60
	v_cmp_eq_u32_e32 vcc_lo, 0, v17
	s_add_i32 s60, s60, 16
	ds_read_b128 v[18:21], v18
	s_or_b32 s4, vcc_lo, s4
	s_waitcnt vmcnt(2) lgkmcnt(0)
	v_mul_f64 v[120:121], v[20:21], v[22:23]
	v_mul_f64 v[22:23], v[18:19], v[22:23]
	s_waitcnt vmcnt(0)
	v_fma_f64 v[18:19], v[18:19], v[118:119], -v[120:121]
	v_fma_f64 v[20:21], v[20:21], v[118:119], v[22:23]
	v_add_f64 v[1:2], v[1:2], v[18:19]
	v_add_f64 v[3:4], v[3:4], v[20:21]
	s_andn2_b32 exec_lo, exec_lo, s4
	s_cbranch_execnz .LBB50_272
; %bb.273:
	s_or_b32 exec_lo, exec_lo, s4
.LBB50_274:
	s_or_b32 exec_lo, exec_lo, s59
	v_mov_b32_e32 v17, 0
	ds_read_b128 v[17:20], v17 offset:256
	s_waitcnt lgkmcnt(0)
	v_mul_f64 v[21:22], v[3:4], v[19:20]
	v_mul_f64 v[19:20], v[1:2], v[19:20]
	v_fma_f64 v[1:2], v[1:2], v[17:18], -v[21:22]
	v_fma_f64 v[3:4], v[3:4], v[17:18], v[19:20]
	buffer_store_dword v2, off, s[0:3], 0 offset:260
	buffer_store_dword v1, off, s[0:3], 0 offset:256
	buffer_store_dword v4, off, s[0:3], 0 offset:268
	buffer_store_dword v3, off, s[0:3], 0 offset:264
.LBB50_275:
	s_or_b32 exec_lo, exec_lo, s8
	v_mov_b32_e32 v4, s43
	v_cmp_lt_u32_e64 s4, 15, v0
	s_clause 0x3
	buffer_load_dword v1, v4, s[0:3], 0 offen
	buffer_load_dword v2, v4, s[0:3], 0 offen offset:4
	buffer_load_dword v3, v4, s[0:3], 0 offen offset:8
	;; [unrolled: 1-line block ×3, first 2 shown]
	s_waitcnt vmcnt(0)
	ds_write_b128 v16, v[1:4]
	s_waitcnt lgkmcnt(0)
	s_waitcnt_vscnt null, 0x0
	s_barrier
	buffer_gl0_inv
	s_and_saveexec_b32 s8, s4
	s_cbranch_execz .LBB50_283
; %bb.276:
	ds_read_b128 v[1:4], v16
	s_andn2_b32 vcc_lo, exec_lo, s58
	s_cbranch_vccnz .LBB50_278
; %bb.277:
	s_clause 0x3
	buffer_load_dword v17, v15, s[0:3], 0 offen offset:8
	buffer_load_dword v18, v15, s[0:3], 0 offen offset:12
	buffer_load_dword v19, v15, s[0:3], 0 offen
	buffer_load_dword v20, v15, s[0:3], 0 offen offset:4
	s_waitcnt vmcnt(2) lgkmcnt(0)
	v_mul_f64 v[21:22], v[3:4], v[17:18]
	v_mul_f64 v[17:18], v[1:2], v[17:18]
	s_waitcnt vmcnt(0)
	v_fma_f64 v[1:2], v[1:2], v[19:20], -v[21:22]
	v_fma_f64 v[3:4], v[3:4], v[19:20], v[17:18]
.LBB50_278:
	s_and_saveexec_b32 s59, s5
	s_cbranch_execz .LBB50_282
; %bb.279:
	v_add_nc_u32_e32 v17, -16, v0
	s_movk_i32 s60, 0x430
	s_mov_b32 s5, 0
	s_mov_b32 s61, s42
	.p2align	6
.LBB50_280:                             ; =>This Inner Loop Header: Depth=1
	v_mov_b32_e32 v18, s61
	v_add_nc_u32_e32 v17, -1, v17
	s_add_i32 s61, s61, 16
	s_clause 0x3
	buffer_load_dword v22, v18, s[0:3], 0 offen offset:8
	buffer_load_dword v23, v18, s[0:3], 0 offen offset:12
	buffer_load_dword v118, v18, s[0:3], 0 offen
	buffer_load_dword v119, v18, s[0:3], 0 offen offset:4
	v_mov_b32_e32 v18, s60
	v_cmp_eq_u32_e32 vcc_lo, 0, v17
	s_add_i32 s60, s60, 16
	ds_read_b128 v[18:21], v18
	s_or_b32 s5, vcc_lo, s5
	s_waitcnt vmcnt(2) lgkmcnt(0)
	v_mul_f64 v[120:121], v[20:21], v[22:23]
	v_mul_f64 v[22:23], v[18:19], v[22:23]
	s_waitcnt vmcnt(0)
	v_fma_f64 v[18:19], v[18:19], v[118:119], -v[120:121]
	v_fma_f64 v[20:21], v[20:21], v[118:119], v[22:23]
	v_add_f64 v[1:2], v[1:2], v[18:19]
	v_add_f64 v[3:4], v[3:4], v[20:21]
	s_andn2_b32 exec_lo, exec_lo, s5
	s_cbranch_execnz .LBB50_280
; %bb.281:
	s_or_b32 exec_lo, exec_lo, s5
.LBB50_282:
	s_or_b32 exec_lo, exec_lo, s59
	v_mov_b32_e32 v17, 0
	ds_read_b128 v[17:20], v17 offset:240
	s_waitcnt lgkmcnt(0)
	v_mul_f64 v[21:22], v[3:4], v[19:20]
	v_mul_f64 v[19:20], v[1:2], v[19:20]
	v_fma_f64 v[1:2], v[1:2], v[17:18], -v[21:22]
	v_fma_f64 v[3:4], v[3:4], v[17:18], v[19:20]
	buffer_store_dword v2, off, s[0:3], 0 offset:244
	buffer_store_dword v1, off, s[0:3], 0 offset:240
	buffer_store_dword v4, off, s[0:3], 0 offset:252
	buffer_store_dword v3, off, s[0:3], 0 offset:248
.LBB50_283:
	s_or_b32 exec_lo, exec_lo, s8
	v_mov_b32_e32 v4, s44
	v_cmp_lt_u32_e64 s5, 14, v0
	s_clause 0x3
	buffer_load_dword v1, v4, s[0:3], 0 offen
	buffer_load_dword v2, v4, s[0:3], 0 offen offset:4
	buffer_load_dword v3, v4, s[0:3], 0 offen offset:8
	;; [unrolled: 1-line block ×3, first 2 shown]
	s_waitcnt vmcnt(0)
	ds_write_b128 v16, v[1:4]
	s_waitcnt lgkmcnt(0)
	s_waitcnt_vscnt null, 0x0
	s_barrier
	buffer_gl0_inv
	s_and_saveexec_b32 s8, s5
	s_cbranch_execz .LBB50_291
; %bb.284:
	ds_read_b128 v[1:4], v16
	s_andn2_b32 vcc_lo, exec_lo, s58
	s_cbranch_vccnz .LBB50_286
; %bb.285:
	s_clause 0x3
	buffer_load_dword v17, v15, s[0:3], 0 offen offset:8
	buffer_load_dword v18, v15, s[0:3], 0 offen offset:12
	buffer_load_dword v19, v15, s[0:3], 0 offen
	buffer_load_dword v20, v15, s[0:3], 0 offen offset:4
	s_waitcnt vmcnt(2) lgkmcnt(0)
	v_mul_f64 v[21:22], v[3:4], v[17:18]
	v_mul_f64 v[17:18], v[1:2], v[17:18]
	s_waitcnt vmcnt(0)
	v_fma_f64 v[1:2], v[1:2], v[19:20], -v[21:22]
	v_fma_f64 v[3:4], v[3:4], v[19:20], v[17:18]
.LBB50_286:
	s_and_saveexec_b32 s59, s4
	s_cbranch_execz .LBB50_290
; %bb.287:
	v_add_nc_u32_e32 v17, -15, v0
	s_movk_i32 s60, 0x420
	s_mov_b32 s4, 0
	s_mov_b32 s61, s43
	.p2align	6
.LBB50_288:                             ; =>This Inner Loop Header: Depth=1
	v_mov_b32_e32 v18, s61
	v_add_nc_u32_e32 v17, -1, v17
	s_add_i32 s61, s61, 16
	s_clause 0x3
	buffer_load_dword v22, v18, s[0:3], 0 offen offset:8
	buffer_load_dword v23, v18, s[0:3], 0 offen offset:12
	buffer_load_dword v118, v18, s[0:3], 0 offen
	buffer_load_dword v119, v18, s[0:3], 0 offen offset:4
	v_mov_b32_e32 v18, s60
	v_cmp_eq_u32_e32 vcc_lo, 0, v17
	s_add_i32 s60, s60, 16
	ds_read_b128 v[18:21], v18
	s_or_b32 s4, vcc_lo, s4
	s_waitcnt vmcnt(2) lgkmcnt(0)
	v_mul_f64 v[120:121], v[20:21], v[22:23]
	v_mul_f64 v[22:23], v[18:19], v[22:23]
	s_waitcnt vmcnt(0)
	v_fma_f64 v[18:19], v[18:19], v[118:119], -v[120:121]
	v_fma_f64 v[20:21], v[20:21], v[118:119], v[22:23]
	v_add_f64 v[1:2], v[1:2], v[18:19]
	v_add_f64 v[3:4], v[3:4], v[20:21]
	s_andn2_b32 exec_lo, exec_lo, s4
	s_cbranch_execnz .LBB50_288
; %bb.289:
	s_or_b32 exec_lo, exec_lo, s4
.LBB50_290:
	s_or_b32 exec_lo, exec_lo, s59
	v_mov_b32_e32 v17, 0
	ds_read_b128 v[17:20], v17 offset:224
	s_waitcnt lgkmcnt(0)
	v_mul_f64 v[21:22], v[3:4], v[19:20]
	v_mul_f64 v[19:20], v[1:2], v[19:20]
	v_fma_f64 v[1:2], v[1:2], v[17:18], -v[21:22]
	v_fma_f64 v[3:4], v[3:4], v[17:18], v[19:20]
	buffer_store_dword v2, off, s[0:3], 0 offset:228
	buffer_store_dword v1, off, s[0:3], 0 offset:224
	;; [unrolled: 1-line block ×4, first 2 shown]
.LBB50_291:
	s_or_b32 exec_lo, exec_lo, s8
	v_mov_b32_e32 v4, s45
	v_cmp_lt_u32_e64 s4, 13, v0
	s_clause 0x3
	buffer_load_dword v1, v4, s[0:3], 0 offen
	buffer_load_dword v2, v4, s[0:3], 0 offen offset:4
	buffer_load_dword v3, v4, s[0:3], 0 offen offset:8
	;; [unrolled: 1-line block ×3, first 2 shown]
	s_waitcnt vmcnt(0)
	ds_write_b128 v16, v[1:4]
	s_waitcnt lgkmcnt(0)
	s_waitcnt_vscnt null, 0x0
	s_barrier
	buffer_gl0_inv
	s_and_saveexec_b32 s8, s4
	s_cbranch_execz .LBB50_299
; %bb.292:
	ds_read_b128 v[1:4], v16
	s_andn2_b32 vcc_lo, exec_lo, s58
	s_cbranch_vccnz .LBB50_294
; %bb.293:
	s_clause 0x3
	buffer_load_dword v17, v15, s[0:3], 0 offen offset:8
	buffer_load_dword v18, v15, s[0:3], 0 offen offset:12
	buffer_load_dword v19, v15, s[0:3], 0 offen
	buffer_load_dword v20, v15, s[0:3], 0 offen offset:4
	s_waitcnt vmcnt(2) lgkmcnt(0)
	v_mul_f64 v[21:22], v[3:4], v[17:18]
	v_mul_f64 v[17:18], v[1:2], v[17:18]
	s_waitcnt vmcnt(0)
	v_fma_f64 v[1:2], v[1:2], v[19:20], -v[21:22]
	v_fma_f64 v[3:4], v[3:4], v[19:20], v[17:18]
.LBB50_294:
	s_and_saveexec_b32 s59, s5
	s_cbranch_execz .LBB50_298
; %bb.295:
	v_add_nc_u32_e32 v17, -14, v0
	s_movk_i32 s60, 0x410
	s_mov_b32 s5, 0
	s_mov_b32 s61, s44
	.p2align	6
.LBB50_296:                             ; =>This Inner Loop Header: Depth=1
	v_mov_b32_e32 v18, s61
	v_add_nc_u32_e32 v17, -1, v17
	s_add_i32 s61, s61, 16
	s_clause 0x3
	buffer_load_dword v22, v18, s[0:3], 0 offen offset:8
	buffer_load_dword v23, v18, s[0:3], 0 offen offset:12
	buffer_load_dword v118, v18, s[0:3], 0 offen
	buffer_load_dword v119, v18, s[0:3], 0 offen offset:4
	v_mov_b32_e32 v18, s60
	v_cmp_eq_u32_e32 vcc_lo, 0, v17
	s_add_i32 s60, s60, 16
	ds_read_b128 v[18:21], v18
	s_or_b32 s5, vcc_lo, s5
	s_waitcnt vmcnt(2) lgkmcnt(0)
	v_mul_f64 v[120:121], v[20:21], v[22:23]
	v_mul_f64 v[22:23], v[18:19], v[22:23]
	s_waitcnt vmcnt(0)
	v_fma_f64 v[18:19], v[18:19], v[118:119], -v[120:121]
	v_fma_f64 v[20:21], v[20:21], v[118:119], v[22:23]
	v_add_f64 v[1:2], v[1:2], v[18:19]
	v_add_f64 v[3:4], v[3:4], v[20:21]
	s_andn2_b32 exec_lo, exec_lo, s5
	s_cbranch_execnz .LBB50_296
; %bb.297:
	s_or_b32 exec_lo, exec_lo, s5
.LBB50_298:
	s_or_b32 exec_lo, exec_lo, s59
	v_mov_b32_e32 v17, 0
	ds_read_b128 v[17:20], v17 offset:208
	s_waitcnt lgkmcnt(0)
	v_mul_f64 v[21:22], v[3:4], v[19:20]
	v_mul_f64 v[19:20], v[1:2], v[19:20]
	v_fma_f64 v[1:2], v[1:2], v[17:18], -v[21:22]
	v_fma_f64 v[3:4], v[3:4], v[17:18], v[19:20]
	buffer_store_dword v2, off, s[0:3], 0 offset:212
	buffer_store_dword v1, off, s[0:3], 0 offset:208
	;; [unrolled: 1-line block ×4, first 2 shown]
.LBB50_299:
	s_or_b32 exec_lo, exec_lo, s8
	v_mov_b32_e32 v4, s46
	v_cmp_lt_u32_e64 s5, 12, v0
	s_clause 0x3
	buffer_load_dword v1, v4, s[0:3], 0 offen
	buffer_load_dword v2, v4, s[0:3], 0 offen offset:4
	buffer_load_dword v3, v4, s[0:3], 0 offen offset:8
	;; [unrolled: 1-line block ×3, first 2 shown]
	s_waitcnt vmcnt(0)
	ds_write_b128 v16, v[1:4]
	s_waitcnt lgkmcnt(0)
	s_waitcnt_vscnt null, 0x0
	s_barrier
	buffer_gl0_inv
	s_and_saveexec_b32 s8, s5
	s_cbranch_execz .LBB50_307
; %bb.300:
	ds_read_b128 v[1:4], v16
	s_andn2_b32 vcc_lo, exec_lo, s58
	s_cbranch_vccnz .LBB50_302
; %bb.301:
	s_clause 0x3
	buffer_load_dword v17, v15, s[0:3], 0 offen offset:8
	buffer_load_dword v18, v15, s[0:3], 0 offen offset:12
	buffer_load_dword v19, v15, s[0:3], 0 offen
	buffer_load_dword v20, v15, s[0:3], 0 offen offset:4
	s_waitcnt vmcnt(2) lgkmcnt(0)
	v_mul_f64 v[21:22], v[3:4], v[17:18]
	v_mul_f64 v[17:18], v[1:2], v[17:18]
	s_waitcnt vmcnt(0)
	v_fma_f64 v[1:2], v[1:2], v[19:20], -v[21:22]
	v_fma_f64 v[3:4], v[3:4], v[19:20], v[17:18]
.LBB50_302:
	s_and_saveexec_b32 s59, s4
	s_cbranch_execz .LBB50_306
; %bb.303:
	v_add_nc_u32_e32 v17, -13, v0
	s_movk_i32 s60, 0x400
	s_mov_b32 s4, 0
	s_mov_b32 s61, s45
	.p2align	6
.LBB50_304:                             ; =>This Inner Loop Header: Depth=1
	v_mov_b32_e32 v18, s61
	v_add_nc_u32_e32 v17, -1, v17
	s_add_i32 s61, s61, 16
	s_clause 0x3
	buffer_load_dword v22, v18, s[0:3], 0 offen offset:8
	buffer_load_dword v23, v18, s[0:3], 0 offen offset:12
	buffer_load_dword v118, v18, s[0:3], 0 offen
	buffer_load_dword v119, v18, s[0:3], 0 offen offset:4
	v_mov_b32_e32 v18, s60
	v_cmp_eq_u32_e32 vcc_lo, 0, v17
	s_add_i32 s60, s60, 16
	ds_read_b128 v[18:21], v18
	s_or_b32 s4, vcc_lo, s4
	s_waitcnt vmcnt(2) lgkmcnt(0)
	v_mul_f64 v[120:121], v[20:21], v[22:23]
	v_mul_f64 v[22:23], v[18:19], v[22:23]
	s_waitcnt vmcnt(0)
	v_fma_f64 v[18:19], v[18:19], v[118:119], -v[120:121]
	v_fma_f64 v[20:21], v[20:21], v[118:119], v[22:23]
	v_add_f64 v[1:2], v[1:2], v[18:19]
	v_add_f64 v[3:4], v[3:4], v[20:21]
	s_andn2_b32 exec_lo, exec_lo, s4
	s_cbranch_execnz .LBB50_304
; %bb.305:
	s_or_b32 exec_lo, exec_lo, s4
.LBB50_306:
	s_or_b32 exec_lo, exec_lo, s59
	v_mov_b32_e32 v17, 0
	ds_read_b128 v[17:20], v17 offset:192
	s_waitcnt lgkmcnt(0)
	v_mul_f64 v[21:22], v[3:4], v[19:20]
	v_mul_f64 v[19:20], v[1:2], v[19:20]
	v_fma_f64 v[1:2], v[1:2], v[17:18], -v[21:22]
	v_fma_f64 v[3:4], v[3:4], v[17:18], v[19:20]
	buffer_store_dword v2, off, s[0:3], 0 offset:196
	buffer_store_dword v1, off, s[0:3], 0 offset:192
	;; [unrolled: 1-line block ×4, first 2 shown]
.LBB50_307:
	s_or_b32 exec_lo, exec_lo, s8
	v_mov_b32_e32 v4, s47
	v_cmp_lt_u32_e64 s4, 11, v0
	s_clause 0x3
	buffer_load_dword v1, v4, s[0:3], 0 offen
	buffer_load_dword v2, v4, s[0:3], 0 offen offset:4
	buffer_load_dword v3, v4, s[0:3], 0 offen offset:8
	;; [unrolled: 1-line block ×3, first 2 shown]
	s_waitcnt vmcnt(0)
	ds_write_b128 v16, v[1:4]
	s_waitcnt lgkmcnt(0)
	s_waitcnt_vscnt null, 0x0
	s_barrier
	buffer_gl0_inv
	s_and_saveexec_b32 s8, s4
	s_cbranch_execz .LBB50_315
; %bb.308:
	ds_read_b128 v[1:4], v16
	s_andn2_b32 vcc_lo, exec_lo, s58
	s_cbranch_vccnz .LBB50_310
; %bb.309:
	s_clause 0x3
	buffer_load_dword v17, v15, s[0:3], 0 offen offset:8
	buffer_load_dword v18, v15, s[0:3], 0 offen offset:12
	buffer_load_dword v19, v15, s[0:3], 0 offen
	buffer_load_dword v20, v15, s[0:3], 0 offen offset:4
	s_waitcnt vmcnt(2) lgkmcnt(0)
	v_mul_f64 v[21:22], v[3:4], v[17:18]
	v_mul_f64 v[17:18], v[1:2], v[17:18]
	s_waitcnt vmcnt(0)
	v_fma_f64 v[1:2], v[1:2], v[19:20], -v[21:22]
	v_fma_f64 v[3:4], v[3:4], v[19:20], v[17:18]
.LBB50_310:
	s_and_saveexec_b32 s59, s5
	s_cbranch_execz .LBB50_314
; %bb.311:
	v_add_nc_u32_e32 v17, -12, v0
	s_movk_i32 s60, 0x3f0
	s_mov_b32 s5, 0
	s_mov_b32 s61, s46
	.p2align	6
.LBB50_312:                             ; =>This Inner Loop Header: Depth=1
	v_mov_b32_e32 v18, s61
	v_add_nc_u32_e32 v17, -1, v17
	s_add_i32 s61, s61, 16
	s_clause 0x3
	buffer_load_dword v22, v18, s[0:3], 0 offen offset:8
	buffer_load_dword v23, v18, s[0:3], 0 offen offset:12
	buffer_load_dword v118, v18, s[0:3], 0 offen
	buffer_load_dword v119, v18, s[0:3], 0 offen offset:4
	v_mov_b32_e32 v18, s60
	v_cmp_eq_u32_e32 vcc_lo, 0, v17
	s_add_i32 s60, s60, 16
	ds_read_b128 v[18:21], v18
	s_or_b32 s5, vcc_lo, s5
	s_waitcnt vmcnt(2) lgkmcnt(0)
	v_mul_f64 v[120:121], v[20:21], v[22:23]
	v_mul_f64 v[22:23], v[18:19], v[22:23]
	s_waitcnt vmcnt(0)
	v_fma_f64 v[18:19], v[18:19], v[118:119], -v[120:121]
	v_fma_f64 v[20:21], v[20:21], v[118:119], v[22:23]
	v_add_f64 v[1:2], v[1:2], v[18:19]
	v_add_f64 v[3:4], v[3:4], v[20:21]
	s_andn2_b32 exec_lo, exec_lo, s5
	s_cbranch_execnz .LBB50_312
; %bb.313:
	s_or_b32 exec_lo, exec_lo, s5
.LBB50_314:
	s_or_b32 exec_lo, exec_lo, s59
	v_mov_b32_e32 v17, 0
	ds_read_b128 v[17:20], v17 offset:176
	s_waitcnt lgkmcnt(0)
	v_mul_f64 v[21:22], v[3:4], v[19:20]
	v_mul_f64 v[19:20], v[1:2], v[19:20]
	v_fma_f64 v[1:2], v[1:2], v[17:18], -v[21:22]
	v_fma_f64 v[3:4], v[3:4], v[17:18], v[19:20]
	buffer_store_dword v2, off, s[0:3], 0 offset:180
	buffer_store_dword v1, off, s[0:3], 0 offset:176
	;; [unrolled: 1-line block ×4, first 2 shown]
.LBB50_315:
	s_or_b32 exec_lo, exec_lo, s8
	v_mov_b32_e32 v4, s48
	v_cmp_lt_u32_e64 s5, 10, v0
	s_clause 0x3
	buffer_load_dword v1, v4, s[0:3], 0 offen
	buffer_load_dword v2, v4, s[0:3], 0 offen offset:4
	buffer_load_dword v3, v4, s[0:3], 0 offen offset:8
	;; [unrolled: 1-line block ×3, first 2 shown]
	s_waitcnt vmcnt(0)
	ds_write_b128 v16, v[1:4]
	s_waitcnt lgkmcnt(0)
	s_waitcnt_vscnt null, 0x0
	s_barrier
	buffer_gl0_inv
	s_and_saveexec_b32 s8, s5
	s_cbranch_execz .LBB50_323
; %bb.316:
	ds_read_b128 v[1:4], v16
	s_andn2_b32 vcc_lo, exec_lo, s58
	s_cbranch_vccnz .LBB50_318
; %bb.317:
	s_clause 0x3
	buffer_load_dword v17, v15, s[0:3], 0 offen offset:8
	buffer_load_dword v18, v15, s[0:3], 0 offen offset:12
	buffer_load_dword v19, v15, s[0:3], 0 offen
	buffer_load_dword v20, v15, s[0:3], 0 offen offset:4
	s_waitcnt vmcnt(2) lgkmcnt(0)
	v_mul_f64 v[21:22], v[3:4], v[17:18]
	v_mul_f64 v[17:18], v[1:2], v[17:18]
	s_waitcnt vmcnt(0)
	v_fma_f64 v[1:2], v[1:2], v[19:20], -v[21:22]
	v_fma_f64 v[3:4], v[3:4], v[19:20], v[17:18]
.LBB50_318:
	s_and_saveexec_b32 s59, s4
	s_cbranch_execz .LBB50_322
; %bb.319:
	v_add_nc_u32_e32 v17, -11, v0
	s_movk_i32 s60, 0x3e0
	s_mov_b32 s4, 0
	s_mov_b32 s61, s47
	.p2align	6
.LBB50_320:                             ; =>This Inner Loop Header: Depth=1
	v_mov_b32_e32 v18, s61
	v_add_nc_u32_e32 v17, -1, v17
	s_add_i32 s61, s61, 16
	s_clause 0x3
	buffer_load_dword v22, v18, s[0:3], 0 offen offset:8
	buffer_load_dword v23, v18, s[0:3], 0 offen offset:12
	buffer_load_dword v118, v18, s[0:3], 0 offen
	buffer_load_dword v119, v18, s[0:3], 0 offen offset:4
	v_mov_b32_e32 v18, s60
	v_cmp_eq_u32_e32 vcc_lo, 0, v17
	s_add_i32 s60, s60, 16
	ds_read_b128 v[18:21], v18
	s_or_b32 s4, vcc_lo, s4
	s_waitcnt vmcnt(2) lgkmcnt(0)
	v_mul_f64 v[120:121], v[20:21], v[22:23]
	v_mul_f64 v[22:23], v[18:19], v[22:23]
	s_waitcnt vmcnt(0)
	v_fma_f64 v[18:19], v[18:19], v[118:119], -v[120:121]
	v_fma_f64 v[20:21], v[20:21], v[118:119], v[22:23]
	v_add_f64 v[1:2], v[1:2], v[18:19]
	v_add_f64 v[3:4], v[3:4], v[20:21]
	s_andn2_b32 exec_lo, exec_lo, s4
	s_cbranch_execnz .LBB50_320
; %bb.321:
	s_or_b32 exec_lo, exec_lo, s4
.LBB50_322:
	s_or_b32 exec_lo, exec_lo, s59
	v_mov_b32_e32 v17, 0
	ds_read_b128 v[17:20], v17 offset:160
	s_waitcnt lgkmcnt(0)
	v_mul_f64 v[21:22], v[3:4], v[19:20]
	v_mul_f64 v[19:20], v[1:2], v[19:20]
	v_fma_f64 v[1:2], v[1:2], v[17:18], -v[21:22]
	v_fma_f64 v[3:4], v[3:4], v[17:18], v[19:20]
	buffer_store_dword v2, off, s[0:3], 0 offset:164
	buffer_store_dword v1, off, s[0:3], 0 offset:160
	;; [unrolled: 1-line block ×4, first 2 shown]
.LBB50_323:
	s_or_b32 exec_lo, exec_lo, s8
	v_mov_b32_e32 v4, s49
	v_cmp_lt_u32_e64 s4, 9, v0
	s_clause 0x3
	buffer_load_dword v1, v4, s[0:3], 0 offen
	buffer_load_dword v2, v4, s[0:3], 0 offen offset:4
	buffer_load_dword v3, v4, s[0:3], 0 offen offset:8
	;; [unrolled: 1-line block ×3, first 2 shown]
	s_waitcnt vmcnt(0)
	ds_write_b128 v16, v[1:4]
	s_waitcnt lgkmcnt(0)
	s_waitcnt_vscnt null, 0x0
	s_barrier
	buffer_gl0_inv
	s_and_saveexec_b32 s8, s4
	s_cbranch_execz .LBB50_331
; %bb.324:
	ds_read_b128 v[1:4], v16
	s_andn2_b32 vcc_lo, exec_lo, s58
	s_cbranch_vccnz .LBB50_326
; %bb.325:
	s_clause 0x3
	buffer_load_dword v17, v15, s[0:3], 0 offen offset:8
	buffer_load_dword v18, v15, s[0:3], 0 offen offset:12
	buffer_load_dword v19, v15, s[0:3], 0 offen
	buffer_load_dword v20, v15, s[0:3], 0 offen offset:4
	s_waitcnt vmcnt(2) lgkmcnt(0)
	v_mul_f64 v[21:22], v[3:4], v[17:18]
	v_mul_f64 v[17:18], v[1:2], v[17:18]
	s_waitcnt vmcnt(0)
	v_fma_f64 v[1:2], v[1:2], v[19:20], -v[21:22]
	v_fma_f64 v[3:4], v[3:4], v[19:20], v[17:18]
.LBB50_326:
	s_and_saveexec_b32 s59, s5
	s_cbranch_execz .LBB50_330
; %bb.327:
	v_add_nc_u32_e32 v17, -10, v0
	s_movk_i32 s60, 0x3d0
	s_mov_b32 s5, 0
	s_mov_b32 s61, s48
	.p2align	6
.LBB50_328:                             ; =>This Inner Loop Header: Depth=1
	v_mov_b32_e32 v18, s61
	v_add_nc_u32_e32 v17, -1, v17
	s_add_i32 s61, s61, 16
	s_clause 0x3
	buffer_load_dword v22, v18, s[0:3], 0 offen offset:8
	buffer_load_dword v23, v18, s[0:3], 0 offen offset:12
	buffer_load_dword v118, v18, s[0:3], 0 offen
	buffer_load_dword v119, v18, s[0:3], 0 offen offset:4
	v_mov_b32_e32 v18, s60
	v_cmp_eq_u32_e32 vcc_lo, 0, v17
	s_add_i32 s60, s60, 16
	ds_read_b128 v[18:21], v18
	s_or_b32 s5, vcc_lo, s5
	s_waitcnt vmcnt(2) lgkmcnt(0)
	v_mul_f64 v[120:121], v[20:21], v[22:23]
	v_mul_f64 v[22:23], v[18:19], v[22:23]
	s_waitcnt vmcnt(0)
	v_fma_f64 v[18:19], v[18:19], v[118:119], -v[120:121]
	v_fma_f64 v[20:21], v[20:21], v[118:119], v[22:23]
	v_add_f64 v[1:2], v[1:2], v[18:19]
	v_add_f64 v[3:4], v[3:4], v[20:21]
	s_andn2_b32 exec_lo, exec_lo, s5
	s_cbranch_execnz .LBB50_328
; %bb.329:
	s_or_b32 exec_lo, exec_lo, s5
.LBB50_330:
	s_or_b32 exec_lo, exec_lo, s59
	v_mov_b32_e32 v17, 0
	ds_read_b128 v[17:20], v17 offset:144
	s_waitcnt lgkmcnt(0)
	v_mul_f64 v[21:22], v[3:4], v[19:20]
	v_mul_f64 v[19:20], v[1:2], v[19:20]
	v_fma_f64 v[1:2], v[1:2], v[17:18], -v[21:22]
	v_fma_f64 v[3:4], v[3:4], v[17:18], v[19:20]
	buffer_store_dword v2, off, s[0:3], 0 offset:148
	buffer_store_dword v1, off, s[0:3], 0 offset:144
	;; [unrolled: 1-line block ×4, first 2 shown]
.LBB50_331:
	s_or_b32 exec_lo, exec_lo, s8
	v_mov_b32_e32 v4, s50
	v_cmp_lt_u32_e64 s5, 8, v0
	s_clause 0x3
	buffer_load_dword v1, v4, s[0:3], 0 offen
	buffer_load_dword v2, v4, s[0:3], 0 offen offset:4
	buffer_load_dword v3, v4, s[0:3], 0 offen offset:8
	;; [unrolled: 1-line block ×3, first 2 shown]
	s_waitcnt vmcnt(0)
	ds_write_b128 v16, v[1:4]
	s_waitcnt lgkmcnt(0)
	s_waitcnt_vscnt null, 0x0
	s_barrier
	buffer_gl0_inv
	s_and_saveexec_b32 s8, s5
	s_cbranch_execz .LBB50_339
; %bb.332:
	ds_read_b128 v[1:4], v16
	s_andn2_b32 vcc_lo, exec_lo, s58
	s_cbranch_vccnz .LBB50_334
; %bb.333:
	s_clause 0x3
	buffer_load_dword v17, v15, s[0:3], 0 offen offset:8
	buffer_load_dword v18, v15, s[0:3], 0 offen offset:12
	buffer_load_dword v19, v15, s[0:3], 0 offen
	buffer_load_dword v20, v15, s[0:3], 0 offen offset:4
	s_waitcnt vmcnt(2) lgkmcnt(0)
	v_mul_f64 v[21:22], v[3:4], v[17:18]
	v_mul_f64 v[17:18], v[1:2], v[17:18]
	s_waitcnt vmcnt(0)
	v_fma_f64 v[1:2], v[1:2], v[19:20], -v[21:22]
	v_fma_f64 v[3:4], v[3:4], v[19:20], v[17:18]
.LBB50_334:
	s_and_saveexec_b32 s59, s4
	s_cbranch_execz .LBB50_338
; %bb.335:
	v_add_nc_u32_e32 v17, -9, v0
	s_movk_i32 s60, 0x3c0
	s_mov_b32 s4, 0
	s_mov_b32 s61, s49
	.p2align	6
.LBB50_336:                             ; =>This Inner Loop Header: Depth=1
	v_mov_b32_e32 v18, s61
	v_add_nc_u32_e32 v17, -1, v17
	s_add_i32 s61, s61, 16
	s_clause 0x3
	buffer_load_dword v22, v18, s[0:3], 0 offen offset:8
	buffer_load_dword v23, v18, s[0:3], 0 offen offset:12
	buffer_load_dword v118, v18, s[0:3], 0 offen
	buffer_load_dword v119, v18, s[0:3], 0 offen offset:4
	v_mov_b32_e32 v18, s60
	v_cmp_eq_u32_e32 vcc_lo, 0, v17
	s_add_i32 s60, s60, 16
	ds_read_b128 v[18:21], v18
	s_or_b32 s4, vcc_lo, s4
	s_waitcnt vmcnt(2) lgkmcnt(0)
	v_mul_f64 v[120:121], v[20:21], v[22:23]
	v_mul_f64 v[22:23], v[18:19], v[22:23]
	s_waitcnt vmcnt(0)
	v_fma_f64 v[18:19], v[18:19], v[118:119], -v[120:121]
	v_fma_f64 v[20:21], v[20:21], v[118:119], v[22:23]
	v_add_f64 v[1:2], v[1:2], v[18:19]
	v_add_f64 v[3:4], v[3:4], v[20:21]
	s_andn2_b32 exec_lo, exec_lo, s4
	s_cbranch_execnz .LBB50_336
; %bb.337:
	s_or_b32 exec_lo, exec_lo, s4
.LBB50_338:
	s_or_b32 exec_lo, exec_lo, s59
	v_mov_b32_e32 v17, 0
	ds_read_b128 v[17:20], v17 offset:128
	s_waitcnt lgkmcnt(0)
	v_mul_f64 v[21:22], v[3:4], v[19:20]
	v_mul_f64 v[19:20], v[1:2], v[19:20]
	v_fma_f64 v[1:2], v[1:2], v[17:18], -v[21:22]
	v_fma_f64 v[3:4], v[3:4], v[17:18], v[19:20]
	buffer_store_dword v2, off, s[0:3], 0 offset:132
	buffer_store_dword v1, off, s[0:3], 0 offset:128
	;; [unrolled: 1-line block ×4, first 2 shown]
.LBB50_339:
	s_or_b32 exec_lo, exec_lo, s8
	v_mov_b32_e32 v4, s51
	v_cmp_lt_u32_e64 s4, 7, v0
	s_clause 0x3
	buffer_load_dword v1, v4, s[0:3], 0 offen
	buffer_load_dword v2, v4, s[0:3], 0 offen offset:4
	buffer_load_dword v3, v4, s[0:3], 0 offen offset:8
	;; [unrolled: 1-line block ×3, first 2 shown]
	s_waitcnt vmcnt(0)
	ds_write_b128 v16, v[1:4]
	s_waitcnt lgkmcnt(0)
	s_waitcnt_vscnt null, 0x0
	s_barrier
	buffer_gl0_inv
	s_and_saveexec_b32 s8, s4
	s_cbranch_execz .LBB50_347
; %bb.340:
	ds_read_b128 v[1:4], v16
	s_andn2_b32 vcc_lo, exec_lo, s58
	s_cbranch_vccnz .LBB50_342
; %bb.341:
	s_clause 0x3
	buffer_load_dword v17, v15, s[0:3], 0 offen offset:8
	buffer_load_dword v18, v15, s[0:3], 0 offen offset:12
	buffer_load_dword v19, v15, s[0:3], 0 offen
	buffer_load_dword v20, v15, s[0:3], 0 offen offset:4
	s_waitcnt vmcnt(2) lgkmcnt(0)
	v_mul_f64 v[21:22], v[3:4], v[17:18]
	v_mul_f64 v[17:18], v[1:2], v[17:18]
	s_waitcnt vmcnt(0)
	v_fma_f64 v[1:2], v[1:2], v[19:20], -v[21:22]
	v_fma_f64 v[3:4], v[3:4], v[19:20], v[17:18]
.LBB50_342:
	s_and_saveexec_b32 s59, s5
	s_cbranch_execz .LBB50_346
; %bb.343:
	v_add_nc_u32_e32 v17, -8, v0
	s_movk_i32 s60, 0x3b0
	s_mov_b32 s5, 0
	s_mov_b32 s61, s50
	.p2align	6
.LBB50_344:                             ; =>This Inner Loop Header: Depth=1
	v_mov_b32_e32 v18, s61
	v_add_nc_u32_e32 v17, -1, v17
	s_add_i32 s61, s61, 16
	s_clause 0x3
	buffer_load_dword v22, v18, s[0:3], 0 offen offset:8
	buffer_load_dword v23, v18, s[0:3], 0 offen offset:12
	buffer_load_dword v118, v18, s[0:3], 0 offen
	buffer_load_dword v119, v18, s[0:3], 0 offen offset:4
	v_mov_b32_e32 v18, s60
	v_cmp_eq_u32_e32 vcc_lo, 0, v17
	s_add_i32 s60, s60, 16
	ds_read_b128 v[18:21], v18
	s_or_b32 s5, vcc_lo, s5
	s_waitcnt vmcnt(2) lgkmcnt(0)
	v_mul_f64 v[120:121], v[20:21], v[22:23]
	v_mul_f64 v[22:23], v[18:19], v[22:23]
	s_waitcnt vmcnt(0)
	v_fma_f64 v[18:19], v[18:19], v[118:119], -v[120:121]
	v_fma_f64 v[20:21], v[20:21], v[118:119], v[22:23]
	v_add_f64 v[1:2], v[1:2], v[18:19]
	v_add_f64 v[3:4], v[3:4], v[20:21]
	s_andn2_b32 exec_lo, exec_lo, s5
	s_cbranch_execnz .LBB50_344
; %bb.345:
	s_or_b32 exec_lo, exec_lo, s5
.LBB50_346:
	s_or_b32 exec_lo, exec_lo, s59
	v_mov_b32_e32 v17, 0
	ds_read_b128 v[17:20], v17 offset:112
	s_waitcnt lgkmcnt(0)
	v_mul_f64 v[21:22], v[3:4], v[19:20]
	v_mul_f64 v[19:20], v[1:2], v[19:20]
	v_fma_f64 v[1:2], v[1:2], v[17:18], -v[21:22]
	v_fma_f64 v[3:4], v[3:4], v[17:18], v[19:20]
	buffer_store_dword v2, off, s[0:3], 0 offset:116
	buffer_store_dword v1, off, s[0:3], 0 offset:112
	;; [unrolled: 1-line block ×4, first 2 shown]
.LBB50_347:
	s_or_b32 exec_lo, exec_lo, s8
	v_mov_b32_e32 v4, s52
	v_cmp_lt_u32_e64 s5, 6, v0
	s_clause 0x3
	buffer_load_dword v1, v4, s[0:3], 0 offen
	buffer_load_dword v2, v4, s[0:3], 0 offen offset:4
	buffer_load_dword v3, v4, s[0:3], 0 offen offset:8
	;; [unrolled: 1-line block ×3, first 2 shown]
	s_waitcnt vmcnt(0)
	ds_write_b128 v16, v[1:4]
	s_waitcnt lgkmcnt(0)
	s_waitcnt_vscnt null, 0x0
	s_barrier
	buffer_gl0_inv
	s_and_saveexec_b32 s8, s5
	s_cbranch_execz .LBB50_355
; %bb.348:
	ds_read_b128 v[1:4], v16
	s_andn2_b32 vcc_lo, exec_lo, s58
	s_cbranch_vccnz .LBB50_350
; %bb.349:
	s_clause 0x3
	buffer_load_dword v17, v15, s[0:3], 0 offen offset:8
	buffer_load_dword v18, v15, s[0:3], 0 offen offset:12
	buffer_load_dword v19, v15, s[0:3], 0 offen
	buffer_load_dword v20, v15, s[0:3], 0 offen offset:4
	s_waitcnt vmcnt(2) lgkmcnt(0)
	v_mul_f64 v[21:22], v[3:4], v[17:18]
	v_mul_f64 v[17:18], v[1:2], v[17:18]
	s_waitcnt vmcnt(0)
	v_fma_f64 v[1:2], v[1:2], v[19:20], -v[21:22]
	v_fma_f64 v[3:4], v[3:4], v[19:20], v[17:18]
.LBB50_350:
	s_and_saveexec_b32 s59, s4
	s_cbranch_execz .LBB50_354
; %bb.351:
	v_add_nc_u32_e32 v17, -7, v0
	s_movk_i32 s60, 0x3a0
	s_mov_b32 s4, 0
	s_mov_b32 s61, s51
	.p2align	6
.LBB50_352:                             ; =>This Inner Loop Header: Depth=1
	v_mov_b32_e32 v18, s61
	v_add_nc_u32_e32 v17, -1, v17
	s_add_i32 s61, s61, 16
	s_clause 0x3
	buffer_load_dword v22, v18, s[0:3], 0 offen offset:8
	buffer_load_dword v23, v18, s[0:3], 0 offen offset:12
	buffer_load_dword v118, v18, s[0:3], 0 offen
	buffer_load_dword v119, v18, s[0:3], 0 offen offset:4
	v_mov_b32_e32 v18, s60
	v_cmp_eq_u32_e32 vcc_lo, 0, v17
	s_add_i32 s60, s60, 16
	ds_read_b128 v[18:21], v18
	s_or_b32 s4, vcc_lo, s4
	s_waitcnt vmcnt(2) lgkmcnt(0)
	v_mul_f64 v[120:121], v[20:21], v[22:23]
	v_mul_f64 v[22:23], v[18:19], v[22:23]
	s_waitcnt vmcnt(0)
	v_fma_f64 v[18:19], v[18:19], v[118:119], -v[120:121]
	v_fma_f64 v[20:21], v[20:21], v[118:119], v[22:23]
	v_add_f64 v[1:2], v[1:2], v[18:19]
	v_add_f64 v[3:4], v[3:4], v[20:21]
	s_andn2_b32 exec_lo, exec_lo, s4
	s_cbranch_execnz .LBB50_352
; %bb.353:
	s_or_b32 exec_lo, exec_lo, s4
.LBB50_354:
	s_or_b32 exec_lo, exec_lo, s59
	v_mov_b32_e32 v17, 0
	ds_read_b128 v[17:20], v17 offset:96
	s_waitcnt lgkmcnt(0)
	v_mul_f64 v[21:22], v[3:4], v[19:20]
	v_mul_f64 v[19:20], v[1:2], v[19:20]
	v_fma_f64 v[1:2], v[1:2], v[17:18], -v[21:22]
	v_fma_f64 v[3:4], v[3:4], v[17:18], v[19:20]
	buffer_store_dword v2, off, s[0:3], 0 offset:100
	buffer_store_dword v1, off, s[0:3], 0 offset:96
	buffer_store_dword v4, off, s[0:3], 0 offset:108
	buffer_store_dword v3, off, s[0:3], 0 offset:104
.LBB50_355:
	s_or_b32 exec_lo, exec_lo, s8
	v_mov_b32_e32 v4, s53
	v_cmp_lt_u32_e64 s4, 5, v0
	s_clause 0x3
	buffer_load_dword v1, v4, s[0:3], 0 offen
	buffer_load_dword v2, v4, s[0:3], 0 offen offset:4
	buffer_load_dword v3, v4, s[0:3], 0 offen offset:8
	;; [unrolled: 1-line block ×3, first 2 shown]
	s_waitcnt vmcnt(0)
	ds_write_b128 v16, v[1:4]
	s_waitcnt lgkmcnt(0)
	s_waitcnt_vscnt null, 0x0
	s_barrier
	buffer_gl0_inv
	s_and_saveexec_b32 s8, s4
	s_cbranch_execz .LBB50_363
; %bb.356:
	ds_read_b128 v[1:4], v16
	s_andn2_b32 vcc_lo, exec_lo, s58
	s_cbranch_vccnz .LBB50_358
; %bb.357:
	s_clause 0x3
	buffer_load_dword v17, v15, s[0:3], 0 offen offset:8
	buffer_load_dword v18, v15, s[0:3], 0 offen offset:12
	buffer_load_dword v19, v15, s[0:3], 0 offen
	buffer_load_dword v20, v15, s[0:3], 0 offen offset:4
	s_waitcnt vmcnt(2) lgkmcnt(0)
	v_mul_f64 v[21:22], v[3:4], v[17:18]
	v_mul_f64 v[17:18], v[1:2], v[17:18]
	s_waitcnt vmcnt(0)
	v_fma_f64 v[1:2], v[1:2], v[19:20], -v[21:22]
	v_fma_f64 v[3:4], v[3:4], v[19:20], v[17:18]
.LBB50_358:
	s_and_saveexec_b32 s59, s5
	s_cbranch_execz .LBB50_362
; %bb.359:
	v_add_nc_u32_e32 v17, -6, v0
	s_movk_i32 s60, 0x390
	s_mov_b32 s5, 0
	s_mov_b32 s61, s52
	.p2align	6
.LBB50_360:                             ; =>This Inner Loop Header: Depth=1
	v_mov_b32_e32 v18, s61
	v_add_nc_u32_e32 v17, -1, v17
	s_add_i32 s61, s61, 16
	s_clause 0x3
	buffer_load_dword v22, v18, s[0:3], 0 offen offset:8
	buffer_load_dword v23, v18, s[0:3], 0 offen offset:12
	buffer_load_dword v118, v18, s[0:3], 0 offen
	buffer_load_dword v119, v18, s[0:3], 0 offen offset:4
	v_mov_b32_e32 v18, s60
	v_cmp_eq_u32_e32 vcc_lo, 0, v17
	s_add_i32 s60, s60, 16
	ds_read_b128 v[18:21], v18
	s_or_b32 s5, vcc_lo, s5
	s_waitcnt vmcnt(2) lgkmcnt(0)
	v_mul_f64 v[120:121], v[20:21], v[22:23]
	v_mul_f64 v[22:23], v[18:19], v[22:23]
	s_waitcnt vmcnt(0)
	v_fma_f64 v[18:19], v[18:19], v[118:119], -v[120:121]
	v_fma_f64 v[20:21], v[20:21], v[118:119], v[22:23]
	v_add_f64 v[1:2], v[1:2], v[18:19]
	v_add_f64 v[3:4], v[3:4], v[20:21]
	s_andn2_b32 exec_lo, exec_lo, s5
	s_cbranch_execnz .LBB50_360
; %bb.361:
	s_or_b32 exec_lo, exec_lo, s5
.LBB50_362:
	s_or_b32 exec_lo, exec_lo, s59
	v_mov_b32_e32 v17, 0
	ds_read_b128 v[17:20], v17 offset:80
	s_waitcnt lgkmcnt(0)
	v_mul_f64 v[21:22], v[3:4], v[19:20]
	v_mul_f64 v[19:20], v[1:2], v[19:20]
	v_fma_f64 v[1:2], v[1:2], v[17:18], -v[21:22]
	v_fma_f64 v[3:4], v[3:4], v[17:18], v[19:20]
	buffer_store_dword v2, off, s[0:3], 0 offset:84
	buffer_store_dword v1, off, s[0:3], 0 offset:80
	;; [unrolled: 1-line block ×4, first 2 shown]
.LBB50_363:
	s_or_b32 exec_lo, exec_lo, s8
	v_mov_b32_e32 v4, s54
	v_cmp_lt_u32_e64 s5, 4, v0
	s_clause 0x3
	buffer_load_dword v1, v4, s[0:3], 0 offen
	buffer_load_dword v2, v4, s[0:3], 0 offen offset:4
	buffer_load_dword v3, v4, s[0:3], 0 offen offset:8
	;; [unrolled: 1-line block ×3, first 2 shown]
	s_waitcnt vmcnt(0)
	ds_write_b128 v16, v[1:4]
	s_waitcnt lgkmcnt(0)
	s_waitcnt_vscnt null, 0x0
	s_barrier
	buffer_gl0_inv
	s_and_saveexec_b32 s8, s5
	s_cbranch_execz .LBB50_371
; %bb.364:
	ds_read_b128 v[1:4], v16
	s_andn2_b32 vcc_lo, exec_lo, s58
	s_cbranch_vccnz .LBB50_366
; %bb.365:
	s_clause 0x3
	buffer_load_dword v17, v15, s[0:3], 0 offen offset:8
	buffer_load_dword v18, v15, s[0:3], 0 offen offset:12
	buffer_load_dword v19, v15, s[0:3], 0 offen
	buffer_load_dword v20, v15, s[0:3], 0 offen offset:4
	s_waitcnt vmcnt(2) lgkmcnt(0)
	v_mul_f64 v[21:22], v[3:4], v[17:18]
	v_mul_f64 v[17:18], v[1:2], v[17:18]
	s_waitcnt vmcnt(0)
	v_fma_f64 v[1:2], v[1:2], v[19:20], -v[21:22]
	v_fma_f64 v[3:4], v[3:4], v[19:20], v[17:18]
.LBB50_366:
	s_and_saveexec_b32 s59, s4
	s_cbranch_execz .LBB50_370
; %bb.367:
	v_add_nc_u32_e32 v17, -5, v0
	s_movk_i32 s60, 0x380
	s_mov_b32 s4, 0
	s_mov_b32 s61, s53
	.p2align	6
.LBB50_368:                             ; =>This Inner Loop Header: Depth=1
	v_mov_b32_e32 v18, s61
	v_add_nc_u32_e32 v17, -1, v17
	s_add_i32 s61, s61, 16
	s_clause 0x3
	buffer_load_dword v22, v18, s[0:3], 0 offen offset:8
	buffer_load_dword v23, v18, s[0:3], 0 offen offset:12
	buffer_load_dword v118, v18, s[0:3], 0 offen
	buffer_load_dword v119, v18, s[0:3], 0 offen offset:4
	v_mov_b32_e32 v18, s60
	v_cmp_eq_u32_e32 vcc_lo, 0, v17
	s_add_i32 s60, s60, 16
	ds_read_b128 v[18:21], v18
	s_or_b32 s4, vcc_lo, s4
	s_waitcnt vmcnt(2) lgkmcnt(0)
	v_mul_f64 v[120:121], v[20:21], v[22:23]
	v_mul_f64 v[22:23], v[18:19], v[22:23]
	s_waitcnt vmcnt(0)
	v_fma_f64 v[18:19], v[18:19], v[118:119], -v[120:121]
	v_fma_f64 v[20:21], v[20:21], v[118:119], v[22:23]
	v_add_f64 v[1:2], v[1:2], v[18:19]
	v_add_f64 v[3:4], v[3:4], v[20:21]
	s_andn2_b32 exec_lo, exec_lo, s4
	s_cbranch_execnz .LBB50_368
; %bb.369:
	s_or_b32 exec_lo, exec_lo, s4
.LBB50_370:
	s_or_b32 exec_lo, exec_lo, s59
	v_mov_b32_e32 v17, 0
	ds_read_b128 v[17:20], v17 offset:64
	s_waitcnt lgkmcnt(0)
	v_mul_f64 v[21:22], v[3:4], v[19:20]
	v_mul_f64 v[19:20], v[1:2], v[19:20]
	v_fma_f64 v[1:2], v[1:2], v[17:18], -v[21:22]
	v_fma_f64 v[3:4], v[3:4], v[17:18], v[19:20]
	buffer_store_dword v2, off, s[0:3], 0 offset:68
	buffer_store_dword v1, off, s[0:3], 0 offset:64
	;; [unrolled: 1-line block ×4, first 2 shown]
.LBB50_371:
	s_or_b32 exec_lo, exec_lo, s8
	v_mov_b32_e32 v4, s55
	v_cmp_lt_u32_e64 s4, 3, v0
	s_clause 0x3
	buffer_load_dword v1, v4, s[0:3], 0 offen
	buffer_load_dword v2, v4, s[0:3], 0 offen offset:4
	buffer_load_dword v3, v4, s[0:3], 0 offen offset:8
	;; [unrolled: 1-line block ×3, first 2 shown]
	s_waitcnt vmcnt(0)
	ds_write_b128 v16, v[1:4]
	s_waitcnt lgkmcnt(0)
	s_waitcnt_vscnt null, 0x0
	s_barrier
	buffer_gl0_inv
	s_and_saveexec_b32 s8, s4
	s_cbranch_execz .LBB50_379
; %bb.372:
	ds_read_b128 v[1:4], v16
	s_andn2_b32 vcc_lo, exec_lo, s58
	s_cbranch_vccnz .LBB50_374
; %bb.373:
	s_clause 0x3
	buffer_load_dword v17, v15, s[0:3], 0 offen offset:8
	buffer_load_dword v18, v15, s[0:3], 0 offen offset:12
	buffer_load_dword v19, v15, s[0:3], 0 offen
	buffer_load_dword v20, v15, s[0:3], 0 offen offset:4
	s_waitcnt vmcnt(2) lgkmcnt(0)
	v_mul_f64 v[21:22], v[3:4], v[17:18]
	v_mul_f64 v[17:18], v[1:2], v[17:18]
	s_waitcnt vmcnt(0)
	v_fma_f64 v[1:2], v[1:2], v[19:20], -v[21:22]
	v_fma_f64 v[3:4], v[3:4], v[19:20], v[17:18]
.LBB50_374:
	s_and_saveexec_b32 s59, s5
	s_cbranch_execz .LBB50_378
; %bb.375:
	v_add_nc_u32_e32 v17, -4, v0
	s_movk_i32 s60, 0x370
	s_mov_b32 s5, 0
	s_mov_b32 s61, s54
	.p2align	6
.LBB50_376:                             ; =>This Inner Loop Header: Depth=1
	v_mov_b32_e32 v18, s61
	v_add_nc_u32_e32 v17, -1, v17
	s_add_i32 s61, s61, 16
	s_clause 0x3
	buffer_load_dword v22, v18, s[0:3], 0 offen offset:8
	buffer_load_dword v23, v18, s[0:3], 0 offen offset:12
	buffer_load_dword v118, v18, s[0:3], 0 offen
	buffer_load_dword v119, v18, s[0:3], 0 offen offset:4
	v_mov_b32_e32 v18, s60
	v_cmp_eq_u32_e32 vcc_lo, 0, v17
	s_add_i32 s60, s60, 16
	ds_read_b128 v[18:21], v18
	s_or_b32 s5, vcc_lo, s5
	s_waitcnt vmcnt(2) lgkmcnt(0)
	v_mul_f64 v[120:121], v[20:21], v[22:23]
	v_mul_f64 v[22:23], v[18:19], v[22:23]
	s_waitcnt vmcnt(0)
	v_fma_f64 v[18:19], v[18:19], v[118:119], -v[120:121]
	v_fma_f64 v[20:21], v[20:21], v[118:119], v[22:23]
	v_add_f64 v[1:2], v[1:2], v[18:19]
	v_add_f64 v[3:4], v[3:4], v[20:21]
	s_andn2_b32 exec_lo, exec_lo, s5
	s_cbranch_execnz .LBB50_376
; %bb.377:
	s_or_b32 exec_lo, exec_lo, s5
.LBB50_378:
	s_or_b32 exec_lo, exec_lo, s59
	v_mov_b32_e32 v17, 0
	ds_read_b128 v[17:20], v17 offset:48
	s_waitcnt lgkmcnt(0)
	v_mul_f64 v[21:22], v[3:4], v[19:20]
	v_mul_f64 v[19:20], v[1:2], v[19:20]
	v_fma_f64 v[1:2], v[1:2], v[17:18], -v[21:22]
	v_fma_f64 v[3:4], v[3:4], v[17:18], v[19:20]
	buffer_store_dword v2, off, s[0:3], 0 offset:52
	buffer_store_dword v1, off, s[0:3], 0 offset:48
	;; [unrolled: 1-line block ×4, first 2 shown]
.LBB50_379:
	s_or_b32 exec_lo, exec_lo, s8
	v_mov_b32_e32 v4, s56
	v_cmp_lt_u32_e64 s5, 2, v0
	s_clause 0x3
	buffer_load_dword v1, v4, s[0:3], 0 offen
	buffer_load_dword v2, v4, s[0:3], 0 offen offset:4
	buffer_load_dword v3, v4, s[0:3], 0 offen offset:8
	;; [unrolled: 1-line block ×3, first 2 shown]
	s_waitcnt vmcnt(0)
	ds_write_b128 v16, v[1:4]
	s_waitcnt lgkmcnt(0)
	s_waitcnt_vscnt null, 0x0
	s_barrier
	buffer_gl0_inv
	s_and_saveexec_b32 s8, s5
	s_cbranch_execz .LBB50_387
; %bb.380:
	ds_read_b128 v[1:4], v16
	s_andn2_b32 vcc_lo, exec_lo, s58
	s_cbranch_vccnz .LBB50_382
; %bb.381:
	s_clause 0x3
	buffer_load_dword v17, v15, s[0:3], 0 offen offset:8
	buffer_load_dword v18, v15, s[0:3], 0 offen offset:12
	buffer_load_dword v19, v15, s[0:3], 0 offen
	buffer_load_dword v20, v15, s[0:3], 0 offen offset:4
	s_waitcnt vmcnt(2) lgkmcnt(0)
	v_mul_f64 v[21:22], v[3:4], v[17:18]
	v_mul_f64 v[17:18], v[1:2], v[17:18]
	s_waitcnt vmcnt(0)
	v_fma_f64 v[1:2], v[1:2], v[19:20], -v[21:22]
	v_fma_f64 v[3:4], v[3:4], v[19:20], v[17:18]
.LBB50_382:
	s_and_saveexec_b32 s59, s4
	s_cbranch_execz .LBB50_386
; %bb.383:
	v_add_nc_u32_e32 v17, -3, v0
	s_movk_i32 s60, 0x360
	s_mov_b32 s4, 0
	s_mov_b32 s61, s55
	.p2align	6
.LBB50_384:                             ; =>This Inner Loop Header: Depth=1
	v_mov_b32_e32 v18, s61
	v_add_nc_u32_e32 v17, -1, v17
	s_add_i32 s61, s61, 16
	s_clause 0x3
	buffer_load_dword v22, v18, s[0:3], 0 offen offset:8
	buffer_load_dword v23, v18, s[0:3], 0 offen offset:12
	buffer_load_dword v118, v18, s[0:3], 0 offen
	buffer_load_dword v119, v18, s[0:3], 0 offen offset:4
	v_mov_b32_e32 v18, s60
	v_cmp_eq_u32_e32 vcc_lo, 0, v17
	s_add_i32 s60, s60, 16
	ds_read_b128 v[18:21], v18
	s_or_b32 s4, vcc_lo, s4
	s_waitcnt vmcnt(2) lgkmcnt(0)
	v_mul_f64 v[120:121], v[20:21], v[22:23]
	v_mul_f64 v[22:23], v[18:19], v[22:23]
	s_waitcnt vmcnt(0)
	v_fma_f64 v[18:19], v[18:19], v[118:119], -v[120:121]
	v_fma_f64 v[20:21], v[20:21], v[118:119], v[22:23]
	v_add_f64 v[1:2], v[1:2], v[18:19]
	v_add_f64 v[3:4], v[3:4], v[20:21]
	s_andn2_b32 exec_lo, exec_lo, s4
	s_cbranch_execnz .LBB50_384
; %bb.385:
	s_or_b32 exec_lo, exec_lo, s4
.LBB50_386:
	s_or_b32 exec_lo, exec_lo, s59
	v_mov_b32_e32 v17, 0
	ds_read_b128 v[17:20], v17 offset:32
	s_waitcnt lgkmcnt(0)
	v_mul_f64 v[21:22], v[3:4], v[19:20]
	v_mul_f64 v[19:20], v[1:2], v[19:20]
	v_fma_f64 v[1:2], v[1:2], v[17:18], -v[21:22]
	v_fma_f64 v[3:4], v[3:4], v[17:18], v[19:20]
	buffer_store_dword v2, off, s[0:3], 0 offset:36
	buffer_store_dword v1, off, s[0:3], 0 offset:32
	;; [unrolled: 1-line block ×4, first 2 shown]
.LBB50_387:
	s_or_b32 exec_lo, exec_lo, s8
	v_mov_b32_e32 v4, s57
	v_cmp_lt_u32_e64 s4, 1, v0
	s_clause 0x3
	buffer_load_dword v1, v4, s[0:3], 0 offen
	buffer_load_dword v2, v4, s[0:3], 0 offen offset:4
	buffer_load_dword v3, v4, s[0:3], 0 offen offset:8
	;; [unrolled: 1-line block ×3, first 2 shown]
	s_waitcnt vmcnt(0)
	ds_write_b128 v16, v[1:4]
	s_waitcnt lgkmcnt(0)
	s_waitcnt_vscnt null, 0x0
	s_barrier
	buffer_gl0_inv
	s_and_saveexec_b32 s8, s4
	s_cbranch_execz .LBB50_395
; %bb.388:
	ds_read_b128 v[1:4], v16
	s_andn2_b32 vcc_lo, exec_lo, s58
	s_cbranch_vccnz .LBB50_390
; %bb.389:
	s_clause 0x3
	buffer_load_dword v17, v15, s[0:3], 0 offen offset:8
	buffer_load_dword v18, v15, s[0:3], 0 offen offset:12
	buffer_load_dword v19, v15, s[0:3], 0 offen
	buffer_load_dword v20, v15, s[0:3], 0 offen offset:4
	s_waitcnt vmcnt(2) lgkmcnt(0)
	v_mul_f64 v[21:22], v[3:4], v[17:18]
	v_mul_f64 v[17:18], v[1:2], v[17:18]
	s_waitcnt vmcnt(0)
	v_fma_f64 v[1:2], v[1:2], v[19:20], -v[21:22]
	v_fma_f64 v[3:4], v[3:4], v[19:20], v[17:18]
.LBB50_390:
	s_and_saveexec_b32 s59, s5
	s_cbranch_execz .LBB50_394
; %bb.391:
	v_add_nc_u32_e32 v17, -2, v0
	s_movk_i32 s60, 0x350
	s_mov_b32 s5, 0
	s_mov_b32 s61, s56
	.p2align	6
.LBB50_392:                             ; =>This Inner Loop Header: Depth=1
	v_mov_b32_e32 v18, s61
	v_add_nc_u32_e32 v17, -1, v17
	s_add_i32 s61, s61, 16
	s_clause 0x3
	buffer_load_dword v22, v18, s[0:3], 0 offen offset:8
	buffer_load_dword v23, v18, s[0:3], 0 offen offset:12
	buffer_load_dword v118, v18, s[0:3], 0 offen
	buffer_load_dword v119, v18, s[0:3], 0 offen offset:4
	v_mov_b32_e32 v18, s60
	v_cmp_eq_u32_e32 vcc_lo, 0, v17
	s_add_i32 s60, s60, 16
	ds_read_b128 v[18:21], v18
	s_or_b32 s5, vcc_lo, s5
	s_waitcnt vmcnt(2) lgkmcnt(0)
	v_mul_f64 v[120:121], v[20:21], v[22:23]
	v_mul_f64 v[22:23], v[18:19], v[22:23]
	s_waitcnt vmcnt(0)
	v_fma_f64 v[18:19], v[18:19], v[118:119], -v[120:121]
	v_fma_f64 v[20:21], v[20:21], v[118:119], v[22:23]
	v_add_f64 v[1:2], v[1:2], v[18:19]
	v_add_f64 v[3:4], v[3:4], v[20:21]
	s_andn2_b32 exec_lo, exec_lo, s5
	s_cbranch_execnz .LBB50_392
; %bb.393:
	s_or_b32 exec_lo, exec_lo, s5
.LBB50_394:
	s_or_b32 exec_lo, exec_lo, s59
	v_mov_b32_e32 v17, 0
	ds_read_b128 v[17:20], v17 offset:16
	s_waitcnt lgkmcnt(0)
	v_mul_f64 v[21:22], v[3:4], v[19:20]
	v_mul_f64 v[19:20], v[1:2], v[19:20]
	v_fma_f64 v[1:2], v[1:2], v[17:18], -v[21:22]
	v_fma_f64 v[3:4], v[3:4], v[17:18], v[19:20]
	buffer_store_dword v2, off, s[0:3], 0 offset:20
	buffer_store_dword v1, off, s[0:3], 0 offset:16
	buffer_store_dword v4, off, s[0:3], 0 offset:28
	buffer_store_dword v3, off, s[0:3], 0 offset:24
.LBB50_395:
	s_or_b32 exec_lo, exec_lo, s8
	s_clause 0x3
	buffer_load_dword v1, off, s[0:3], 0
	buffer_load_dword v2, off, s[0:3], 0 offset:4
	buffer_load_dword v3, off, s[0:3], 0 offset:8
	;; [unrolled: 1-line block ×3, first 2 shown]
	s_mov_b32 s8, 0
	s_mov_b32 s5, 0
	s_mov_b32 s59, exec_lo
                                        ; implicit-def: $sgpr60
	s_waitcnt vmcnt(0)
	ds_write_b128 v16, v[1:4]
	s_waitcnt lgkmcnt(0)
	s_waitcnt_vscnt null, 0x0
	s_barrier
	buffer_gl0_inv
                                        ; implicit-def: $vgpr1_vgpr2
	v_cmpx_ne_u32_e32 0, v0
	s_cbranch_execz .LBB50_403
; %bb.396:
	ds_read_b128 v[1:4], v16
	s_andn2_b32 vcc_lo, exec_lo, s58
	s_cbranch_vccnz .LBB50_398
; %bb.397:
	s_clause 0x3
	buffer_load_dword v17, v15, s[0:3], 0 offen offset:8
	buffer_load_dword v18, v15, s[0:3], 0 offen offset:12
	buffer_load_dword v19, v15, s[0:3], 0 offen
	buffer_load_dword v20, v15, s[0:3], 0 offen offset:4
	s_waitcnt vmcnt(2) lgkmcnt(0)
	v_mul_f64 v[21:22], v[3:4], v[17:18]
	v_mul_f64 v[17:18], v[1:2], v[17:18]
	s_waitcnt vmcnt(0)
	v_fma_f64 v[1:2], v[1:2], v[19:20], -v[21:22]
	v_fma_f64 v[3:4], v[3:4], v[19:20], v[17:18]
.LBB50_398:
	s_and_saveexec_b32 s5, s4
	s_cbranch_execz .LBB50_402
; %bb.399:
	v_add_nc_u32_e32 v17, -1, v0
	s_movk_i32 s60, 0x340
	s_mov_b32 s4, 0
	s_mov_b32 s61, s57
	.p2align	6
.LBB50_400:                             ; =>This Inner Loop Header: Depth=1
	v_mov_b32_e32 v18, s61
	v_add_nc_u32_e32 v17, -1, v17
	s_add_i32 s61, s61, 16
	s_clause 0x3
	buffer_load_dword v22, v18, s[0:3], 0 offen offset:8
	buffer_load_dword v23, v18, s[0:3], 0 offen offset:12
	buffer_load_dword v118, v18, s[0:3], 0 offen
	buffer_load_dword v119, v18, s[0:3], 0 offen offset:4
	v_mov_b32_e32 v18, s60
	v_cmp_eq_u32_e32 vcc_lo, 0, v17
	s_add_i32 s60, s60, 16
	ds_read_b128 v[18:21], v18
	s_or_b32 s4, vcc_lo, s4
	s_waitcnt vmcnt(2) lgkmcnt(0)
	v_mul_f64 v[120:121], v[20:21], v[22:23]
	v_mul_f64 v[22:23], v[18:19], v[22:23]
	s_waitcnt vmcnt(0)
	v_fma_f64 v[18:19], v[18:19], v[118:119], -v[120:121]
	v_fma_f64 v[20:21], v[20:21], v[118:119], v[22:23]
	v_add_f64 v[1:2], v[1:2], v[18:19]
	v_add_f64 v[3:4], v[3:4], v[20:21]
	s_andn2_b32 exec_lo, exec_lo, s4
	s_cbranch_execnz .LBB50_400
; %bb.401:
	s_or_b32 exec_lo, exec_lo, s4
.LBB50_402:
	s_or_b32 exec_lo, exec_lo, s5
	v_mov_b32_e32 v17, 0
	s_mov_b32 s5, exec_lo
	s_or_b32 s60, 0, 8
	ds_read_b128 v[17:20], v17
	s_waitcnt lgkmcnt(0)
	v_mul_f64 v[21:22], v[3:4], v[19:20]
	v_mul_f64 v[19:20], v[1:2], v[19:20]
	v_fma_f64 v[21:22], v[1:2], v[17:18], -v[21:22]
	v_fma_f64 v[1:2], v[3:4], v[17:18], v[19:20]
	buffer_store_dword v22, off, s[0:3], 0 offset:4
	buffer_store_dword v21, off, s[0:3], 0
.LBB50_403:
	s_or_b32 exec_lo, exec_lo, s59
	s_and_b32 vcc_lo, exec_lo, s8
	s_cbranch_vccnz .LBB50_405
	s_branch .LBB50_800
.LBB50_404:
	s_mov_b32 s5, 0
                                        ; implicit-def: $vgpr1_vgpr2
                                        ; implicit-def: $sgpr60
	s_cbranch_execz .LBB50_800
.LBB50_405:
	v_mov_b32_e32 v4, s57
	v_cmp_eq_u32_e64 s4, 0, v0
	v_cndmask_b32_e64 v17, 0, 1, s58
	s_clause 0x3
	buffer_load_dword v1, v4, s[0:3], 0 offen
	buffer_load_dword v2, v4, s[0:3], 0 offen offset:4
	buffer_load_dword v3, v4, s[0:3], 0 offen offset:8
	;; [unrolled: 1-line block ×3, first 2 shown]
	s_waitcnt vmcnt(0)
	ds_write_b128 v16, v[1:4]
	s_waitcnt lgkmcnt(0)
	s_waitcnt_vscnt null, 0x0
	s_barrier
	buffer_gl0_inv
	s_and_saveexec_b32 s8, s4
	s_cbranch_execz .LBB50_409
; %bb.406:
	ds_read_b128 v[1:4], v16
	s_andn2_b32 vcc_lo, exec_lo, s58
	s_cbranch_vccnz .LBB50_408
; %bb.407:
	s_clause 0x3
	buffer_load_dword v18, v15, s[0:3], 0 offen offset:8
	buffer_load_dword v19, v15, s[0:3], 0 offen offset:12
	buffer_load_dword v20, v15, s[0:3], 0 offen
	buffer_load_dword v21, v15, s[0:3], 0 offen offset:4
	s_waitcnt vmcnt(2) lgkmcnt(0)
	v_mul_f64 v[22:23], v[3:4], v[18:19]
	v_mul_f64 v[18:19], v[1:2], v[18:19]
	s_waitcnt vmcnt(0)
	v_fma_f64 v[1:2], v[1:2], v[20:21], -v[22:23]
	v_fma_f64 v[3:4], v[3:4], v[20:21], v[18:19]
.LBB50_408:
	v_mov_b32_e32 v18, 0
	ds_read_b128 v[18:21], v18 offset:16
	s_waitcnt lgkmcnt(0)
	v_mul_f64 v[22:23], v[3:4], v[20:21]
	v_mul_f64 v[20:21], v[1:2], v[20:21]
	v_fma_f64 v[1:2], v[1:2], v[18:19], -v[22:23]
	v_fma_f64 v[3:4], v[3:4], v[18:19], v[20:21]
	buffer_store_dword v2, off, s[0:3], 0 offset:20
	buffer_store_dword v1, off, s[0:3], 0 offset:16
	;; [unrolled: 1-line block ×4, first 2 shown]
.LBB50_409:
	s_or_b32 exec_lo, exec_lo, s8
	v_mov_b32_e32 v4, s56
	s_mov_b32 s8, exec_lo
	s_clause 0x3
	buffer_load_dword v1, v4, s[0:3], 0 offen
	buffer_load_dword v2, v4, s[0:3], 0 offen offset:4
	buffer_load_dword v3, v4, s[0:3], 0 offen offset:8
	;; [unrolled: 1-line block ×3, first 2 shown]
	s_waitcnt vmcnt(0)
	ds_write_b128 v16, v[1:4]
	s_waitcnt lgkmcnt(0)
	s_waitcnt_vscnt null, 0x0
	s_barrier
	buffer_gl0_inv
	v_cmpx_gt_u32_e32 2, v0
	s_cbranch_execz .LBB50_415
; %bb.410:
	ds_read_b128 v[1:4], v16
	v_cmp_ne_u32_e32 vcc_lo, 1, v17
	s_cbranch_vccnz .LBB50_412
; %bb.411:
	s_clause 0x3
	buffer_load_dword v18, v15, s[0:3], 0 offen offset:8
	buffer_load_dword v19, v15, s[0:3], 0 offen offset:12
	buffer_load_dword v20, v15, s[0:3], 0 offen
	buffer_load_dword v21, v15, s[0:3], 0 offen offset:4
	s_waitcnt vmcnt(2) lgkmcnt(0)
	v_mul_f64 v[22:23], v[3:4], v[18:19]
	v_mul_f64 v[18:19], v[1:2], v[18:19]
	s_waitcnt vmcnt(0)
	v_fma_f64 v[1:2], v[1:2], v[20:21], -v[22:23]
	v_fma_f64 v[3:4], v[3:4], v[20:21], v[18:19]
.LBB50_412:
	s_and_saveexec_b32 s58, s4
	s_cbranch_execz .LBB50_414
; %bb.413:
	s_clause 0x3
	buffer_load_dword v22, off, s[0:3], 0 offset:24
	buffer_load_dword v23, off, s[0:3], 0 offset:28
	;; [unrolled: 1-line block ×4, first 2 shown]
	v_mov_b32_e32 v18, 0
	ds_read_b128 v[18:21], v18 offset:832
	s_waitcnt vmcnt(2) lgkmcnt(0)
	v_mul_f64 v[120:121], v[20:21], v[22:23]
	v_mul_f64 v[22:23], v[18:19], v[22:23]
	s_waitcnt vmcnt(0)
	v_fma_f64 v[18:19], v[18:19], v[118:119], -v[120:121]
	v_fma_f64 v[20:21], v[20:21], v[118:119], v[22:23]
	v_add_f64 v[1:2], v[1:2], v[18:19]
	v_add_f64 v[3:4], v[3:4], v[20:21]
.LBB50_414:
	s_or_b32 exec_lo, exec_lo, s58
	v_mov_b32_e32 v18, 0
	ds_read_b128 v[18:21], v18 offset:32
	s_waitcnt lgkmcnt(0)
	v_mul_f64 v[22:23], v[3:4], v[20:21]
	v_mul_f64 v[20:21], v[1:2], v[20:21]
	v_fma_f64 v[1:2], v[1:2], v[18:19], -v[22:23]
	v_fma_f64 v[3:4], v[3:4], v[18:19], v[20:21]
	buffer_store_dword v2, off, s[0:3], 0 offset:36
	buffer_store_dword v1, off, s[0:3], 0 offset:32
	;; [unrolled: 1-line block ×4, first 2 shown]
.LBB50_415:
	s_or_b32 exec_lo, exec_lo, s8
	v_mov_b32_e32 v4, s55
	s_mov_b32 s8, exec_lo
	s_clause 0x3
	buffer_load_dword v1, v4, s[0:3], 0 offen
	buffer_load_dword v2, v4, s[0:3], 0 offen offset:4
	buffer_load_dword v3, v4, s[0:3], 0 offen offset:8
	;; [unrolled: 1-line block ×3, first 2 shown]
	s_waitcnt vmcnt(0)
	ds_write_b128 v16, v[1:4]
	s_waitcnt lgkmcnt(0)
	s_waitcnt_vscnt null, 0x0
	s_barrier
	buffer_gl0_inv
	v_cmpx_gt_u32_e32 3, v0
	s_cbranch_execz .LBB50_423
; %bb.416:
	ds_read_b128 v[1:4], v16
	v_cmp_ne_u32_e32 vcc_lo, 1, v17
	s_cbranch_vccnz .LBB50_418
; %bb.417:
	s_clause 0x3
	buffer_load_dword v18, v15, s[0:3], 0 offen offset:8
	buffer_load_dword v19, v15, s[0:3], 0 offen offset:12
	buffer_load_dword v20, v15, s[0:3], 0 offen
	buffer_load_dword v21, v15, s[0:3], 0 offen offset:4
	s_waitcnt vmcnt(2) lgkmcnt(0)
	v_mul_f64 v[22:23], v[3:4], v[18:19]
	v_mul_f64 v[18:19], v[1:2], v[18:19]
	s_waitcnt vmcnt(0)
	v_fma_f64 v[1:2], v[1:2], v[20:21], -v[22:23]
	v_fma_f64 v[3:4], v[3:4], v[20:21], v[18:19]
.LBB50_418:
	s_mov_b32 s58, exec_lo
	v_cmpx_ne_u32_e32 2, v0
	s_cbranch_execz .LBB50_422
; %bb.419:
	s_clause 0x3
	buffer_load_dword v22, v15, s[0:3], 0 offen offset:24
	buffer_load_dword v23, v15, s[0:3], 0 offen offset:28
	;; [unrolled: 1-line block ×4, first 2 shown]
	ds_read_b128 v[18:21], v16 offset:16
	s_waitcnt vmcnt(2) lgkmcnt(0)
	v_mul_f64 v[120:121], v[20:21], v[22:23]
	v_mul_f64 v[22:23], v[18:19], v[22:23]
	s_waitcnt vmcnt(0)
	v_fma_f64 v[18:19], v[18:19], v[118:119], -v[120:121]
	v_fma_f64 v[20:21], v[20:21], v[118:119], v[22:23]
	v_add_f64 v[1:2], v[1:2], v[18:19]
	v_add_f64 v[3:4], v[3:4], v[20:21]
	s_and_saveexec_b32 s59, s4
	s_cbranch_execz .LBB50_421
; %bb.420:
	s_clause 0x3
	buffer_load_dword v22, off, s[0:3], 0 offset:40
	buffer_load_dword v23, off, s[0:3], 0 offset:44
	;; [unrolled: 1-line block ×4, first 2 shown]
	v_mov_b32_e32 v18, 0
	ds_read_b128 v[18:21], v18 offset:848
	s_waitcnt vmcnt(2) lgkmcnt(0)
	v_mul_f64 v[120:121], v[18:19], v[22:23]
	v_mul_f64 v[22:23], v[20:21], v[22:23]
	s_waitcnt vmcnt(0)
	v_fma_f64 v[20:21], v[20:21], v[118:119], v[120:121]
	v_fma_f64 v[18:19], v[18:19], v[118:119], -v[22:23]
	v_add_f64 v[3:4], v[3:4], v[20:21]
	v_add_f64 v[1:2], v[1:2], v[18:19]
.LBB50_421:
	s_or_b32 exec_lo, exec_lo, s59
.LBB50_422:
	s_or_b32 exec_lo, exec_lo, s58
	v_mov_b32_e32 v18, 0
	ds_read_b128 v[18:21], v18 offset:48
	s_waitcnt lgkmcnt(0)
	v_mul_f64 v[22:23], v[3:4], v[20:21]
	v_mul_f64 v[20:21], v[1:2], v[20:21]
	v_fma_f64 v[1:2], v[1:2], v[18:19], -v[22:23]
	v_fma_f64 v[3:4], v[3:4], v[18:19], v[20:21]
	buffer_store_dword v2, off, s[0:3], 0 offset:52
	buffer_store_dword v1, off, s[0:3], 0 offset:48
	;; [unrolled: 1-line block ×4, first 2 shown]
.LBB50_423:
	s_or_b32 exec_lo, exec_lo, s8
	v_mov_b32_e32 v4, s54
	s_mov_b32 s4, exec_lo
	s_clause 0x3
	buffer_load_dword v1, v4, s[0:3], 0 offen
	buffer_load_dword v2, v4, s[0:3], 0 offen offset:4
	buffer_load_dword v3, v4, s[0:3], 0 offen offset:8
	;; [unrolled: 1-line block ×3, first 2 shown]
	s_waitcnt vmcnt(0)
	ds_write_b128 v16, v[1:4]
	s_waitcnt lgkmcnt(0)
	s_waitcnt_vscnt null, 0x0
	s_barrier
	buffer_gl0_inv
	v_cmpx_gt_u32_e32 4, v0
	s_cbranch_execz .LBB50_431
; %bb.424:
	ds_read_b128 v[1:4], v16
	v_cmp_ne_u32_e32 vcc_lo, 1, v17
	s_cbranch_vccnz .LBB50_426
; %bb.425:
	s_clause 0x3
	buffer_load_dword v18, v15, s[0:3], 0 offen offset:8
	buffer_load_dword v19, v15, s[0:3], 0 offen offset:12
	buffer_load_dword v20, v15, s[0:3], 0 offen
	buffer_load_dword v21, v15, s[0:3], 0 offen offset:4
	s_waitcnt vmcnt(2) lgkmcnt(0)
	v_mul_f64 v[22:23], v[3:4], v[18:19]
	v_mul_f64 v[18:19], v[1:2], v[18:19]
	s_waitcnt vmcnt(0)
	v_fma_f64 v[1:2], v[1:2], v[20:21], -v[22:23]
	v_fma_f64 v[3:4], v[3:4], v[20:21], v[18:19]
.LBB50_426:
	s_mov_b32 s8, exec_lo
	v_cmpx_ne_u32_e32 3, v0
	s_cbranch_execz .LBB50_430
; %bb.427:
	v_add_nc_u32_e32 v18, 0x340, v117
	v_add3_u32 v19, 0, v117, 16
	v_mov_b32_e32 v20, v0
	s_mov_b32 s58, 0
	.p2align	6
.LBB50_428:                             ; =>This Inner Loop Header: Depth=1
	s_clause 0x3
	buffer_load_dword v118, v19, s[0:3], 0 offen offset:8
	buffer_load_dword v119, v19, s[0:3], 0 offen offset:12
	buffer_load_dword v120, v19, s[0:3], 0 offen
	buffer_load_dword v121, v19, s[0:3], 0 offen offset:4
	ds_read_b128 v[21:24], v18
	v_add_nc_u32_e32 v20, 1, v20
	v_add_nc_u32_e32 v18, 16, v18
	;; [unrolled: 1-line block ×3, first 2 shown]
	v_cmp_lt_u32_e32 vcc_lo, 2, v20
	s_or_b32 s58, vcc_lo, s58
	s_waitcnt vmcnt(2) lgkmcnt(0)
	v_mul_f64 v[122:123], v[23:24], v[118:119]
	v_mul_f64 v[118:119], v[21:22], v[118:119]
	s_waitcnt vmcnt(0)
	v_fma_f64 v[21:22], v[21:22], v[120:121], -v[122:123]
	v_fma_f64 v[23:24], v[23:24], v[120:121], v[118:119]
	v_add_f64 v[1:2], v[1:2], v[21:22]
	v_add_f64 v[3:4], v[3:4], v[23:24]
	s_andn2_b32 exec_lo, exec_lo, s58
	s_cbranch_execnz .LBB50_428
; %bb.429:
	s_or_b32 exec_lo, exec_lo, s58
.LBB50_430:
	s_or_b32 exec_lo, exec_lo, s8
	v_mov_b32_e32 v18, 0
	ds_read_b128 v[18:21], v18 offset:64
	s_waitcnt lgkmcnt(0)
	v_mul_f64 v[22:23], v[3:4], v[20:21]
	v_mul_f64 v[20:21], v[1:2], v[20:21]
	v_fma_f64 v[1:2], v[1:2], v[18:19], -v[22:23]
	v_fma_f64 v[3:4], v[3:4], v[18:19], v[20:21]
	buffer_store_dword v2, off, s[0:3], 0 offset:68
	buffer_store_dword v1, off, s[0:3], 0 offset:64
	;; [unrolled: 1-line block ×4, first 2 shown]
.LBB50_431:
	s_or_b32 exec_lo, exec_lo, s4
	v_mov_b32_e32 v4, s53
	s_mov_b32 s4, exec_lo
	s_clause 0x3
	buffer_load_dword v1, v4, s[0:3], 0 offen
	buffer_load_dword v2, v4, s[0:3], 0 offen offset:4
	buffer_load_dword v3, v4, s[0:3], 0 offen offset:8
	;; [unrolled: 1-line block ×3, first 2 shown]
	s_waitcnt vmcnt(0)
	ds_write_b128 v16, v[1:4]
	s_waitcnt lgkmcnt(0)
	s_waitcnt_vscnt null, 0x0
	s_barrier
	buffer_gl0_inv
	v_cmpx_gt_u32_e32 5, v0
	s_cbranch_execz .LBB50_439
; %bb.432:
	ds_read_b128 v[1:4], v16
	v_cmp_ne_u32_e32 vcc_lo, 1, v17
	s_cbranch_vccnz .LBB50_434
; %bb.433:
	s_clause 0x3
	buffer_load_dword v18, v15, s[0:3], 0 offen offset:8
	buffer_load_dword v19, v15, s[0:3], 0 offen offset:12
	buffer_load_dword v20, v15, s[0:3], 0 offen
	buffer_load_dword v21, v15, s[0:3], 0 offen offset:4
	s_waitcnt vmcnt(2) lgkmcnt(0)
	v_mul_f64 v[22:23], v[3:4], v[18:19]
	v_mul_f64 v[18:19], v[1:2], v[18:19]
	s_waitcnt vmcnt(0)
	v_fma_f64 v[1:2], v[1:2], v[20:21], -v[22:23]
	v_fma_f64 v[3:4], v[3:4], v[20:21], v[18:19]
.LBB50_434:
	s_mov_b32 s8, exec_lo
	v_cmpx_ne_u32_e32 4, v0
	s_cbranch_execz .LBB50_438
; %bb.435:
	v_add_nc_u32_e32 v18, 0x340, v117
	v_add3_u32 v19, 0, v117, 16
	v_mov_b32_e32 v20, v0
	s_mov_b32 s58, 0
	.p2align	6
.LBB50_436:                             ; =>This Inner Loop Header: Depth=1
	s_clause 0x3
	buffer_load_dword v118, v19, s[0:3], 0 offen offset:8
	buffer_load_dword v119, v19, s[0:3], 0 offen offset:12
	buffer_load_dword v120, v19, s[0:3], 0 offen
	buffer_load_dword v121, v19, s[0:3], 0 offen offset:4
	ds_read_b128 v[21:24], v18
	v_add_nc_u32_e32 v20, 1, v20
	v_add_nc_u32_e32 v18, 16, v18
	;; [unrolled: 1-line block ×3, first 2 shown]
	v_cmp_lt_u32_e32 vcc_lo, 3, v20
	s_or_b32 s58, vcc_lo, s58
	s_waitcnt vmcnt(2) lgkmcnt(0)
	v_mul_f64 v[122:123], v[23:24], v[118:119]
	v_mul_f64 v[118:119], v[21:22], v[118:119]
	s_waitcnt vmcnt(0)
	v_fma_f64 v[21:22], v[21:22], v[120:121], -v[122:123]
	v_fma_f64 v[23:24], v[23:24], v[120:121], v[118:119]
	v_add_f64 v[1:2], v[1:2], v[21:22]
	v_add_f64 v[3:4], v[3:4], v[23:24]
	s_andn2_b32 exec_lo, exec_lo, s58
	s_cbranch_execnz .LBB50_436
; %bb.437:
	s_or_b32 exec_lo, exec_lo, s58
.LBB50_438:
	s_or_b32 exec_lo, exec_lo, s8
	v_mov_b32_e32 v18, 0
	ds_read_b128 v[18:21], v18 offset:80
	s_waitcnt lgkmcnt(0)
	v_mul_f64 v[22:23], v[3:4], v[20:21]
	v_mul_f64 v[20:21], v[1:2], v[20:21]
	v_fma_f64 v[1:2], v[1:2], v[18:19], -v[22:23]
	v_fma_f64 v[3:4], v[3:4], v[18:19], v[20:21]
	buffer_store_dword v2, off, s[0:3], 0 offset:84
	buffer_store_dword v1, off, s[0:3], 0 offset:80
	;; [unrolled: 1-line block ×4, first 2 shown]
.LBB50_439:
	s_or_b32 exec_lo, exec_lo, s4
	v_mov_b32_e32 v4, s52
	s_mov_b32 s4, exec_lo
	s_clause 0x3
	buffer_load_dword v1, v4, s[0:3], 0 offen
	buffer_load_dword v2, v4, s[0:3], 0 offen offset:4
	buffer_load_dword v3, v4, s[0:3], 0 offen offset:8
	buffer_load_dword v4, v4, s[0:3], 0 offen offset:12
	s_waitcnt vmcnt(0)
	ds_write_b128 v16, v[1:4]
	s_waitcnt lgkmcnt(0)
	s_waitcnt_vscnt null, 0x0
	s_barrier
	buffer_gl0_inv
	v_cmpx_gt_u32_e32 6, v0
	s_cbranch_execz .LBB50_447
; %bb.440:
	ds_read_b128 v[1:4], v16
	v_cmp_ne_u32_e32 vcc_lo, 1, v17
	s_cbranch_vccnz .LBB50_442
; %bb.441:
	s_clause 0x3
	buffer_load_dword v18, v15, s[0:3], 0 offen offset:8
	buffer_load_dword v19, v15, s[0:3], 0 offen offset:12
	buffer_load_dword v20, v15, s[0:3], 0 offen
	buffer_load_dword v21, v15, s[0:3], 0 offen offset:4
	s_waitcnt vmcnt(2) lgkmcnt(0)
	v_mul_f64 v[22:23], v[3:4], v[18:19]
	v_mul_f64 v[18:19], v[1:2], v[18:19]
	s_waitcnt vmcnt(0)
	v_fma_f64 v[1:2], v[1:2], v[20:21], -v[22:23]
	v_fma_f64 v[3:4], v[3:4], v[20:21], v[18:19]
.LBB50_442:
	s_mov_b32 s8, exec_lo
	v_cmpx_ne_u32_e32 5, v0
	s_cbranch_execz .LBB50_446
; %bb.443:
	v_add_nc_u32_e32 v18, 0x340, v117
	v_add3_u32 v19, 0, v117, 16
	v_mov_b32_e32 v20, v0
	s_mov_b32 s58, 0
	.p2align	6
.LBB50_444:                             ; =>This Inner Loop Header: Depth=1
	s_clause 0x3
	buffer_load_dword v118, v19, s[0:3], 0 offen offset:8
	buffer_load_dword v119, v19, s[0:3], 0 offen offset:12
	buffer_load_dword v120, v19, s[0:3], 0 offen
	buffer_load_dword v121, v19, s[0:3], 0 offen offset:4
	ds_read_b128 v[21:24], v18
	v_add_nc_u32_e32 v20, 1, v20
	v_add_nc_u32_e32 v18, 16, v18
	;; [unrolled: 1-line block ×3, first 2 shown]
	v_cmp_lt_u32_e32 vcc_lo, 4, v20
	s_or_b32 s58, vcc_lo, s58
	s_waitcnt vmcnt(2) lgkmcnt(0)
	v_mul_f64 v[122:123], v[23:24], v[118:119]
	v_mul_f64 v[118:119], v[21:22], v[118:119]
	s_waitcnt vmcnt(0)
	v_fma_f64 v[21:22], v[21:22], v[120:121], -v[122:123]
	v_fma_f64 v[23:24], v[23:24], v[120:121], v[118:119]
	v_add_f64 v[1:2], v[1:2], v[21:22]
	v_add_f64 v[3:4], v[3:4], v[23:24]
	s_andn2_b32 exec_lo, exec_lo, s58
	s_cbranch_execnz .LBB50_444
; %bb.445:
	s_or_b32 exec_lo, exec_lo, s58
.LBB50_446:
	s_or_b32 exec_lo, exec_lo, s8
	v_mov_b32_e32 v18, 0
	ds_read_b128 v[18:21], v18 offset:96
	s_waitcnt lgkmcnt(0)
	v_mul_f64 v[22:23], v[3:4], v[20:21]
	v_mul_f64 v[20:21], v[1:2], v[20:21]
	v_fma_f64 v[1:2], v[1:2], v[18:19], -v[22:23]
	v_fma_f64 v[3:4], v[3:4], v[18:19], v[20:21]
	buffer_store_dword v2, off, s[0:3], 0 offset:100
	buffer_store_dword v1, off, s[0:3], 0 offset:96
	buffer_store_dword v4, off, s[0:3], 0 offset:108
	buffer_store_dword v3, off, s[0:3], 0 offset:104
.LBB50_447:
	s_or_b32 exec_lo, exec_lo, s4
	v_mov_b32_e32 v4, s51
	s_mov_b32 s4, exec_lo
	s_clause 0x3
	buffer_load_dword v1, v4, s[0:3], 0 offen
	buffer_load_dword v2, v4, s[0:3], 0 offen offset:4
	buffer_load_dword v3, v4, s[0:3], 0 offen offset:8
	;; [unrolled: 1-line block ×3, first 2 shown]
	s_waitcnt vmcnt(0)
	ds_write_b128 v16, v[1:4]
	s_waitcnt lgkmcnt(0)
	s_waitcnt_vscnt null, 0x0
	s_barrier
	buffer_gl0_inv
	v_cmpx_gt_u32_e32 7, v0
	s_cbranch_execz .LBB50_455
; %bb.448:
	ds_read_b128 v[1:4], v16
	v_cmp_ne_u32_e32 vcc_lo, 1, v17
	s_cbranch_vccnz .LBB50_450
; %bb.449:
	s_clause 0x3
	buffer_load_dword v18, v15, s[0:3], 0 offen offset:8
	buffer_load_dword v19, v15, s[0:3], 0 offen offset:12
	buffer_load_dword v20, v15, s[0:3], 0 offen
	buffer_load_dword v21, v15, s[0:3], 0 offen offset:4
	s_waitcnt vmcnt(2) lgkmcnt(0)
	v_mul_f64 v[22:23], v[3:4], v[18:19]
	v_mul_f64 v[18:19], v[1:2], v[18:19]
	s_waitcnt vmcnt(0)
	v_fma_f64 v[1:2], v[1:2], v[20:21], -v[22:23]
	v_fma_f64 v[3:4], v[3:4], v[20:21], v[18:19]
.LBB50_450:
	s_mov_b32 s8, exec_lo
	v_cmpx_ne_u32_e32 6, v0
	s_cbranch_execz .LBB50_454
; %bb.451:
	v_add_nc_u32_e32 v18, 0x340, v117
	v_add3_u32 v19, 0, v117, 16
	v_mov_b32_e32 v20, v0
	s_mov_b32 s58, 0
	.p2align	6
.LBB50_452:                             ; =>This Inner Loop Header: Depth=1
	s_clause 0x3
	buffer_load_dword v118, v19, s[0:3], 0 offen offset:8
	buffer_load_dword v119, v19, s[0:3], 0 offen offset:12
	buffer_load_dword v120, v19, s[0:3], 0 offen
	buffer_load_dword v121, v19, s[0:3], 0 offen offset:4
	ds_read_b128 v[21:24], v18
	v_add_nc_u32_e32 v20, 1, v20
	v_add_nc_u32_e32 v18, 16, v18
	;; [unrolled: 1-line block ×3, first 2 shown]
	v_cmp_lt_u32_e32 vcc_lo, 5, v20
	s_or_b32 s58, vcc_lo, s58
	s_waitcnt vmcnt(2) lgkmcnt(0)
	v_mul_f64 v[122:123], v[23:24], v[118:119]
	v_mul_f64 v[118:119], v[21:22], v[118:119]
	s_waitcnt vmcnt(0)
	v_fma_f64 v[21:22], v[21:22], v[120:121], -v[122:123]
	v_fma_f64 v[23:24], v[23:24], v[120:121], v[118:119]
	v_add_f64 v[1:2], v[1:2], v[21:22]
	v_add_f64 v[3:4], v[3:4], v[23:24]
	s_andn2_b32 exec_lo, exec_lo, s58
	s_cbranch_execnz .LBB50_452
; %bb.453:
	s_or_b32 exec_lo, exec_lo, s58
.LBB50_454:
	s_or_b32 exec_lo, exec_lo, s8
	v_mov_b32_e32 v18, 0
	ds_read_b128 v[18:21], v18 offset:112
	s_waitcnt lgkmcnt(0)
	v_mul_f64 v[22:23], v[3:4], v[20:21]
	v_mul_f64 v[20:21], v[1:2], v[20:21]
	v_fma_f64 v[1:2], v[1:2], v[18:19], -v[22:23]
	v_fma_f64 v[3:4], v[3:4], v[18:19], v[20:21]
	buffer_store_dword v2, off, s[0:3], 0 offset:116
	buffer_store_dword v1, off, s[0:3], 0 offset:112
	;; [unrolled: 1-line block ×4, first 2 shown]
.LBB50_455:
	s_or_b32 exec_lo, exec_lo, s4
	v_mov_b32_e32 v4, s50
	s_mov_b32 s4, exec_lo
	s_clause 0x3
	buffer_load_dword v1, v4, s[0:3], 0 offen
	buffer_load_dword v2, v4, s[0:3], 0 offen offset:4
	buffer_load_dword v3, v4, s[0:3], 0 offen offset:8
	buffer_load_dword v4, v4, s[0:3], 0 offen offset:12
	s_waitcnt vmcnt(0)
	ds_write_b128 v16, v[1:4]
	s_waitcnt lgkmcnt(0)
	s_waitcnt_vscnt null, 0x0
	s_barrier
	buffer_gl0_inv
	v_cmpx_gt_u32_e32 8, v0
	s_cbranch_execz .LBB50_463
; %bb.456:
	ds_read_b128 v[1:4], v16
	v_cmp_ne_u32_e32 vcc_lo, 1, v17
	s_cbranch_vccnz .LBB50_458
; %bb.457:
	s_clause 0x3
	buffer_load_dword v18, v15, s[0:3], 0 offen offset:8
	buffer_load_dword v19, v15, s[0:3], 0 offen offset:12
	buffer_load_dword v20, v15, s[0:3], 0 offen
	buffer_load_dword v21, v15, s[0:3], 0 offen offset:4
	s_waitcnt vmcnt(2) lgkmcnt(0)
	v_mul_f64 v[22:23], v[3:4], v[18:19]
	v_mul_f64 v[18:19], v[1:2], v[18:19]
	s_waitcnt vmcnt(0)
	v_fma_f64 v[1:2], v[1:2], v[20:21], -v[22:23]
	v_fma_f64 v[3:4], v[3:4], v[20:21], v[18:19]
.LBB50_458:
	s_mov_b32 s8, exec_lo
	v_cmpx_ne_u32_e32 7, v0
	s_cbranch_execz .LBB50_462
; %bb.459:
	v_add_nc_u32_e32 v18, 0x340, v117
	v_add3_u32 v19, 0, v117, 16
	v_mov_b32_e32 v20, v0
	s_mov_b32 s58, 0
	.p2align	6
.LBB50_460:                             ; =>This Inner Loop Header: Depth=1
	s_clause 0x3
	buffer_load_dword v118, v19, s[0:3], 0 offen offset:8
	buffer_load_dword v119, v19, s[0:3], 0 offen offset:12
	buffer_load_dword v120, v19, s[0:3], 0 offen
	buffer_load_dword v121, v19, s[0:3], 0 offen offset:4
	ds_read_b128 v[21:24], v18
	v_add_nc_u32_e32 v20, 1, v20
	v_add_nc_u32_e32 v18, 16, v18
	;; [unrolled: 1-line block ×3, first 2 shown]
	v_cmp_lt_u32_e32 vcc_lo, 6, v20
	s_or_b32 s58, vcc_lo, s58
	s_waitcnt vmcnt(2) lgkmcnt(0)
	v_mul_f64 v[122:123], v[23:24], v[118:119]
	v_mul_f64 v[118:119], v[21:22], v[118:119]
	s_waitcnt vmcnt(0)
	v_fma_f64 v[21:22], v[21:22], v[120:121], -v[122:123]
	v_fma_f64 v[23:24], v[23:24], v[120:121], v[118:119]
	v_add_f64 v[1:2], v[1:2], v[21:22]
	v_add_f64 v[3:4], v[3:4], v[23:24]
	s_andn2_b32 exec_lo, exec_lo, s58
	s_cbranch_execnz .LBB50_460
; %bb.461:
	s_or_b32 exec_lo, exec_lo, s58
.LBB50_462:
	s_or_b32 exec_lo, exec_lo, s8
	v_mov_b32_e32 v18, 0
	ds_read_b128 v[18:21], v18 offset:128
	s_waitcnt lgkmcnt(0)
	v_mul_f64 v[22:23], v[3:4], v[20:21]
	v_mul_f64 v[20:21], v[1:2], v[20:21]
	v_fma_f64 v[1:2], v[1:2], v[18:19], -v[22:23]
	v_fma_f64 v[3:4], v[3:4], v[18:19], v[20:21]
	buffer_store_dword v2, off, s[0:3], 0 offset:132
	buffer_store_dword v1, off, s[0:3], 0 offset:128
	;; [unrolled: 1-line block ×4, first 2 shown]
.LBB50_463:
	s_or_b32 exec_lo, exec_lo, s4
	v_mov_b32_e32 v4, s49
	s_mov_b32 s4, exec_lo
	s_clause 0x3
	buffer_load_dword v1, v4, s[0:3], 0 offen
	buffer_load_dword v2, v4, s[0:3], 0 offen offset:4
	buffer_load_dword v3, v4, s[0:3], 0 offen offset:8
	;; [unrolled: 1-line block ×3, first 2 shown]
	s_waitcnt vmcnt(0)
	ds_write_b128 v16, v[1:4]
	s_waitcnt lgkmcnt(0)
	s_waitcnt_vscnt null, 0x0
	s_barrier
	buffer_gl0_inv
	v_cmpx_gt_u32_e32 9, v0
	s_cbranch_execz .LBB50_471
; %bb.464:
	ds_read_b128 v[1:4], v16
	v_cmp_ne_u32_e32 vcc_lo, 1, v17
	s_cbranch_vccnz .LBB50_466
; %bb.465:
	s_clause 0x3
	buffer_load_dword v18, v15, s[0:3], 0 offen offset:8
	buffer_load_dword v19, v15, s[0:3], 0 offen offset:12
	buffer_load_dword v20, v15, s[0:3], 0 offen
	buffer_load_dword v21, v15, s[0:3], 0 offen offset:4
	s_waitcnt vmcnt(2) lgkmcnt(0)
	v_mul_f64 v[22:23], v[3:4], v[18:19]
	v_mul_f64 v[18:19], v[1:2], v[18:19]
	s_waitcnt vmcnt(0)
	v_fma_f64 v[1:2], v[1:2], v[20:21], -v[22:23]
	v_fma_f64 v[3:4], v[3:4], v[20:21], v[18:19]
.LBB50_466:
	s_mov_b32 s8, exec_lo
	v_cmpx_ne_u32_e32 8, v0
	s_cbranch_execz .LBB50_470
; %bb.467:
	v_add_nc_u32_e32 v18, 0x340, v117
	v_add3_u32 v19, 0, v117, 16
	v_mov_b32_e32 v20, v0
	s_mov_b32 s58, 0
	.p2align	6
.LBB50_468:                             ; =>This Inner Loop Header: Depth=1
	s_clause 0x3
	buffer_load_dword v118, v19, s[0:3], 0 offen offset:8
	buffer_load_dword v119, v19, s[0:3], 0 offen offset:12
	buffer_load_dword v120, v19, s[0:3], 0 offen
	buffer_load_dword v121, v19, s[0:3], 0 offen offset:4
	ds_read_b128 v[21:24], v18
	v_add_nc_u32_e32 v20, 1, v20
	v_add_nc_u32_e32 v18, 16, v18
	v_add_nc_u32_e32 v19, 16, v19
	v_cmp_lt_u32_e32 vcc_lo, 7, v20
	s_or_b32 s58, vcc_lo, s58
	s_waitcnt vmcnt(2) lgkmcnt(0)
	v_mul_f64 v[122:123], v[23:24], v[118:119]
	v_mul_f64 v[118:119], v[21:22], v[118:119]
	s_waitcnt vmcnt(0)
	v_fma_f64 v[21:22], v[21:22], v[120:121], -v[122:123]
	v_fma_f64 v[23:24], v[23:24], v[120:121], v[118:119]
	v_add_f64 v[1:2], v[1:2], v[21:22]
	v_add_f64 v[3:4], v[3:4], v[23:24]
	s_andn2_b32 exec_lo, exec_lo, s58
	s_cbranch_execnz .LBB50_468
; %bb.469:
	s_or_b32 exec_lo, exec_lo, s58
.LBB50_470:
	s_or_b32 exec_lo, exec_lo, s8
	v_mov_b32_e32 v18, 0
	ds_read_b128 v[18:21], v18 offset:144
	s_waitcnt lgkmcnt(0)
	v_mul_f64 v[22:23], v[3:4], v[20:21]
	v_mul_f64 v[20:21], v[1:2], v[20:21]
	v_fma_f64 v[1:2], v[1:2], v[18:19], -v[22:23]
	v_fma_f64 v[3:4], v[3:4], v[18:19], v[20:21]
	buffer_store_dword v2, off, s[0:3], 0 offset:148
	buffer_store_dword v1, off, s[0:3], 0 offset:144
	;; [unrolled: 1-line block ×4, first 2 shown]
.LBB50_471:
	s_or_b32 exec_lo, exec_lo, s4
	v_mov_b32_e32 v4, s48
	s_mov_b32 s4, exec_lo
	s_clause 0x3
	buffer_load_dword v1, v4, s[0:3], 0 offen
	buffer_load_dword v2, v4, s[0:3], 0 offen offset:4
	buffer_load_dword v3, v4, s[0:3], 0 offen offset:8
	;; [unrolled: 1-line block ×3, first 2 shown]
	s_waitcnt vmcnt(0)
	ds_write_b128 v16, v[1:4]
	s_waitcnt lgkmcnt(0)
	s_waitcnt_vscnt null, 0x0
	s_barrier
	buffer_gl0_inv
	v_cmpx_gt_u32_e32 10, v0
	s_cbranch_execz .LBB50_479
; %bb.472:
	ds_read_b128 v[1:4], v16
	v_cmp_ne_u32_e32 vcc_lo, 1, v17
	s_cbranch_vccnz .LBB50_474
; %bb.473:
	s_clause 0x3
	buffer_load_dword v18, v15, s[0:3], 0 offen offset:8
	buffer_load_dword v19, v15, s[0:3], 0 offen offset:12
	buffer_load_dword v20, v15, s[0:3], 0 offen
	buffer_load_dword v21, v15, s[0:3], 0 offen offset:4
	s_waitcnt vmcnt(2) lgkmcnt(0)
	v_mul_f64 v[22:23], v[3:4], v[18:19]
	v_mul_f64 v[18:19], v[1:2], v[18:19]
	s_waitcnt vmcnt(0)
	v_fma_f64 v[1:2], v[1:2], v[20:21], -v[22:23]
	v_fma_f64 v[3:4], v[3:4], v[20:21], v[18:19]
.LBB50_474:
	s_mov_b32 s8, exec_lo
	v_cmpx_ne_u32_e32 9, v0
	s_cbranch_execz .LBB50_478
; %bb.475:
	v_add_nc_u32_e32 v18, 0x340, v117
	v_add3_u32 v19, 0, v117, 16
	v_mov_b32_e32 v20, v0
	s_mov_b32 s58, 0
	.p2align	6
.LBB50_476:                             ; =>This Inner Loop Header: Depth=1
	s_clause 0x3
	buffer_load_dword v118, v19, s[0:3], 0 offen offset:8
	buffer_load_dword v119, v19, s[0:3], 0 offen offset:12
	buffer_load_dword v120, v19, s[0:3], 0 offen
	buffer_load_dword v121, v19, s[0:3], 0 offen offset:4
	ds_read_b128 v[21:24], v18
	v_add_nc_u32_e32 v20, 1, v20
	v_add_nc_u32_e32 v18, 16, v18
	;; [unrolled: 1-line block ×3, first 2 shown]
	v_cmp_lt_u32_e32 vcc_lo, 8, v20
	s_or_b32 s58, vcc_lo, s58
	s_waitcnt vmcnt(2) lgkmcnt(0)
	v_mul_f64 v[122:123], v[23:24], v[118:119]
	v_mul_f64 v[118:119], v[21:22], v[118:119]
	s_waitcnt vmcnt(0)
	v_fma_f64 v[21:22], v[21:22], v[120:121], -v[122:123]
	v_fma_f64 v[23:24], v[23:24], v[120:121], v[118:119]
	v_add_f64 v[1:2], v[1:2], v[21:22]
	v_add_f64 v[3:4], v[3:4], v[23:24]
	s_andn2_b32 exec_lo, exec_lo, s58
	s_cbranch_execnz .LBB50_476
; %bb.477:
	s_or_b32 exec_lo, exec_lo, s58
.LBB50_478:
	s_or_b32 exec_lo, exec_lo, s8
	v_mov_b32_e32 v18, 0
	ds_read_b128 v[18:21], v18 offset:160
	s_waitcnt lgkmcnt(0)
	v_mul_f64 v[22:23], v[3:4], v[20:21]
	v_mul_f64 v[20:21], v[1:2], v[20:21]
	v_fma_f64 v[1:2], v[1:2], v[18:19], -v[22:23]
	v_fma_f64 v[3:4], v[3:4], v[18:19], v[20:21]
	buffer_store_dword v2, off, s[0:3], 0 offset:164
	buffer_store_dword v1, off, s[0:3], 0 offset:160
	;; [unrolled: 1-line block ×4, first 2 shown]
.LBB50_479:
	s_or_b32 exec_lo, exec_lo, s4
	v_mov_b32_e32 v4, s47
	s_mov_b32 s4, exec_lo
	s_clause 0x3
	buffer_load_dword v1, v4, s[0:3], 0 offen
	buffer_load_dword v2, v4, s[0:3], 0 offen offset:4
	buffer_load_dword v3, v4, s[0:3], 0 offen offset:8
	;; [unrolled: 1-line block ×3, first 2 shown]
	s_waitcnt vmcnt(0)
	ds_write_b128 v16, v[1:4]
	s_waitcnt lgkmcnt(0)
	s_waitcnt_vscnt null, 0x0
	s_barrier
	buffer_gl0_inv
	v_cmpx_gt_u32_e32 11, v0
	s_cbranch_execz .LBB50_487
; %bb.480:
	ds_read_b128 v[1:4], v16
	v_cmp_ne_u32_e32 vcc_lo, 1, v17
	s_cbranch_vccnz .LBB50_482
; %bb.481:
	s_clause 0x3
	buffer_load_dword v18, v15, s[0:3], 0 offen offset:8
	buffer_load_dword v19, v15, s[0:3], 0 offen offset:12
	buffer_load_dword v20, v15, s[0:3], 0 offen
	buffer_load_dword v21, v15, s[0:3], 0 offen offset:4
	s_waitcnt vmcnt(2) lgkmcnt(0)
	v_mul_f64 v[22:23], v[3:4], v[18:19]
	v_mul_f64 v[18:19], v[1:2], v[18:19]
	s_waitcnt vmcnt(0)
	v_fma_f64 v[1:2], v[1:2], v[20:21], -v[22:23]
	v_fma_f64 v[3:4], v[3:4], v[20:21], v[18:19]
.LBB50_482:
	s_mov_b32 s8, exec_lo
	v_cmpx_ne_u32_e32 10, v0
	s_cbranch_execz .LBB50_486
; %bb.483:
	v_add_nc_u32_e32 v18, 0x340, v117
	v_add3_u32 v19, 0, v117, 16
	v_mov_b32_e32 v20, v0
	s_mov_b32 s58, 0
	.p2align	6
.LBB50_484:                             ; =>This Inner Loop Header: Depth=1
	s_clause 0x3
	buffer_load_dword v118, v19, s[0:3], 0 offen offset:8
	buffer_load_dword v119, v19, s[0:3], 0 offen offset:12
	buffer_load_dword v120, v19, s[0:3], 0 offen
	buffer_load_dword v121, v19, s[0:3], 0 offen offset:4
	ds_read_b128 v[21:24], v18
	v_add_nc_u32_e32 v20, 1, v20
	v_add_nc_u32_e32 v18, 16, v18
	;; [unrolled: 1-line block ×3, first 2 shown]
	v_cmp_lt_u32_e32 vcc_lo, 9, v20
	s_or_b32 s58, vcc_lo, s58
	s_waitcnt vmcnt(2) lgkmcnt(0)
	v_mul_f64 v[122:123], v[23:24], v[118:119]
	v_mul_f64 v[118:119], v[21:22], v[118:119]
	s_waitcnt vmcnt(0)
	v_fma_f64 v[21:22], v[21:22], v[120:121], -v[122:123]
	v_fma_f64 v[23:24], v[23:24], v[120:121], v[118:119]
	v_add_f64 v[1:2], v[1:2], v[21:22]
	v_add_f64 v[3:4], v[3:4], v[23:24]
	s_andn2_b32 exec_lo, exec_lo, s58
	s_cbranch_execnz .LBB50_484
; %bb.485:
	s_or_b32 exec_lo, exec_lo, s58
.LBB50_486:
	s_or_b32 exec_lo, exec_lo, s8
	v_mov_b32_e32 v18, 0
	ds_read_b128 v[18:21], v18 offset:176
	s_waitcnt lgkmcnt(0)
	v_mul_f64 v[22:23], v[3:4], v[20:21]
	v_mul_f64 v[20:21], v[1:2], v[20:21]
	v_fma_f64 v[1:2], v[1:2], v[18:19], -v[22:23]
	v_fma_f64 v[3:4], v[3:4], v[18:19], v[20:21]
	buffer_store_dword v2, off, s[0:3], 0 offset:180
	buffer_store_dword v1, off, s[0:3], 0 offset:176
	;; [unrolled: 1-line block ×4, first 2 shown]
.LBB50_487:
	s_or_b32 exec_lo, exec_lo, s4
	v_mov_b32_e32 v4, s46
	s_mov_b32 s4, exec_lo
	s_clause 0x3
	buffer_load_dword v1, v4, s[0:3], 0 offen
	buffer_load_dword v2, v4, s[0:3], 0 offen offset:4
	buffer_load_dword v3, v4, s[0:3], 0 offen offset:8
	;; [unrolled: 1-line block ×3, first 2 shown]
	s_waitcnt vmcnt(0)
	ds_write_b128 v16, v[1:4]
	s_waitcnt lgkmcnt(0)
	s_waitcnt_vscnt null, 0x0
	s_barrier
	buffer_gl0_inv
	v_cmpx_gt_u32_e32 12, v0
	s_cbranch_execz .LBB50_495
; %bb.488:
	ds_read_b128 v[1:4], v16
	v_cmp_ne_u32_e32 vcc_lo, 1, v17
	s_cbranch_vccnz .LBB50_490
; %bb.489:
	s_clause 0x3
	buffer_load_dword v18, v15, s[0:3], 0 offen offset:8
	buffer_load_dword v19, v15, s[0:3], 0 offen offset:12
	buffer_load_dword v20, v15, s[0:3], 0 offen
	buffer_load_dword v21, v15, s[0:3], 0 offen offset:4
	s_waitcnt vmcnt(2) lgkmcnt(0)
	v_mul_f64 v[22:23], v[3:4], v[18:19]
	v_mul_f64 v[18:19], v[1:2], v[18:19]
	s_waitcnt vmcnt(0)
	v_fma_f64 v[1:2], v[1:2], v[20:21], -v[22:23]
	v_fma_f64 v[3:4], v[3:4], v[20:21], v[18:19]
.LBB50_490:
	s_mov_b32 s8, exec_lo
	v_cmpx_ne_u32_e32 11, v0
	s_cbranch_execz .LBB50_494
; %bb.491:
	v_add_nc_u32_e32 v18, 0x340, v117
	v_add3_u32 v19, 0, v117, 16
	v_mov_b32_e32 v20, v0
	s_mov_b32 s58, 0
	.p2align	6
.LBB50_492:                             ; =>This Inner Loop Header: Depth=1
	s_clause 0x3
	buffer_load_dword v118, v19, s[0:3], 0 offen offset:8
	buffer_load_dword v119, v19, s[0:3], 0 offen offset:12
	buffer_load_dword v120, v19, s[0:3], 0 offen
	buffer_load_dword v121, v19, s[0:3], 0 offen offset:4
	ds_read_b128 v[21:24], v18
	v_add_nc_u32_e32 v20, 1, v20
	v_add_nc_u32_e32 v18, 16, v18
	;; [unrolled: 1-line block ×3, first 2 shown]
	v_cmp_lt_u32_e32 vcc_lo, 10, v20
	s_or_b32 s58, vcc_lo, s58
	s_waitcnt vmcnt(2) lgkmcnt(0)
	v_mul_f64 v[122:123], v[23:24], v[118:119]
	v_mul_f64 v[118:119], v[21:22], v[118:119]
	s_waitcnt vmcnt(0)
	v_fma_f64 v[21:22], v[21:22], v[120:121], -v[122:123]
	v_fma_f64 v[23:24], v[23:24], v[120:121], v[118:119]
	v_add_f64 v[1:2], v[1:2], v[21:22]
	v_add_f64 v[3:4], v[3:4], v[23:24]
	s_andn2_b32 exec_lo, exec_lo, s58
	s_cbranch_execnz .LBB50_492
; %bb.493:
	s_or_b32 exec_lo, exec_lo, s58
.LBB50_494:
	s_or_b32 exec_lo, exec_lo, s8
	v_mov_b32_e32 v18, 0
	ds_read_b128 v[18:21], v18 offset:192
	s_waitcnt lgkmcnt(0)
	v_mul_f64 v[22:23], v[3:4], v[20:21]
	v_mul_f64 v[20:21], v[1:2], v[20:21]
	v_fma_f64 v[1:2], v[1:2], v[18:19], -v[22:23]
	v_fma_f64 v[3:4], v[3:4], v[18:19], v[20:21]
	buffer_store_dword v2, off, s[0:3], 0 offset:196
	buffer_store_dword v1, off, s[0:3], 0 offset:192
	;; [unrolled: 1-line block ×4, first 2 shown]
.LBB50_495:
	s_or_b32 exec_lo, exec_lo, s4
	v_mov_b32_e32 v4, s45
	s_mov_b32 s4, exec_lo
	s_clause 0x3
	buffer_load_dword v1, v4, s[0:3], 0 offen
	buffer_load_dword v2, v4, s[0:3], 0 offen offset:4
	buffer_load_dword v3, v4, s[0:3], 0 offen offset:8
	buffer_load_dword v4, v4, s[0:3], 0 offen offset:12
	s_waitcnt vmcnt(0)
	ds_write_b128 v16, v[1:4]
	s_waitcnt lgkmcnt(0)
	s_waitcnt_vscnt null, 0x0
	s_barrier
	buffer_gl0_inv
	v_cmpx_gt_u32_e32 13, v0
	s_cbranch_execz .LBB50_503
; %bb.496:
	ds_read_b128 v[1:4], v16
	v_cmp_ne_u32_e32 vcc_lo, 1, v17
	s_cbranch_vccnz .LBB50_498
; %bb.497:
	s_clause 0x3
	buffer_load_dword v18, v15, s[0:3], 0 offen offset:8
	buffer_load_dword v19, v15, s[0:3], 0 offen offset:12
	buffer_load_dword v20, v15, s[0:3], 0 offen
	buffer_load_dword v21, v15, s[0:3], 0 offen offset:4
	s_waitcnt vmcnt(2) lgkmcnt(0)
	v_mul_f64 v[22:23], v[3:4], v[18:19]
	v_mul_f64 v[18:19], v[1:2], v[18:19]
	s_waitcnt vmcnt(0)
	v_fma_f64 v[1:2], v[1:2], v[20:21], -v[22:23]
	v_fma_f64 v[3:4], v[3:4], v[20:21], v[18:19]
.LBB50_498:
	s_mov_b32 s8, exec_lo
	v_cmpx_ne_u32_e32 12, v0
	s_cbranch_execz .LBB50_502
; %bb.499:
	v_add_nc_u32_e32 v18, 0x340, v117
	v_add3_u32 v19, 0, v117, 16
	v_mov_b32_e32 v20, v0
	s_mov_b32 s58, 0
	.p2align	6
.LBB50_500:                             ; =>This Inner Loop Header: Depth=1
	s_clause 0x3
	buffer_load_dword v118, v19, s[0:3], 0 offen offset:8
	buffer_load_dword v119, v19, s[0:3], 0 offen offset:12
	buffer_load_dword v120, v19, s[0:3], 0 offen
	buffer_load_dword v121, v19, s[0:3], 0 offen offset:4
	ds_read_b128 v[21:24], v18
	v_add_nc_u32_e32 v20, 1, v20
	v_add_nc_u32_e32 v18, 16, v18
	;; [unrolled: 1-line block ×3, first 2 shown]
	v_cmp_lt_u32_e32 vcc_lo, 11, v20
	s_or_b32 s58, vcc_lo, s58
	s_waitcnt vmcnt(2) lgkmcnt(0)
	v_mul_f64 v[122:123], v[23:24], v[118:119]
	v_mul_f64 v[118:119], v[21:22], v[118:119]
	s_waitcnt vmcnt(0)
	v_fma_f64 v[21:22], v[21:22], v[120:121], -v[122:123]
	v_fma_f64 v[23:24], v[23:24], v[120:121], v[118:119]
	v_add_f64 v[1:2], v[1:2], v[21:22]
	v_add_f64 v[3:4], v[3:4], v[23:24]
	s_andn2_b32 exec_lo, exec_lo, s58
	s_cbranch_execnz .LBB50_500
; %bb.501:
	s_or_b32 exec_lo, exec_lo, s58
.LBB50_502:
	s_or_b32 exec_lo, exec_lo, s8
	v_mov_b32_e32 v18, 0
	ds_read_b128 v[18:21], v18 offset:208
	s_waitcnt lgkmcnt(0)
	v_mul_f64 v[22:23], v[3:4], v[20:21]
	v_mul_f64 v[20:21], v[1:2], v[20:21]
	v_fma_f64 v[1:2], v[1:2], v[18:19], -v[22:23]
	v_fma_f64 v[3:4], v[3:4], v[18:19], v[20:21]
	buffer_store_dword v2, off, s[0:3], 0 offset:212
	buffer_store_dword v1, off, s[0:3], 0 offset:208
	;; [unrolled: 1-line block ×4, first 2 shown]
.LBB50_503:
	s_or_b32 exec_lo, exec_lo, s4
	v_mov_b32_e32 v4, s44
	s_mov_b32 s4, exec_lo
	s_clause 0x3
	buffer_load_dword v1, v4, s[0:3], 0 offen
	buffer_load_dword v2, v4, s[0:3], 0 offen offset:4
	buffer_load_dword v3, v4, s[0:3], 0 offen offset:8
	;; [unrolled: 1-line block ×3, first 2 shown]
	s_waitcnt vmcnt(0)
	ds_write_b128 v16, v[1:4]
	s_waitcnt lgkmcnt(0)
	s_waitcnt_vscnt null, 0x0
	s_barrier
	buffer_gl0_inv
	v_cmpx_gt_u32_e32 14, v0
	s_cbranch_execz .LBB50_511
; %bb.504:
	ds_read_b128 v[1:4], v16
	v_cmp_ne_u32_e32 vcc_lo, 1, v17
	s_cbranch_vccnz .LBB50_506
; %bb.505:
	s_clause 0x3
	buffer_load_dword v18, v15, s[0:3], 0 offen offset:8
	buffer_load_dword v19, v15, s[0:3], 0 offen offset:12
	buffer_load_dword v20, v15, s[0:3], 0 offen
	buffer_load_dword v21, v15, s[0:3], 0 offen offset:4
	s_waitcnt vmcnt(2) lgkmcnt(0)
	v_mul_f64 v[22:23], v[3:4], v[18:19]
	v_mul_f64 v[18:19], v[1:2], v[18:19]
	s_waitcnt vmcnt(0)
	v_fma_f64 v[1:2], v[1:2], v[20:21], -v[22:23]
	v_fma_f64 v[3:4], v[3:4], v[20:21], v[18:19]
.LBB50_506:
	s_mov_b32 s8, exec_lo
	v_cmpx_ne_u32_e32 13, v0
	s_cbranch_execz .LBB50_510
; %bb.507:
	v_add_nc_u32_e32 v18, 0x340, v117
	v_add3_u32 v19, 0, v117, 16
	v_mov_b32_e32 v20, v0
	s_mov_b32 s58, 0
	.p2align	6
.LBB50_508:                             ; =>This Inner Loop Header: Depth=1
	s_clause 0x3
	buffer_load_dword v118, v19, s[0:3], 0 offen offset:8
	buffer_load_dword v119, v19, s[0:3], 0 offen offset:12
	buffer_load_dword v120, v19, s[0:3], 0 offen
	buffer_load_dword v121, v19, s[0:3], 0 offen offset:4
	ds_read_b128 v[21:24], v18
	v_add_nc_u32_e32 v20, 1, v20
	v_add_nc_u32_e32 v18, 16, v18
	v_add_nc_u32_e32 v19, 16, v19
	v_cmp_lt_u32_e32 vcc_lo, 12, v20
	s_or_b32 s58, vcc_lo, s58
	s_waitcnt vmcnt(2) lgkmcnt(0)
	v_mul_f64 v[122:123], v[23:24], v[118:119]
	v_mul_f64 v[118:119], v[21:22], v[118:119]
	s_waitcnt vmcnt(0)
	v_fma_f64 v[21:22], v[21:22], v[120:121], -v[122:123]
	v_fma_f64 v[23:24], v[23:24], v[120:121], v[118:119]
	v_add_f64 v[1:2], v[1:2], v[21:22]
	v_add_f64 v[3:4], v[3:4], v[23:24]
	s_andn2_b32 exec_lo, exec_lo, s58
	s_cbranch_execnz .LBB50_508
; %bb.509:
	s_or_b32 exec_lo, exec_lo, s58
.LBB50_510:
	s_or_b32 exec_lo, exec_lo, s8
	v_mov_b32_e32 v18, 0
	ds_read_b128 v[18:21], v18 offset:224
	s_waitcnt lgkmcnt(0)
	v_mul_f64 v[22:23], v[3:4], v[20:21]
	v_mul_f64 v[20:21], v[1:2], v[20:21]
	v_fma_f64 v[1:2], v[1:2], v[18:19], -v[22:23]
	v_fma_f64 v[3:4], v[3:4], v[18:19], v[20:21]
	buffer_store_dword v2, off, s[0:3], 0 offset:228
	buffer_store_dword v1, off, s[0:3], 0 offset:224
	;; [unrolled: 1-line block ×4, first 2 shown]
.LBB50_511:
	s_or_b32 exec_lo, exec_lo, s4
	v_mov_b32_e32 v4, s43
	s_mov_b32 s4, exec_lo
	s_clause 0x3
	buffer_load_dword v1, v4, s[0:3], 0 offen
	buffer_load_dword v2, v4, s[0:3], 0 offen offset:4
	buffer_load_dword v3, v4, s[0:3], 0 offen offset:8
	;; [unrolled: 1-line block ×3, first 2 shown]
	s_waitcnt vmcnt(0)
	ds_write_b128 v16, v[1:4]
	s_waitcnt lgkmcnt(0)
	s_waitcnt_vscnt null, 0x0
	s_barrier
	buffer_gl0_inv
	v_cmpx_gt_u32_e32 15, v0
	s_cbranch_execz .LBB50_519
; %bb.512:
	ds_read_b128 v[1:4], v16
	v_cmp_ne_u32_e32 vcc_lo, 1, v17
	s_cbranch_vccnz .LBB50_514
; %bb.513:
	s_clause 0x3
	buffer_load_dword v18, v15, s[0:3], 0 offen offset:8
	buffer_load_dword v19, v15, s[0:3], 0 offen offset:12
	buffer_load_dword v20, v15, s[0:3], 0 offen
	buffer_load_dword v21, v15, s[0:3], 0 offen offset:4
	s_waitcnt vmcnt(2) lgkmcnt(0)
	v_mul_f64 v[22:23], v[3:4], v[18:19]
	v_mul_f64 v[18:19], v[1:2], v[18:19]
	s_waitcnt vmcnt(0)
	v_fma_f64 v[1:2], v[1:2], v[20:21], -v[22:23]
	v_fma_f64 v[3:4], v[3:4], v[20:21], v[18:19]
.LBB50_514:
	s_mov_b32 s8, exec_lo
	v_cmpx_ne_u32_e32 14, v0
	s_cbranch_execz .LBB50_518
; %bb.515:
	v_add_nc_u32_e32 v18, 0x340, v117
	v_add3_u32 v19, 0, v117, 16
	v_mov_b32_e32 v20, v0
	s_mov_b32 s58, 0
	.p2align	6
.LBB50_516:                             ; =>This Inner Loop Header: Depth=1
	s_clause 0x3
	buffer_load_dword v118, v19, s[0:3], 0 offen offset:8
	buffer_load_dword v119, v19, s[0:3], 0 offen offset:12
	buffer_load_dword v120, v19, s[0:3], 0 offen
	buffer_load_dword v121, v19, s[0:3], 0 offen offset:4
	ds_read_b128 v[21:24], v18
	v_add_nc_u32_e32 v20, 1, v20
	v_add_nc_u32_e32 v18, 16, v18
	v_add_nc_u32_e32 v19, 16, v19
	v_cmp_lt_u32_e32 vcc_lo, 13, v20
	s_or_b32 s58, vcc_lo, s58
	s_waitcnt vmcnt(2) lgkmcnt(0)
	v_mul_f64 v[122:123], v[23:24], v[118:119]
	v_mul_f64 v[118:119], v[21:22], v[118:119]
	s_waitcnt vmcnt(0)
	v_fma_f64 v[21:22], v[21:22], v[120:121], -v[122:123]
	v_fma_f64 v[23:24], v[23:24], v[120:121], v[118:119]
	v_add_f64 v[1:2], v[1:2], v[21:22]
	v_add_f64 v[3:4], v[3:4], v[23:24]
	s_andn2_b32 exec_lo, exec_lo, s58
	s_cbranch_execnz .LBB50_516
; %bb.517:
	s_or_b32 exec_lo, exec_lo, s58
.LBB50_518:
	s_or_b32 exec_lo, exec_lo, s8
	v_mov_b32_e32 v18, 0
	ds_read_b128 v[18:21], v18 offset:240
	s_waitcnt lgkmcnt(0)
	v_mul_f64 v[22:23], v[3:4], v[20:21]
	v_mul_f64 v[20:21], v[1:2], v[20:21]
	v_fma_f64 v[1:2], v[1:2], v[18:19], -v[22:23]
	v_fma_f64 v[3:4], v[3:4], v[18:19], v[20:21]
	buffer_store_dword v2, off, s[0:3], 0 offset:244
	buffer_store_dword v1, off, s[0:3], 0 offset:240
	;; [unrolled: 1-line block ×4, first 2 shown]
.LBB50_519:
	s_or_b32 exec_lo, exec_lo, s4
	v_mov_b32_e32 v4, s42
	s_mov_b32 s4, exec_lo
	s_clause 0x3
	buffer_load_dword v1, v4, s[0:3], 0 offen
	buffer_load_dword v2, v4, s[0:3], 0 offen offset:4
	buffer_load_dword v3, v4, s[0:3], 0 offen offset:8
	;; [unrolled: 1-line block ×3, first 2 shown]
	s_waitcnt vmcnt(0)
	ds_write_b128 v16, v[1:4]
	s_waitcnt lgkmcnt(0)
	s_waitcnt_vscnt null, 0x0
	s_barrier
	buffer_gl0_inv
	v_cmpx_gt_u32_e32 16, v0
	s_cbranch_execz .LBB50_527
; %bb.520:
	ds_read_b128 v[1:4], v16
	v_cmp_ne_u32_e32 vcc_lo, 1, v17
	s_cbranch_vccnz .LBB50_522
; %bb.521:
	s_clause 0x3
	buffer_load_dword v18, v15, s[0:3], 0 offen offset:8
	buffer_load_dword v19, v15, s[0:3], 0 offen offset:12
	buffer_load_dword v20, v15, s[0:3], 0 offen
	buffer_load_dword v21, v15, s[0:3], 0 offen offset:4
	s_waitcnt vmcnt(2) lgkmcnt(0)
	v_mul_f64 v[22:23], v[3:4], v[18:19]
	v_mul_f64 v[18:19], v[1:2], v[18:19]
	s_waitcnt vmcnt(0)
	v_fma_f64 v[1:2], v[1:2], v[20:21], -v[22:23]
	v_fma_f64 v[3:4], v[3:4], v[20:21], v[18:19]
.LBB50_522:
	s_mov_b32 s8, exec_lo
	v_cmpx_ne_u32_e32 15, v0
	s_cbranch_execz .LBB50_526
; %bb.523:
	v_add_nc_u32_e32 v18, 0x340, v117
	v_add3_u32 v19, 0, v117, 16
	v_mov_b32_e32 v20, v0
	s_mov_b32 s58, 0
	.p2align	6
.LBB50_524:                             ; =>This Inner Loop Header: Depth=1
	s_clause 0x3
	buffer_load_dword v118, v19, s[0:3], 0 offen offset:8
	buffer_load_dword v119, v19, s[0:3], 0 offen offset:12
	buffer_load_dword v120, v19, s[0:3], 0 offen
	buffer_load_dword v121, v19, s[0:3], 0 offen offset:4
	ds_read_b128 v[21:24], v18
	v_add_nc_u32_e32 v20, 1, v20
	v_add_nc_u32_e32 v18, 16, v18
	;; [unrolled: 1-line block ×3, first 2 shown]
	v_cmp_lt_u32_e32 vcc_lo, 14, v20
	s_or_b32 s58, vcc_lo, s58
	s_waitcnt vmcnt(2) lgkmcnt(0)
	v_mul_f64 v[122:123], v[23:24], v[118:119]
	v_mul_f64 v[118:119], v[21:22], v[118:119]
	s_waitcnt vmcnt(0)
	v_fma_f64 v[21:22], v[21:22], v[120:121], -v[122:123]
	v_fma_f64 v[23:24], v[23:24], v[120:121], v[118:119]
	v_add_f64 v[1:2], v[1:2], v[21:22]
	v_add_f64 v[3:4], v[3:4], v[23:24]
	s_andn2_b32 exec_lo, exec_lo, s58
	s_cbranch_execnz .LBB50_524
; %bb.525:
	s_or_b32 exec_lo, exec_lo, s58
.LBB50_526:
	s_or_b32 exec_lo, exec_lo, s8
	v_mov_b32_e32 v18, 0
	ds_read_b128 v[18:21], v18 offset:256
	s_waitcnt lgkmcnt(0)
	v_mul_f64 v[22:23], v[3:4], v[20:21]
	v_mul_f64 v[20:21], v[1:2], v[20:21]
	v_fma_f64 v[1:2], v[1:2], v[18:19], -v[22:23]
	v_fma_f64 v[3:4], v[3:4], v[18:19], v[20:21]
	buffer_store_dword v2, off, s[0:3], 0 offset:260
	buffer_store_dword v1, off, s[0:3], 0 offset:256
	;; [unrolled: 1-line block ×4, first 2 shown]
.LBB50_527:
	s_or_b32 exec_lo, exec_lo, s4
	v_mov_b32_e32 v4, s41
	s_mov_b32 s4, exec_lo
	s_clause 0x3
	buffer_load_dword v1, v4, s[0:3], 0 offen
	buffer_load_dword v2, v4, s[0:3], 0 offen offset:4
	buffer_load_dword v3, v4, s[0:3], 0 offen offset:8
	buffer_load_dword v4, v4, s[0:3], 0 offen offset:12
	s_waitcnt vmcnt(0)
	ds_write_b128 v16, v[1:4]
	s_waitcnt lgkmcnt(0)
	s_waitcnt_vscnt null, 0x0
	s_barrier
	buffer_gl0_inv
	v_cmpx_gt_u32_e32 17, v0
	s_cbranch_execz .LBB50_535
; %bb.528:
	ds_read_b128 v[1:4], v16
	v_cmp_ne_u32_e32 vcc_lo, 1, v17
	s_cbranch_vccnz .LBB50_530
; %bb.529:
	s_clause 0x3
	buffer_load_dword v18, v15, s[0:3], 0 offen offset:8
	buffer_load_dword v19, v15, s[0:3], 0 offen offset:12
	buffer_load_dword v20, v15, s[0:3], 0 offen
	buffer_load_dword v21, v15, s[0:3], 0 offen offset:4
	s_waitcnt vmcnt(2) lgkmcnt(0)
	v_mul_f64 v[22:23], v[3:4], v[18:19]
	v_mul_f64 v[18:19], v[1:2], v[18:19]
	s_waitcnt vmcnt(0)
	v_fma_f64 v[1:2], v[1:2], v[20:21], -v[22:23]
	v_fma_f64 v[3:4], v[3:4], v[20:21], v[18:19]
.LBB50_530:
	s_mov_b32 s8, exec_lo
	v_cmpx_ne_u32_e32 16, v0
	s_cbranch_execz .LBB50_534
; %bb.531:
	v_add_nc_u32_e32 v18, 0x340, v117
	v_add3_u32 v19, 0, v117, 16
	v_mov_b32_e32 v20, v0
	s_mov_b32 s58, 0
	.p2align	6
.LBB50_532:                             ; =>This Inner Loop Header: Depth=1
	s_clause 0x3
	buffer_load_dword v118, v19, s[0:3], 0 offen offset:8
	buffer_load_dword v119, v19, s[0:3], 0 offen offset:12
	buffer_load_dword v120, v19, s[0:3], 0 offen
	buffer_load_dword v121, v19, s[0:3], 0 offen offset:4
	ds_read_b128 v[21:24], v18
	v_add_nc_u32_e32 v20, 1, v20
	v_add_nc_u32_e32 v18, 16, v18
	v_add_nc_u32_e32 v19, 16, v19
	v_cmp_lt_u32_e32 vcc_lo, 15, v20
	s_or_b32 s58, vcc_lo, s58
	s_waitcnt vmcnt(2) lgkmcnt(0)
	v_mul_f64 v[122:123], v[23:24], v[118:119]
	v_mul_f64 v[118:119], v[21:22], v[118:119]
	s_waitcnt vmcnt(0)
	v_fma_f64 v[21:22], v[21:22], v[120:121], -v[122:123]
	v_fma_f64 v[23:24], v[23:24], v[120:121], v[118:119]
	v_add_f64 v[1:2], v[1:2], v[21:22]
	v_add_f64 v[3:4], v[3:4], v[23:24]
	s_andn2_b32 exec_lo, exec_lo, s58
	s_cbranch_execnz .LBB50_532
; %bb.533:
	s_or_b32 exec_lo, exec_lo, s58
.LBB50_534:
	s_or_b32 exec_lo, exec_lo, s8
	v_mov_b32_e32 v18, 0
	ds_read_b128 v[18:21], v18 offset:272
	s_waitcnt lgkmcnt(0)
	v_mul_f64 v[22:23], v[3:4], v[20:21]
	v_mul_f64 v[20:21], v[1:2], v[20:21]
	v_fma_f64 v[1:2], v[1:2], v[18:19], -v[22:23]
	v_fma_f64 v[3:4], v[3:4], v[18:19], v[20:21]
	buffer_store_dword v2, off, s[0:3], 0 offset:276
	buffer_store_dword v1, off, s[0:3], 0 offset:272
	buffer_store_dword v4, off, s[0:3], 0 offset:284
	buffer_store_dword v3, off, s[0:3], 0 offset:280
.LBB50_535:
	s_or_b32 exec_lo, exec_lo, s4
	v_mov_b32_e32 v4, s40
	s_mov_b32 s4, exec_lo
	s_clause 0x3
	buffer_load_dword v1, v4, s[0:3], 0 offen
	buffer_load_dword v2, v4, s[0:3], 0 offen offset:4
	buffer_load_dword v3, v4, s[0:3], 0 offen offset:8
	;; [unrolled: 1-line block ×3, first 2 shown]
	s_waitcnt vmcnt(0)
	ds_write_b128 v16, v[1:4]
	s_waitcnt lgkmcnt(0)
	s_waitcnt_vscnt null, 0x0
	s_barrier
	buffer_gl0_inv
	v_cmpx_gt_u32_e32 18, v0
	s_cbranch_execz .LBB50_543
; %bb.536:
	ds_read_b128 v[1:4], v16
	v_cmp_ne_u32_e32 vcc_lo, 1, v17
	s_cbranch_vccnz .LBB50_538
; %bb.537:
	s_clause 0x3
	buffer_load_dword v18, v15, s[0:3], 0 offen offset:8
	buffer_load_dword v19, v15, s[0:3], 0 offen offset:12
	buffer_load_dword v20, v15, s[0:3], 0 offen
	buffer_load_dword v21, v15, s[0:3], 0 offen offset:4
	s_waitcnt vmcnt(2) lgkmcnt(0)
	v_mul_f64 v[22:23], v[3:4], v[18:19]
	v_mul_f64 v[18:19], v[1:2], v[18:19]
	s_waitcnt vmcnt(0)
	v_fma_f64 v[1:2], v[1:2], v[20:21], -v[22:23]
	v_fma_f64 v[3:4], v[3:4], v[20:21], v[18:19]
.LBB50_538:
	s_mov_b32 s8, exec_lo
	v_cmpx_ne_u32_e32 17, v0
	s_cbranch_execz .LBB50_542
; %bb.539:
	v_add_nc_u32_e32 v18, 0x340, v117
	v_add3_u32 v19, 0, v117, 16
	v_mov_b32_e32 v20, v0
	s_mov_b32 s58, 0
	.p2align	6
.LBB50_540:                             ; =>This Inner Loop Header: Depth=1
	s_clause 0x3
	buffer_load_dword v118, v19, s[0:3], 0 offen offset:8
	buffer_load_dword v119, v19, s[0:3], 0 offen offset:12
	buffer_load_dword v120, v19, s[0:3], 0 offen
	buffer_load_dword v121, v19, s[0:3], 0 offen offset:4
	ds_read_b128 v[21:24], v18
	v_add_nc_u32_e32 v20, 1, v20
	v_add_nc_u32_e32 v18, 16, v18
	;; [unrolled: 1-line block ×3, first 2 shown]
	v_cmp_lt_u32_e32 vcc_lo, 16, v20
	s_or_b32 s58, vcc_lo, s58
	s_waitcnt vmcnt(2) lgkmcnt(0)
	v_mul_f64 v[122:123], v[23:24], v[118:119]
	v_mul_f64 v[118:119], v[21:22], v[118:119]
	s_waitcnt vmcnt(0)
	v_fma_f64 v[21:22], v[21:22], v[120:121], -v[122:123]
	v_fma_f64 v[23:24], v[23:24], v[120:121], v[118:119]
	v_add_f64 v[1:2], v[1:2], v[21:22]
	v_add_f64 v[3:4], v[3:4], v[23:24]
	s_andn2_b32 exec_lo, exec_lo, s58
	s_cbranch_execnz .LBB50_540
; %bb.541:
	s_or_b32 exec_lo, exec_lo, s58
.LBB50_542:
	s_or_b32 exec_lo, exec_lo, s8
	v_mov_b32_e32 v18, 0
	ds_read_b128 v[18:21], v18 offset:288
	s_waitcnt lgkmcnt(0)
	v_mul_f64 v[22:23], v[3:4], v[20:21]
	v_mul_f64 v[20:21], v[1:2], v[20:21]
	v_fma_f64 v[1:2], v[1:2], v[18:19], -v[22:23]
	v_fma_f64 v[3:4], v[3:4], v[18:19], v[20:21]
	buffer_store_dword v2, off, s[0:3], 0 offset:292
	buffer_store_dword v1, off, s[0:3], 0 offset:288
	;; [unrolled: 1-line block ×4, first 2 shown]
.LBB50_543:
	s_or_b32 exec_lo, exec_lo, s4
	v_mov_b32_e32 v4, s39
	s_mov_b32 s4, exec_lo
	s_clause 0x3
	buffer_load_dword v1, v4, s[0:3], 0 offen
	buffer_load_dword v2, v4, s[0:3], 0 offen offset:4
	buffer_load_dword v3, v4, s[0:3], 0 offen offset:8
	;; [unrolled: 1-line block ×3, first 2 shown]
	s_waitcnt vmcnt(0)
	ds_write_b128 v16, v[1:4]
	s_waitcnt lgkmcnt(0)
	s_waitcnt_vscnt null, 0x0
	s_barrier
	buffer_gl0_inv
	v_cmpx_gt_u32_e32 19, v0
	s_cbranch_execz .LBB50_551
; %bb.544:
	ds_read_b128 v[1:4], v16
	v_cmp_ne_u32_e32 vcc_lo, 1, v17
	s_cbranch_vccnz .LBB50_546
; %bb.545:
	s_clause 0x3
	buffer_load_dword v18, v15, s[0:3], 0 offen offset:8
	buffer_load_dword v19, v15, s[0:3], 0 offen offset:12
	buffer_load_dword v20, v15, s[0:3], 0 offen
	buffer_load_dword v21, v15, s[0:3], 0 offen offset:4
	s_waitcnt vmcnt(2) lgkmcnt(0)
	v_mul_f64 v[22:23], v[3:4], v[18:19]
	v_mul_f64 v[18:19], v[1:2], v[18:19]
	s_waitcnt vmcnt(0)
	v_fma_f64 v[1:2], v[1:2], v[20:21], -v[22:23]
	v_fma_f64 v[3:4], v[3:4], v[20:21], v[18:19]
.LBB50_546:
	s_mov_b32 s8, exec_lo
	v_cmpx_ne_u32_e32 18, v0
	s_cbranch_execz .LBB50_550
; %bb.547:
	v_add_nc_u32_e32 v18, 0x340, v117
	v_add3_u32 v19, 0, v117, 16
	v_mov_b32_e32 v20, v0
	s_mov_b32 s58, 0
	.p2align	6
.LBB50_548:                             ; =>This Inner Loop Header: Depth=1
	s_clause 0x3
	buffer_load_dword v118, v19, s[0:3], 0 offen offset:8
	buffer_load_dword v119, v19, s[0:3], 0 offen offset:12
	buffer_load_dword v120, v19, s[0:3], 0 offen
	buffer_load_dword v121, v19, s[0:3], 0 offen offset:4
	ds_read_b128 v[21:24], v18
	v_add_nc_u32_e32 v20, 1, v20
	v_add_nc_u32_e32 v18, 16, v18
	;; [unrolled: 1-line block ×3, first 2 shown]
	v_cmp_lt_u32_e32 vcc_lo, 17, v20
	s_or_b32 s58, vcc_lo, s58
	s_waitcnt vmcnt(2) lgkmcnt(0)
	v_mul_f64 v[122:123], v[23:24], v[118:119]
	v_mul_f64 v[118:119], v[21:22], v[118:119]
	s_waitcnt vmcnt(0)
	v_fma_f64 v[21:22], v[21:22], v[120:121], -v[122:123]
	v_fma_f64 v[23:24], v[23:24], v[120:121], v[118:119]
	v_add_f64 v[1:2], v[1:2], v[21:22]
	v_add_f64 v[3:4], v[3:4], v[23:24]
	s_andn2_b32 exec_lo, exec_lo, s58
	s_cbranch_execnz .LBB50_548
; %bb.549:
	s_or_b32 exec_lo, exec_lo, s58
.LBB50_550:
	s_or_b32 exec_lo, exec_lo, s8
	v_mov_b32_e32 v18, 0
	ds_read_b128 v[18:21], v18 offset:304
	s_waitcnt lgkmcnt(0)
	v_mul_f64 v[22:23], v[3:4], v[20:21]
	v_mul_f64 v[20:21], v[1:2], v[20:21]
	v_fma_f64 v[1:2], v[1:2], v[18:19], -v[22:23]
	v_fma_f64 v[3:4], v[3:4], v[18:19], v[20:21]
	buffer_store_dword v2, off, s[0:3], 0 offset:308
	buffer_store_dword v1, off, s[0:3], 0 offset:304
	;; [unrolled: 1-line block ×4, first 2 shown]
.LBB50_551:
	s_or_b32 exec_lo, exec_lo, s4
	v_mov_b32_e32 v4, s38
	s_mov_b32 s4, exec_lo
	s_clause 0x3
	buffer_load_dword v1, v4, s[0:3], 0 offen
	buffer_load_dword v2, v4, s[0:3], 0 offen offset:4
	buffer_load_dword v3, v4, s[0:3], 0 offen offset:8
	;; [unrolled: 1-line block ×3, first 2 shown]
	s_waitcnt vmcnt(0)
	ds_write_b128 v16, v[1:4]
	s_waitcnt lgkmcnt(0)
	s_waitcnt_vscnt null, 0x0
	s_barrier
	buffer_gl0_inv
	v_cmpx_gt_u32_e32 20, v0
	s_cbranch_execz .LBB50_559
; %bb.552:
	ds_read_b128 v[1:4], v16
	v_cmp_ne_u32_e32 vcc_lo, 1, v17
	s_cbranch_vccnz .LBB50_554
; %bb.553:
	s_clause 0x3
	buffer_load_dword v18, v15, s[0:3], 0 offen offset:8
	buffer_load_dword v19, v15, s[0:3], 0 offen offset:12
	buffer_load_dword v20, v15, s[0:3], 0 offen
	buffer_load_dword v21, v15, s[0:3], 0 offen offset:4
	s_waitcnt vmcnt(2) lgkmcnt(0)
	v_mul_f64 v[22:23], v[3:4], v[18:19]
	v_mul_f64 v[18:19], v[1:2], v[18:19]
	s_waitcnt vmcnt(0)
	v_fma_f64 v[1:2], v[1:2], v[20:21], -v[22:23]
	v_fma_f64 v[3:4], v[3:4], v[20:21], v[18:19]
.LBB50_554:
	s_mov_b32 s8, exec_lo
	v_cmpx_ne_u32_e32 19, v0
	s_cbranch_execz .LBB50_558
; %bb.555:
	v_add_nc_u32_e32 v18, 0x340, v117
	v_add3_u32 v19, 0, v117, 16
	v_mov_b32_e32 v20, v0
	s_mov_b32 s58, 0
	.p2align	6
.LBB50_556:                             ; =>This Inner Loop Header: Depth=1
	s_clause 0x3
	buffer_load_dword v118, v19, s[0:3], 0 offen offset:8
	buffer_load_dword v119, v19, s[0:3], 0 offen offset:12
	buffer_load_dword v120, v19, s[0:3], 0 offen
	buffer_load_dword v121, v19, s[0:3], 0 offen offset:4
	ds_read_b128 v[21:24], v18
	v_add_nc_u32_e32 v20, 1, v20
	v_add_nc_u32_e32 v18, 16, v18
	;; [unrolled: 1-line block ×3, first 2 shown]
	v_cmp_lt_u32_e32 vcc_lo, 18, v20
	s_or_b32 s58, vcc_lo, s58
	s_waitcnt vmcnt(2) lgkmcnt(0)
	v_mul_f64 v[122:123], v[23:24], v[118:119]
	v_mul_f64 v[118:119], v[21:22], v[118:119]
	s_waitcnt vmcnt(0)
	v_fma_f64 v[21:22], v[21:22], v[120:121], -v[122:123]
	v_fma_f64 v[23:24], v[23:24], v[120:121], v[118:119]
	v_add_f64 v[1:2], v[1:2], v[21:22]
	v_add_f64 v[3:4], v[3:4], v[23:24]
	s_andn2_b32 exec_lo, exec_lo, s58
	s_cbranch_execnz .LBB50_556
; %bb.557:
	s_or_b32 exec_lo, exec_lo, s58
.LBB50_558:
	s_or_b32 exec_lo, exec_lo, s8
	v_mov_b32_e32 v18, 0
	ds_read_b128 v[18:21], v18 offset:320
	s_waitcnt lgkmcnt(0)
	v_mul_f64 v[22:23], v[3:4], v[20:21]
	v_mul_f64 v[20:21], v[1:2], v[20:21]
	v_fma_f64 v[1:2], v[1:2], v[18:19], -v[22:23]
	v_fma_f64 v[3:4], v[3:4], v[18:19], v[20:21]
	buffer_store_dword v2, off, s[0:3], 0 offset:324
	buffer_store_dword v1, off, s[0:3], 0 offset:320
	;; [unrolled: 1-line block ×4, first 2 shown]
.LBB50_559:
	s_or_b32 exec_lo, exec_lo, s4
	v_mov_b32_e32 v4, s37
	s_mov_b32 s4, exec_lo
	s_clause 0x3
	buffer_load_dword v1, v4, s[0:3], 0 offen
	buffer_load_dword v2, v4, s[0:3], 0 offen offset:4
	buffer_load_dword v3, v4, s[0:3], 0 offen offset:8
	;; [unrolled: 1-line block ×3, first 2 shown]
	s_waitcnt vmcnt(0)
	ds_write_b128 v16, v[1:4]
	s_waitcnt lgkmcnt(0)
	s_waitcnt_vscnt null, 0x0
	s_barrier
	buffer_gl0_inv
	v_cmpx_gt_u32_e32 21, v0
	s_cbranch_execz .LBB50_567
; %bb.560:
	ds_read_b128 v[1:4], v16
	v_cmp_ne_u32_e32 vcc_lo, 1, v17
	s_cbranch_vccnz .LBB50_562
; %bb.561:
	s_clause 0x3
	buffer_load_dword v18, v15, s[0:3], 0 offen offset:8
	buffer_load_dword v19, v15, s[0:3], 0 offen offset:12
	buffer_load_dword v20, v15, s[0:3], 0 offen
	buffer_load_dword v21, v15, s[0:3], 0 offen offset:4
	s_waitcnt vmcnt(2) lgkmcnt(0)
	v_mul_f64 v[22:23], v[3:4], v[18:19]
	v_mul_f64 v[18:19], v[1:2], v[18:19]
	s_waitcnt vmcnt(0)
	v_fma_f64 v[1:2], v[1:2], v[20:21], -v[22:23]
	v_fma_f64 v[3:4], v[3:4], v[20:21], v[18:19]
.LBB50_562:
	s_mov_b32 s8, exec_lo
	v_cmpx_ne_u32_e32 20, v0
	s_cbranch_execz .LBB50_566
; %bb.563:
	v_add_nc_u32_e32 v18, 0x340, v117
	v_add3_u32 v19, 0, v117, 16
	v_mov_b32_e32 v20, v0
	s_mov_b32 s58, 0
	.p2align	6
.LBB50_564:                             ; =>This Inner Loop Header: Depth=1
	s_clause 0x3
	buffer_load_dword v118, v19, s[0:3], 0 offen offset:8
	buffer_load_dword v119, v19, s[0:3], 0 offen offset:12
	buffer_load_dword v120, v19, s[0:3], 0 offen
	buffer_load_dword v121, v19, s[0:3], 0 offen offset:4
	ds_read_b128 v[21:24], v18
	v_add_nc_u32_e32 v20, 1, v20
	v_add_nc_u32_e32 v18, 16, v18
	;; [unrolled: 1-line block ×3, first 2 shown]
	v_cmp_lt_u32_e32 vcc_lo, 19, v20
	s_or_b32 s58, vcc_lo, s58
	s_waitcnt vmcnt(2) lgkmcnt(0)
	v_mul_f64 v[122:123], v[23:24], v[118:119]
	v_mul_f64 v[118:119], v[21:22], v[118:119]
	s_waitcnt vmcnt(0)
	v_fma_f64 v[21:22], v[21:22], v[120:121], -v[122:123]
	v_fma_f64 v[23:24], v[23:24], v[120:121], v[118:119]
	v_add_f64 v[1:2], v[1:2], v[21:22]
	v_add_f64 v[3:4], v[3:4], v[23:24]
	s_andn2_b32 exec_lo, exec_lo, s58
	s_cbranch_execnz .LBB50_564
; %bb.565:
	s_or_b32 exec_lo, exec_lo, s58
.LBB50_566:
	s_or_b32 exec_lo, exec_lo, s8
	v_mov_b32_e32 v18, 0
	ds_read_b128 v[18:21], v18 offset:336
	s_waitcnt lgkmcnt(0)
	v_mul_f64 v[22:23], v[3:4], v[20:21]
	v_mul_f64 v[20:21], v[1:2], v[20:21]
	v_fma_f64 v[1:2], v[1:2], v[18:19], -v[22:23]
	v_fma_f64 v[3:4], v[3:4], v[18:19], v[20:21]
	buffer_store_dword v2, off, s[0:3], 0 offset:340
	buffer_store_dword v1, off, s[0:3], 0 offset:336
	;; [unrolled: 1-line block ×4, first 2 shown]
.LBB50_567:
	s_or_b32 exec_lo, exec_lo, s4
	v_mov_b32_e32 v4, s36
	s_mov_b32 s4, exec_lo
	s_clause 0x3
	buffer_load_dword v1, v4, s[0:3], 0 offen
	buffer_load_dword v2, v4, s[0:3], 0 offen offset:4
	buffer_load_dword v3, v4, s[0:3], 0 offen offset:8
	;; [unrolled: 1-line block ×3, first 2 shown]
	s_waitcnt vmcnt(0)
	ds_write_b128 v16, v[1:4]
	s_waitcnt lgkmcnt(0)
	s_waitcnt_vscnt null, 0x0
	s_barrier
	buffer_gl0_inv
	v_cmpx_gt_u32_e32 22, v0
	s_cbranch_execz .LBB50_575
; %bb.568:
	ds_read_b128 v[1:4], v16
	v_cmp_ne_u32_e32 vcc_lo, 1, v17
	s_cbranch_vccnz .LBB50_570
; %bb.569:
	s_clause 0x3
	buffer_load_dword v18, v15, s[0:3], 0 offen offset:8
	buffer_load_dword v19, v15, s[0:3], 0 offen offset:12
	buffer_load_dword v20, v15, s[0:3], 0 offen
	buffer_load_dword v21, v15, s[0:3], 0 offen offset:4
	s_waitcnt vmcnt(2) lgkmcnt(0)
	v_mul_f64 v[22:23], v[3:4], v[18:19]
	v_mul_f64 v[18:19], v[1:2], v[18:19]
	s_waitcnt vmcnt(0)
	v_fma_f64 v[1:2], v[1:2], v[20:21], -v[22:23]
	v_fma_f64 v[3:4], v[3:4], v[20:21], v[18:19]
.LBB50_570:
	s_mov_b32 s8, exec_lo
	v_cmpx_ne_u32_e32 21, v0
	s_cbranch_execz .LBB50_574
; %bb.571:
	v_add_nc_u32_e32 v18, 0x340, v117
	v_add3_u32 v19, 0, v117, 16
	v_mov_b32_e32 v20, v0
	s_mov_b32 s58, 0
	.p2align	6
.LBB50_572:                             ; =>This Inner Loop Header: Depth=1
	s_clause 0x3
	buffer_load_dword v118, v19, s[0:3], 0 offen offset:8
	buffer_load_dword v119, v19, s[0:3], 0 offen offset:12
	buffer_load_dword v120, v19, s[0:3], 0 offen
	buffer_load_dword v121, v19, s[0:3], 0 offen offset:4
	ds_read_b128 v[21:24], v18
	v_add_nc_u32_e32 v20, 1, v20
	v_add_nc_u32_e32 v18, 16, v18
	;; [unrolled: 1-line block ×3, first 2 shown]
	v_cmp_lt_u32_e32 vcc_lo, 20, v20
	s_or_b32 s58, vcc_lo, s58
	s_waitcnt vmcnt(2) lgkmcnt(0)
	v_mul_f64 v[122:123], v[23:24], v[118:119]
	v_mul_f64 v[118:119], v[21:22], v[118:119]
	s_waitcnt vmcnt(0)
	v_fma_f64 v[21:22], v[21:22], v[120:121], -v[122:123]
	v_fma_f64 v[23:24], v[23:24], v[120:121], v[118:119]
	v_add_f64 v[1:2], v[1:2], v[21:22]
	v_add_f64 v[3:4], v[3:4], v[23:24]
	s_andn2_b32 exec_lo, exec_lo, s58
	s_cbranch_execnz .LBB50_572
; %bb.573:
	s_or_b32 exec_lo, exec_lo, s58
.LBB50_574:
	s_or_b32 exec_lo, exec_lo, s8
	v_mov_b32_e32 v18, 0
	ds_read_b128 v[18:21], v18 offset:352
	s_waitcnt lgkmcnt(0)
	v_mul_f64 v[22:23], v[3:4], v[20:21]
	v_mul_f64 v[20:21], v[1:2], v[20:21]
	v_fma_f64 v[1:2], v[1:2], v[18:19], -v[22:23]
	v_fma_f64 v[3:4], v[3:4], v[18:19], v[20:21]
	buffer_store_dword v2, off, s[0:3], 0 offset:356
	buffer_store_dword v1, off, s[0:3], 0 offset:352
	;; [unrolled: 1-line block ×4, first 2 shown]
.LBB50_575:
	s_or_b32 exec_lo, exec_lo, s4
	v_mov_b32_e32 v4, s35
	s_mov_b32 s4, exec_lo
	s_clause 0x3
	buffer_load_dword v1, v4, s[0:3], 0 offen
	buffer_load_dword v2, v4, s[0:3], 0 offen offset:4
	buffer_load_dword v3, v4, s[0:3], 0 offen offset:8
	;; [unrolled: 1-line block ×3, first 2 shown]
	s_waitcnt vmcnt(0)
	ds_write_b128 v16, v[1:4]
	s_waitcnt lgkmcnt(0)
	s_waitcnt_vscnt null, 0x0
	s_barrier
	buffer_gl0_inv
	v_cmpx_gt_u32_e32 23, v0
	s_cbranch_execz .LBB50_583
; %bb.576:
	ds_read_b128 v[1:4], v16
	v_cmp_ne_u32_e32 vcc_lo, 1, v17
	s_cbranch_vccnz .LBB50_578
; %bb.577:
	s_clause 0x3
	buffer_load_dword v18, v15, s[0:3], 0 offen offset:8
	buffer_load_dword v19, v15, s[0:3], 0 offen offset:12
	buffer_load_dword v20, v15, s[0:3], 0 offen
	buffer_load_dword v21, v15, s[0:3], 0 offen offset:4
	s_waitcnt vmcnt(2) lgkmcnt(0)
	v_mul_f64 v[22:23], v[3:4], v[18:19]
	v_mul_f64 v[18:19], v[1:2], v[18:19]
	s_waitcnt vmcnt(0)
	v_fma_f64 v[1:2], v[1:2], v[20:21], -v[22:23]
	v_fma_f64 v[3:4], v[3:4], v[20:21], v[18:19]
.LBB50_578:
	s_mov_b32 s8, exec_lo
	v_cmpx_ne_u32_e32 22, v0
	s_cbranch_execz .LBB50_582
; %bb.579:
	v_add_nc_u32_e32 v18, 0x340, v117
	v_add3_u32 v19, 0, v117, 16
	v_mov_b32_e32 v20, v0
	s_mov_b32 s58, 0
	.p2align	6
.LBB50_580:                             ; =>This Inner Loop Header: Depth=1
	s_clause 0x3
	buffer_load_dword v118, v19, s[0:3], 0 offen offset:8
	buffer_load_dword v119, v19, s[0:3], 0 offen offset:12
	buffer_load_dword v120, v19, s[0:3], 0 offen
	buffer_load_dword v121, v19, s[0:3], 0 offen offset:4
	ds_read_b128 v[21:24], v18
	v_add_nc_u32_e32 v20, 1, v20
	v_add_nc_u32_e32 v18, 16, v18
	v_add_nc_u32_e32 v19, 16, v19
	v_cmp_lt_u32_e32 vcc_lo, 21, v20
	s_or_b32 s58, vcc_lo, s58
	s_waitcnt vmcnt(2) lgkmcnt(0)
	v_mul_f64 v[122:123], v[23:24], v[118:119]
	v_mul_f64 v[118:119], v[21:22], v[118:119]
	s_waitcnt vmcnt(0)
	v_fma_f64 v[21:22], v[21:22], v[120:121], -v[122:123]
	v_fma_f64 v[23:24], v[23:24], v[120:121], v[118:119]
	v_add_f64 v[1:2], v[1:2], v[21:22]
	v_add_f64 v[3:4], v[3:4], v[23:24]
	s_andn2_b32 exec_lo, exec_lo, s58
	s_cbranch_execnz .LBB50_580
; %bb.581:
	s_or_b32 exec_lo, exec_lo, s58
.LBB50_582:
	s_or_b32 exec_lo, exec_lo, s8
	v_mov_b32_e32 v18, 0
	ds_read_b128 v[18:21], v18 offset:368
	s_waitcnt lgkmcnt(0)
	v_mul_f64 v[22:23], v[3:4], v[20:21]
	v_mul_f64 v[20:21], v[1:2], v[20:21]
	v_fma_f64 v[1:2], v[1:2], v[18:19], -v[22:23]
	v_fma_f64 v[3:4], v[3:4], v[18:19], v[20:21]
	buffer_store_dword v2, off, s[0:3], 0 offset:372
	buffer_store_dword v1, off, s[0:3], 0 offset:368
	;; [unrolled: 1-line block ×4, first 2 shown]
.LBB50_583:
	s_or_b32 exec_lo, exec_lo, s4
	v_mov_b32_e32 v4, s34
	s_mov_b32 s4, exec_lo
	s_clause 0x3
	buffer_load_dword v1, v4, s[0:3], 0 offen
	buffer_load_dword v2, v4, s[0:3], 0 offen offset:4
	buffer_load_dword v3, v4, s[0:3], 0 offen offset:8
	;; [unrolled: 1-line block ×3, first 2 shown]
	s_waitcnt vmcnt(0)
	ds_write_b128 v16, v[1:4]
	s_waitcnt lgkmcnt(0)
	s_waitcnt_vscnt null, 0x0
	s_barrier
	buffer_gl0_inv
	v_cmpx_gt_u32_e32 24, v0
	s_cbranch_execz .LBB50_591
; %bb.584:
	ds_read_b128 v[1:4], v16
	v_cmp_ne_u32_e32 vcc_lo, 1, v17
	s_cbranch_vccnz .LBB50_586
; %bb.585:
	s_clause 0x3
	buffer_load_dword v18, v15, s[0:3], 0 offen offset:8
	buffer_load_dword v19, v15, s[0:3], 0 offen offset:12
	buffer_load_dword v20, v15, s[0:3], 0 offen
	buffer_load_dword v21, v15, s[0:3], 0 offen offset:4
	s_waitcnt vmcnt(2) lgkmcnt(0)
	v_mul_f64 v[22:23], v[3:4], v[18:19]
	v_mul_f64 v[18:19], v[1:2], v[18:19]
	s_waitcnt vmcnt(0)
	v_fma_f64 v[1:2], v[1:2], v[20:21], -v[22:23]
	v_fma_f64 v[3:4], v[3:4], v[20:21], v[18:19]
.LBB50_586:
	s_mov_b32 s8, exec_lo
	v_cmpx_ne_u32_e32 23, v0
	s_cbranch_execz .LBB50_590
; %bb.587:
	v_add_nc_u32_e32 v18, 0x340, v117
	v_add3_u32 v19, 0, v117, 16
	v_mov_b32_e32 v20, v0
	s_mov_b32 s58, 0
	.p2align	6
.LBB50_588:                             ; =>This Inner Loop Header: Depth=1
	s_clause 0x3
	buffer_load_dword v118, v19, s[0:3], 0 offen offset:8
	buffer_load_dword v119, v19, s[0:3], 0 offen offset:12
	buffer_load_dword v120, v19, s[0:3], 0 offen
	buffer_load_dword v121, v19, s[0:3], 0 offen offset:4
	ds_read_b128 v[21:24], v18
	v_add_nc_u32_e32 v20, 1, v20
	v_add_nc_u32_e32 v18, 16, v18
	;; [unrolled: 1-line block ×3, first 2 shown]
	v_cmp_lt_u32_e32 vcc_lo, 22, v20
	s_or_b32 s58, vcc_lo, s58
	s_waitcnt vmcnt(2) lgkmcnt(0)
	v_mul_f64 v[122:123], v[23:24], v[118:119]
	v_mul_f64 v[118:119], v[21:22], v[118:119]
	s_waitcnt vmcnt(0)
	v_fma_f64 v[21:22], v[21:22], v[120:121], -v[122:123]
	v_fma_f64 v[23:24], v[23:24], v[120:121], v[118:119]
	v_add_f64 v[1:2], v[1:2], v[21:22]
	v_add_f64 v[3:4], v[3:4], v[23:24]
	s_andn2_b32 exec_lo, exec_lo, s58
	s_cbranch_execnz .LBB50_588
; %bb.589:
	s_or_b32 exec_lo, exec_lo, s58
.LBB50_590:
	s_or_b32 exec_lo, exec_lo, s8
	v_mov_b32_e32 v18, 0
	ds_read_b128 v[18:21], v18 offset:384
	s_waitcnt lgkmcnt(0)
	v_mul_f64 v[22:23], v[3:4], v[20:21]
	v_mul_f64 v[20:21], v[1:2], v[20:21]
	v_fma_f64 v[1:2], v[1:2], v[18:19], -v[22:23]
	v_fma_f64 v[3:4], v[3:4], v[18:19], v[20:21]
	buffer_store_dword v2, off, s[0:3], 0 offset:388
	buffer_store_dword v1, off, s[0:3], 0 offset:384
	;; [unrolled: 1-line block ×4, first 2 shown]
.LBB50_591:
	s_or_b32 exec_lo, exec_lo, s4
	v_mov_b32_e32 v4, s33
	s_mov_b32 s4, exec_lo
	s_clause 0x3
	buffer_load_dword v1, v4, s[0:3], 0 offen
	buffer_load_dword v2, v4, s[0:3], 0 offen offset:4
	buffer_load_dword v3, v4, s[0:3], 0 offen offset:8
	;; [unrolled: 1-line block ×3, first 2 shown]
	s_waitcnt vmcnt(0)
	ds_write_b128 v16, v[1:4]
	s_waitcnt lgkmcnt(0)
	s_waitcnt_vscnt null, 0x0
	s_barrier
	buffer_gl0_inv
	v_cmpx_gt_u32_e32 25, v0
	s_cbranch_execz .LBB50_599
; %bb.592:
	ds_read_b128 v[1:4], v16
	v_cmp_ne_u32_e32 vcc_lo, 1, v17
	s_cbranch_vccnz .LBB50_594
; %bb.593:
	s_clause 0x3
	buffer_load_dword v18, v15, s[0:3], 0 offen offset:8
	buffer_load_dword v19, v15, s[0:3], 0 offen offset:12
	buffer_load_dword v20, v15, s[0:3], 0 offen
	buffer_load_dword v21, v15, s[0:3], 0 offen offset:4
	s_waitcnt vmcnt(2) lgkmcnt(0)
	v_mul_f64 v[22:23], v[3:4], v[18:19]
	v_mul_f64 v[18:19], v[1:2], v[18:19]
	s_waitcnt vmcnt(0)
	v_fma_f64 v[1:2], v[1:2], v[20:21], -v[22:23]
	v_fma_f64 v[3:4], v[3:4], v[20:21], v[18:19]
.LBB50_594:
	s_mov_b32 s8, exec_lo
	v_cmpx_ne_u32_e32 24, v0
	s_cbranch_execz .LBB50_598
; %bb.595:
	v_add_nc_u32_e32 v18, 0x340, v117
	v_add3_u32 v19, 0, v117, 16
	v_mov_b32_e32 v20, v0
	s_mov_b32 s58, 0
	.p2align	6
.LBB50_596:                             ; =>This Inner Loop Header: Depth=1
	s_clause 0x3
	buffer_load_dword v118, v19, s[0:3], 0 offen offset:8
	buffer_load_dword v119, v19, s[0:3], 0 offen offset:12
	buffer_load_dword v120, v19, s[0:3], 0 offen
	buffer_load_dword v121, v19, s[0:3], 0 offen offset:4
	ds_read_b128 v[21:24], v18
	v_add_nc_u32_e32 v20, 1, v20
	v_add_nc_u32_e32 v18, 16, v18
	;; [unrolled: 1-line block ×3, first 2 shown]
	v_cmp_lt_u32_e32 vcc_lo, 23, v20
	s_or_b32 s58, vcc_lo, s58
	s_waitcnt vmcnt(2) lgkmcnt(0)
	v_mul_f64 v[122:123], v[23:24], v[118:119]
	v_mul_f64 v[118:119], v[21:22], v[118:119]
	s_waitcnt vmcnt(0)
	v_fma_f64 v[21:22], v[21:22], v[120:121], -v[122:123]
	v_fma_f64 v[23:24], v[23:24], v[120:121], v[118:119]
	v_add_f64 v[1:2], v[1:2], v[21:22]
	v_add_f64 v[3:4], v[3:4], v[23:24]
	s_andn2_b32 exec_lo, exec_lo, s58
	s_cbranch_execnz .LBB50_596
; %bb.597:
	s_or_b32 exec_lo, exec_lo, s58
.LBB50_598:
	s_or_b32 exec_lo, exec_lo, s8
	v_mov_b32_e32 v18, 0
	ds_read_b128 v[18:21], v18 offset:400
	s_waitcnt lgkmcnt(0)
	v_mul_f64 v[22:23], v[3:4], v[20:21]
	v_mul_f64 v[20:21], v[1:2], v[20:21]
	v_fma_f64 v[1:2], v[1:2], v[18:19], -v[22:23]
	v_fma_f64 v[3:4], v[3:4], v[18:19], v[20:21]
	buffer_store_dword v2, off, s[0:3], 0 offset:404
	buffer_store_dword v1, off, s[0:3], 0 offset:400
	;; [unrolled: 1-line block ×4, first 2 shown]
.LBB50_599:
	s_or_b32 exec_lo, exec_lo, s4
	v_mov_b32_e32 v4, s31
	s_mov_b32 s4, exec_lo
	s_clause 0x3
	buffer_load_dword v1, v4, s[0:3], 0 offen
	buffer_load_dword v2, v4, s[0:3], 0 offen offset:4
	buffer_load_dword v3, v4, s[0:3], 0 offen offset:8
	;; [unrolled: 1-line block ×3, first 2 shown]
	s_waitcnt vmcnt(0)
	ds_write_b128 v16, v[1:4]
	s_waitcnt lgkmcnt(0)
	s_waitcnt_vscnt null, 0x0
	s_barrier
	buffer_gl0_inv
	v_cmpx_gt_u32_e32 26, v0
	s_cbranch_execz .LBB50_607
; %bb.600:
	ds_read_b128 v[1:4], v16
	v_cmp_ne_u32_e32 vcc_lo, 1, v17
	s_cbranch_vccnz .LBB50_602
; %bb.601:
	s_clause 0x3
	buffer_load_dword v18, v15, s[0:3], 0 offen offset:8
	buffer_load_dword v19, v15, s[0:3], 0 offen offset:12
	buffer_load_dword v20, v15, s[0:3], 0 offen
	buffer_load_dword v21, v15, s[0:3], 0 offen offset:4
	s_waitcnt vmcnt(2) lgkmcnt(0)
	v_mul_f64 v[22:23], v[3:4], v[18:19]
	v_mul_f64 v[18:19], v[1:2], v[18:19]
	s_waitcnt vmcnt(0)
	v_fma_f64 v[1:2], v[1:2], v[20:21], -v[22:23]
	v_fma_f64 v[3:4], v[3:4], v[20:21], v[18:19]
.LBB50_602:
	s_mov_b32 s8, exec_lo
	v_cmpx_ne_u32_e32 25, v0
	s_cbranch_execz .LBB50_606
; %bb.603:
	v_add_nc_u32_e32 v18, 0x340, v117
	v_add3_u32 v19, 0, v117, 16
	v_mov_b32_e32 v20, v0
	s_mov_b32 s58, 0
	.p2align	6
.LBB50_604:                             ; =>This Inner Loop Header: Depth=1
	s_clause 0x3
	buffer_load_dword v118, v19, s[0:3], 0 offen offset:8
	buffer_load_dword v119, v19, s[0:3], 0 offen offset:12
	buffer_load_dword v120, v19, s[0:3], 0 offen
	buffer_load_dword v121, v19, s[0:3], 0 offen offset:4
	ds_read_b128 v[21:24], v18
	v_add_nc_u32_e32 v20, 1, v20
	v_add_nc_u32_e32 v18, 16, v18
	;; [unrolled: 1-line block ×3, first 2 shown]
	v_cmp_lt_u32_e32 vcc_lo, 24, v20
	s_or_b32 s58, vcc_lo, s58
	s_waitcnt vmcnt(2) lgkmcnt(0)
	v_mul_f64 v[122:123], v[23:24], v[118:119]
	v_mul_f64 v[118:119], v[21:22], v[118:119]
	s_waitcnt vmcnt(0)
	v_fma_f64 v[21:22], v[21:22], v[120:121], -v[122:123]
	v_fma_f64 v[23:24], v[23:24], v[120:121], v[118:119]
	v_add_f64 v[1:2], v[1:2], v[21:22]
	v_add_f64 v[3:4], v[3:4], v[23:24]
	s_andn2_b32 exec_lo, exec_lo, s58
	s_cbranch_execnz .LBB50_604
; %bb.605:
	s_or_b32 exec_lo, exec_lo, s58
.LBB50_606:
	s_or_b32 exec_lo, exec_lo, s8
	v_mov_b32_e32 v18, 0
	ds_read_b128 v[18:21], v18 offset:416
	s_waitcnt lgkmcnt(0)
	v_mul_f64 v[22:23], v[3:4], v[20:21]
	v_mul_f64 v[20:21], v[1:2], v[20:21]
	v_fma_f64 v[1:2], v[1:2], v[18:19], -v[22:23]
	v_fma_f64 v[3:4], v[3:4], v[18:19], v[20:21]
	buffer_store_dword v2, off, s[0:3], 0 offset:420
	buffer_store_dword v1, off, s[0:3], 0 offset:416
	;; [unrolled: 1-line block ×4, first 2 shown]
.LBB50_607:
	s_or_b32 exec_lo, exec_lo, s4
	v_mov_b32_e32 v4, s30
	s_mov_b32 s4, exec_lo
	s_clause 0x3
	buffer_load_dword v1, v4, s[0:3], 0 offen
	buffer_load_dword v2, v4, s[0:3], 0 offen offset:4
	buffer_load_dword v3, v4, s[0:3], 0 offen offset:8
	;; [unrolled: 1-line block ×3, first 2 shown]
	s_waitcnt vmcnt(0)
	ds_write_b128 v16, v[1:4]
	s_waitcnt lgkmcnt(0)
	s_waitcnt_vscnt null, 0x0
	s_barrier
	buffer_gl0_inv
	v_cmpx_gt_u32_e32 27, v0
	s_cbranch_execz .LBB50_615
; %bb.608:
	ds_read_b128 v[1:4], v16
	v_cmp_ne_u32_e32 vcc_lo, 1, v17
	s_cbranch_vccnz .LBB50_610
; %bb.609:
	s_clause 0x3
	buffer_load_dword v18, v15, s[0:3], 0 offen offset:8
	buffer_load_dword v19, v15, s[0:3], 0 offen offset:12
	buffer_load_dword v20, v15, s[0:3], 0 offen
	buffer_load_dword v21, v15, s[0:3], 0 offen offset:4
	s_waitcnt vmcnt(2) lgkmcnt(0)
	v_mul_f64 v[22:23], v[3:4], v[18:19]
	v_mul_f64 v[18:19], v[1:2], v[18:19]
	s_waitcnt vmcnt(0)
	v_fma_f64 v[1:2], v[1:2], v[20:21], -v[22:23]
	v_fma_f64 v[3:4], v[3:4], v[20:21], v[18:19]
.LBB50_610:
	s_mov_b32 s8, exec_lo
	v_cmpx_ne_u32_e32 26, v0
	s_cbranch_execz .LBB50_614
; %bb.611:
	v_add_nc_u32_e32 v18, 0x340, v117
	v_add3_u32 v19, 0, v117, 16
	v_mov_b32_e32 v20, v0
	s_mov_b32 s58, 0
	.p2align	6
.LBB50_612:                             ; =>This Inner Loop Header: Depth=1
	s_clause 0x3
	buffer_load_dword v118, v19, s[0:3], 0 offen offset:8
	buffer_load_dword v119, v19, s[0:3], 0 offen offset:12
	buffer_load_dword v120, v19, s[0:3], 0 offen
	buffer_load_dword v121, v19, s[0:3], 0 offen offset:4
	ds_read_b128 v[21:24], v18
	v_add_nc_u32_e32 v20, 1, v20
	v_add_nc_u32_e32 v18, 16, v18
	;; [unrolled: 1-line block ×3, first 2 shown]
	v_cmp_lt_u32_e32 vcc_lo, 25, v20
	s_or_b32 s58, vcc_lo, s58
	s_waitcnt vmcnt(2) lgkmcnt(0)
	v_mul_f64 v[122:123], v[23:24], v[118:119]
	v_mul_f64 v[118:119], v[21:22], v[118:119]
	s_waitcnt vmcnt(0)
	v_fma_f64 v[21:22], v[21:22], v[120:121], -v[122:123]
	v_fma_f64 v[23:24], v[23:24], v[120:121], v[118:119]
	v_add_f64 v[1:2], v[1:2], v[21:22]
	v_add_f64 v[3:4], v[3:4], v[23:24]
	s_andn2_b32 exec_lo, exec_lo, s58
	s_cbranch_execnz .LBB50_612
; %bb.613:
	s_or_b32 exec_lo, exec_lo, s58
.LBB50_614:
	s_or_b32 exec_lo, exec_lo, s8
	v_mov_b32_e32 v18, 0
	ds_read_b128 v[18:21], v18 offset:432
	s_waitcnt lgkmcnt(0)
	v_mul_f64 v[22:23], v[3:4], v[20:21]
	v_mul_f64 v[20:21], v[1:2], v[20:21]
	v_fma_f64 v[1:2], v[1:2], v[18:19], -v[22:23]
	v_fma_f64 v[3:4], v[3:4], v[18:19], v[20:21]
	buffer_store_dword v2, off, s[0:3], 0 offset:436
	buffer_store_dword v1, off, s[0:3], 0 offset:432
	;; [unrolled: 1-line block ×4, first 2 shown]
.LBB50_615:
	s_or_b32 exec_lo, exec_lo, s4
	v_mov_b32_e32 v4, s29
	s_mov_b32 s4, exec_lo
	s_clause 0x3
	buffer_load_dword v1, v4, s[0:3], 0 offen
	buffer_load_dword v2, v4, s[0:3], 0 offen offset:4
	buffer_load_dword v3, v4, s[0:3], 0 offen offset:8
	;; [unrolled: 1-line block ×3, first 2 shown]
	s_waitcnt vmcnt(0)
	ds_write_b128 v16, v[1:4]
	s_waitcnt lgkmcnt(0)
	s_waitcnt_vscnt null, 0x0
	s_barrier
	buffer_gl0_inv
	v_cmpx_gt_u32_e32 28, v0
	s_cbranch_execz .LBB50_623
; %bb.616:
	ds_read_b128 v[1:4], v16
	v_cmp_ne_u32_e32 vcc_lo, 1, v17
	s_cbranch_vccnz .LBB50_618
; %bb.617:
	s_clause 0x3
	buffer_load_dword v18, v15, s[0:3], 0 offen offset:8
	buffer_load_dword v19, v15, s[0:3], 0 offen offset:12
	buffer_load_dword v20, v15, s[0:3], 0 offen
	buffer_load_dword v21, v15, s[0:3], 0 offen offset:4
	s_waitcnt vmcnt(2) lgkmcnt(0)
	v_mul_f64 v[22:23], v[3:4], v[18:19]
	v_mul_f64 v[18:19], v[1:2], v[18:19]
	s_waitcnt vmcnt(0)
	v_fma_f64 v[1:2], v[1:2], v[20:21], -v[22:23]
	v_fma_f64 v[3:4], v[3:4], v[20:21], v[18:19]
.LBB50_618:
	s_mov_b32 s8, exec_lo
	v_cmpx_ne_u32_e32 27, v0
	s_cbranch_execz .LBB50_622
; %bb.619:
	v_add_nc_u32_e32 v18, 0x340, v117
	v_add3_u32 v19, 0, v117, 16
	v_mov_b32_e32 v20, v0
	s_mov_b32 s58, 0
	.p2align	6
.LBB50_620:                             ; =>This Inner Loop Header: Depth=1
	s_clause 0x3
	buffer_load_dword v118, v19, s[0:3], 0 offen offset:8
	buffer_load_dword v119, v19, s[0:3], 0 offen offset:12
	buffer_load_dword v120, v19, s[0:3], 0 offen
	buffer_load_dword v121, v19, s[0:3], 0 offen offset:4
	ds_read_b128 v[21:24], v18
	v_add_nc_u32_e32 v20, 1, v20
	v_add_nc_u32_e32 v18, 16, v18
	;; [unrolled: 1-line block ×3, first 2 shown]
	v_cmp_lt_u32_e32 vcc_lo, 26, v20
	s_or_b32 s58, vcc_lo, s58
	s_waitcnt vmcnt(2) lgkmcnt(0)
	v_mul_f64 v[122:123], v[23:24], v[118:119]
	v_mul_f64 v[118:119], v[21:22], v[118:119]
	s_waitcnt vmcnt(0)
	v_fma_f64 v[21:22], v[21:22], v[120:121], -v[122:123]
	v_fma_f64 v[23:24], v[23:24], v[120:121], v[118:119]
	v_add_f64 v[1:2], v[1:2], v[21:22]
	v_add_f64 v[3:4], v[3:4], v[23:24]
	s_andn2_b32 exec_lo, exec_lo, s58
	s_cbranch_execnz .LBB50_620
; %bb.621:
	s_or_b32 exec_lo, exec_lo, s58
.LBB50_622:
	s_or_b32 exec_lo, exec_lo, s8
	v_mov_b32_e32 v18, 0
	ds_read_b128 v[18:21], v18 offset:448
	s_waitcnt lgkmcnt(0)
	v_mul_f64 v[22:23], v[3:4], v[20:21]
	v_mul_f64 v[20:21], v[1:2], v[20:21]
	v_fma_f64 v[1:2], v[1:2], v[18:19], -v[22:23]
	v_fma_f64 v[3:4], v[3:4], v[18:19], v[20:21]
	buffer_store_dword v2, off, s[0:3], 0 offset:452
	buffer_store_dword v1, off, s[0:3], 0 offset:448
	;; [unrolled: 1-line block ×4, first 2 shown]
.LBB50_623:
	s_or_b32 exec_lo, exec_lo, s4
	v_mov_b32_e32 v4, s28
	s_mov_b32 s4, exec_lo
	s_clause 0x3
	buffer_load_dword v1, v4, s[0:3], 0 offen
	buffer_load_dword v2, v4, s[0:3], 0 offen offset:4
	buffer_load_dword v3, v4, s[0:3], 0 offen offset:8
	;; [unrolled: 1-line block ×3, first 2 shown]
	s_waitcnt vmcnt(0)
	ds_write_b128 v16, v[1:4]
	s_waitcnt lgkmcnt(0)
	s_waitcnt_vscnt null, 0x0
	s_barrier
	buffer_gl0_inv
	v_cmpx_gt_u32_e32 29, v0
	s_cbranch_execz .LBB50_631
; %bb.624:
	ds_read_b128 v[1:4], v16
	v_cmp_ne_u32_e32 vcc_lo, 1, v17
	s_cbranch_vccnz .LBB50_626
; %bb.625:
	s_clause 0x3
	buffer_load_dword v18, v15, s[0:3], 0 offen offset:8
	buffer_load_dword v19, v15, s[0:3], 0 offen offset:12
	buffer_load_dword v20, v15, s[0:3], 0 offen
	buffer_load_dword v21, v15, s[0:3], 0 offen offset:4
	s_waitcnt vmcnt(2) lgkmcnt(0)
	v_mul_f64 v[22:23], v[3:4], v[18:19]
	v_mul_f64 v[18:19], v[1:2], v[18:19]
	s_waitcnt vmcnt(0)
	v_fma_f64 v[1:2], v[1:2], v[20:21], -v[22:23]
	v_fma_f64 v[3:4], v[3:4], v[20:21], v[18:19]
.LBB50_626:
	s_mov_b32 s8, exec_lo
	v_cmpx_ne_u32_e32 28, v0
	s_cbranch_execz .LBB50_630
; %bb.627:
	v_add_nc_u32_e32 v18, 0x340, v117
	v_add3_u32 v19, 0, v117, 16
	v_mov_b32_e32 v20, v0
	s_mov_b32 s58, 0
	.p2align	6
.LBB50_628:                             ; =>This Inner Loop Header: Depth=1
	s_clause 0x3
	buffer_load_dword v118, v19, s[0:3], 0 offen offset:8
	buffer_load_dword v119, v19, s[0:3], 0 offen offset:12
	buffer_load_dword v120, v19, s[0:3], 0 offen
	buffer_load_dword v121, v19, s[0:3], 0 offen offset:4
	ds_read_b128 v[21:24], v18
	v_add_nc_u32_e32 v20, 1, v20
	v_add_nc_u32_e32 v18, 16, v18
	;; [unrolled: 1-line block ×3, first 2 shown]
	v_cmp_lt_u32_e32 vcc_lo, 27, v20
	s_or_b32 s58, vcc_lo, s58
	s_waitcnt vmcnt(2) lgkmcnt(0)
	v_mul_f64 v[122:123], v[23:24], v[118:119]
	v_mul_f64 v[118:119], v[21:22], v[118:119]
	s_waitcnt vmcnt(0)
	v_fma_f64 v[21:22], v[21:22], v[120:121], -v[122:123]
	v_fma_f64 v[23:24], v[23:24], v[120:121], v[118:119]
	v_add_f64 v[1:2], v[1:2], v[21:22]
	v_add_f64 v[3:4], v[3:4], v[23:24]
	s_andn2_b32 exec_lo, exec_lo, s58
	s_cbranch_execnz .LBB50_628
; %bb.629:
	s_or_b32 exec_lo, exec_lo, s58
.LBB50_630:
	s_or_b32 exec_lo, exec_lo, s8
	v_mov_b32_e32 v18, 0
	ds_read_b128 v[18:21], v18 offset:464
	s_waitcnt lgkmcnt(0)
	v_mul_f64 v[22:23], v[3:4], v[20:21]
	v_mul_f64 v[20:21], v[1:2], v[20:21]
	v_fma_f64 v[1:2], v[1:2], v[18:19], -v[22:23]
	v_fma_f64 v[3:4], v[3:4], v[18:19], v[20:21]
	buffer_store_dword v2, off, s[0:3], 0 offset:468
	buffer_store_dword v1, off, s[0:3], 0 offset:464
	;; [unrolled: 1-line block ×4, first 2 shown]
.LBB50_631:
	s_or_b32 exec_lo, exec_lo, s4
	v_mov_b32_e32 v4, s27
	s_mov_b32 s4, exec_lo
	s_clause 0x3
	buffer_load_dword v1, v4, s[0:3], 0 offen
	buffer_load_dword v2, v4, s[0:3], 0 offen offset:4
	buffer_load_dword v3, v4, s[0:3], 0 offen offset:8
	;; [unrolled: 1-line block ×3, first 2 shown]
	s_waitcnt vmcnt(0)
	ds_write_b128 v16, v[1:4]
	s_waitcnt lgkmcnt(0)
	s_waitcnt_vscnt null, 0x0
	s_barrier
	buffer_gl0_inv
	v_cmpx_gt_u32_e32 30, v0
	s_cbranch_execz .LBB50_639
; %bb.632:
	ds_read_b128 v[1:4], v16
	v_cmp_ne_u32_e32 vcc_lo, 1, v17
	s_cbranch_vccnz .LBB50_634
; %bb.633:
	s_clause 0x3
	buffer_load_dword v18, v15, s[0:3], 0 offen offset:8
	buffer_load_dword v19, v15, s[0:3], 0 offen offset:12
	buffer_load_dword v20, v15, s[0:3], 0 offen
	buffer_load_dword v21, v15, s[0:3], 0 offen offset:4
	s_waitcnt vmcnt(2) lgkmcnt(0)
	v_mul_f64 v[22:23], v[3:4], v[18:19]
	v_mul_f64 v[18:19], v[1:2], v[18:19]
	s_waitcnt vmcnt(0)
	v_fma_f64 v[1:2], v[1:2], v[20:21], -v[22:23]
	v_fma_f64 v[3:4], v[3:4], v[20:21], v[18:19]
.LBB50_634:
	s_mov_b32 s8, exec_lo
	v_cmpx_ne_u32_e32 29, v0
	s_cbranch_execz .LBB50_638
; %bb.635:
	v_add_nc_u32_e32 v18, 0x340, v117
	v_add3_u32 v19, 0, v117, 16
	v_mov_b32_e32 v20, v0
	s_mov_b32 s58, 0
	.p2align	6
.LBB50_636:                             ; =>This Inner Loop Header: Depth=1
	s_clause 0x3
	buffer_load_dword v118, v19, s[0:3], 0 offen offset:8
	buffer_load_dword v119, v19, s[0:3], 0 offen offset:12
	buffer_load_dword v120, v19, s[0:3], 0 offen
	buffer_load_dword v121, v19, s[0:3], 0 offen offset:4
	ds_read_b128 v[21:24], v18
	v_add_nc_u32_e32 v20, 1, v20
	v_add_nc_u32_e32 v18, 16, v18
	;; [unrolled: 1-line block ×3, first 2 shown]
	v_cmp_lt_u32_e32 vcc_lo, 28, v20
	s_or_b32 s58, vcc_lo, s58
	s_waitcnt vmcnt(2) lgkmcnt(0)
	v_mul_f64 v[122:123], v[23:24], v[118:119]
	v_mul_f64 v[118:119], v[21:22], v[118:119]
	s_waitcnt vmcnt(0)
	v_fma_f64 v[21:22], v[21:22], v[120:121], -v[122:123]
	v_fma_f64 v[23:24], v[23:24], v[120:121], v[118:119]
	v_add_f64 v[1:2], v[1:2], v[21:22]
	v_add_f64 v[3:4], v[3:4], v[23:24]
	s_andn2_b32 exec_lo, exec_lo, s58
	s_cbranch_execnz .LBB50_636
; %bb.637:
	s_or_b32 exec_lo, exec_lo, s58
.LBB50_638:
	s_or_b32 exec_lo, exec_lo, s8
	v_mov_b32_e32 v18, 0
	ds_read_b128 v[18:21], v18 offset:480
	s_waitcnt lgkmcnt(0)
	v_mul_f64 v[22:23], v[3:4], v[20:21]
	v_mul_f64 v[20:21], v[1:2], v[20:21]
	v_fma_f64 v[1:2], v[1:2], v[18:19], -v[22:23]
	v_fma_f64 v[3:4], v[3:4], v[18:19], v[20:21]
	buffer_store_dword v2, off, s[0:3], 0 offset:484
	buffer_store_dword v1, off, s[0:3], 0 offset:480
	buffer_store_dword v4, off, s[0:3], 0 offset:492
	buffer_store_dword v3, off, s[0:3], 0 offset:488
.LBB50_639:
	s_or_b32 exec_lo, exec_lo, s4
	v_mov_b32_e32 v4, s26
	s_mov_b32 s4, exec_lo
	s_clause 0x3
	buffer_load_dword v1, v4, s[0:3], 0 offen
	buffer_load_dword v2, v4, s[0:3], 0 offen offset:4
	buffer_load_dword v3, v4, s[0:3], 0 offen offset:8
	;; [unrolled: 1-line block ×3, first 2 shown]
	s_waitcnt vmcnt(0)
	ds_write_b128 v16, v[1:4]
	s_waitcnt lgkmcnt(0)
	s_waitcnt_vscnt null, 0x0
	s_barrier
	buffer_gl0_inv
	v_cmpx_gt_u32_e32 31, v0
	s_cbranch_execz .LBB50_647
; %bb.640:
	ds_read_b128 v[1:4], v16
	v_cmp_ne_u32_e32 vcc_lo, 1, v17
	s_cbranch_vccnz .LBB50_642
; %bb.641:
	s_clause 0x3
	buffer_load_dword v18, v15, s[0:3], 0 offen offset:8
	buffer_load_dword v19, v15, s[0:3], 0 offen offset:12
	buffer_load_dword v20, v15, s[0:3], 0 offen
	buffer_load_dword v21, v15, s[0:3], 0 offen offset:4
	s_waitcnt vmcnt(2) lgkmcnt(0)
	v_mul_f64 v[22:23], v[3:4], v[18:19]
	v_mul_f64 v[18:19], v[1:2], v[18:19]
	s_waitcnt vmcnt(0)
	v_fma_f64 v[1:2], v[1:2], v[20:21], -v[22:23]
	v_fma_f64 v[3:4], v[3:4], v[20:21], v[18:19]
.LBB50_642:
	s_mov_b32 s8, exec_lo
	v_cmpx_ne_u32_e32 30, v0
	s_cbranch_execz .LBB50_646
; %bb.643:
	v_add_nc_u32_e32 v18, 0x340, v117
	v_add3_u32 v19, 0, v117, 16
	v_mov_b32_e32 v20, v0
	s_mov_b32 s58, 0
	.p2align	6
.LBB50_644:                             ; =>This Inner Loop Header: Depth=1
	s_clause 0x3
	buffer_load_dword v118, v19, s[0:3], 0 offen offset:8
	buffer_load_dword v119, v19, s[0:3], 0 offen offset:12
	buffer_load_dword v120, v19, s[0:3], 0 offen
	buffer_load_dword v121, v19, s[0:3], 0 offen offset:4
	ds_read_b128 v[21:24], v18
	v_add_nc_u32_e32 v20, 1, v20
	v_add_nc_u32_e32 v18, 16, v18
	;; [unrolled: 1-line block ×3, first 2 shown]
	v_cmp_lt_u32_e32 vcc_lo, 29, v20
	s_or_b32 s58, vcc_lo, s58
	s_waitcnt vmcnt(2) lgkmcnt(0)
	v_mul_f64 v[122:123], v[23:24], v[118:119]
	v_mul_f64 v[118:119], v[21:22], v[118:119]
	s_waitcnt vmcnt(0)
	v_fma_f64 v[21:22], v[21:22], v[120:121], -v[122:123]
	v_fma_f64 v[23:24], v[23:24], v[120:121], v[118:119]
	v_add_f64 v[1:2], v[1:2], v[21:22]
	v_add_f64 v[3:4], v[3:4], v[23:24]
	s_andn2_b32 exec_lo, exec_lo, s58
	s_cbranch_execnz .LBB50_644
; %bb.645:
	s_or_b32 exec_lo, exec_lo, s58
.LBB50_646:
	s_or_b32 exec_lo, exec_lo, s8
	v_mov_b32_e32 v18, 0
	ds_read_b128 v[18:21], v18 offset:496
	s_waitcnt lgkmcnt(0)
	v_mul_f64 v[22:23], v[3:4], v[20:21]
	v_mul_f64 v[20:21], v[1:2], v[20:21]
	v_fma_f64 v[1:2], v[1:2], v[18:19], -v[22:23]
	v_fma_f64 v[3:4], v[3:4], v[18:19], v[20:21]
	buffer_store_dword v2, off, s[0:3], 0 offset:500
	buffer_store_dword v1, off, s[0:3], 0 offset:496
	;; [unrolled: 1-line block ×4, first 2 shown]
.LBB50_647:
	s_or_b32 exec_lo, exec_lo, s4
	v_mov_b32_e32 v4, s25
	s_mov_b32 s4, exec_lo
	s_clause 0x3
	buffer_load_dword v1, v4, s[0:3], 0 offen
	buffer_load_dword v2, v4, s[0:3], 0 offen offset:4
	buffer_load_dword v3, v4, s[0:3], 0 offen offset:8
	;; [unrolled: 1-line block ×3, first 2 shown]
	s_waitcnt vmcnt(0)
	ds_write_b128 v16, v[1:4]
	s_waitcnt lgkmcnt(0)
	s_waitcnt_vscnt null, 0x0
	s_barrier
	buffer_gl0_inv
	v_cmpx_gt_u32_e32 32, v0
	s_cbranch_execz .LBB50_655
; %bb.648:
	ds_read_b128 v[1:4], v16
	v_cmp_ne_u32_e32 vcc_lo, 1, v17
	s_cbranch_vccnz .LBB50_650
; %bb.649:
	s_clause 0x3
	buffer_load_dword v18, v15, s[0:3], 0 offen offset:8
	buffer_load_dword v19, v15, s[0:3], 0 offen offset:12
	buffer_load_dword v20, v15, s[0:3], 0 offen
	buffer_load_dword v21, v15, s[0:3], 0 offen offset:4
	s_waitcnt vmcnt(2) lgkmcnt(0)
	v_mul_f64 v[22:23], v[3:4], v[18:19]
	v_mul_f64 v[18:19], v[1:2], v[18:19]
	s_waitcnt vmcnt(0)
	v_fma_f64 v[1:2], v[1:2], v[20:21], -v[22:23]
	v_fma_f64 v[3:4], v[3:4], v[20:21], v[18:19]
.LBB50_650:
	s_mov_b32 s8, exec_lo
	v_cmpx_ne_u32_e32 31, v0
	s_cbranch_execz .LBB50_654
; %bb.651:
	v_add_nc_u32_e32 v18, 0x340, v117
	v_add3_u32 v19, 0, v117, 16
	v_mov_b32_e32 v20, v0
	s_mov_b32 s58, 0
	.p2align	6
.LBB50_652:                             ; =>This Inner Loop Header: Depth=1
	s_clause 0x3
	buffer_load_dword v118, v19, s[0:3], 0 offen offset:8
	buffer_load_dword v119, v19, s[0:3], 0 offen offset:12
	buffer_load_dword v120, v19, s[0:3], 0 offen
	buffer_load_dword v121, v19, s[0:3], 0 offen offset:4
	ds_read_b128 v[21:24], v18
	v_add_nc_u32_e32 v20, 1, v20
	v_add_nc_u32_e32 v18, 16, v18
	;; [unrolled: 1-line block ×3, first 2 shown]
	v_cmp_lt_u32_e32 vcc_lo, 30, v20
	s_or_b32 s58, vcc_lo, s58
	s_waitcnt vmcnt(2) lgkmcnt(0)
	v_mul_f64 v[122:123], v[23:24], v[118:119]
	v_mul_f64 v[118:119], v[21:22], v[118:119]
	s_waitcnt vmcnt(0)
	v_fma_f64 v[21:22], v[21:22], v[120:121], -v[122:123]
	v_fma_f64 v[23:24], v[23:24], v[120:121], v[118:119]
	v_add_f64 v[1:2], v[1:2], v[21:22]
	v_add_f64 v[3:4], v[3:4], v[23:24]
	s_andn2_b32 exec_lo, exec_lo, s58
	s_cbranch_execnz .LBB50_652
; %bb.653:
	s_or_b32 exec_lo, exec_lo, s58
.LBB50_654:
	s_or_b32 exec_lo, exec_lo, s8
	v_mov_b32_e32 v18, 0
	ds_read_b128 v[18:21], v18 offset:512
	s_waitcnt lgkmcnt(0)
	v_mul_f64 v[22:23], v[3:4], v[20:21]
	v_mul_f64 v[20:21], v[1:2], v[20:21]
	v_fma_f64 v[1:2], v[1:2], v[18:19], -v[22:23]
	v_fma_f64 v[3:4], v[3:4], v[18:19], v[20:21]
	buffer_store_dword v2, off, s[0:3], 0 offset:516
	buffer_store_dword v1, off, s[0:3], 0 offset:512
	;; [unrolled: 1-line block ×4, first 2 shown]
.LBB50_655:
	s_or_b32 exec_lo, exec_lo, s4
	v_mov_b32_e32 v4, s24
	s_mov_b32 s4, exec_lo
	s_clause 0x3
	buffer_load_dword v1, v4, s[0:3], 0 offen
	buffer_load_dword v2, v4, s[0:3], 0 offen offset:4
	buffer_load_dword v3, v4, s[0:3], 0 offen offset:8
	;; [unrolled: 1-line block ×3, first 2 shown]
	s_waitcnt vmcnt(0)
	ds_write_b128 v16, v[1:4]
	s_waitcnt lgkmcnt(0)
	s_waitcnt_vscnt null, 0x0
	s_barrier
	buffer_gl0_inv
	v_cmpx_gt_u32_e32 33, v0
	s_cbranch_execz .LBB50_663
; %bb.656:
	ds_read_b128 v[1:4], v16
	v_cmp_ne_u32_e32 vcc_lo, 1, v17
	s_cbranch_vccnz .LBB50_658
; %bb.657:
	s_clause 0x3
	buffer_load_dword v18, v15, s[0:3], 0 offen offset:8
	buffer_load_dword v19, v15, s[0:3], 0 offen offset:12
	buffer_load_dword v20, v15, s[0:3], 0 offen
	buffer_load_dword v21, v15, s[0:3], 0 offen offset:4
	s_waitcnt vmcnt(2) lgkmcnt(0)
	v_mul_f64 v[22:23], v[3:4], v[18:19]
	v_mul_f64 v[18:19], v[1:2], v[18:19]
	s_waitcnt vmcnt(0)
	v_fma_f64 v[1:2], v[1:2], v[20:21], -v[22:23]
	v_fma_f64 v[3:4], v[3:4], v[20:21], v[18:19]
.LBB50_658:
	s_mov_b32 s8, exec_lo
	v_cmpx_ne_u32_e32 32, v0
	s_cbranch_execz .LBB50_662
; %bb.659:
	v_add_nc_u32_e32 v18, 0x340, v117
	v_add3_u32 v19, 0, v117, 16
	v_mov_b32_e32 v20, v0
	s_mov_b32 s58, 0
	.p2align	6
.LBB50_660:                             ; =>This Inner Loop Header: Depth=1
	s_clause 0x3
	buffer_load_dword v118, v19, s[0:3], 0 offen offset:8
	buffer_load_dword v119, v19, s[0:3], 0 offen offset:12
	buffer_load_dword v120, v19, s[0:3], 0 offen
	buffer_load_dword v121, v19, s[0:3], 0 offen offset:4
	ds_read_b128 v[21:24], v18
	v_add_nc_u32_e32 v20, 1, v20
	v_add_nc_u32_e32 v18, 16, v18
	v_add_nc_u32_e32 v19, 16, v19
	v_cmp_lt_u32_e32 vcc_lo, 31, v20
	s_or_b32 s58, vcc_lo, s58
	s_waitcnt vmcnt(2) lgkmcnt(0)
	v_mul_f64 v[122:123], v[23:24], v[118:119]
	v_mul_f64 v[118:119], v[21:22], v[118:119]
	s_waitcnt vmcnt(0)
	v_fma_f64 v[21:22], v[21:22], v[120:121], -v[122:123]
	v_fma_f64 v[23:24], v[23:24], v[120:121], v[118:119]
	v_add_f64 v[1:2], v[1:2], v[21:22]
	v_add_f64 v[3:4], v[3:4], v[23:24]
	s_andn2_b32 exec_lo, exec_lo, s58
	s_cbranch_execnz .LBB50_660
; %bb.661:
	s_or_b32 exec_lo, exec_lo, s58
.LBB50_662:
	s_or_b32 exec_lo, exec_lo, s8
	v_mov_b32_e32 v18, 0
	ds_read_b128 v[18:21], v18 offset:528
	s_waitcnt lgkmcnt(0)
	v_mul_f64 v[22:23], v[3:4], v[20:21]
	v_mul_f64 v[20:21], v[1:2], v[20:21]
	v_fma_f64 v[1:2], v[1:2], v[18:19], -v[22:23]
	v_fma_f64 v[3:4], v[3:4], v[18:19], v[20:21]
	buffer_store_dword v2, off, s[0:3], 0 offset:532
	buffer_store_dword v1, off, s[0:3], 0 offset:528
	;; [unrolled: 1-line block ×4, first 2 shown]
.LBB50_663:
	s_or_b32 exec_lo, exec_lo, s4
	v_mov_b32_e32 v4, s23
	s_mov_b32 s4, exec_lo
	s_clause 0x3
	buffer_load_dword v1, v4, s[0:3], 0 offen
	buffer_load_dword v2, v4, s[0:3], 0 offen offset:4
	buffer_load_dword v3, v4, s[0:3], 0 offen offset:8
	;; [unrolled: 1-line block ×3, first 2 shown]
	s_waitcnt vmcnt(0)
	ds_write_b128 v16, v[1:4]
	s_waitcnt lgkmcnt(0)
	s_waitcnt_vscnt null, 0x0
	s_barrier
	buffer_gl0_inv
	v_cmpx_gt_u32_e32 34, v0
	s_cbranch_execz .LBB50_671
; %bb.664:
	ds_read_b128 v[1:4], v16
	v_cmp_ne_u32_e32 vcc_lo, 1, v17
	s_cbranch_vccnz .LBB50_666
; %bb.665:
	s_clause 0x3
	buffer_load_dword v18, v15, s[0:3], 0 offen offset:8
	buffer_load_dword v19, v15, s[0:3], 0 offen offset:12
	buffer_load_dword v20, v15, s[0:3], 0 offen
	buffer_load_dword v21, v15, s[0:3], 0 offen offset:4
	s_waitcnt vmcnt(2) lgkmcnt(0)
	v_mul_f64 v[22:23], v[3:4], v[18:19]
	v_mul_f64 v[18:19], v[1:2], v[18:19]
	s_waitcnt vmcnt(0)
	v_fma_f64 v[1:2], v[1:2], v[20:21], -v[22:23]
	v_fma_f64 v[3:4], v[3:4], v[20:21], v[18:19]
.LBB50_666:
	s_mov_b32 s8, exec_lo
	v_cmpx_ne_u32_e32 33, v0
	s_cbranch_execz .LBB50_670
; %bb.667:
	v_add_nc_u32_e32 v18, 0x340, v117
	v_add3_u32 v19, 0, v117, 16
	v_mov_b32_e32 v20, v0
	s_mov_b32 s58, 0
	.p2align	6
.LBB50_668:                             ; =>This Inner Loop Header: Depth=1
	s_clause 0x3
	buffer_load_dword v118, v19, s[0:3], 0 offen offset:8
	buffer_load_dword v119, v19, s[0:3], 0 offen offset:12
	buffer_load_dword v120, v19, s[0:3], 0 offen
	buffer_load_dword v121, v19, s[0:3], 0 offen offset:4
	ds_read_b128 v[21:24], v18
	v_add_nc_u32_e32 v20, 1, v20
	v_add_nc_u32_e32 v18, 16, v18
	;; [unrolled: 1-line block ×3, first 2 shown]
	v_cmp_lt_u32_e32 vcc_lo, 32, v20
	s_or_b32 s58, vcc_lo, s58
	s_waitcnt vmcnt(2) lgkmcnt(0)
	v_mul_f64 v[122:123], v[23:24], v[118:119]
	v_mul_f64 v[118:119], v[21:22], v[118:119]
	s_waitcnt vmcnt(0)
	v_fma_f64 v[21:22], v[21:22], v[120:121], -v[122:123]
	v_fma_f64 v[23:24], v[23:24], v[120:121], v[118:119]
	v_add_f64 v[1:2], v[1:2], v[21:22]
	v_add_f64 v[3:4], v[3:4], v[23:24]
	s_andn2_b32 exec_lo, exec_lo, s58
	s_cbranch_execnz .LBB50_668
; %bb.669:
	s_or_b32 exec_lo, exec_lo, s58
.LBB50_670:
	s_or_b32 exec_lo, exec_lo, s8
	v_mov_b32_e32 v18, 0
	ds_read_b128 v[18:21], v18 offset:544
	s_waitcnt lgkmcnt(0)
	v_mul_f64 v[22:23], v[3:4], v[20:21]
	v_mul_f64 v[20:21], v[1:2], v[20:21]
	v_fma_f64 v[1:2], v[1:2], v[18:19], -v[22:23]
	v_fma_f64 v[3:4], v[3:4], v[18:19], v[20:21]
	buffer_store_dword v2, off, s[0:3], 0 offset:548
	buffer_store_dword v1, off, s[0:3], 0 offset:544
	;; [unrolled: 1-line block ×4, first 2 shown]
.LBB50_671:
	s_or_b32 exec_lo, exec_lo, s4
	v_mov_b32_e32 v4, s22
	s_mov_b32 s4, exec_lo
	s_clause 0x3
	buffer_load_dword v1, v4, s[0:3], 0 offen
	buffer_load_dword v2, v4, s[0:3], 0 offen offset:4
	buffer_load_dword v3, v4, s[0:3], 0 offen offset:8
	;; [unrolled: 1-line block ×3, first 2 shown]
	s_waitcnt vmcnt(0)
	ds_write_b128 v16, v[1:4]
	s_waitcnt lgkmcnt(0)
	s_waitcnt_vscnt null, 0x0
	s_barrier
	buffer_gl0_inv
	v_cmpx_gt_u32_e32 35, v0
	s_cbranch_execz .LBB50_679
; %bb.672:
	ds_read_b128 v[1:4], v16
	v_cmp_ne_u32_e32 vcc_lo, 1, v17
	s_cbranch_vccnz .LBB50_674
; %bb.673:
	s_clause 0x3
	buffer_load_dword v18, v15, s[0:3], 0 offen offset:8
	buffer_load_dword v19, v15, s[0:3], 0 offen offset:12
	buffer_load_dword v20, v15, s[0:3], 0 offen
	buffer_load_dword v21, v15, s[0:3], 0 offen offset:4
	s_waitcnt vmcnt(2) lgkmcnt(0)
	v_mul_f64 v[22:23], v[3:4], v[18:19]
	v_mul_f64 v[18:19], v[1:2], v[18:19]
	s_waitcnt vmcnt(0)
	v_fma_f64 v[1:2], v[1:2], v[20:21], -v[22:23]
	v_fma_f64 v[3:4], v[3:4], v[20:21], v[18:19]
.LBB50_674:
	s_mov_b32 s8, exec_lo
	v_cmpx_ne_u32_e32 34, v0
	s_cbranch_execz .LBB50_678
; %bb.675:
	v_add_nc_u32_e32 v18, 0x340, v117
	v_add3_u32 v19, 0, v117, 16
	v_mov_b32_e32 v20, v0
	s_mov_b32 s58, 0
	.p2align	6
.LBB50_676:                             ; =>This Inner Loop Header: Depth=1
	s_clause 0x3
	buffer_load_dword v118, v19, s[0:3], 0 offen offset:8
	buffer_load_dword v119, v19, s[0:3], 0 offen offset:12
	buffer_load_dword v120, v19, s[0:3], 0 offen
	buffer_load_dword v121, v19, s[0:3], 0 offen offset:4
	ds_read_b128 v[21:24], v18
	v_add_nc_u32_e32 v20, 1, v20
	v_add_nc_u32_e32 v18, 16, v18
	;; [unrolled: 1-line block ×3, first 2 shown]
	v_cmp_lt_u32_e32 vcc_lo, 33, v20
	s_or_b32 s58, vcc_lo, s58
	s_waitcnt vmcnt(2) lgkmcnt(0)
	v_mul_f64 v[122:123], v[23:24], v[118:119]
	v_mul_f64 v[118:119], v[21:22], v[118:119]
	s_waitcnt vmcnt(0)
	v_fma_f64 v[21:22], v[21:22], v[120:121], -v[122:123]
	v_fma_f64 v[23:24], v[23:24], v[120:121], v[118:119]
	v_add_f64 v[1:2], v[1:2], v[21:22]
	v_add_f64 v[3:4], v[3:4], v[23:24]
	s_andn2_b32 exec_lo, exec_lo, s58
	s_cbranch_execnz .LBB50_676
; %bb.677:
	s_or_b32 exec_lo, exec_lo, s58
.LBB50_678:
	s_or_b32 exec_lo, exec_lo, s8
	v_mov_b32_e32 v18, 0
	ds_read_b128 v[18:21], v18 offset:560
	s_waitcnt lgkmcnt(0)
	v_mul_f64 v[22:23], v[3:4], v[20:21]
	v_mul_f64 v[20:21], v[1:2], v[20:21]
	v_fma_f64 v[1:2], v[1:2], v[18:19], -v[22:23]
	v_fma_f64 v[3:4], v[3:4], v[18:19], v[20:21]
	buffer_store_dword v2, off, s[0:3], 0 offset:564
	buffer_store_dword v1, off, s[0:3], 0 offset:560
	;; [unrolled: 1-line block ×4, first 2 shown]
.LBB50_679:
	s_or_b32 exec_lo, exec_lo, s4
	v_mov_b32_e32 v4, s21
	s_mov_b32 s4, exec_lo
	s_clause 0x3
	buffer_load_dword v1, v4, s[0:3], 0 offen
	buffer_load_dword v2, v4, s[0:3], 0 offen offset:4
	buffer_load_dword v3, v4, s[0:3], 0 offen offset:8
	;; [unrolled: 1-line block ×3, first 2 shown]
	s_waitcnt vmcnt(0)
	ds_write_b128 v16, v[1:4]
	s_waitcnt lgkmcnt(0)
	s_waitcnt_vscnt null, 0x0
	s_barrier
	buffer_gl0_inv
	v_cmpx_gt_u32_e32 36, v0
	s_cbranch_execz .LBB50_687
; %bb.680:
	ds_read_b128 v[1:4], v16
	v_cmp_ne_u32_e32 vcc_lo, 1, v17
	s_cbranch_vccnz .LBB50_682
; %bb.681:
	s_clause 0x3
	buffer_load_dword v18, v15, s[0:3], 0 offen offset:8
	buffer_load_dword v19, v15, s[0:3], 0 offen offset:12
	buffer_load_dword v20, v15, s[0:3], 0 offen
	buffer_load_dword v21, v15, s[0:3], 0 offen offset:4
	s_waitcnt vmcnt(2) lgkmcnt(0)
	v_mul_f64 v[22:23], v[3:4], v[18:19]
	v_mul_f64 v[18:19], v[1:2], v[18:19]
	s_waitcnt vmcnt(0)
	v_fma_f64 v[1:2], v[1:2], v[20:21], -v[22:23]
	v_fma_f64 v[3:4], v[3:4], v[20:21], v[18:19]
.LBB50_682:
	s_mov_b32 s8, exec_lo
	v_cmpx_ne_u32_e32 35, v0
	s_cbranch_execz .LBB50_686
; %bb.683:
	v_add_nc_u32_e32 v18, 0x340, v117
	v_add3_u32 v19, 0, v117, 16
	v_mov_b32_e32 v20, v0
	s_mov_b32 s58, 0
	.p2align	6
.LBB50_684:                             ; =>This Inner Loop Header: Depth=1
	s_clause 0x3
	buffer_load_dword v118, v19, s[0:3], 0 offen offset:8
	buffer_load_dword v119, v19, s[0:3], 0 offen offset:12
	buffer_load_dword v120, v19, s[0:3], 0 offen
	buffer_load_dword v121, v19, s[0:3], 0 offen offset:4
	ds_read_b128 v[21:24], v18
	v_add_nc_u32_e32 v20, 1, v20
	v_add_nc_u32_e32 v18, 16, v18
	;; [unrolled: 1-line block ×3, first 2 shown]
	v_cmp_lt_u32_e32 vcc_lo, 34, v20
	s_or_b32 s58, vcc_lo, s58
	s_waitcnt vmcnt(2) lgkmcnt(0)
	v_mul_f64 v[122:123], v[23:24], v[118:119]
	v_mul_f64 v[118:119], v[21:22], v[118:119]
	s_waitcnt vmcnt(0)
	v_fma_f64 v[21:22], v[21:22], v[120:121], -v[122:123]
	v_fma_f64 v[23:24], v[23:24], v[120:121], v[118:119]
	v_add_f64 v[1:2], v[1:2], v[21:22]
	v_add_f64 v[3:4], v[3:4], v[23:24]
	s_andn2_b32 exec_lo, exec_lo, s58
	s_cbranch_execnz .LBB50_684
; %bb.685:
	s_or_b32 exec_lo, exec_lo, s58
.LBB50_686:
	s_or_b32 exec_lo, exec_lo, s8
	v_mov_b32_e32 v18, 0
	ds_read_b128 v[18:21], v18 offset:576
	s_waitcnt lgkmcnt(0)
	v_mul_f64 v[22:23], v[3:4], v[20:21]
	v_mul_f64 v[20:21], v[1:2], v[20:21]
	v_fma_f64 v[1:2], v[1:2], v[18:19], -v[22:23]
	v_fma_f64 v[3:4], v[3:4], v[18:19], v[20:21]
	buffer_store_dword v2, off, s[0:3], 0 offset:580
	buffer_store_dword v1, off, s[0:3], 0 offset:576
	buffer_store_dword v4, off, s[0:3], 0 offset:588
	buffer_store_dword v3, off, s[0:3], 0 offset:584
.LBB50_687:
	s_or_b32 exec_lo, exec_lo, s4
	v_mov_b32_e32 v4, s20
	s_mov_b32 s4, exec_lo
	s_clause 0x3
	buffer_load_dword v1, v4, s[0:3], 0 offen
	buffer_load_dword v2, v4, s[0:3], 0 offen offset:4
	buffer_load_dword v3, v4, s[0:3], 0 offen offset:8
	;; [unrolled: 1-line block ×3, first 2 shown]
	s_waitcnt vmcnt(0)
	ds_write_b128 v16, v[1:4]
	s_waitcnt lgkmcnt(0)
	s_waitcnt_vscnt null, 0x0
	s_barrier
	buffer_gl0_inv
	v_cmpx_gt_u32_e32 37, v0
	s_cbranch_execz .LBB50_695
; %bb.688:
	ds_read_b128 v[1:4], v16
	v_cmp_ne_u32_e32 vcc_lo, 1, v17
	s_cbranch_vccnz .LBB50_690
; %bb.689:
	s_clause 0x3
	buffer_load_dword v18, v15, s[0:3], 0 offen offset:8
	buffer_load_dword v19, v15, s[0:3], 0 offen offset:12
	buffer_load_dword v20, v15, s[0:3], 0 offen
	buffer_load_dword v21, v15, s[0:3], 0 offen offset:4
	s_waitcnt vmcnt(2) lgkmcnt(0)
	v_mul_f64 v[22:23], v[3:4], v[18:19]
	v_mul_f64 v[18:19], v[1:2], v[18:19]
	s_waitcnt vmcnt(0)
	v_fma_f64 v[1:2], v[1:2], v[20:21], -v[22:23]
	v_fma_f64 v[3:4], v[3:4], v[20:21], v[18:19]
.LBB50_690:
	s_mov_b32 s8, exec_lo
	v_cmpx_ne_u32_e32 36, v0
	s_cbranch_execz .LBB50_694
; %bb.691:
	v_add_nc_u32_e32 v18, 0x340, v117
	v_add3_u32 v19, 0, v117, 16
	v_mov_b32_e32 v20, v0
	s_mov_b32 s58, 0
	.p2align	6
.LBB50_692:                             ; =>This Inner Loop Header: Depth=1
	s_clause 0x3
	buffer_load_dword v118, v19, s[0:3], 0 offen offset:8
	buffer_load_dword v119, v19, s[0:3], 0 offen offset:12
	buffer_load_dword v120, v19, s[0:3], 0 offen
	buffer_load_dword v121, v19, s[0:3], 0 offen offset:4
	ds_read_b128 v[21:24], v18
	v_add_nc_u32_e32 v20, 1, v20
	v_add_nc_u32_e32 v18, 16, v18
	;; [unrolled: 1-line block ×3, first 2 shown]
	v_cmp_lt_u32_e32 vcc_lo, 35, v20
	s_or_b32 s58, vcc_lo, s58
	s_waitcnt vmcnt(2) lgkmcnt(0)
	v_mul_f64 v[122:123], v[23:24], v[118:119]
	v_mul_f64 v[118:119], v[21:22], v[118:119]
	s_waitcnt vmcnt(0)
	v_fma_f64 v[21:22], v[21:22], v[120:121], -v[122:123]
	v_fma_f64 v[23:24], v[23:24], v[120:121], v[118:119]
	v_add_f64 v[1:2], v[1:2], v[21:22]
	v_add_f64 v[3:4], v[3:4], v[23:24]
	s_andn2_b32 exec_lo, exec_lo, s58
	s_cbranch_execnz .LBB50_692
; %bb.693:
	s_or_b32 exec_lo, exec_lo, s58
.LBB50_694:
	s_or_b32 exec_lo, exec_lo, s8
	v_mov_b32_e32 v18, 0
	ds_read_b128 v[18:21], v18 offset:592
	s_waitcnt lgkmcnt(0)
	v_mul_f64 v[22:23], v[3:4], v[20:21]
	v_mul_f64 v[20:21], v[1:2], v[20:21]
	v_fma_f64 v[1:2], v[1:2], v[18:19], -v[22:23]
	v_fma_f64 v[3:4], v[3:4], v[18:19], v[20:21]
	buffer_store_dword v2, off, s[0:3], 0 offset:596
	buffer_store_dword v1, off, s[0:3], 0 offset:592
	;; [unrolled: 1-line block ×4, first 2 shown]
.LBB50_695:
	s_or_b32 exec_lo, exec_lo, s4
	v_mov_b32_e32 v4, s19
	s_mov_b32 s4, exec_lo
	s_clause 0x3
	buffer_load_dword v1, v4, s[0:3], 0 offen
	buffer_load_dword v2, v4, s[0:3], 0 offen offset:4
	buffer_load_dword v3, v4, s[0:3], 0 offen offset:8
	;; [unrolled: 1-line block ×3, first 2 shown]
	s_waitcnt vmcnt(0)
	ds_write_b128 v16, v[1:4]
	s_waitcnt lgkmcnt(0)
	s_waitcnt_vscnt null, 0x0
	s_barrier
	buffer_gl0_inv
	v_cmpx_gt_u32_e32 38, v0
	s_cbranch_execz .LBB50_703
; %bb.696:
	ds_read_b128 v[1:4], v16
	v_cmp_ne_u32_e32 vcc_lo, 1, v17
	s_cbranch_vccnz .LBB50_698
; %bb.697:
	s_clause 0x3
	buffer_load_dword v18, v15, s[0:3], 0 offen offset:8
	buffer_load_dword v19, v15, s[0:3], 0 offen offset:12
	buffer_load_dword v20, v15, s[0:3], 0 offen
	buffer_load_dword v21, v15, s[0:3], 0 offen offset:4
	s_waitcnt vmcnt(2) lgkmcnt(0)
	v_mul_f64 v[22:23], v[3:4], v[18:19]
	v_mul_f64 v[18:19], v[1:2], v[18:19]
	s_waitcnt vmcnt(0)
	v_fma_f64 v[1:2], v[1:2], v[20:21], -v[22:23]
	v_fma_f64 v[3:4], v[3:4], v[20:21], v[18:19]
.LBB50_698:
	s_mov_b32 s8, exec_lo
	v_cmpx_ne_u32_e32 37, v0
	s_cbranch_execz .LBB50_702
; %bb.699:
	v_add_nc_u32_e32 v18, 0x340, v117
	v_add3_u32 v19, 0, v117, 16
	v_mov_b32_e32 v20, v0
	s_mov_b32 s58, 0
	.p2align	6
.LBB50_700:                             ; =>This Inner Loop Header: Depth=1
	s_clause 0x3
	buffer_load_dword v118, v19, s[0:3], 0 offen offset:8
	buffer_load_dword v119, v19, s[0:3], 0 offen offset:12
	buffer_load_dword v120, v19, s[0:3], 0 offen
	buffer_load_dword v121, v19, s[0:3], 0 offen offset:4
	ds_read_b128 v[21:24], v18
	v_add_nc_u32_e32 v20, 1, v20
	v_add_nc_u32_e32 v18, 16, v18
	;; [unrolled: 1-line block ×3, first 2 shown]
	v_cmp_lt_u32_e32 vcc_lo, 36, v20
	s_or_b32 s58, vcc_lo, s58
	s_waitcnt vmcnt(2) lgkmcnt(0)
	v_mul_f64 v[122:123], v[23:24], v[118:119]
	v_mul_f64 v[118:119], v[21:22], v[118:119]
	s_waitcnt vmcnt(0)
	v_fma_f64 v[21:22], v[21:22], v[120:121], -v[122:123]
	v_fma_f64 v[23:24], v[23:24], v[120:121], v[118:119]
	v_add_f64 v[1:2], v[1:2], v[21:22]
	v_add_f64 v[3:4], v[3:4], v[23:24]
	s_andn2_b32 exec_lo, exec_lo, s58
	s_cbranch_execnz .LBB50_700
; %bb.701:
	s_or_b32 exec_lo, exec_lo, s58
.LBB50_702:
	s_or_b32 exec_lo, exec_lo, s8
	v_mov_b32_e32 v18, 0
	ds_read_b128 v[18:21], v18 offset:608
	s_waitcnt lgkmcnt(0)
	v_mul_f64 v[22:23], v[3:4], v[20:21]
	v_mul_f64 v[20:21], v[1:2], v[20:21]
	v_fma_f64 v[1:2], v[1:2], v[18:19], -v[22:23]
	v_fma_f64 v[3:4], v[3:4], v[18:19], v[20:21]
	buffer_store_dword v2, off, s[0:3], 0 offset:612
	buffer_store_dword v1, off, s[0:3], 0 offset:608
	;; [unrolled: 1-line block ×4, first 2 shown]
.LBB50_703:
	s_or_b32 exec_lo, exec_lo, s4
	v_mov_b32_e32 v4, s18
	s_mov_b32 s4, exec_lo
	s_clause 0x3
	buffer_load_dword v1, v4, s[0:3], 0 offen
	buffer_load_dword v2, v4, s[0:3], 0 offen offset:4
	buffer_load_dword v3, v4, s[0:3], 0 offen offset:8
	;; [unrolled: 1-line block ×3, first 2 shown]
	s_waitcnt vmcnt(0)
	ds_write_b128 v16, v[1:4]
	s_waitcnt lgkmcnt(0)
	s_waitcnt_vscnt null, 0x0
	s_barrier
	buffer_gl0_inv
	v_cmpx_gt_u32_e32 39, v0
	s_cbranch_execz .LBB50_711
; %bb.704:
	ds_read_b128 v[1:4], v16
	v_cmp_ne_u32_e32 vcc_lo, 1, v17
	s_cbranch_vccnz .LBB50_706
; %bb.705:
	s_clause 0x3
	buffer_load_dword v18, v15, s[0:3], 0 offen offset:8
	buffer_load_dword v19, v15, s[0:3], 0 offen offset:12
	buffer_load_dword v20, v15, s[0:3], 0 offen
	buffer_load_dword v21, v15, s[0:3], 0 offen offset:4
	s_waitcnt vmcnt(2) lgkmcnt(0)
	v_mul_f64 v[22:23], v[3:4], v[18:19]
	v_mul_f64 v[18:19], v[1:2], v[18:19]
	s_waitcnt vmcnt(0)
	v_fma_f64 v[1:2], v[1:2], v[20:21], -v[22:23]
	v_fma_f64 v[3:4], v[3:4], v[20:21], v[18:19]
.LBB50_706:
	s_mov_b32 s8, exec_lo
	v_cmpx_ne_u32_e32 38, v0
	s_cbranch_execz .LBB50_710
; %bb.707:
	v_add_nc_u32_e32 v18, 0x340, v117
	v_add3_u32 v19, 0, v117, 16
	v_mov_b32_e32 v20, v0
	s_mov_b32 s58, 0
	.p2align	6
.LBB50_708:                             ; =>This Inner Loop Header: Depth=1
	s_clause 0x3
	buffer_load_dword v118, v19, s[0:3], 0 offen offset:8
	buffer_load_dword v119, v19, s[0:3], 0 offen offset:12
	buffer_load_dword v120, v19, s[0:3], 0 offen
	buffer_load_dword v121, v19, s[0:3], 0 offen offset:4
	ds_read_b128 v[21:24], v18
	v_add_nc_u32_e32 v20, 1, v20
	v_add_nc_u32_e32 v18, 16, v18
	;; [unrolled: 1-line block ×3, first 2 shown]
	v_cmp_lt_u32_e32 vcc_lo, 37, v20
	s_or_b32 s58, vcc_lo, s58
	s_waitcnt vmcnt(2) lgkmcnt(0)
	v_mul_f64 v[122:123], v[23:24], v[118:119]
	v_mul_f64 v[118:119], v[21:22], v[118:119]
	s_waitcnt vmcnt(0)
	v_fma_f64 v[21:22], v[21:22], v[120:121], -v[122:123]
	v_fma_f64 v[23:24], v[23:24], v[120:121], v[118:119]
	v_add_f64 v[1:2], v[1:2], v[21:22]
	v_add_f64 v[3:4], v[3:4], v[23:24]
	s_andn2_b32 exec_lo, exec_lo, s58
	s_cbranch_execnz .LBB50_708
; %bb.709:
	s_or_b32 exec_lo, exec_lo, s58
.LBB50_710:
	s_or_b32 exec_lo, exec_lo, s8
	v_mov_b32_e32 v18, 0
	ds_read_b128 v[18:21], v18 offset:624
	s_waitcnt lgkmcnt(0)
	v_mul_f64 v[22:23], v[3:4], v[20:21]
	v_mul_f64 v[20:21], v[1:2], v[20:21]
	v_fma_f64 v[1:2], v[1:2], v[18:19], -v[22:23]
	v_fma_f64 v[3:4], v[3:4], v[18:19], v[20:21]
	buffer_store_dword v2, off, s[0:3], 0 offset:628
	buffer_store_dword v1, off, s[0:3], 0 offset:624
	;; [unrolled: 1-line block ×4, first 2 shown]
.LBB50_711:
	s_or_b32 exec_lo, exec_lo, s4
	v_mov_b32_e32 v4, s17
	s_mov_b32 s4, exec_lo
	s_clause 0x3
	buffer_load_dword v1, v4, s[0:3], 0 offen
	buffer_load_dword v2, v4, s[0:3], 0 offen offset:4
	buffer_load_dword v3, v4, s[0:3], 0 offen offset:8
	buffer_load_dword v4, v4, s[0:3], 0 offen offset:12
	s_waitcnt vmcnt(0)
	ds_write_b128 v16, v[1:4]
	s_waitcnt lgkmcnt(0)
	s_waitcnt_vscnt null, 0x0
	s_barrier
	buffer_gl0_inv
	v_cmpx_gt_u32_e32 40, v0
	s_cbranch_execz .LBB50_719
; %bb.712:
	ds_read_b128 v[1:4], v16
	v_cmp_ne_u32_e32 vcc_lo, 1, v17
	s_cbranch_vccnz .LBB50_714
; %bb.713:
	s_clause 0x3
	buffer_load_dword v18, v15, s[0:3], 0 offen offset:8
	buffer_load_dword v19, v15, s[0:3], 0 offen offset:12
	buffer_load_dword v20, v15, s[0:3], 0 offen
	buffer_load_dword v21, v15, s[0:3], 0 offen offset:4
	s_waitcnt vmcnt(2) lgkmcnt(0)
	v_mul_f64 v[22:23], v[3:4], v[18:19]
	v_mul_f64 v[18:19], v[1:2], v[18:19]
	s_waitcnt vmcnt(0)
	v_fma_f64 v[1:2], v[1:2], v[20:21], -v[22:23]
	v_fma_f64 v[3:4], v[3:4], v[20:21], v[18:19]
.LBB50_714:
	s_mov_b32 s8, exec_lo
	v_cmpx_ne_u32_e32 39, v0
	s_cbranch_execz .LBB50_718
; %bb.715:
	v_add_nc_u32_e32 v18, 0x340, v117
	v_add3_u32 v19, 0, v117, 16
	v_mov_b32_e32 v20, v0
	s_mov_b32 s58, 0
	.p2align	6
.LBB50_716:                             ; =>This Inner Loop Header: Depth=1
	s_clause 0x3
	buffer_load_dword v118, v19, s[0:3], 0 offen offset:8
	buffer_load_dword v119, v19, s[0:3], 0 offen offset:12
	buffer_load_dword v120, v19, s[0:3], 0 offen
	buffer_load_dword v121, v19, s[0:3], 0 offen offset:4
	ds_read_b128 v[21:24], v18
	v_add_nc_u32_e32 v20, 1, v20
	v_add_nc_u32_e32 v18, 16, v18
	;; [unrolled: 1-line block ×3, first 2 shown]
	v_cmp_lt_u32_e32 vcc_lo, 38, v20
	s_or_b32 s58, vcc_lo, s58
	s_waitcnt vmcnt(2) lgkmcnt(0)
	v_mul_f64 v[122:123], v[23:24], v[118:119]
	v_mul_f64 v[118:119], v[21:22], v[118:119]
	s_waitcnt vmcnt(0)
	v_fma_f64 v[21:22], v[21:22], v[120:121], -v[122:123]
	v_fma_f64 v[23:24], v[23:24], v[120:121], v[118:119]
	v_add_f64 v[1:2], v[1:2], v[21:22]
	v_add_f64 v[3:4], v[3:4], v[23:24]
	s_andn2_b32 exec_lo, exec_lo, s58
	s_cbranch_execnz .LBB50_716
; %bb.717:
	s_or_b32 exec_lo, exec_lo, s58
.LBB50_718:
	s_or_b32 exec_lo, exec_lo, s8
	v_mov_b32_e32 v18, 0
	ds_read_b128 v[18:21], v18 offset:640
	s_waitcnt lgkmcnt(0)
	v_mul_f64 v[22:23], v[3:4], v[20:21]
	v_mul_f64 v[20:21], v[1:2], v[20:21]
	v_fma_f64 v[1:2], v[1:2], v[18:19], -v[22:23]
	v_fma_f64 v[3:4], v[3:4], v[18:19], v[20:21]
	buffer_store_dword v2, off, s[0:3], 0 offset:644
	buffer_store_dword v1, off, s[0:3], 0 offset:640
	;; [unrolled: 1-line block ×4, first 2 shown]
.LBB50_719:
	s_or_b32 exec_lo, exec_lo, s4
	v_mov_b32_e32 v4, s16
	s_mov_b32 s4, exec_lo
	s_clause 0x3
	buffer_load_dword v1, v4, s[0:3], 0 offen
	buffer_load_dword v2, v4, s[0:3], 0 offen offset:4
	buffer_load_dword v3, v4, s[0:3], 0 offen offset:8
	buffer_load_dword v4, v4, s[0:3], 0 offen offset:12
	s_waitcnt vmcnt(0)
	ds_write_b128 v16, v[1:4]
	s_waitcnt lgkmcnt(0)
	s_waitcnt_vscnt null, 0x0
	s_barrier
	buffer_gl0_inv
	v_cmpx_gt_u32_e32 41, v0
	s_cbranch_execz .LBB50_727
; %bb.720:
	ds_read_b128 v[1:4], v16
	v_cmp_ne_u32_e32 vcc_lo, 1, v17
	s_cbranch_vccnz .LBB50_722
; %bb.721:
	s_clause 0x3
	buffer_load_dword v18, v15, s[0:3], 0 offen offset:8
	buffer_load_dword v19, v15, s[0:3], 0 offen offset:12
	buffer_load_dword v20, v15, s[0:3], 0 offen
	buffer_load_dword v21, v15, s[0:3], 0 offen offset:4
	s_waitcnt vmcnt(2) lgkmcnt(0)
	v_mul_f64 v[22:23], v[3:4], v[18:19]
	v_mul_f64 v[18:19], v[1:2], v[18:19]
	s_waitcnt vmcnt(0)
	v_fma_f64 v[1:2], v[1:2], v[20:21], -v[22:23]
	v_fma_f64 v[3:4], v[3:4], v[20:21], v[18:19]
.LBB50_722:
	s_mov_b32 s8, exec_lo
	v_cmpx_ne_u32_e32 40, v0
	s_cbranch_execz .LBB50_726
; %bb.723:
	v_add_nc_u32_e32 v18, 0x340, v117
	v_add3_u32 v19, 0, v117, 16
	v_mov_b32_e32 v20, v0
	s_mov_b32 s58, 0
	.p2align	6
.LBB50_724:                             ; =>This Inner Loop Header: Depth=1
	s_clause 0x3
	buffer_load_dword v118, v19, s[0:3], 0 offen offset:8
	buffer_load_dword v119, v19, s[0:3], 0 offen offset:12
	buffer_load_dword v120, v19, s[0:3], 0 offen
	buffer_load_dword v121, v19, s[0:3], 0 offen offset:4
	ds_read_b128 v[21:24], v18
	v_add_nc_u32_e32 v20, 1, v20
	v_add_nc_u32_e32 v18, 16, v18
	;; [unrolled: 1-line block ×3, first 2 shown]
	v_cmp_lt_u32_e32 vcc_lo, 39, v20
	s_or_b32 s58, vcc_lo, s58
	s_waitcnt vmcnt(2) lgkmcnt(0)
	v_mul_f64 v[122:123], v[23:24], v[118:119]
	v_mul_f64 v[118:119], v[21:22], v[118:119]
	s_waitcnt vmcnt(0)
	v_fma_f64 v[21:22], v[21:22], v[120:121], -v[122:123]
	v_fma_f64 v[23:24], v[23:24], v[120:121], v[118:119]
	v_add_f64 v[1:2], v[1:2], v[21:22]
	v_add_f64 v[3:4], v[3:4], v[23:24]
	s_andn2_b32 exec_lo, exec_lo, s58
	s_cbranch_execnz .LBB50_724
; %bb.725:
	s_or_b32 exec_lo, exec_lo, s58
.LBB50_726:
	s_or_b32 exec_lo, exec_lo, s8
	v_mov_b32_e32 v18, 0
	ds_read_b128 v[18:21], v18 offset:656
	s_waitcnt lgkmcnt(0)
	v_mul_f64 v[22:23], v[3:4], v[20:21]
	v_mul_f64 v[20:21], v[1:2], v[20:21]
	v_fma_f64 v[1:2], v[1:2], v[18:19], -v[22:23]
	v_fma_f64 v[3:4], v[3:4], v[18:19], v[20:21]
	buffer_store_dword v2, off, s[0:3], 0 offset:660
	buffer_store_dword v1, off, s[0:3], 0 offset:656
	;; [unrolled: 1-line block ×4, first 2 shown]
.LBB50_727:
	s_or_b32 exec_lo, exec_lo, s4
	v_mov_b32_e32 v4, s15
	s_mov_b32 s4, exec_lo
	s_clause 0x3
	buffer_load_dword v1, v4, s[0:3], 0 offen
	buffer_load_dword v2, v4, s[0:3], 0 offen offset:4
	buffer_load_dword v3, v4, s[0:3], 0 offen offset:8
	;; [unrolled: 1-line block ×3, first 2 shown]
	s_waitcnt vmcnt(0)
	ds_write_b128 v16, v[1:4]
	s_waitcnt lgkmcnt(0)
	s_waitcnt_vscnt null, 0x0
	s_barrier
	buffer_gl0_inv
	v_cmpx_gt_u32_e32 42, v0
	s_cbranch_execz .LBB50_735
; %bb.728:
	ds_read_b128 v[1:4], v16
	v_cmp_ne_u32_e32 vcc_lo, 1, v17
	s_cbranch_vccnz .LBB50_730
; %bb.729:
	s_clause 0x3
	buffer_load_dword v18, v15, s[0:3], 0 offen offset:8
	buffer_load_dword v19, v15, s[0:3], 0 offen offset:12
	buffer_load_dword v20, v15, s[0:3], 0 offen
	buffer_load_dword v21, v15, s[0:3], 0 offen offset:4
	s_waitcnt vmcnt(2) lgkmcnt(0)
	v_mul_f64 v[22:23], v[3:4], v[18:19]
	v_mul_f64 v[18:19], v[1:2], v[18:19]
	s_waitcnt vmcnt(0)
	v_fma_f64 v[1:2], v[1:2], v[20:21], -v[22:23]
	v_fma_f64 v[3:4], v[3:4], v[20:21], v[18:19]
.LBB50_730:
	s_mov_b32 s8, exec_lo
	v_cmpx_ne_u32_e32 41, v0
	s_cbranch_execz .LBB50_734
; %bb.731:
	v_add_nc_u32_e32 v18, 0x340, v117
	v_add3_u32 v19, 0, v117, 16
	v_mov_b32_e32 v20, v0
	s_mov_b32 s58, 0
	.p2align	6
.LBB50_732:                             ; =>This Inner Loop Header: Depth=1
	s_clause 0x3
	buffer_load_dword v118, v19, s[0:3], 0 offen offset:8
	buffer_load_dword v119, v19, s[0:3], 0 offen offset:12
	buffer_load_dword v120, v19, s[0:3], 0 offen
	buffer_load_dword v121, v19, s[0:3], 0 offen offset:4
	ds_read_b128 v[21:24], v18
	v_add_nc_u32_e32 v20, 1, v20
	v_add_nc_u32_e32 v18, 16, v18
	;; [unrolled: 1-line block ×3, first 2 shown]
	v_cmp_lt_u32_e32 vcc_lo, 40, v20
	s_or_b32 s58, vcc_lo, s58
	s_waitcnt vmcnt(2) lgkmcnt(0)
	v_mul_f64 v[122:123], v[23:24], v[118:119]
	v_mul_f64 v[118:119], v[21:22], v[118:119]
	s_waitcnt vmcnt(0)
	v_fma_f64 v[21:22], v[21:22], v[120:121], -v[122:123]
	v_fma_f64 v[23:24], v[23:24], v[120:121], v[118:119]
	v_add_f64 v[1:2], v[1:2], v[21:22]
	v_add_f64 v[3:4], v[3:4], v[23:24]
	s_andn2_b32 exec_lo, exec_lo, s58
	s_cbranch_execnz .LBB50_732
; %bb.733:
	s_or_b32 exec_lo, exec_lo, s58
.LBB50_734:
	s_or_b32 exec_lo, exec_lo, s8
	v_mov_b32_e32 v18, 0
	ds_read_b128 v[18:21], v18 offset:672
	s_waitcnt lgkmcnt(0)
	v_mul_f64 v[22:23], v[3:4], v[20:21]
	v_mul_f64 v[20:21], v[1:2], v[20:21]
	v_fma_f64 v[1:2], v[1:2], v[18:19], -v[22:23]
	v_fma_f64 v[3:4], v[3:4], v[18:19], v[20:21]
	buffer_store_dword v2, off, s[0:3], 0 offset:676
	buffer_store_dword v1, off, s[0:3], 0 offset:672
	;; [unrolled: 1-line block ×4, first 2 shown]
.LBB50_735:
	s_or_b32 exec_lo, exec_lo, s4
	v_mov_b32_e32 v4, s14
	s_mov_b32 s4, exec_lo
	s_clause 0x3
	buffer_load_dword v1, v4, s[0:3], 0 offen
	buffer_load_dword v2, v4, s[0:3], 0 offen offset:4
	buffer_load_dword v3, v4, s[0:3], 0 offen offset:8
	buffer_load_dword v4, v4, s[0:3], 0 offen offset:12
	s_waitcnt vmcnt(0)
	ds_write_b128 v16, v[1:4]
	s_waitcnt lgkmcnt(0)
	s_waitcnt_vscnt null, 0x0
	s_barrier
	buffer_gl0_inv
	v_cmpx_gt_u32_e32 43, v0
	s_cbranch_execz .LBB50_743
; %bb.736:
	ds_read_b128 v[1:4], v16
	v_cmp_ne_u32_e32 vcc_lo, 1, v17
	s_cbranch_vccnz .LBB50_738
; %bb.737:
	s_clause 0x3
	buffer_load_dword v18, v15, s[0:3], 0 offen offset:8
	buffer_load_dword v19, v15, s[0:3], 0 offen offset:12
	buffer_load_dword v20, v15, s[0:3], 0 offen
	buffer_load_dword v21, v15, s[0:3], 0 offen offset:4
	s_waitcnt vmcnt(2) lgkmcnt(0)
	v_mul_f64 v[22:23], v[3:4], v[18:19]
	v_mul_f64 v[18:19], v[1:2], v[18:19]
	s_waitcnt vmcnt(0)
	v_fma_f64 v[1:2], v[1:2], v[20:21], -v[22:23]
	v_fma_f64 v[3:4], v[3:4], v[20:21], v[18:19]
.LBB50_738:
	s_mov_b32 s8, exec_lo
	v_cmpx_ne_u32_e32 42, v0
	s_cbranch_execz .LBB50_742
; %bb.739:
	v_add_nc_u32_e32 v18, 0x340, v117
	v_add3_u32 v19, 0, v117, 16
	v_mov_b32_e32 v20, v0
	s_mov_b32 s58, 0
	.p2align	6
.LBB50_740:                             ; =>This Inner Loop Header: Depth=1
	s_clause 0x3
	buffer_load_dword v118, v19, s[0:3], 0 offen offset:8
	buffer_load_dword v119, v19, s[0:3], 0 offen offset:12
	buffer_load_dword v120, v19, s[0:3], 0 offen
	buffer_load_dword v121, v19, s[0:3], 0 offen offset:4
	ds_read_b128 v[21:24], v18
	v_add_nc_u32_e32 v20, 1, v20
	v_add_nc_u32_e32 v18, 16, v18
	;; [unrolled: 1-line block ×3, first 2 shown]
	v_cmp_lt_u32_e32 vcc_lo, 41, v20
	s_or_b32 s58, vcc_lo, s58
	s_waitcnt vmcnt(2) lgkmcnt(0)
	v_mul_f64 v[122:123], v[23:24], v[118:119]
	v_mul_f64 v[118:119], v[21:22], v[118:119]
	s_waitcnt vmcnt(0)
	v_fma_f64 v[21:22], v[21:22], v[120:121], -v[122:123]
	v_fma_f64 v[23:24], v[23:24], v[120:121], v[118:119]
	v_add_f64 v[1:2], v[1:2], v[21:22]
	v_add_f64 v[3:4], v[3:4], v[23:24]
	s_andn2_b32 exec_lo, exec_lo, s58
	s_cbranch_execnz .LBB50_740
; %bb.741:
	s_or_b32 exec_lo, exec_lo, s58
.LBB50_742:
	s_or_b32 exec_lo, exec_lo, s8
	v_mov_b32_e32 v18, 0
	ds_read_b128 v[18:21], v18 offset:688
	s_waitcnt lgkmcnt(0)
	v_mul_f64 v[22:23], v[3:4], v[20:21]
	v_mul_f64 v[20:21], v[1:2], v[20:21]
	v_fma_f64 v[1:2], v[1:2], v[18:19], -v[22:23]
	v_fma_f64 v[3:4], v[3:4], v[18:19], v[20:21]
	buffer_store_dword v2, off, s[0:3], 0 offset:692
	buffer_store_dword v1, off, s[0:3], 0 offset:688
	;; [unrolled: 1-line block ×4, first 2 shown]
.LBB50_743:
	s_or_b32 exec_lo, exec_lo, s4
	v_mov_b32_e32 v4, s13
	s_mov_b32 s4, exec_lo
	s_clause 0x3
	buffer_load_dword v1, v4, s[0:3], 0 offen
	buffer_load_dword v2, v4, s[0:3], 0 offen offset:4
	buffer_load_dword v3, v4, s[0:3], 0 offen offset:8
	;; [unrolled: 1-line block ×3, first 2 shown]
	s_waitcnt vmcnt(0)
	ds_write_b128 v16, v[1:4]
	s_waitcnt lgkmcnt(0)
	s_waitcnt_vscnt null, 0x0
	s_barrier
	buffer_gl0_inv
	v_cmpx_gt_u32_e32 44, v0
	s_cbranch_execz .LBB50_751
; %bb.744:
	ds_read_b128 v[1:4], v16
	v_cmp_ne_u32_e32 vcc_lo, 1, v17
	s_cbranch_vccnz .LBB50_746
; %bb.745:
	s_clause 0x3
	buffer_load_dword v18, v15, s[0:3], 0 offen offset:8
	buffer_load_dword v19, v15, s[0:3], 0 offen offset:12
	buffer_load_dword v20, v15, s[0:3], 0 offen
	buffer_load_dword v21, v15, s[0:3], 0 offen offset:4
	s_waitcnt vmcnt(2) lgkmcnt(0)
	v_mul_f64 v[22:23], v[3:4], v[18:19]
	v_mul_f64 v[18:19], v[1:2], v[18:19]
	s_waitcnt vmcnt(0)
	v_fma_f64 v[1:2], v[1:2], v[20:21], -v[22:23]
	v_fma_f64 v[3:4], v[3:4], v[20:21], v[18:19]
.LBB50_746:
	s_mov_b32 s8, exec_lo
	v_cmpx_ne_u32_e32 43, v0
	s_cbranch_execz .LBB50_750
; %bb.747:
	v_add_nc_u32_e32 v18, 0x340, v117
	v_add3_u32 v19, 0, v117, 16
	v_mov_b32_e32 v20, v0
	s_mov_b32 s58, 0
	.p2align	6
.LBB50_748:                             ; =>This Inner Loop Header: Depth=1
	s_clause 0x3
	buffer_load_dword v118, v19, s[0:3], 0 offen offset:8
	buffer_load_dword v119, v19, s[0:3], 0 offen offset:12
	buffer_load_dword v120, v19, s[0:3], 0 offen
	buffer_load_dword v121, v19, s[0:3], 0 offen offset:4
	ds_read_b128 v[21:24], v18
	v_add_nc_u32_e32 v20, 1, v20
	v_add_nc_u32_e32 v18, 16, v18
	;; [unrolled: 1-line block ×3, first 2 shown]
	v_cmp_lt_u32_e32 vcc_lo, 42, v20
	s_or_b32 s58, vcc_lo, s58
	s_waitcnt vmcnt(2) lgkmcnt(0)
	v_mul_f64 v[122:123], v[23:24], v[118:119]
	v_mul_f64 v[118:119], v[21:22], v[118:119]
	s_waitcnt vmcnt(0)
	v_fma_f64 v[21:22], v[21:22], v[120:121], -v[122:123]
	v_fma_f64 v[23:24], v[23:24], v[120:121], v[118:119]
	v_add_f64 v[1:2], v[1:2], v[21:22]
	v_add_f64 v[3:4], v[3:4], v[23:24]
	s_andn2_b32 exec_lo, exec_lo, s58
	s_cbranch_execnz .LBB50_748
; %bb.749:
	s_or_b32 exec_lo, exec_lo, s58
.LBB50_750:
	s_or_b32 exec_lo, exec_lo, s8
	v_mov_b32_e32 v18, 0
	ds_read_b128 v[18:21], v18 offset:704
	s_waitcnt lgkmcnt(0)
	v_mul_f64 v[22:23], v[3:4], v[20:21]
	v_mul_f64 v[20:21], v[1:2], v[20:21]
	v_fma_f64 v[1:2], v[1:2], v[18:19], -v[22:23]
	v_fma_f64 v[3:4], v[3:4], v[18:19], v[20:21]
	buffer_store_dword v2, off, s[0:3], 0 offset:708
	buffer_store_dword v1, off, s[0:3], 0 offset:704
	;; [unrolled: 1-line block ×4, first 2 shown]
.LBB50_751:
	s_or_b32 exec_lo, exec_lo, s4
	v_mov_b32_e32 v4, s12
	s_mov_b32 s4, exec_lo
	s_clause 0x3
	buffer_load_dword v1, v4, s[0:3], 0 offen
	buffer_load_dword v2, v4, s[0:3], 0 offen offset:4
	buffer_load_dword v3, v4, s[0:3], 0 offen offset:8
	;; [unrolled: 1-line block ×3, first 2 shown]
	s_waitcnt vmcnt(0)
	ds_write_b128 v16, v[1:4]
	s_waitcnt lgkmcnt(0)
	s_waitcnt_vscnt null, 0x0
	s_barrier
	buffer_gl0_inv
	v_cmpx_gt_u32_e32 45, v0
	s_cbranch_execz .LBB50_759
; %bb.752:
	ds_read_b128 v[1:4], v16
	v_cmp_ne_u32_e32 vcc_lo, 1, v17
	s_cbranch_vccnz .LBB50_754
; %bb.753:
	s_clause 0x3
	buffer_load_dword v18, v15, s[0:3], 0 offen offset:8
	buffer_load_dword v19, v15, s[0:3], 0 offen offset:12
	buffer_load_dword v20, v15, s[0:3], 0 offen
	buffer_load_dword v21, v15, s[0:3], 0 offen offset:4
	s_waitcnt vmcnt(2) lgkmcnt(0)
	v_mul_f64 v[22:23], v[3:4], v[18:19]
	v_mul_f64 v[18:19], v[1:2], v[18:19]
	s_waitcnt vmcnt(0)
	v_fma_f64 v[1:2], v[1:2], v[20:21], -v[22:23]
	v_fma_f64 v[3:4], v[3:4], v[20:21], v[18:19]
.LBB50_754:
	s_mov_b32 s8, exec_lo
	v_cmpx_ne_u32_e32 44, v0
	s_cbranch_execz .LBB50_758
; %bb.755:
	v_add_nc_u32_e32 v18, 0x340, v117
	v_add3_u32 v19, 0, v117, 16
	v_mov_b32_e32 v20, v0
	s_mov_b32 s58, 0
	.p2align	6
.LBB50_756:                             ; =>This Inner Loop Header: Depth=1
	s_clause 0x3
	buffer_load_dword v118, v19, s[0:3], 0 offen offset:8
	buffer_load_dword v119, v19, s[0:3], 0 offen offset:12
	buffer_load_dword v120, v19, s[0:3], 0 offen
	buffer_load_dword v121, v19, s[0:3], 0 offen offset:4
	ds_read_b128 v[21:24], v18
	v_add_nc_u32_e32 v20, 1, v20
	v_add_nc_u32_e32 v18, 16, v18
	;; [unrolled: 1-line block ×3, first 2 shown]
	v_cmp_lt_u32_e32 vcc_lo, 43, v20
	s_or_b32 s58, vcc_lo, s58
	s_waitcnt vmcnt(2) lgkmcnt(0)
	v_mul_f64 v[122:123], v[23:24], v[118:119]
	v_mul_f64 v[118:119], v[21:22], v[118:119]
	s_waitcnt vmcnt(0)
	v_fma_f64 v[21:22], v[21:22], v[120:121], -v[122:123]
	v_fma_f64 v[23:24], v[23:24], v[120:121], v[118:119]
	v_add_f64 v[1:2], v[1:2], v[21:22]
	v_add_f64 v[3:4], v[3:4], v[23:24]
	s_andn2_b32 exec_lo, exec_lo, s58
	s_cbranch_execnz .LBB50_756
; %bb.757:
	s_or_b32 exec_lo, exec_lo, s58
.LBB50_758:
	s_or_b32 exec_lo, exec_lo, s8
	v_mov_b32_e32 v18, 0
	ds_read_b128 v[18:21], v18 offset:720
	s_waitcnt lgkmcnt(0)
	v_mul_f64 v[22:23], v[3:4], v[20:21]
	v_mul_f64 v[20:21], v[1:2], v[20:21]
	v_fma_f64 v[1:2], v[1:2], v[18:19], -v[22:23]
	v_fma_f64 v[3:4], v[3:4], v[18:19], v[20:21]
	buffer_store_dword v2, off, s[0:3], 0 offset:724
	buffer_store_dword v1, off, s[0:3], 0 offset:720
	;; [unrolled: 1-line block ×4, first 2 shown]
.LBB50_759:
	s_or_b32 exec_lo, exec_lo, s4
	v_mov_b32_e32 v4, s11
	s_mov_b32 s4, exec_lo
	s_clause 0x3
	buffer_load_dword v1, v4, s[0:3], 0 offen
	buffer_load_dword v2, v4, s[0:3], 0 offen offset:4
	buffer_load_dword v3, v4, s[0:3], 0 offen offset:8
	;; [unrolled: 1-line block ×3, first 2 shown]
	s_waitcnt vmcnt(0)
	ds_write_b128 v16, v[1:4]
	s_waitcnt lgkmcnt(0)
	s_waitcnt_vscnt null, 0x0
	s_barrier
	buffer_gl0_inv
	v_cmpx_gt_u32_e32 46, v0
	s_cbranch_execz .LBB50_767
; %bb.760:
	ds_read_b128 v[1:4], v16
	v_cmp_ne_u32_e32 vcc_lo, 1, v17
	s_cbranch_vccnz .LBB50_762
; %bb.761:
	s_clause 0x3
	buffer_load_dword v18, v15, s[0:3], 0 offen offset:8
	buffer_load_dword v19, v15, s[0:3], 0 offen offset:12
	buffer_load_dword v20, v15, s[0:3], 0 offen
	buffer_load_dword v21, v15, s[0:3], 0 offen offset:4
	s_waitcnt vmcnt(2) lgkmcnt(0)
	v_mul_f64 v[22:23], v[3:4], v[18:19]
	v_mul_f64 v[18:19], v[1:2], v[18:19]
	s_waitcnt vmcnt(0)
	v_fma_f64 v[1:2], v[1:2], v[20:21], -v[22:23]
	v_fma_f64 v[3:4], v[3:4], v[20:21], v[18:19]
.LBB50_762:
	s_mov_b32 s8, exec_lo
	v_cmpx_ne_u32_e32 45, v0
	s_cbranch_execz .LBB50_766
; %bb.763:
	v_add_nc_u32_e32 v18, 0x340, v117
	v_add3_u32 v19, 0, v117, 16
	v_mov_b32_e32 v20, v0
	s_mov_b32 s58, 0
	.p2align	6
.LBB50_764:                             ; =>This Inner Loop Header: Depth=1
	s_clause 0x3
	buffer_load_dword v118, v19, s[0:3], 0 offen offset:8
	buffer_load_dword v119, v19, s[0:3], 0 offen offset:12
	buffer_load_dword v120, v19, s[0:3], 0 offen
	buffer_load_dword v121, v19, s[0:3], 0 offen offset:4
	ds_read_b128 v[21:24], v18
	v_add_nc_u32_e32 v20, 1, v20
	v_add_nc_u32_e32 v18, 16, v18
	;; [unrolled: 1-line block ×3, first 2 shown]
	v_cmp_lt_u32_e32 vcc_lo, 44, v20
	s_or_b32 s58, vcc_lo, s58
	s_waitcnt vmcnt(2) lgkmcnt(0)
	v_mul_f64 v[122:123], v[23:24], v[118:119]
	v_mul_f64 v[118:119], v[21:22], v[118:119]
	s_waitcnt vmcnt(0)
	v_fma_f64 v[21:22], v[21:22], v[120:121], -v[122:123]
	v_fma_f64 v[23:24], v[23:24], v[120:121], v[118:119]
	v_add_f64 v[1:2], v[1:2], v[21:22]
	v_add_f64 v[3:4], v[3:4], v[23:24]
	s_andn2_b32 exec_lo, exec_lo, s58
	s_cbranch_execnz .LBB50_764
; %bb.765:
	s_or_b32 exec_lo, exec_lo, s58
.LBB50_766:
	s_or_b32 exec_lo, exec_lo, s8
	v_mov_b32_e32 v18, 0
	ds_read_b128 v[18:21], v18 offset:736
	s_waitcnt lgkmcnt(0)
	v_mul_f64 v[22:23], v[3:4], v[20:21]
	v_mul_f64 v[20:21], v[1:2], v[20:21]
	v_fma_f64 v[1:2], v[1:2], v[18:19], -v[22:23]
	v_fma_f64 v[3:4], v[3:4], v[18:19], v[20:21]
	buffer_store_dword v2, off, s[0:3], 0 offset:740
	buffer_store_dword v1, off, s[0:3], 0 offset:736
	buffer_store_dword v4, off, s[0:3], 0 offset:748
	buffer_store_dword v3, off, s[0:3], 0 offset:744
.LBB50_767:
	s_or_b32 exec_lo, exec_lo, s4
	v_mov_b32_e32 v4, s10
	s_mov_b32 s4, exec_lo
	s_clause 0x3
	buffer_load_dword v1, v4, s[0:3], 0 offen
	buffer_load_dword v2, v4, s[0:3], 0 offen offset:4
	buffer_load_dword v3, v4, s[0:3], 0 offen offset:8
	;; [unrolled: 1-line block ×3, first 2 shown]
	s_waitcnt vmcnt(0)
	ds_write_b128 v16, v[1:4]
	s_waitcnt lgkmcnt(0)
	s_waitcnt_vscnt null, 0x0
	s_barrier
	buffer_gl0_inv
	v_cmpx_gt_u32_e32 47, v0
	s_cbranch_execz .LBB50_775
; %bb.768:
	ds_read_b128 v[1:4], v16
	v_cmp_ne_u32_e32 vcc_lo, 1, v17
	s_cbranch_vccnz .LBB50_770
; %bb.769:
	s_clause 0x3
	buffer_load_dword v18, v15, s[0:3], 0 offen offset:8
	buffer_load_dword v19, v15, s[0:3], 0 offen offset:12
	buffer_load_dword v20, v15, s[0:3], 0 offen
	buffer_load_dword v21, v15, s[0:3], 0 offen offset:4
	s_waitcnt vmcnt(2) lgkmcnt(0)
	v_mul_f64 v[22:23], v[3:4], v[18:19]
	v_mul_f64 v[18:19], v[1:2], v[18:19]
	s_waitcnt vmcnt(0)
	v_fma_f64 v[1:2], v[1:2], v[20:21], -v[22:23]
	v_fma_f64 v[3:4], v[3:4], v[20:21], v[18:19]
.LBB50_770:
	s_mov_b32 s8, exec_lo
	v_cmpx_ne_u32_e32 46, v0
	s_cbranch_execz .LBB50_774
; %bb.771:
	v_add_nc_u32_e32 v18, 0x340, v117
	v_add3_u32 v19, 0, v117, 16
	v_mov_b32_e32 v20, v0
	s_mov_b32 s58, 0
	.p2align	6
.LBB50_772:                             ; =>This Inner Loop Header: Depth=1
	s_clause 0x3
	buffer_load_dword v118, v19, s[0:3], 0 offen offset:8
	buffer_load_dword v119, v19, s[0:3], 0 offen offset:12
	buffer_load_dword v120, v19, s[0:3], 0 offen
	buffer_load_dword v121, v19, s[0:3], 0 offen offset:4
	ds_read_b128 v[21:24], v18
	v_add_nc_u32_e32 v20, 1, v20
	v_add_nc_u32_e32 v18, 16, v18
	;; [unrolled: 1-line block ×3, first 2 shown]
	v_cmp_lt_u32_e32 vcc_lo, 45, v20
	s_or_b32 s58, vcc_lo, s58
	s_waitcnt vmcnt(2) lgkmcnt(0)
	v_mul_f64 v[122:123], v[23:24], v[118:119]
	v_mul_f64 v[118:119], v[21:22], v[118:119]
	s_waitcnt vmcnt(0)
	v_fma_f64 v[21:22], v[21:22], v[120:121], -v[122:123]
	v_fma_f64 v[23:24], v[23:24], v[120:121], v[118:119]
	v_add_f64 v[1:2], v[1:2], v[21:22]
	v_add_f64 v[3:4], v[3:4], v[23:24]
	s_andn2_b32 exec_lo, exec_lo, s58
	s_cbranch_execnz .LBB50_772
; %bb.773:
	s_or_b32 exec_lo, exec_lo, s58
.LBB50_774:
	s_or_b32 exec_lo, exec_lo, s8
	v_mov_b32_e32 v18, 0
	ds_read_b128 v[18:21], v18 offset:752
	s_waitcnt lgkmcnt(0)
	v_mul_f64 v[22:23], v[3:4], v[20:21]
	v_mul_f64 v[20:21], v[1:2], v[20:21]
	v_fma_f64 v[1:2], v[1:2], v[18:19], -v[22:23]
	v_fma_f64 v[3:4], v[3:4], v[18:19], v[20:21]
	buffer_store_dword v2, off, s[0:3], 0 offset:756
	buffer_store_dword v1, off, s[0:3], 0 offset:752
	;; [unrolled: 1-line block ×4, first 2 shown]
.LBB50_775:
	s_or_b32 exec_lo, exec_lo, s4
	v_mov_b32_e32 v4, s9
	s_mov_b32 s4, exec_lo
	s_clause 0x3
	buffer_load_dword v1, v4, s[0:3], 0 offen
	buffer_load_dword v2, v4, s[0:3], 0 offen offset:4
	buffer_load_dword v3, v4, s[0:3], 0 offen offset:8
	;; [unrolled: 1-line block ×3, first 2 shown]
	s_waitcnt vmcnt(0)
	ds_write_b128 v16, v[1:4]
	s_waitcnt lgkmcnt(0)
	s_waitcnt_vscnt null, 0x0
	s_barrier
	buffer_gl0_inv
	v_cmpx_gt_u32_e32 48, v0
	s_cbranch_execz .LBB50_783
; %bb.776:
	ds_read_b128 v[1:4], v16
	v_cmp_ne_u32_e32 vcc_lo, 1, v17
	s_cbranch_vccnz .LBB50_778
; %bb.777:
	s_clause 0x3
	buffer_load_dword v18, v15, s[0:3], 0 offen offset:8
	buffer_load_dword v19, v15, s[0:3], 0 offen offset:12
	buffer_load_dword v20, v15, s[0:3], 0 offen
	buffer_load_dword v21, v15, s[0:3], 0 offen offset:4
	s_waitcnt vmcnt(2) lgkmcnt(0)
	v_mul_f64 v[22:23], v[3:4], v[18:19]
	v_mul_f64 v[18:19], v[1:2], v[18:19]
	s_waitcnt vmcnt(0)
	v_fma_f64 v[1:2], v[1:2], v[20:21], -v[22:23]
	v_fma_f64 v[3:4], v[3:4], v[20:21], v[18:19]
.LBB50_778:
	s_mov_b32 s8, exec_lo
	v_cmpx_ne_u32_e32 47, v0
	s_cbranch_execz .LBB50_782
; %bb.779:
	v_add_nc_u32_e32 v18, 0x340, v117
	v_add3_u32 v19, 0, v117, 16
	v_mov_b32_e32 v20, v0
	s_mov_b32 s58, 0
	.p2align	6
.LBB50_780:                             ; =>This Inner Loop Header: Depth=1
	s_clause 0x3
	buffer_load_dword v118, v19, s[0:3], 0 offen offset:8
	buffer_load_dword v119, v19, s[0:3], 0 offen offset:12
	buffer_load_dword v120, v19, s[0:3], 0 offen
	buffer_load_dword v121, v19, s[0:3], 0 offen offset:4
	ds_read_b128 v[21:24], v18
	v_add_nc_u32_e32 v20, 1, v20
	v_add_nc_u32_e32 v18, 16, v18
	;; [unrolled: 1-line block ×3, first 2 shown]
	v_cmp_lt_u32_e32 vcc_lo, 46, v20
	s_or_b32 s58, vcc_lo, s58
	s_waitcnt vmcnt(2) lgkmcnt(0)
	v_mul_f64 v[122:123], v[23:24], v[118:119]
	v_mul_f64 v[118:119], v[21:22], v[118:119]
	s_waitcnt vmcnt(0)
	v_fma_f64 v[21:22], v[21:22], v[120:121], -v[122:123]
	v_fma_f64 v[23:24], v[23:24], v[120:121], v[118:119]
	v_add_f64 v[1:2], v[1:2], v[21:22]
	v_add_f64 v[3:4], v[3:4], v[23:24]
	s_andn2_b32 exec_lo, exec_lo, s58
	s_cbranch_execnz .LBB50_780
; %bb.781:
	s_or_b32 exec_lo, exec_lo, s58
.LBB50_782:
	s_or_b32 exec_lo, exec_lo, s8
	v_mov_b32_e32 v18, 0
	ds_read_b128 v[18:21], v18 offset:768
	s_waitcnt lgkmcnt(0)
	v_mul_f64 v[22:23], v[3:4], v[20:21]
	v_mul_f64 v[20:21], v[1:2], v[20:21]
	v_fma_f64 v[1:2], v[1:2], v[18:19], -v[22:23]
	v_fma_f64 v[3:4], v[3:4], v[18:19], v[20:21]
	buffer_store_dword v2, off, s[0:3], 0 offset:772
	buffer_store_dword v1, off, s[0:3], 0 offset:768
	;; [unrolled: 1-line block ×4, first 2 shown]
.LBB50_783:
	s_or_b32 exec_lo, exec_lo, s4
	v_mov_b32_e32 v4, s7
	v_cmp_gt_u32_e64 s4, 49, v0
	s_clause 0x3
	buffer_load_dword v1, v4, s[0:3], 0 offen
	buffer_load_dword v2, v4, s[0:3], 0 offen offset:4
	buffer_load_dword v3, v4, s[0:3], 0 offen offset:8
	;; [unrolled: 1-line block ×3, first 2 shown]
	s_waitcnt vmcnt(0)
	ds_write_b128 v16, v[1:4]
	s_waitcnt lgkmcnt(0)
	s_waitcnt_vscnt null, 0x0
	s_barrier
	buffer_gl0_inv
	s_and_saveexec_b32 s8, s4
	s_cbranch_execz .LBB50_791
; %bb.784:
	ds_read_b128 v[1:4], v16
	v_cmp_ne_u32_e32 vcc_lo, 1, v17
	s_cbranch_vccnz .LBB50_786
; %bb.785:
	s_clause 0x3
	buffer_load_dword v18, v15, s[0:3], 0 offen offset:8
	buffer_load_dword v19, v15, s[0:3], 0 offen offset:12
	buffer_load_dword v20, v15, s[0:3], 0 offen
	buffer_load_dword v21, v15, s[0:3], 0 offen offset:4
	s_waitcnt vmcnt(2) lgkmcnt(0)
	v_mul_f64 v[22:23], v[3:4], v[18:19]
	v_mul_f64 v[18:19], v[1:2], v[18:19]
	s_waitcnt vmcnt(0)
	v_fma_f64 v[1:2], v[1:2], v[20:21], -v[22:23]
	v_fma_f64 v[3:4], v[3:4], v[20:21], v[18:19]
.LBB50_786:
	s_mov_b32 s58, exec_lo
	v_cmpx_ne_u32_e32 48, v0
	s_cbranch_execz .LBB50_790
; %bb.787:
	v_add_nc_u32_e32 v18, 0x340, v117
	v_add3_u32 v19, 0, v117, 16
	v_mov_b32_e32 v20, v0
	s_mov_b32 s59, 0
	.p2align	6
.LBB50_788:                             ; =>This Inner Loop Header: Depth=1
	s_clause 0x3
	buffer_load_dword v118, v19, s[0:3], 0 offen offset:8
	buffer_load_dword v119, v19, s[0:3], 0 offen offset:12
	buffer_load_dword v120, v19, s[0:3], 0 offen
	buffer_load_dword v121, v19, s[0:3], 0 offen offset:4
	ds_read_b128 v[21:24], v18
	v_add_nc_u32_e32 v20, 1, v20
	v_add_nc_u32_e32 v18, 16, v18
	;; [unrolled: 1-line block ×3, first 2 shown]
	v_cmp_lt_u32_e32 vcc_lo, 47, v20
	s_or_b32 s59, vcc_lo, s59
	s_waitcnt vmcnt(2) lgkmcnt(0)
	v_mul_f64 v[122:123], v[23:24], v[118:119]
	v_mul_f64 v[118:119], v[21:22], v[118:119]
	s_waitcnt vmcnt(0)
	v_fma_f64 v[21:22], v[21:22], v[120:121], -v[122:123]
	v_fma_f64 v[23:24], v[23:24], v[120:121], v[118:119]
	v_add_f64 v[1:2], v[1:2], v[21:22]
	v_add_f64 v[3:4], v[3:4], v[23:24]
	s_andn2_b32 exec_lo, exec_lo, s59
	s_cbranch_execnz .LBB50_788
; %bb.789:
	s_or_b32 exec_lo, exec_lo, s59
.LBB50_790:
	s_or_b32 exec_lo, exec_lo, s58
	v_mov_b32_e32 v18, 0
	ds_read_b128 v[18:21], v18 offset:784
	s_waitcnt lgkmcnt(0)
	v_mul_f64 v[22:23], v[3:4], v[20:21]
	v_mul_f64 v[20:21], v[1:2], v[20:21]
	v_fma_f64 v[1:2], v[1:2], v[18:19], -v[22:23]
	v_fma_f64 v[3:4], v[3:4], v[18:19], v[20:21]
	buffer_store_dword v2, off, s[0:3], 0 offset:788
	buffer_store_dword v1, off, s[0:3], 0 offset:784
	;; [unrolled: 1-line block ×4, first 2 shown]
.LBB50_791:
	s_or_b32 exec_lo, exec_lo, s8
	v_mov_b32_e32 v4, s6
	s_mov_b32 s8, exec_lo
                                        ; implicit-def: $sgpr60
	s_clause 0x3
	buffer_load_dword v1, v4, s[0:3], 0 offen
	buffer_load_dword v2, v4, s[0:3], 0 offen offset:4
	buffer_load_dword v3, v4, s[0:3], 0 offen offset:8
	;; [unrolled: 1-line block ×3, first 2 shown]
	s_waitcnt vmcnt(0)
	ds_write_b128 v16, v[1:4]
	s_waitcnt lgkmcnt(0)
	s_waitcnt_vscnt null, 0x0
	s_barrier
	buffer_gl0_inv
                                        ; implicit-def: $vgpr1_vgpr2
	v_cmpx_ne_u32_e32 50, v0
	s_cbranch_execz .LBB50_799
; %bb.792:
	ds_read_b128 v[1:4], v16
	v_cmp_ne_u32_e32 vcc_lo, 1, v17
	s_cbranch_vccnz .LBB50_794
; %bb.793:
	s_clause 0x3
	buffer_load_dword v16, v15, s[0:3], 0 offen offset:8
	buffer_load_dword v17, v15, s[0:3], 0 offen offset:12
	buffer_load_dword v18, v15, s[0:3], 0 offen
	buffer_load_dword v19, v15, s[0:3], 0 offen offset:4
	s_waitcnt vmcnt(2) lgkmcnt(0)
	v_mul_f64 v[20:21], v[3:4], v[16:17]
	v_mul_f64 v[15:16], v[1:2], v[16:17]
	s_waitcnt vmcnt(0)
	v_fma_f64 v[1:2], v[1:2], v[18:19], -v[20:21]
	v_fma_f64 v[3:4], v[3:4], v[18:19], v[15:16]
.LBB50_794:
	s_and_saveexec_b32 s58, s4
	s_cbranch_execz .LBB50_798
; %bb.795:
	v_add_nc_u32_e32 v15, 0x340, v117
	v_add3_u32 v16, 0, v117, 16
	s_mov_b32 s4, 0
	.p2align	6
.LBB50_796:                             ; =>This Inner Loop Header: Depth=1
	s_clause 0x3
	buffer_load_dword v21, v16, s[0:3], 0 offen offset:8
	buffer_load_dword v22, v16, s[0:3], 0 offen offset:12
	buffer_load_dword v23, v16, s[0:3], 0 offen
	buffer_load_dword v24, v16, s[0:3], 0 offen offset:4
	ds_read_b128 v[17:20], v15
	v_add_nc_u32_e32 v0, 1, v0
	v_add_nc_u32_e32 v15, 16, v15
	v_add_nc_u32_e32 v16, 16, v16
	v_cmp_lt_u32_e32 vcc_lo, 48, v0
	s_or_b32 s4, vcc_lo, s4
	s_waitcnt vmcnt(2) lgkmcnt(0)
	v_mul_f64 v[117:118], v[19:20], v[21:22]
	v_mul_f64 v[21:22], v[17:18], v[21:22]
	s_waitcnt vmcnt(0)
	v_fma_f64 v[17:18], v[17:18], v[23:24], -v[117:118]
	v_fma_f64 v[19:20], v[19:20], v[23:24], v[21:22]
	v_add_f64 v[1:2], v[1:2], v[17:18]
	v_add_f64 v[3:4], v[3:4], v[19:20]
	s_andn2_b32 exec_lo, exec_lo, s4
	s_cbranch_execnz .LBB50_796
; %bb.797:
	s_or_b32 exec_lo, exec_lo, s4
.LBB50_798:
	s_or_b32 exec_lo, exec_lo, s58
	v_mov_b32_e32 v0, 0
	s_movk_i32 s60, 0x328
	s_or_b32 s5, s5, exec_lo
	ds_read_b128 v[15:18], v0 offset:800
	s_waitcnt lgkmcnt(0)
	v_mul_f64 v[19:20], v[3:4], v[17:18]
	v_mul_f64 v[17:18], v[1:2], v[17:18]
	v_fma_f64 v[19:20], v[1:2], v[15:16], -v[19:20]
	v_fma_f64 v[1:2], v[3:4], v[15:16], v[17:18]
	buffer_store_dword v20, off, s[0:3], 0 offset:804
	buffer_store_dword v19, off, s[0:3], 0 offset:800
.LBB50_799:
	s_or_b32 exec_lo, exec_lo, s8
.LBB50_800:
	s_and_saveexec_b32 s4, s5
	s_cbranch_execz .LBB50_802
; %bb.801:
	v_mov_b32_e32 v0, s60
	buffer_store_dword v2, v0, s[0:3], 0 offen offset:4
	buffer_store_dword v1, v0, s[0:3], 0 offen
.LBB50_802:
	s_or_b32 exec_lo, exec_lo, s4
	s_clause 0x3
	buffer_load_dword v0, off, s[0:3], 0
	buffer_load_dword v1, off, s[0:3], 0 offset:4
	buffer_load_dword v2, off, s[0:3], 0 offset:8
	;; [unrolled: 1-line block ×3, first 2 shown]
	v_mov_b32_e32 v4, s57
	v_mov_b32_e32 v133, s15
	;; [unrolled: 1-line block ×4, first 2 shown]
	s_clause 0x3
	buffer_load_dword v15, v4, s[0:3], 0 offen
	buffer_load_dword v16, v4, s[0:3], 0 offen offset:4
	buffer_load_dword v17, v4, s[0:3], 0 offen offset:8
	;; [unrolled: 1-line block ×3, first 2 shown]
	v_mov_b32_e32 v4, s56
	v_mov_b32_e32 v139, s9
	v_mov_b32_e32 v134, s14
	s_clause 0x3
	buffer_load_dword v19, v4, s[0:3], 0 offen
	buffer_load_dword v20, v4, s[0:3], 0 offen offset:4
	buffer_load_dword v21, v4, s[0:3], 0 offen offset:8
	buffer_load_dword v22, v4, s[0:3], 0 offen offset:12
	v_mov_b32_e32 v4, s55
	v_mov_b32_e32 v141, s6
	s_clause 0x3
	buffer_load_dword v117, v4, s[0:3], 0 offen
	buffer_load_dword v118, v4, s[0:3], 0 offen offset:4
	buffer_load_dword v119, v4, s[0:3], 0 offen offset:8
	;; [unrolled: 1-line block ×3, first 2 shown]
	v_mov_b32_e32 v4, s54
	s_clause 0x3
	buffer_load_dword v121, v4, s[0:3], 0 offen
	buffer_load_dword v122, v4, s[0:3], 0 offen offset:4
	buffer_load_dword v123, v4, s[0:3], 0 offen offset:8
	;; [unrolled: 1-line block ×3, first 2 shown]
	v_mov_b32_e32 v4, s53
	v_mov_b32_e32 v136, s12
	;; [unrolled: 1-line block ×4, first 2 shown]
	s_waitcnt vmcnt(16)
	global_store_dwordx4 v[29:30], v[0:3], off
	s_clause 0x3
	buffer_load_dword v0, v4, s[0:3], 0 offen
	buffer_load_dword v1, v4, s[0:3], 0 offen offset:4
	buffer_load_dword v2, v4, s[0:3], 0 offen offset:8
	;; [unrolled: 1-line block ×3, first 2 shown]
	v_mov_b32_e32 v4, s52
	v_mov_b32_e32 v29, s49
	s_clause 0x3
	buffer_load_dword v125, v4, s[0:3], 0 offen
	buffer_load_dword v126, v4, s[0:3], 0 offen offset:4
	buffer_load_dword v127, v4, s[0:3], 0 offen offset:8
	;; [unrolled: 1-line block ×3, first 2 shown]
	v_mov_b32_e32 v4, s51
	s_waitcnt vmcnt(20)
	global_store_dwordx4 v[31:32], v[15:18], off
	s_clause 0x3
	buffer_load_dword v15, v4, s[0:3], 0 offen
	buffer_load_dword v16, v4, s[0:3], 0 offen offset:4
	buffer_load_dword v17, v4, s[0:3], 0 offen offset:8
	;; [unrolled: 1-line block ×3, first 2 shown]
	v_mov_b32_e32 v4, s50
	s_waitcnt vmcnt(20)
	global_store_dwordx4 v[25:26], v[19:22], off
	s_clause 0x7
	buffer_load_dword v19, v4, s[0:3], 0 offen
	buffer_load_dword v20, v4, s[0:3], 0 offen offset:4
	buffer_load_dword v21, v4, s[0:3], 0 offen offset:8
	;; [unrolled: 1-line block ×3, first 2 shown]
	buffer_load_dword v23, v29, s[0:3], 0 offen
	buffer_load_dword v24, v29, s[0:3], 0 offen offset:4
	buffer_load_dword v25, v29, s[0:3], 0 offen offset:8
	;; [unrolled: 1-line block ×3, first 2 shown]
	v_mov_b32_e32 v4, s48
	s_waitcnt vmcnt(24)
	global_store_dwordx4 v[99:100], v[117:120], off
	s_clause 0x3
	buffer_load_dword v29, v4, s[0:3], 0 offen
	buffer_load_dword v30, v4, s[0:3], 0 offen offset:4
	buffer_load_dword v31, v4, s[0:3], 0 offen offset:8
	;; [unrolled: 1-line block ×3, first 2 shown]
	v_mov_b32_e32 v4, s47
	s_waitcnt vmcnt(24)
	global_store_dwordx4 v[95:96], v[121:124], off
	s_clause 0x3
	buffer_load_dword v117, v4, s[0:3], 0 offen
	buffer_load_dword v118, v4, s[0:3], 0 offen offset:4
	buffer_load_dword v119, v4, s[0:3], 0 offen offset:8
	;; [unrolled: 1-line block ×3, first 2 shown]
	v_mov_b32_e32 v4, s46
	s_clause 0x3
	buffer_load_dword v121, v4, s[0:3], 0 offen
	buffer_load_dword v122, v4, s[0:3], 0 offen offset:4
	buffer_load_dword v123, v4, s[0:3], 0 offen offset:8
	;; [unrolled: 1-line block ×3, first 2 shown]
	v_mov_b32_e32 v4, s44
	v_mov_b32_e32 v99, s17
	;; [unrolled: 1-line block ×3, first 2 shown]
	s_waitcnt vmcnt(28)
	global_store_dwordx4 v[93:94], v[0:3], off
	v_mov_b32_e32 v3, s45
	s_clause 0x3
	buffer_load_dword v0, v3, s[0:3], 0 offen
	buffer_load_dword v1, v3, s[0:3], 0 offen offset:4
	buffer_load_dword v2, v3, s[0:3], 0 offen offset:8
	;; [unrolled: 1-line block ×3, first 2 shown]
	s_waitcnt vmcnt(28)
	global_store_dwordx4 v[89:90], v[125:128], off
	s_clause 0x3
	buffer_load_dword v93, v4, s[0:3], 0 offen
	buffer_load_dword v94, v4, s[0:3], 0 offen offset:4
	buffer_load_dword v95, v4, s[0:3], 0 offen offset:8
	;; [unrolled: 1-line block ×3, first 2 shown]
	v_mov_b32_e32 v4, s43
	s_clause 0x3
	buffer_load_dword v125, v4, s[0:3], 0 offen
	buffer_load_dword v126, v4, s[0:3], 0 offen offset:4
	buffer_load_dword v127, v4, s[0:3], 0 offen offset:8
	;; [unrolled: 1-line block ×3, first 2 shown]
	v_mov_b32_e32 v4, s42
	s_waitcnt vmcnt(32)
	global_store_dwordx4 v[87:88], v[15:18], off
	s_clause 0x3
	buffer_load_dword v15, v4, s[0:3], 0 offen
	buffer_load_dword v16, v4, s[0:3], 0 offen offset:4
	buffer_load_dword v17, v4, s[0:3], 0 offen offset:8
	buffer_load_dword v18, v4, s[0:3], 0 offen offset:12
	v_mov_b32_e32 v4, s41
	s_waitcnt vmcnt(32)
	global_store_dwordx4 v[83:84], v[19:22], off
	v_mov_b32_e32 v87, s40
	s_clause 0x3
	buffer_load_dword v19, v4, s[0:3], 0 offen
	buffer_load_dword v20, v4, s[0:3], 0 offen offset:4
	buffer_load_dword v21, v4, s[0:3], 0 offen offset:8
	;; [unrolled: 1-line block ×3, first 2 shown]
	v_mov_b32_e32 v4, s39
	s_waitcnt vmcnt(32)
	global_store_dwordx4 v[79:80], v[23:26], off
	v_mov_b32_e32 v79, s38
	s_clause 0x7
	buffer_load_dword v23, v87, s[0:3], 0 offen
	buffer_load_dword v24, v87, s[0:3], 0 offen offset:4
	buffer_load_dword v25, v87, s[0:3], 0 offen offset:8
	;; [unrolled: 1-line block ×3, first 2 shown]
	buffer_load_dword v87, v4, s[0:3], 0 offen
	buffer_load_dword v88, v4, s[0:3], 0 offen offset:4
	buffer_load_dword v89, v4, s[0:3], 0 offen offset:8
	;; [unrolled: 1-line block ×3, first 2 shown]
	v_mov_b32_e32 v4, s37
	s_waitcnt vmcnt(36)
	global_store_dwordx4 v[75:76], v[29:32], off
	s_clause 0x7
	buffer_load_dword v29, v79, s[0:3], 0 offen
	buffer_load_dword v30, v79, s[0:3], 0 offen offset:4
	buffer_load_dword v31, v79, s[0:3], 0 offen offset:8
	;; [unrolled: 1-line block ×3, first 2 shown]
	buffer_load_dword v129, v4, s[0:3], 0 offen
	buffer_load_dword v130, v4, s[0:3], 0 offen offset:4
	buffer_load_dword v131, v4, s[0:3], 0 offen offset:8
	;; [unrolled: 1-line block ×3, first 2 shown]
	v_mov_b32_e32 v4, s36
	s_waitcnt vmcnt(40)
	global_store_dwordx4 v[73:74], v[117:120], off
	s_clause 0x3
	buffer_load_dword v73, v4, s[0:3], 0 offen
	buffer_load_dword v74, v4, s[0:3], 0 offen offset:4
	buffer_load_dword v75, v4, s[0:3], 0 offen offset:8
	;; [unrolled: 1-line block ×3, first 2 shown]
	v_mov_b32_e32 v4, s35
	v_mov_b32_e32 v79, s34
	s_waitcnt vmcnt(40)
	global_store_dwordx4 v[69:70], v[121:124], off
	s_clause 0x7
	buffer_load_dword v117, v4, s[0:3], 0 offen
	buffer_load_dword v118, v4, s[0:3], 0 offen offset:4
	buffer_load_dword v119, v4, s[0:3], 0 offen offset:8
	;; [unrolled: 1-line block ×3, first 2 shown]
	buffer_load_dword v121, v79, s[0:3], 0 offen
	buffer_load_dword v122, v79, s[0:3], 0 offen offset:4
	buffer_load_dword v123, v79, s[0:3], 0 offen offset:8
	;; [unrolled: 1-line block ×3, first 2 shown]
	v_mov_b32_e32 v4, s31
	v_mov_b32_e32 v79, s30
	;; [unrolled: 1-line block ×5, first 2 shown]
	s_waitcnt vmcnt(44)
	global_store_dwordx4 v[67:68], v[0:3], off
	v_mov_b32_e32 v3, s33
	s_clause 0x3
	buffer_load_dword v0, v3, s[0:3], 0 offen
	buffer_load_dword v1, v3, s[0:3], 0 offen offset:4
	buffer_load_dword v2, v3, s[0:3], 0 offen offset:8
	;; [unrolled: 1-line block ×3, first 2 shown]
	s_waitcnt vmcnt(44)
	global_store_dwordx4 v[61:62], v[93:96], off
	s_clause 0x7
	buffer_load_dword v67, v4, s[0:3], 0 offen
	buffer_load_dword v68, v4, s[0:3], 0 offen offset:4
	buffer_load_dword v69, v4, s[0:3], 0 offen offset:8
	;; [unrolled: 1-line block ×3, first 2 shown]
	buffer_load_dword v93, v79, s[0:3], 0 offen
	buffer_load_dword v94, v79, s[0:3], 0 offen offset:4
	buffer_load_dword v95, v79, s[0:3], 0 offen offset:8
	;; [unrolled: 1-line block ×3, first 2 shown]
	v_mov_b32_e32 v4, s29
	s_waitcnt vmcnt(48)
	global_store_dwordx4 v[59:60], v[125:128], off
	s_clause 0x3
	buffer_load_dword v59, v4, s[0:3], 0 offen
	buffer_load_dword v60, v4, s[0:3], 0 offen offset:4
	buffer_load_dword v61, v4, s[0:3], 0 offen offset:8
	;; [unrolled: 1-line block ×3, first 2 shown]
	v_mov_b32_e32 v4, s28
	s_waitcnt vmcnt(48)
	global_store_dwordx4 v[55:56], v[15:18], off
	s_clause 0x3
	buffer_load_dword v15, v4, s[0:3], 0 offen
	buffer_load_dword v16, v4, s[0:3], 0 offen offset:4
	buffer_load_dword v17, v4, s[0:3], 0 offen offset:8
	;; [unrolled: 1-line block ×3, first 2 shown]
	v_mov_b32_e32 v4, s27
	s_clause 0x3
	buffer_load_dword v125, v4, s[0:3], 0 offen
	buffer_load_dword v126, v4, s[0:3], 0 offen offset:4
	buffer_load_dword v127, v4, s[0:3], 0 offen offset:8
	;; [unrolled: 1-line block ×3, first 2 shown]
	v_mov_b32_e32 v4, s26
	s_waitcnt vmcnt(52)
	global_store_dwordx4 v[51:52], v[19:22], off
	v_mov_b32_e32 v51, s25
	v_mov_b32_e32 v55, s23
	;; [unrolled: 1-line block ×3, first 2 shown]
	s_waitcnt vmcnt(48)
	global_store_dwordx4 v[41:42], v[23:26], off
	s_waitcnt vmcnt(44)
	global_store_dwordx4 v[33:34], v[87:90], off
	;; [unrolled: 2-line block ×3, first 2 shown]
	v_mov_b32_e32 v52, s24
	s_clause 0x3
	buffer_load_dword v19, v4, s[0:3], 0 offen
	buffer_load_dword v20, v4, s[0:3], 0 offen offset:4
	buffer_load_dword v21, v4, s[0:3], 0 offen offset:8
	;; [unrolled: 1-line block ×3, first 2 shown]
	s_waitcnt vmcnt(40)
	global_store_dwordx4 v[35:36], v[129:132], off
	v_mov_b32_e32 v56, s22
	s_clause 0x7
	buffer_load_dword v23, v51, s[0:3], 0 offen
	buffer_load_dword v24, v51, s[0:3], 0 offen offset:4
	buffer_load_dword v25, v51, s[0:3], 0 offen offset:8
	buffer_load_dword v26, v51, s[0:3], 0 offen offset:12
	buffer_load_dword v27, v52, s[0:3], 0 offen
	buffer_load_dword v28, v52, s[0:3], 0 offen offset:4
	buffer_load_dword v29, v52, s[0:3], 0 offen offset:8
	buffer_load_dword v30, v52, s[0:3], 0 offen offset:12
	s_waitcnt vmcnt(44)
	global_store_dwordx4 v[37:38], v[73:76], off
	s_clause 0x7
	buffer_load_dword v31, v55, s[0:3], 0 offen
	buffer_load_dword v32, v55, s[0:3], 0 offen offset:4
	buffer_load_dword v33, v55, s[0:3], 0 offen offset:8
	buffer_load_dword v34, v55, s[0:3], 0 offen offset:12
	buffer_load_dword v35, v56, s[0:3], 0 offen
	buffer_load_dword v36, v56, s[0:3], 0 offen offset:4
	buffer_load_dword v37, v56, s[0:3], 0 offen offset:8
	buffer_load_dword v38, v56, s[0:3], 0 offen offset:12
	s_waitcnt vmcnt(48)
	global_store_dwordx4 v[39:40], v[117:120], off
	;; [unrolled: 11-line block ×7, first 2 shown]
	s_clause 0x7
	buffer_load_dword v51, v137, s[0:3], 0 offen
	buffer_load_dword v52, v137, s[0:3], 0 offen offset:4
	buffer_load_dword v53, v137, s[0:3], 0 offen offset:8
	;; [unrolled: 1-line block ×3, first 2 shown]
	buffer_load_dword v59, v138, s[0:3], 0 offen
	buffer_load_dword v60, v138, s[0:3], 0 offen offset:4
	buffer_load_dword v61, v138, s[0:3], 0 offen offset:8
	;; [unrolled: 1-line block ×3, first 2 shown]
	global_store_dwordx4 v[57:58], v[15:18], off
	s_clause 0x7
	buffer_load_dword v15, v139, s[0:3], 0 offen
	buffer_load_dword v16, v139, s[0:3], 0 offen offset:4
	buffer_load_dword v17, v139, s[0:3], 0 offen offset:8
	buffer_load_dword v18, v139, s[0:3], 0 offen offset:12
	buffer_load_dword v55, v140, s[0:3], 0 offen
	buffer_load_dword v56, v140, s[0:3], 0 offen offset:4
	buffer_load_dword v57, v140, s[0:3], 0 offen offset:8
	;; [unrolled: 1-line block ×3, first 2 shown]
	s_waitcnt vmcnt(62)
	global_store_dwordx4 v[63:64], v[125:128], off
	s_clause 0x3
	buffer_load_dword v125, v141, s[0:3], 0 offen
	buffer_load_dword v126, v141, s[0:3], 0 offen offset:4
	buffer_load_dword v127, v141, s[0:3], 0 offen offset:8
	;; [unrolled: 1-line block ×3, first 2 shown]
	global_store_dwordx4 v[65:66], v[19:22], off
	global_store_dwordx4 v[71:72], v[23:26], off
	;; [unrolled: 1-line block ×3, first 2 shown]
	s_waitcnt vmcnt(62)
	global_store_dwordx4 v[81:82], v[31:34], off
	s_waitcnt vmcnt(60)
	global_store_dwordx4 v[85:86], v[35:38], off
	;; [unrolled: 2-line block ×17, first 2 shown]
.LBB50_803:
	s_endpgm
	.section	.rodata,"a",@progbits
	.p2align	6, 0x0
	.amdhsa_kernel _ZN9rocsolver6v33100L18trti2_kernel_smallILi51E19rocblas_complex_numIdEPS3_EEv13rocblas_fill_17rocblas_diagonal_T1_iil
		.amdhsa_group_segment_fixed_size 1632
		.amdhsa_private_segment_fixed_size 832
		.amdhsa_kernarg_size 32
		.amdhsa_user_sgpr_count 6
		.amdhsa_user_sgpr_private_segment_buffer 1
		.amdhsa_user_sgpr_dispatch_ptr 0
		.amdhsa_user_sgpr_queue_ptr 0
		.amdhsa_user_sgpr_kernarg_segment_ptr 1
		.amdhsa_user_sgpr_dispatch_id 0
		.amdhsa_user_sgpr_flat_scratch_init 0
		.amdhsa_user_sgpr_private_segment_size 0
		.amdhsa_wavefront_size32 1
		.amdhsa_uses_dynamic_stack 0
		.amdhsa_system_sgpr_private_segment_wavefront_offset 1
		.amdhsa_system_sgpr_workgroup_id_x 1
		.amdhsa_system_sgpr_workgroup_id_y 0
		.amdhsa_system_sgpr_workgroup_id_z 0
		.amdhsa_system_sgpr_workgroup_info 0
		.amdhsa_system_vgpr_workitem_id 0
		.amdhsa_next_free_vgpr 142
		.amdhsa_next_free_sgpr 81
		.amdhsa_reserve_vcc 1
		.amdhsa_reserve_flat_scratch 0
		.amdhsa_float_round_mode_32 0
		.amdhsa_float_round_mode_16_64 0
		.amdhsa_float_denorm_mode_32 3
		.amdhsa_float_denorm_mode_16_64 3
		.amdhsa_dx10_clamp 1
		.amdhsa_ieee_mode 1
		.amdhsa_fp16_overflow 0
		.amdhsa_workgroup_processor_mode 1
		.amdhsa_memory_ordered 1
		.amdhsa_forward_progress 1
		.amdhsa_shared_vgpr_count 0
		.amdhsa_exception_fp_ieee_invalid_op 0
		.amdhsa_exception_fp_denorm_src 0
		.amdhsa_exception_fp_ieee_div_zero 0
		.amdhsa_exception_fp_ieee_overflow 0
		.amdhsa_exception_fp_ieee_underflow 0
		.amdhsa_exception_fp_ieee_inexact 0
		.amdhsa_exception_int_div_zero 0
	.end_amdhsa_kernel
	.section	.text._ZN9rocsolver6v33100L18trti2_kernel_smallILi51E19rocblas_complex_numIdEPS3_EEv13rocblas_fill_17rocblas_diagonal_T1_iil,"axG",@progbits,_ZN9rocsolver6v33100L18trti2_kernel_smallILi51E19rocblas_complex_numIdEPS3_EEv13rocblas_fill_17rocblas_diagonal_T1_iil,comdat
.Lfunc_end50:
	.size	_ZN9rocsolver6v33100L18trti2_kernel_smallILi51E19rocblas_complex_numIdEPS3_EEv13rocblas_fill_17rocblas_diagonal_T1_iil, .Lfunc_end50-_ZN9rocsolver6v33100L18trti2_kernel_smallILi51E19rocblas_complex_numIdEPS3_EEv13rocblas_fill_17rocblas_diagonal_T1_iil
                                        ; -- End function
	.set _ZN9rocsolver6v33100L18trti2_kernel_smallILi51E19rocblas_complex_numIdEPS3_EEv13rocblas_fill_17rocblas_diagonal_T1_iil.num_vgpr, 142
	.set _ZN9rocsolver6v33100L18trti2_kernel_smallILi51E19rocblas_complex_numIdEPS3_EEv13rocblas_fill_17rocblas_diagonal_T1_iil.num_agpr, 0
	.set _ZN9rocsolver6v33100L18trti2_kernel_smallILi51E19rocblas_complex_numIdEPS3_EEv13rocblas_fill_17rocblas_diagonal_T1_iil.numbered_sgpr, 81
	.set _ZN9rocsolver6v33100L18trti2_kernel_smallILi51E19rocblas_complex_numIdEPS3_EEv13rocblas_fill_17rocblas_diagonal_T1_iil.num_named_barrier, 0
	.set _ZN9rocsolver6v33100L18trti2_kernel_smallILi51E19rocblas_complex_numIdEPS3_EEv13rocblas_fill_17rocblas_diagonal_T1_iil.private_seg_size, 832
	.set _ZN9rocsolver6v33100L18trti2_kernel_smallILi51E19rocblas_complex_numIdEPS3_EEv13rocblas_fill_17rocblas_diagonal_T1_iil.uses_vcc, 1
	.set _ZN9rocsolver6v33100L18trti2_kernel_smallILi51E19rocblas_complex_numIdEPS3_EEv13rocblas_fill_17rocblas_diagonal_T1_iil.uses_flat_scratch, 0
	.set _ZN9rocsolver6v33100L18trti2_kernel_smallILi51E19rocblas_complex_numIdEPS3_EEv13rocblas_fill_17rocblas_diagonal_T1_iil.has_dyn_sized_stack, 0
	.set _ZN9rocsolver6v33100L18trti2_kernel_smallILi51E19rocblas_complex_numIdEPS3_EEv13rocblas_fill_17rocblas_diagonal_T1_iil.has_recursion, 0
	.set _ZN9rocsolver6v33100L18trti2_kernel_smallILi51E19rocblas_complex_numIdEPS3_EEv13rocblas_fill_17rocblas_diagonal_T1_iil.has_indirect_call, 0
	.section	.AMDGPU.csdata,"",@progbits
; Kernel info:
; codeLenInByte = 51912
; TotalNumSgprs: 83
; NumVgprs: 142
; ScratchSize: 832
; MemoryBound: 0
; FloatMode: 240
; IeeeMode: 1
; LDSByteSize: 1632 bytes/workgroup (compile time only)
; SGPRBlocks: 0
; VGPRBlocks: 17
; NumSGPRsForWavesPerEU: 83
; NumVGPRsForWavesPerEU: 142
; Occupancy: 7
; WaveLimiterHint : 0
; COMPUTE_PGM_RSRC2:SCRATCH_EN: 1
; COMPUTE_PGM_RSRC2:USER_SGPR: 6
; COMPUTE_PGM_RSRC2:TRAP_HANDLER: 0
; COMPUTE_PGM_RSRC2:TGID_X_EN: 1
; COMPUTE_PGM_RSRC2:TGID_Y_EN: 0
; COMPUTE_PGM_RSRC2:TGID_Z_EN: 0
; COMPUTE_PGM_RSRC2:TIDIG_COMP_CNT: 0
	.section	.text._ZN9rocsolver6v33100L18trti2_kernel_smallILi52E19rocblas_complex_numIdEPS3_EEv13rocblas_fill_17rocblas_diagonal_T1_iil,"axG",@progbits,_ZN9rocsolver6v33100L18trti2_kernel_smallILi52E19rocblas_complex_numIdEPS3_EEv13rocblas_fill_17rocblas_diagonal_T1_iil,comdat
	.globl	_ZN9rocsolver6v33100L18trti2_kernel_smallILi52E19rocblas_complex_numIdEPS3_EEv13rocblas_fill_17rocblas_diagonal_T1_iil ; -- Begin function _ZN9rocsolver6v33100L18trti2_kernel_smallILi52E19rocblas_complex_numIdEPS3_EEv13rocblas_fill_17rocblas_diagonal_T1_iil
	.p2align	8
	.type	_ZN9rocsolver6v33100L18trti2_kernel_smallILi52E19rocblas_complex_numIdEPS3_EEv13rocblas_fill_17rocblas_diagonal_T1_iil,@function
_ZN9rocsolver6v33100L18trti2_kernel_smallILi52E19rocblas_complex_numIdEPS3_EEv13rocblas_fill_17rocblas_diagonal_T1_iil: ; @_ZN9rocsolver6v33100L18trti2_kernel_smallILi52E19rocblas_complex_numIdEPS3_EEv13rocblas_fill_17rocblas_diagonal_T1_iil
; %bb.0:
	s_add_u32 s0, s0, s7
	s_addc_u32 s1, s1, 0
	s_mov_b32 s7, exec_lo
	v_cmpx_gt_u32_e32 52, v0
	s_cbranch_execz .LBB51_819
; %bb.1:
	s_load_dwordx8 s[8:15], s[4:5], 0x0
	s_ashr_i32 s4, s6, 31
	v_lshlrev_b32_e32 v147, 4, v0
	s_movk_i32 s16, 0xf0
	s_movk_i32 s17, 0x100
	;; [unrolled: 1-line block ×17, first 2 shown]
	s_waitcnt lgkmcnt(0)
	s_mul_hi_u32 s5, s14, s6
	s_mul_i32 s4, s14, s4
	s_mul_i32 s7, s15, s6
	s_add_i32 s5, s5, s4
	s_mul_i32 s4, s14, s6
	s_add_i32 s5, s5, s7
	s_ashr_i32 s7, s12, 31
	s_lshl_b64 s[4:5], s[4:5], 4
	s_mov_b32 s6, s12
	s_add_u32 s10, s10, s4
	s_addc_u32 s11, s11, s5
	s_lshl_b64 s[4:5], s[6:7], 4
	s_mov_b32 s6, s13
	s_add_u32 s4, s10, s4
	s_addc_u32 s5, s11, s5
	v_add_co_u32 v19, s10, s4, v147
	s_ashr_i32 s7, s13, 31
	v_add3_u32 v13, s13, s13, v0
	v_add_co_ci_u32_e64 v20, null, s5, 0, s10
	s_lshl_b64 s[6:7], s[6:7], 4
	global_load_dwordx4 v[1:4], v147, s[4:5]
	v_add_co_u32 v17, vcc_lo, v19, s6
	v_ashrrev_i32_e32 v14, 31, v13
	v_add_co_ci_u32_e64 v18, null, s7, v20, vcc_lo
	s_cmpk_lg_i32 s9, 0x84
	s_movk_i32 s6, 0x70
	v_lshlrev_b64 v[5:6], 4, v[13:14]
	global_load_dwordx4 v[9:12], v[17:18], off
	v_add_nc_u32_e32 v13, s13, v13
	s_movk_i32 s7, 0x80
	s_movk_i32 s10, 0x90
	;; [unrolled: 1-line block ×3, first 2 shown]
	v_add_co_u32 v21, vcc_lo, s4, v5
	v_add_co_ci_u32_e64 v22, null, s5, v6, vcc_lo
	v_add_nc_u32_e32 v25, s13, v13
	v_ashrrev_i32_e32 v14, 31, v13
	s_movk_i32 s12, 0xb0
	global_load_dwordx4 v[5:8], v[21:22], off
	s_movk_i32 s14, 0xd0
	v_add_nc_u32_e32 v27, s13, v25
	v_ashrrev_i32_e32 v26, 31, v25
	v_lshlrev_b64 v[13:14], 4, v[13:14]
	s_movk_i32 s15, 0xe0
	s_movk_i32 s63, 0x200
	v_add_nc_u32_e32 v29, s13, v27
	v_lshlrev_b64 v[25:26], 4, v[25:26]
	v_ashrrev_i32_e32 v28, 31, v27
	s_movk_i32 s64, 0x210
	s_movk_i32 s65, 0x220
	v_add_nc_u32_e32 v31, s13, v29
	v_ashrrev_i32_e32 v30, 31, v29
	s_movk_i32 s66, 0x230
	s_movk_i32 s67, 0x240
	s_movk_i32 s68, 0x250
	v_add_nc_u32_e32 v33, s13, v31
	v_ashrrev_i32_e32 v32, 31, v31
	s_movk_i32 s69, 0x260
	;; [unrolled: 5-line block ×6, first 2 shown]
	s_movk_i32 s82, 0x330
	s_cselect_b32 s60, -1, 0
	v_add_nc_u32_e32 v43, s13, v41
	v_ashrrev_i32_e32 v42, 31, v41
	s_cmpk_eq_i32 s9, 0x84
	v_add_nc_u32_e32 v45, s13, v43
	v_ashrrev_i32_e32 v44, 31, v43
	v_add_nc_u32_e32 v47, s13, v45
	v_ashrrev_i32_e32 v46, 31, v45
	;; [unrolled: 2-line block ×38, first 2 shown]
	s_movk_i32 s13, 0xc0
	v_ashrrev_i32_e32 v16, 31, v15
	v_lshlrev_b64 v[15:16], 4, v[15:16]
	v_add_co_u32 v23, vcc_lo, s4, v15
	v_add_co_ci_u32_e64 v24, null, s5, v16, vcc_lo
	v_add_co_u32 v109, vcc_lo, s4, v13
	v_add_co_ci_u32_e64 v110, null, s5, v14, vcc_lo
	v_add_co_u32 v111, vcc_lo, s4, v25
	global_load_dwordx4 v[13:16], v[23:24], off
	v_add_co_ci_u32_e64 v112, null, s5, v26, vcc_lo
	v_lshlrev_b64 v[25:26], 4, v[27:28]
	s_waitcnt vmcnt(3)
	buffer_store_dword v4, off, s[0:3], 0 offset:12
	buffer_store_dword v3, off, s[0:3], 0 offset:8
	;; [unrolled: 1-line block ×3, first 2 shown]
	buffer_store_dword v1, off, s[0:3], 0
	global_load_dwordx4 v[1:4], v[109:110], off
	v_add_co_u32 v107, vcc_lo, s4, v25
	s_waitcnt vmcnt(3)
	buffer_store_dword v12, off, s[0:3], 0 offset:28
	buffer_store_dword v11, off, s[0:3], 0 offset:24
	;; [unrolled: 1-line block ×4, first 2 shown]
	global_load_dwordx4 v[9:12], v[111:112], off
	v_add_co_ci_u32_e64 v108, null, s5, v26, vcc_lo
	s_waitcnt vmcnt(3)
	buffer_store_dword v8, off, s[0:3], 0 offset:44
	buffer_store_dword v7, off, s[0:3], 0 offset:40
	buffer_store_dword v6, off, s[0:3], 0 offset:36
	buffer_store_dword v5, off, s[0:3], 0 offset:32
	global_load_dwordx4 v[5:8], v[107:108], off
	v_lshlrev_b64 v[25:26], 4, v[29:30]
	s_waitcnt vmcnt(2)
	buffer_store_dword v4, off, s[0:3], 0 offset:60
	buffer_store_dword v3, off, s[0:3], 0 offset:56
	buffer_store_dword v2, off, s[0:3], 0 offset:52
	buffer_store_dword v1, off, s[0:3], 0 offset:48
	v_add_co_u32 v105, vcc_lo, s4, v25
	v_add_co_ci_u32_e64 v106, null, s5, v26, vcc_lo
	v_lshlrev_b64 v[25:26], 4, v[31:32]
	global_load_dwordx4 v[1:4], v[105:106], off
	s_waitcnt vmcnt(2)
	buffer_store_dword v12, off, s[0:3], 0 offset:76
	buffer_store_dword v11, off, s[0:3], 0 offset:72
	buffer_store_dword v10, off, s[0:3], 0 offset:68
	buffer_store_dword v9, off, s[0:3], 0 offset:64
	v_add_co_u32 v103, vcc_lo, s4, v25
	v_add_co_ci_u32_e64 v104, null, s5, v26, vcc_lo
	v_lshlrev_b64 v[25:26], 4, v[33:34]
	global_load_dwordx4 v[9:12], v[103:104], off
	s_waitcnt vmcnt(2)
	buffer_store_dword v8, off, s[0:3], 0 offset:92
	buffer_store_dword v7, off, s[0:3], 0 offset:88
	buffer_store_dword v6, off, s[0:3], 0 offset:84
	buffer_store_dword v5, off, s[0:3], 0 offset:80
	v_add_co_u32 v101, vcc_lo, s4, v25
	v_add_co_ci_u32_e64 v102, null, s5, v26, vcc_lo
	v_lshlrev_b64 v[25:26], 4, v[35:36]
	global_load_dwordx4 v[5:8], v[101:102], off
	s_waitcnt vmcnt(2)
	buffer_store_dword v4, off, s[0:3], 0 offset:108
	buffer_store_dword v3, off, s[0:3], 0 offset:104
	buffer_store_dword v2, off, s[0:3], 0 offset:100
	buffer_store_dword v1, off, s[0:3], 0 offset:96
	v_add_co_u32 v99, vcc_lo, s4, v25
	v_add_co_ci_u32_e64 v100, null, s5, v26, vcc_lo
	v_lshlrev_b64 v[25:26], 4, v[37:38]
	global_load_dwordx4 v[1:4], v[99:100], off
	s_waitcnt vmcnt(2)
	buffer_store_dword v12, off, s[0:3], 0 offset:124
	buffer_store_dword v11, off, s[0:3], 0 offset:120
	buffer_store_dword v10, off, s[0:3], 0 offset:116
	buffer_store_dword v9, off, s[0:3], 0 offset:112
	v_add_co_u32 v97, vcc_lo, s4, v25
	v_add_co_ci_u32_e64 v98, null, s5, v26, vcc_lo
	v_lshlrev_b64 v[25:26], 4, v[39:40]
	global_load_dwordx4 v[9:12], v[97:98], off
	s_waitcnt vmcnt(2)
	buffer_store_dword v8, off, s[0:3], 0 offset:140
	buffer_store_dword v7, off, s[0:3], 0 offset:136
	buffer_store_dword v6, off, s[0:3], 0 offset:132
	buffer_store_dword v5, off, s[0:3], 0 offset:128
	v_add_co_u32 v93, vcc_lo, s4, v25
	v_add_co_ci_u32_e64 v94, null, s5, v26, vcc_lo
	v_lshlrev_b64 v[25:26], 4, v[41:42]
	global_load_dwordx4 v[5:8], v[93:94], off
	s_waitcnt vmcnt(2)
	buffer_store_dword v1, off, s[0:3], 0 offset:144
	buffer_store_dword v2, off, s[0:3], 0 offset:148
	buffer_store_dword v3, off, s[0:3], 0 offset:152
	buffer_store_dword v4, off, s[0:3], 0 offset:156
	v_add_co_u32 v95, vcc_lo, s4, v25
	v_add_co_ci_u32_e64 v96, null, s5, v26, vcc_lo
	v_lshlrev_b64 v[25:26], 4, v[43:44]
	global_load_dwordx4 v[1:4], v[95:96], off
	s_waitcnt vmcnt(2)
	buffer_store_dword v9, off, s[0:3], 0 offset:160
	buffer_store_dword v10, off, s[0:3], 0 offset:164
	buffer_store_dword v11, off, s[0:3], 0 offset:168
	buffer_store_dword v12, off, s[0:3], 0 offset:172
	v_add_co_u32 v89, vcc_lo, s4, v25
	v_add_co_ci_u32_e64 v90, null, s5, v26, vcc_lo
	v_lshlrev_b64 v[25:26], 4, v[45:46]
	global_load_dwordx4 v[9:12], v[89:90], off
	s_waitcnt vmcnt(2)
	buffer_store_dword v5, off, s[0:3], 0 offset:176
	buffer_store_dword v6, off, s[0:3], 0 offset:180
	buffer_store_dword v7, off, s[0:3], 0 offset:184
	buffer_store_dword v8, off, s[0:3], 0 offset:188
	v_add_co_u32 v91, vcc_lo, s4, v25
	v_add_co_ci_u32_e64 v92, null, s5, v26, vcc_lo
	v_lshlrev_b64 v[25:26], 4, v[47:48]
	global_load_dwordx4 v[5:8], v[91:92], off
	s_waitcnt vmcnt(2)
	buffer_store_dword v4, off, s[0:3], 0 offset:204
	buffer_store_dword v3, off, s[0:3], 0 offset:200
	buffer_store_dword v2, off, s[0:3], 0 offset:196
	buffer_store_dword v1, off, s[0:3], 0 offset:192
	v_add_co_u32 v87, vcc_lo, s4, v25
	v_add_co_ci_u32_e64 v88, null, s5, v26, vcc_lo
	v_lshlrev_b64 v[25:26], 4, v[49:50]
	global_load_dwordx4 v[1:4], v[87:88], off
	s_waitcnt vmcnt(2)
	buffer_store_dword v12, off, s[0:3], 0 offset:220
	buffer_store_dword v11, off, s[0:3], 0 offset:216
	buffer_store_dword v10, off, s[0:3], 0 offset:212
	buffer_store_dword v9, off, s[0:3], 0 offset:208
	v_add_co_u32 v85, vcc_lo, s4, v25
	v_add_co_ci_u32_e64 v86, null, s5, v26, vcc_lo
	v_lshlrev_b64 v[25:26], 4, v[51:52]
	global_load_dwordx4 v[9:12], v[85:86], off
	s_waitcnt vmcnt(2)
	buffer_store_dword v8, off, s[0:3], 0 offset:236
	buffer_store_dword v7, off, s[0:3], 0 offset:232
	buffer_store_dword v6, off, s[0:3], 0 offset:228
	buffer_store_dword v5, off, s[0:3], 0 offset:224
	v_add_co_u32 v83, vcc_lo, s4, v25
	v_add_co_ci_u32_e64 v84, null, s5, v26, vcc_lo
	v_lshlrev_b64 v[25:26], 4, v[53:54]
	global_load_dwordx4 v[5:8], v[83:84], off
	s_waitcnt vmcnt(2)
	buffer_store_dword v4, off, s[0:3], 0 offset:252
	buffer_store_dword v3, off, s[0:3], 0 offset:248
	buffer_store_dword v2, off, s[0:3], 0 offset:244
	buffer_store_dword v1, off, s[0:3], 0 offset:240
	v_add_co_u32 v81, vcc_lo, s4, v25
	v_add_co_ci_u32_e64 v82, null, s5, v26, vcc_lo
	v_lshlrev_b64 v[25:26], 4, v[55:56]
	global_load_dwordx4 v[1:4], v[81:82], off
	s_waitcnt vmcnt(2)
	buffer_store_dword v12, off, s[0:3], 0 offset:268
	buffer_store_dword v11, off, s[0:3], 0 offset:264
	buffer_store_dword v10, off, s[0:3], 0 offset:260
	buffer_store_dword v9, off, s[0:3], 0 offset:256
	v_add_co_u32 v71, vcc_lo, s4, v25
	v_add_co_ci_u32_e64 v72, null, s5, v26, vcc_lo
	v_lshlrev_b64 v[25:26], 4, v[57:58]
	global_load_dwordx4 v[9:12], v[71:72], off
	s_waitcnt vmcnt(2)
	buffer_store_dword v8, off, s[0:3], 0 offset:284
	buffer_store_dword v7, off, s[0:3], 0 offset:280
	;; [unrolled: 1-line block ×4, first 2 shown]
	v_add_co_u32 v55, vcc_lo, s4, v25
	v_add_co_ci_u32_e64 v56, null, s5, v26, vcc_lo
	v_lshlrev_b64 v[5:6], 4, v[59:60]
	v_lshlrev_b64 v[7:8], 4, v[63:64]
	global_load_dwordx4 v[25:28], v[55:56], off
	s_waitcnt vmcnt(2)
	buffer_store_dword v4, off, s[0:3], 0 offset:300
	buffer_store_dword v3, off, s[0:3], 0 offset:296
	;; [unrolled: 1-line block ×4, first 2 shown]
	v_add_co_u32 v41, vcc_lo, s4, v5
	v_add_co_ci_u32_e64 v42, null, s5, v6, vcc_lo
	v_lshlrev_b64 v[5:6], 4, v[61:62]
	global_load_dwordx4 v[1:4], v[41:42], off
	s_waitcnt vmcnt(2)
	buffer_store_dword v12, off, s[0:3], 0 offset:316
	buffer_store_dword v11, off, s[0:3], 0 offset:312
	;; [unrolled: 1-line block ×4, first 2 shown]
	v_add_co_u32 v5, vcc_lo, s4, v5
	v_add_co_ci_u32_e64 v6, null, s5, v6, vcc_lo
	v_add_co_u32 v7, vcc_lo, s4, v7
	v_add_co_ci_u32_e64 v8, null, s5, v8, vcc_lo
	global_load_dwordx4 v[29:32], v[5:6], off
	s_waitcnt vmcnt(2)
	buffer_store_dword v28, off, s[0:3], 0 offset:332
	buffer_store_dword v27, off, s[0:3], 0 offset:328
	;; [unrolled: 1-line block ×4, first 2 shown]
	global_load_dwordx4 v[25:28], v[7:8], off
	v_lshlrev_b64 v[9:10], 4, v[65:66]
	v_lshlrev_b64 v[11:12], 4, v[69:70]
	s_waitcnt vmcnt(2)
	buffer_store_dword v4, off, s[0:3], 0 offset:348
	buffer_store_dword v3, off, s[0:3], 0 offset:344
	;; [unrolled: 1-line block ×4, first 2 shown]
	v_add_co_u32 v33, vcc_lo, s4, v9
	v_add_co_ci_u32_e64 v34, null, s5, v10, vcc_lo
	v_lshlrev_b64 v[9:10], 4, v[67:68]
	global_load_dwordx4 v[1:4], v[33:34], off
	s_waitcnt vmcnt(2)
	buffer_store_dword v32, off, s[0:3], 0 offset:364
	buffer_store_dword v31, off, s[0:3], 0 offset:360
	;; [unrolled: 1-line block ×4, first 2 shown]
	v_add_co_u32 v9, vcc_lo, s4, v9
	v_add_co_ci_u32_e64 v10, null, s5, v10, vcc_lo
	v_add_co_u32 v11, vcc_lo, s4, v11
	v_add_co_ci_u32_e64 v12, null, s5, v12, vcc_lo
	global_load_dwordx4 v[29:32], v[9:10], off
	s_waitcnt vmcnt(2)
	buffer_store_dword v28, off, s[0:3], 0 offset:380
	buffer_store_dword v27, off, s[0:3], 0 offset:376
	;; [unrolled: 1-line block ×4, first 2 shown]
	v_lshlrev_b64 v[25:26], 4, v[73:74]
	global_load_dwordx4 v[37:40], v[11:12], off
	v_lshlrev_b64 v[27:28], 4, v[77:78]
	s_waitcnt vmcnt(2)
	buffer_store_dword v4, off, s[0:3], 0 offset:396
	buffer_store_dword v3, off, s[0:3], 0 offset:392
	;; [unrolled: 1-line block ×4, first 2 shown]
	v_add_co_u32 v35, vcc_lo, s4, v25
	v_add_co_ci_u32_e64 v36, null, s5, v26, vcc_lo
	v_lshlrev_b64 v[25:26], 4, v[75:76]
	global_load_dwordx4 v[1:4], v[35:36], off
	s_waitcnt vmcnt(2)
	buffer_store_dword v32, off, s[0:3], 0 offset:412
	buffer_store_dword v31, off, s[0:3], 0 offset:408
	;; [unrolled: 1-line block ×4, first 2 shown]
	v_add_co_u32 v25, vcc_lo, s4, v25
	v_add_co_ci_u32_e64 v26, null, s5, v26, vcc_lo
	v_add_co_u32 v27, vcc_lo, s4, v27
	v_add_co_ci_u32_e64 v28, null, s5, v28, vcc_lo
	global_load_dwordx4 v[43:46], v[25:26], off
	s_waitcnt vmcnt(2)
	buffer_store_dword v40, off, s[0:3], 0 offset:428
	buffer_store_dword v39, off, s[0:3], 0 offset:424
	;; [unrolled: 1-line block ×4, first 2 shown]
	v_lshlrev_b64 v[29:30], 4, v[79:80]
	global_load_dwordx4 v[47:50], v[27:28], off
	v_lshlrev_b64 v[31:32], 4, v[115:116]
	v_lshlrev_b64 v[39:40], 4, v[117:118]
	s_waitcnt vmcnt(2)
	buffer_store_dword v4, off, s[0:3], 0 offset:444
	buffer_store_dword v3, off, s[0:3], 0 offset:440
	;; [unrolled: 1-line block ×4, first 2 shown]
	v_add_co_u32 v37, vcc_lo, s4, v29
	v_add_co_ci_u32_e64 v38, null, s5, v30, vcc_lo
	v_lshlrev_b64 v[29:30], 4, v[113:114]
	global_load_dwordx4 v[1:4], v[37:38], off
	s_waitcnt vmcnt(2)
	buffer_store_dword v46, off, s[0:3], 0 offset:460
	buffer_store_dword v45, off, s[0:3], 0 offset:456
	;; [unrolled: 1-line block ×4, first 2 shown]
	v_add_co_u32 v29, vcc_lo, s4, v29
	v_add_co_ci_u32_e64 v30, null, s5, v30, vcc_lo
	v_add_co_u32 v31, vcc_lo, s4, v31
	v_add_co_ci_u32_e64 v32, null, s5, v32, vcc_lo
	global_load_dwordx4 v[51:54], v[29:30], off
	s_waitcnt vmcnt(2)
	buffer_store_dword v50, off, s[0:3], 0 offset:476
	buffer_store_dword v49, off, s[0:3], 0 offset:472
	;; [unrolled: 1-line block ×4, first 2 shown]
	v_lshlrev_b64 v[43:44], 4, v[119:120]
	global_load_dwordx4 v[47:50], v[31:32], off
	v_add_co_u32 v39, vcc_lo, s4, v39
	v_add_co_ci_u32_e64 v40, null, s5, v40, vcc_lo
	v_add_co_u32 v43, vcc_lo, s4, v43
	v_add_co_ci_u32_e64 v44, null, s5, v44, vcc_lo
	v_lshlrev_b64 v[45:46], 4, v[121:122]
	s_waitcnt vmcnt(2)
	buffer_store_dword v4, off, s[0:3], 0 offset:492
	buffer_store_dword v3, off, s[0:3], 0 offset:488
	;; [unrolled: 1-line block ×4, first 2 shown]
	global_load_dwordx4 v[1:4], v[39:40], off
	s_waitcnt vmcnt(2)
	buffer_store_dword v54, off, s[0:3], 0 offset:508
	buffer_store_dword v53, off, s[0:3], 0 offset:504
	;; [unrolled: 1-line block ×4, first 2 shown]
	global_load_dwordx4 v[51:54], v[43:44], off
	v_add_co_u32 v45, vcc_lo, s4, v45
	v_add_co_ci_u32_e64 v46, null, s5, v46, vcc_lo
	s_waitcnt vmcnt(2)
	buffer_store_dword v50, off, s[0:3], 0 offset:524
	buffer_store_dword v49, off, s[0:3], 0 offset:520
	;; [unrolled: 1-line block ×4, first 2 shown]
	v_lshlrev_b64 v[47:48], 4, v[123:124]
	v_lshlrev_b64 v[49:50], 4, v[125:126]
	global_load_dwordx4 v[57:60], v[45:46], off
	s_waitcnt vmcnt(2)
	buffer_store_dword v4, off, s[0:3], 0 offset:540
	buffer_store_dword v3, off, s[0:3], 0 offset:536
	;; [unrolled: 1-line block ×4, first 2 shown]
	v_add_co_u32 v47, vcc_lo, s4, v47
	v_add_co_ci_u32_e64 v48, null, s5, v48, vcc_lo
	v_add_co_u32 v49, vcc_lo, s4, v49
	v_add_co_ci_u32_e64 v50, null, s5, v50, vcc_lo
	global_load_dwordx4 v[1:4], v[47:48], off
	s_waitcnt vmcnt(2)
	buffer_store_dword v54, off, s[0:3], 0 offset:556
	buffer_store_dword v53, off, s[0:3], 0 offset:552
	;; [unrolled: 1-line block ×4, first 2 shown]
	v_lshlrev_b64 v[51:52], 4, v[127:128]
	global_load_dwordx4 v[61:64], v[49:50], off
	s_waitcnt vmcnt(2)
	buffer_store_dword v60, off, s[0:3], 0 offset:572
	buffer_store_dword v59, off, s[0:3], 0 offset:568
	buffer_store_dword v58, off, s[0:3], 0 offset:564
	buffer_store_dword v57, off, s[0:3], 0 offset:560
	v_add_co_u32 v51, vcc_lo, s4, v51
	v_add_co_ci_u32_e64 v52, null, s5, v52, vcc_lo
	v_lshlrev_b64 v[53:54], 4, v[129:130]
	v_lshlrev_b64 v[57:58], 4, v[131:132]
	;; [unrolled: 1-line block ×3, first 2 shown]
	global_load_dwordx4 v[65:68], v[51:52], off
	s_waitcnt vmcnt(2)
	buffer_store_dword v4, off, s[0:3], 0 offset:588
	buffer_store_dword v3, off, s[0:3], 0 offset:584
	;; [unrolled: 1-line block ×4, first 2 shown]
	v_add_co_u32 v53, vcc_lo, s4, v53
	v_add_co_ci_u32_e64 v54, null, s5, v54, vcc_lo
	v_add_co_u32 v57, vcc_lo, s4, v57
	v_add_co_ci_u32_e64 v58, null, s5, v58, vcc_lo
	global_load_dwordx4 v[1:4], v[53:54], off
	s_waitcnt vmcnt(2)
	buffer_store_dword v64, off, s[0:3], 0 offset:604
	buffer_store_dword v63, off, s[0:3], 0 offset:600
	;; [unrolled: 1-line block ×4, first 2 shown]
	v_add_co_u32 v59, vcc_lo, s4, v59
	global_load_dwordx4 v[73:76], v[57:58], off
	v_add_co_ci_u32_e64 v60, null, s5, v60, vcc_lo
	s_waitcnt vmcnt(2)
	buffer_store_dword v68, off, s[0:3], 0 offset:620
	buffer_store_dword v67, off, s[0:3], 0 offset:616
	buffer_store_dword v66, off, s[0:3], 0 offset:612
	buffer_store_dword v65, off, s[0:3], 0 offset:608
	global_load_dwordx4 v[67:70], v[59:60], off
	v_lshlrev_b64 v[61:62], 4, v[135:136]
	v_lshlrev_b64 v[63:64], 4, v[137:138]
	;; [unrolled: 1-line block ×3, first 2 shown]
	s_waitcnt vmcnt(2)
	buffer_store_dword v4, off, s[0:3], 0 offset:636
	buffer_store_dword v3, off, s[0:3], 0 offset:632
	;; [unrolled: 1-line block ×4, first 2 shown]
	v_add_co_u32 v61, vcc_lo, s4, v61
	v_add_co_ci_u32_e64 v62, null, s5, v62, vcc_lo
	v_add_co_u32 v63, vcc_lo, s4, v63
	v_add_co_ci_u32_e64 v64, null, s5, v64, vcc_lo
	global_load_dwordx4 v[1:4], v[61:62], off
	s_waitcnt vmcnt(2)
	buffer_store_dword v76, off, s[0:3], 0 offset:652
	buffer_store_dword v75, off, s[0:3], 0 offset:648
	;; [unrolled: 1-line block ×4, first 2 shown]
	v_add_co_u32 v65, vcc_lo, s4, v65
	global_load_dwordx4 v[73:76], v[63:64], off
	v_add_co_ci_u32_e64 v66, null, s5, v66, vcc_lo
	s_waitcnt vmcnt(2)
	buffer_store_dword v70, off, s[0:3], 0 offset:668
	buffer_store_dword v69, off, s[0:3], 0 offset:664
	;; [unrolled: 1-line block ×4, first 2 shown]
	v_lshlrev_b64 v[67:68], 4, v[141:142]
	v_lshlrev_b64 v[69:70], 4, v[143:144]
	global_load_dwordx4 v[77:80], v[65:66], off
	v_add_co_u32 v67, vcc_lo, s4, v67
	v_add_co_ci_u32_e64 v68, null, s5, v68, vcc_lo
	v_add_co_u32 v69, vcc_lo, s4, v69
	v_add_co_ci_u32_e64 v70, null, s5, v70, vcc_lo
	s_waitcnt vmcnt(2)
	buffer_store_dword v4, off, s[0:3], 0 offset:684
	buffer_store_dword v3, off, s[0:3], 0 offset:680
	;; [unrolled: 1-line block ×4, first 2 shown]
	global_load_dwordx4 v[1:4], v[67:68], off
	s_waitcnt vmcnt(2)
	buffer_store_dword v76, off, s[0:3], 0 offset:700
	buffer_store_dword v75, off, s[0:3], 0 offset:696
	;; [unrolled: 1-line block ×4, first 2 shown]
	v_lshlrev_b64 v[73:74], 4, v[145:146]
	global_load_dwordx4 v[113:116], v[69:70], off
	s_waitcnt vmcnt(2)
	buffer_store_dword v80, off, s[0:3], 0 offset:716
	buffer_store_dword v79, off, s[0:3], 0 offset:712
	;; [unrolled: 1-line block ×4, first 2 shown]
	v_add_co_u32 v73, vcc_lo, s4, v73
	v_add_co_ci_u32_e64 v74, null, s5, v74, vcc_lo
	v_lshlrev_b64 v[77:78], 4, v[150:151]
	v_lshlrev_b64 v[79:80], 4, v[152:153]
	global_load_dwordx4 v[117:120], v[73:74], off
	s_waitcnt vmcnt(2)
	buffer_store_dword v4, off, s[0:3], 0 offset:732
	buffer_store_dword v3, off, s[0:3], 0 offset:728
	;; [unrolled: 1-line block ×3, first 2 shown]
	v_lshlrev_b64 v[2:3], 4, v[148:149]
	buffer_store_dword v1, off, s[0:3], 0 offset:720
	s_waitcnt vmcnt(1)
	buffer_store_dword v116, off, s[0:3], 0 offset:748
	buffer_store_dword v115, off, s[0:3], 0 offset:744
	buffer_store_dword v114, off, s[0:3], 0 offset:740
	buffer_store_dword v113, off, s[0:3], 0 offset:736
	v_add_co_u32 v75, vcc_lo, s4, v2
	v_add_co_ci_u32_e64 v76, null, s5, v3, vcc_lo
	v_add_co_u32 v77, vcc_lo, s4, v77
	v_add_co_ci_u32_e64 v78, null, s5, v78, vcc_lo
	;; [unrolled: 2-line block ×3, first 2 shown]
	s_clause 0x1
	global_load_dwordx4 v[1:4], v[75:76], off
	global_load_dwordx4 v[113:116], v[77:78], off
	s_waitcnt vmcnt(2)
	buffer_store_dword v120, off, s[0:3], 0 offset:764
	buffer_store_dword v119, off, s[0:3], 0 offset:760
	;; [unrolled: 1-line block ×4, first 2 shown]
	s_movk_i32 s4, 0x50
	global_load_dwordx4 v[117:120], v[79:80], off
	s_movk_i32 s5, 0x60
	s_waitcnt vmcnt(2)
	buffer_store_dword v4, off, s[0:3], 0 offset:780
	buffer_store_dword v3, off, s[0:3], 0 offset:776
	buffer_store_dword v2, off, s[0:3], 0 offset:772
	buffer_store_dword v1, off, s[0:3], 0 offset:768
	s_waitcnt vmcnt(1)
	buffer_store_dword v116, off, s[0:3], 0 offset:796
	buffer_store_dword v115, off, s[0:3], 0 offset:792
	buffer_store_dword v114, off, s[0:3], 0 offset:788
	buffer_store_dword v113, off, s[0:3], 0 offset:784
	s_waitcnt vmcnt(0)
	buffer_store_dword v120, off, s[0:3], 0 offset:812
	buffer_store_dword v119, off, s[0:3], 0 offset:808
	buffer_store_dword v118, off, s[0:3], 0 offset:804
	buffer_store_dword v117, off, s[0:3], 0 offset:800
	buffer_store_dword v16, off, s[0:3], 0 offset:828
	buffer_store_dword v15, off, s[0:3], 0 offset:824
	;; [unrolled: 1-line block ×4, first 2 shown]
	s_cbranch_scc1 .LBB51_7
; %bb.2:
	v_lshl_add_u32 v115, v0, 4, 0
                                        ; implicit-def: $vgpr15_vgpr16
                                        ; implicit-def: $vgpr3_vgpr4
	s_clause 0x3
	buffer_load_dword v13, v115, s[0:3], 0 offen
	buffer_load_dword v14, v115, s[0:3], 0 offen offset:4
	buffer_load_dword v113, v115, s[0:3], 0 offen offset:8
	;; [unrolled: 1-line block ×3, first 2 shown]
	s_waitcnt vmcnt(0)
	v_cmp_ngt_f64_e64 s9, |v[13:14]|, |v[113:114]|
	s_and_saveexec_b32 s31, s9
	s_xor_b32 s9, exec_lo, s31
	s_cbranch_execz .LBB51_4
; %bb.3:
	v_div_scale_f64 v[1:2], null, v[113:114], v[113:114], v[13:14]
	v_div_scale_f64 v[116:117], vcc_lo, v[13:14], v[113:114], v[13:14]
	v_rcp_f64_e32 v[3:4], v[1:2]
	v_fma_f64 v[15:16], -v[1:2], v[3:4], 1.0
	v_fma_f64 v[3:4], v[3:4], v[15:16], v[3:4]
	v_fma_f64 v[15:16], -v[1:2], v[3:4], 1.0
	v_fma_f64 v[3:4], v[3:4], v[15:16], v[3:4]
	v_mul_f64 v[15:16], v[116:117], v[3:4]
	v_fma_f64 v[1:2], -v[1:2], v[15:16], v[116:117]
	v_div_fmas_f64 v[1:2], v[1:2], v[3:4], v[15:16]
	v_div_fixup_f64 v[1:2], v[1:2], v[113:114], v[13:14]
	v_fma_f64 v[3:4], v[13:14], v[1:2], v[113:114]
	v_div_scale_f64 v[13:14], null, v[3:4], v[3:4], 1.0
	v_div_scale_f64 v[116:117], vcc_lo, 1.0, v[3:4], 1.0
	v_rcp_f64_e32 v[15:16], v[13:14]
	v_fma_f64 v[113:114], -v[13:14], v[15:16], 1.0
	v_fma_f64 v[15:16], v[15:16], v[113:114], v[15:16]
	v_fma_f64 v[113:114], -v[13:14], v[15:16], 1.0
	v_fma_f64 v[15:16], v[15:16], v[113:114], v[15:16]
	v_mul_f64 v[113:114], v[116:117], v[15:16]
	v_fma_f64 v[13:14], -v[13:14], v[113:114], v[116:117]
	v_div_fmas_f64 v[13:14], v[13:14], v[15:16], v[113:114]
                                        ; implicit-def: $vgpr113_vgpr114
	v_div_fixup_f64 v[3:4], v[13:14], v[3:4], 1.0
                                        ; implicit-def: $vgpr13_vgpr14
	v_mul_f64 v[15:16], v[1:2], v[3:4]
	v_xor_b32_e32 v4, 0x80000000, v4
	v_xor_b32_e32 v2, 0x80000000, v16
	v_mov_b32_e32 v1, v15
.LBB51_4:
	s_andn2_saveexec_b32 s9, s9
	s_cbranch_execz .LBB51_6
; %bb.5:
	v_div_scale_f64 v[1:2], null, v[13:14], v[13:14], v[113:114]
	v_div_scale_f64 v[116:117], vcc_lo, v[113:114], v[13:14], v[113:114]
	v_rcp_f64_e32 v[3:4], v[1:2]
	v_fma_f64 v[15:16], -v[1:2], v[3:4], 1.0
	v_fma_f64 v[3:4], v[3:4], v[15:16], v[3:4]
	v_fma_f64 v[15:16], -v[1:2], v[3:4], 1.0
	v_fma_f64 v[3:4], v[3:4], v[15:16], v[3:4]
	v_mul_f64 v[15:16], v[116:117], v[3:4]
	v_fma_f64 v[1:2], -v[1:2], v[15:16], v[116:117]
	v_div_fmas_f64 v[1:2], v[1:2], v[3:4], v[15:16]
	v_div_fixup_f64 v[1:2], v[1:2], v[13:14], v[113:114]
	v_fma_f64 v[3:4], v[113:114], v[1:2], v[13:14]
	v_div_scale_f64 v[13:14], null, v[3:4], v[3:4], 1.0
	v_rcp_f64_e32 v[15:16], v[13:14]
	v_fma_f64 v[113:114], -v[13:14], v[15:16], 1.0
	v_fma_f64 v[15:16], v[15:16], v[113:114], v[15:16]
	v_fma_f64 v[113:114], -v[13:14], v[15:16], 1.0
	v_fma_f64 v[15:16], v[15:16], v[113:114], v[15:16]
	v_div_scale_f64 v[113:114], vcc_lo, 1.0, v[3:4], 1.0
	v_mul_f64 v[116:117], v[113:114], v[15:16]
	v_fma_f64 v[13:14], -v[13:14], v[116:117], v[113:114]
	v_div_fmas_f64 v[13:14], v[13:14], v[15:16], v[116:117]
	v_div_fixup_f64 v[15:16], v[13:14], v[3:4], 1.0
	v_mul_f64 v[3:4], v[1:2], -v[15:16]
	v_xor_b32_e32 v2, 0x80000000, v16
	v_mov_b32_e32 v1, v15
.LBB51_6:
	s_or_b32 exec_lo, exec_lo, s9
	buffer_store_dword v4, v115, s[0:3], 0 offen offset:12
	v_xor_b32_e32 v4, 0x80000000, v4
	buffer_store_dword v16, v115, s[0:3], 0 offen offset:4
	buffer_store_dword v15, v115, s[0:3], 0 offen
	buffer_store_dword v3, v115, s[0:3], 0 offen offset:8
	s_branch .LBB51_8
.LBB51_7:
	v_mov_b32_e32 v1, 0
	v_mov_b32_e32 v3, 0
	;; [unrolled: 1-line block ×4, first 2 shown]
.LBB51_8:
	v_add_nc_u32_e32 v14, 0x340, v147
	v_mov_b32_e32 v13, v147
	s_mov_b32 s58, 16
	s_mov_b32 s59, 32
	;; [unrolled: 1-line block ×50, first 2 shown]
	s_cmpk_eq_i32 s8, 0x79
	ds_write_b128 v147, v[1:4]
	s_cbranch_scc1 .LBB51_412
; %bb.9:
	v_mov_b32_e32 v4, s9
	v_cmp_eq_u32_e64 s4, 51, v0
	s_clause 0x3
	buffer_load_dword v1, v4, s[0:3], 0 offen
	buffer_load_dword v2, v4, s[0:3], 0 offen offset:4
	buffer_load_dword v3, v4, s[0:3], 0 offen offset:8
	;; [unrolled: 1-line block ×3, first 2 shown]
	s_waitcnt vmcnt(0)
	ds_write_b128 v14, v[1:4]
	s_waitcnt lgkmcnt(0)
	s_waitcnt_vscnt null, 0x0
	s_barrier
	buffer_gl0_inv
	s_and_saveexec_b32 s5, s4
	s_cbranch_execz .LBB51_13
; %bb.10:
	ds_read_b128 v[1:4], v14
	s_andn2_b32 vcc_lo, exec_lo, s60
	s_cbranch_vccnz .LBB51_12
; %bb.11:
	s_clause 0x3
	buffer_load_dword v15, v13, s[0:3], 0 offen offset:8
	buffer_load_dword v16, v13, s[0:3], 0 offen offset:12
	buffer_load_dword v113, v13, s[0:3], 0 offen
	buffer_load_dword v114, v13, s[0:3], 0 offen offset:4
	s_waitcnt vmcnt(2) lgkmcnt(0)
	v_mul_f64 v[115:116], v[3:4], v[15:16]
	v_mul_f64 v[15:16], v[1:2], v[15:16]
	s_waitcnt vmcnt(0)
	v_fma_f64 v[1:2], v[1:2], v[113:114], -v[115:116]
	v_fma_f64 v[3:4], v[3:4], v[113:114], v[15:16]
.LBB51_12:
	v_mov_b32_e32 v15, 0
	ds_read_b128 v[113:116], v15 offset:800
	s_waitcnt lgkmcnt(0)
	v_mul_f64 v[15:16], v[3:4], v[115:116]
	v_mul_f64 v[115:116], v[1:2], v[115:116]
	v_fma_f64 v[1:2], v[1:2], v[113:114], -v[15:16]
	v_fma_f64 v[3:4], v[3:4], v[113:114], v[115:116]
	buffer_store_dword v2, off, s[0:3], 0 offset:804
	buffer_store_dword v1, off, s[0:3], 0 offset:800
	;; [unrolled: 1-line block ×4, first 2 shown]
.LBB51_13:
	s_or_b32 exec_lo, exec_lo, s5
	v_mov_b32_e32 v4, s10
	v_cmp_lt_u32_e64 s5, 49, v0
	s_clause 0x3
	buffer_load_dword v1, v4, s[0:3], 0 offen
	buffer_load_dword v2, v4, s[0:3], 0 offen offset:4
	buffer_load_dword v3, v4, s[0:3], 0 offen offset:8
	;; [unrolled: 1-line block ×3, first 2 shown]
	s_waitcnt vmcnt(0)
	ds_write_b128 v14, v[1:4]
	s_waitcnt lgkmcnt(0)
	s_waitcnt_vscnt null, 0x0
	s_barrier
	buffer_gl0_inv
	s_and_saveexec_b32 s6, s5
	s_cbranch_execz .LBB51_19
; %bb.14:
	ds_read_b128 v[1:4], v14
	s_andn2_b32 vcc_lo, exec_lo, s60
	s_cbranch_vccnz .LBB51_16
; %bb.15:
	s_clause 0x3
	buffer_load_dword v15, v13, s[0:3], 0 offen offset:8
	buffer_load_dword v16, v13, s[0:3], 0 offen offset:12
	buffer_load_dword v113, v13, s[0:3], 0 offen
	buffer_load_dword v114, v13, s[0:3], 0 offen offset:4
	s_waitcnt vmcnt(2) lgkmcnt(0)
	v_mul_f64 v[115:116], v[3:4], v[15:16]
	v_mul_f64 v[15:16], v[1:2], v[15:16]
	s_waitcnt vmcnt(0)
	v_fma_f64 v[1:2], v[1:2], v[113:114], -v[115:116]
	v_fma_f64 v[3:4], v[3:4], v[113:114], v[15:16]
.LBB51_16:
	s_and_saveexec_b32 s8, s4
	s_cbranch_execz .LBB51_18
; %bb.17:
	s_clause 0x3
	buffer_load_dword v15, off, s[0:3], 0 offset:808
	buffer_load_dword v16, off, s[0:3], 0 offset:812
	;; [unrolled: 1-line block ×4, first 2 shown]
	v_mov_b32_e32 v113, 0
	ds_read_b128 v[113:116], v113 offset:1632
	s_waitcnt vmcnt(2) lgkmcnt(0)
	v_mul_f64 v[119:120], v[113:114], v[15:16]
	v_mul_f64 v[15:16], v[115:116], v[15:16]
	s_waitcnt vmcnt(0)
	v_fma_f64 v[115:116], v[115:116], v[117:118], v[119:120]
	v_fma_f64 v[15:16], v[113:114], v[117:118], -v[15:16]
	v_add_f64 v[3:4], v[3:4], v[115:116]
	v_add_f64 v[1:2], v[1:2], v[15:16]
.LBB51_18:
	s_or_b32 exec_lo, exec_lo, s8
	v_mov_b32_e32 v15, 0
	ds_read_b128 v[113:116], v15 offset:784
	s_waitcnt lgkmcnt(0)
	v_mul_f64 v[15:16], v[3:4], v[115:116]
	v_mul_f64 v[115:116], v[1:2], v[115:116]
	v_fma_f64 v[1:2], v[1:2], v[113:114], -v[15:16]
	v_fma_f64 v[3:4], v[3:4], v[113:114], v[115:116]
	buffer_store_dword v2, off, s[0:3], 0 offset:788
	buffer_store_dword v1, off, s[0:3], 0 offset:784
	;; [unrolled: 1-line block ×4, first 2 shown]
.LBB51_19:
	s_or_b32 exec_lo, exec_lo, s6
	v_mov_b32_e32 v4, s11
	v_cmp_lt_u32_e64 s4, 48, v0
	s_clause 0x3
	buffer_load_dword v1, v4, s[0:3], 0 offen
	buffer_load_dword v2, v4, s[0:3], 0 offen offset:4
	buffer_load_dword v3, v4, s[0:3], 0 offen offset:8
	;; [unrolled: 1-line block ×3, first 2 shown]
	s_waitcnt vmcnt(0)
	ds_write_b128 v14, v[1:4]
	s_waitcnt lgkmcnt(0)
	s_waitcnt_vscnt null, 0x0
	s_barrier
	buffer_gl0_inv
	s_and_saveexec_b32 s6, s4
	s_cbranch_execz .LBB51_27
; %bb.20:
	ds_read_b128 v[1:4], v14
	s_andn2_b32 vcc_lo, exec_lo, s60
	s_cbranch_vccnz .LBB51_22
; %bb.21:
	s_clause 0x3
	buffer_load_dword v15, v13, s[0:3], 0 offen offset:8
	buffer_load_dword v16, v13, s[0:3], 0 offen offset:12
	buffer_load_dword v113, v13, s[0:3], 0 offen
	buffer_load_dword v114, v13, s[0:3], 0 offen offset:4
	s_waitcnt vmcnt(2) lgkmcnt(0)
	v_mul_f64 v[115:116], v[3:4], v[15:16]
	v_mul_f64 v[15:16], v[1:2], v[15:16]
	s_waitcnt vmcnt(0)
	v_fma_f64 v[1:2], v[1:2], v[113:114], -v[115:116]
	v_fma_f64 v[3:4], v[3:4], v[113:114], v[15:16]
.LBB51_22:
	s_and_saveexec_b32 s8, s5
	s_cbranch_execz .LBB51_26
; %bb.23:
	v_subrev_nc_u32_e32 v15, 49, v0
	s_movk_i32 s61, 0x650
	s_mov_b32 s5, 0
	s_mov_b32 s62, s10
	.p2align	6
.LBB51_24:                              ; =>This Inner Loop Header: Depth=1
	v_mov_b32_e32 v16, s62
	v_add_nc_u32_e32 v15, -1, v15
	s_add_i32 s62, s62, 16
	s_clause 0x3
	buffer_load_dword v117, v16, s[0:3], 0 offen offset:8
	buffer_load_dword v118, v16, s[0:3], 0 offen offset:12
	buffer_load_dword v119, v16, s[0:3], 0 offen
	buffer_load_dword v120, v16, s[0:3], 0 offen offset:4
	v_mov_b32_e32 v16, s61
	v_cmp_eq_u32_e32 vcc_lo, 0, v15
	s_add_i32 s61, s61, 16
	ds_read_b128 v[113:116], v16
	s_or_b32 s5, vcc_lo, s5
	s_waitcnt vmcnt(2) lgkmcnt(0)
	v_mul_f64 v[121:122], v[115:116], v[117:118]
	v_mul_f64 v[117:118], v[113:114], v[117:118]
	s_waitcnt vmcnt(0)
	v_fma_f64 v[113:114], v[113:114], v[119:120], -v[121:122]
	v_fma_f64 v[115:116], v[115:116], v[119:120], v[117:118]
	v_add_f64 v[1:2], v[1:2], v[113:114]
	v_add_f64 v[3:4], v[3:4], v[115:116]
	s_andn2_b32 exec_lo, exec_lo, s5
	s_cbranch_execnz .LBB51_24
; %bb.25:
	s_or_b32 exec_lo, exec_lo, s5
.LBB51_26:
	s_or_b32 exec_lo, exec_lo, s8
	v_mov_b32_e32 v15, 0
	ds_read_b128 v[113:116], v15 offset:768
	s_waitcnt lgkmcnt(0)
	v_mul_f64 v[15:16], v[3:4], v[115:116]
	v_mul_f64 v[115:116], v[1:2], v[115:116]
	v_fma_f64 v[1:2], v[1:2], v[113:114], -v[15:16]
	v_fma_f64 v[3:4], v[3:4], v[113:114], v[115:116]
	buffer_store_dword v2, off, s[0:3], 0 offset:772
	buffer_store_dword v1, off, s[0:3], 0 offset:768
	;; [unrolled: 1-line block ×4, first 2 shown]
.LBB51_27:
	s_or_b32 exec_lo, exec_lo, s6
	v_mov_b32_e32 v4, s12
	v_cmp_lt_u32_e64 s5, 47, v0
	s_clause 0x3
	buffer_load_dword v1, v4, s[0:3], 0 offen
	buffer_load_dword v2, v4, s[0:3], 0 offen offset:4
	buffer_load_dword v3, v4, s[0:3], 0 offen offset:8
	;; [unrolled: 1-line block ×3, first 2 shown]
	s_waitcnt vmcnt(0)
	ds_write_b128 v14, v[1:4]
	s_waitcnt lgkmcnt(0)
	s_waitcnt_vscnt null, 0x0
	s_barrier
	buffer_gl0_inv
	s_and_saveexec_b32 s6, s5
	s_cbranch_execz .LBB51_35
; %bb.28:
	ds_read_b128 v[1:4], v14
	s_andn2_b32 vcc_lo, exec_lo, s60
	s_cbranch_vccnz .LBB51_30
; %bb.29:
	s_clause 0x3
	buffer_load_dword v15, v13, s[0:3], 0 offen offset:8
	buffer_load_dword v16, v13, s[0:3], 0 offen offset:12
	buffer_load_dword v113, v13, s[0:3], 0 offen
	buffer_load_dword v114, v13, s[0:3], 0 offen offset:4
	s_waitcnt vmcnt(2) lgkmcnt(0)
	v_mul_f64 v[115:116], v[3:4], v[15:16]
	v_mul_f64 v[15:16], v[1:2], v[15:16]
	s_waitcnt vmcnt(0)
	v_fma_f64 v[1:2], v[1:2], v[113:114], -v[115:116]
	v_fma_f64 v[3:4], v[3:4], v[113:114], v[15:16]
.LBB51_30:
	s_and_saveexec_b32 s8, s4
	s_cbranch_execz .LBB51_34
; %bb.31:
	v_subrev_nc_u32_e32 v15, 48, v0
	s_movk_i32 s61, 0x640
	s_mov_b32 s4, 0
	s_mov_b32 s62, s11
	.p2align	6
.LBB51_32:                              ; =>This Inner Loop Header: Depth=1
	v_mov_b32_e32 v16, s62
	v_add_nc_u32_e32 v15, -1, v15
	s_add_i32 s62, s62, 16
	s_clause 0x3
	buffer_load_dword v117, v16, s[0:3], 0 offen offset:8
	buffer_load_dword v118, v16, s[0:3], 0 offen offset:12
	buffer_load_dword v119, v16, s[0:3], 0 offen
	buffer_load_dword v120, v16, s[0:3], 0 offen offset:4
	v_mov_b32_e32 v16, s61
	v_cmp_eq_u32_e32 vcc_lo, 0, v15
	s_add_i32 s61, s61, 16
	ds_read_b128 v[113:116], v16
	s_or_b32 s4, vcc_lo, s4
	s_waitcnt vmcnt(2) lgkmcnt(0)
	v_mul_f64 v[121:122], v[115:116], v[117:118]
	v_mul_f64 v[117:118], v[113:114], v[117:118]
	s_waitcnt vmcnt(0)
	v_fma_f64 v[113:114], v[113:114], v[119:120], -v[121:122]
	v_fma_f64 v[115:116], v[115:116], v[119:120], v[117:118]
	v_add_f64 v[1:2], v[1:2], v[113:114]
	v_add_f64 v[3:4], v[3:4], v[115:116]
	s_andn2_b32 exec_lo, exec_lo, s4
	s_cbranch_execnz .LBB51_32
; %bb.33:
	s_or_b32 exec_lo, exec_lo, s4
.LBB51_34:
	s_or_b32 exec_lo, exec_lo, s8
	v_mov_b32_e32 v15, 0
	ds_read_b128 v[113:116], v15 offset:752
	s_waitcnt lgkmcnt(0)
	v_mul_f64 v[15:16], v[3:4], v[115:116]
	v_mul_f64 v[115:116], v[1:2], v[115:116]
	v_fma_f64 v[1:2], v[1:2], v[113:114], -v[15:16]
	v_fma_f64 v[3:4], v[3:4], v[113:114], v[115:116]
	buffer_store_dword v2, off, s[0:3], 0 offset:756
	buffer_store_dword v1, off, s[0:3], 0 offset:752
	buffer_store_dword v4, off, s[0:3], 0 offset:764
	buffer_store_dword v3, off, s[0:3], 0 offset:760
.LBB51_35:
	s_or_b32 exec_lo, exec_lo, s6
	v_mov_b32_e32 v4, s13
	v_cmp_lt_u32_e64 s4, 46, v0
	s_clause 0x3
	buffer_load_dword v1, v4, s[0:3], 0 offen
	buffer_load_dword v2, v4, s[0:3], 0 offen offset:4
	buffer_load_dword v3, v4, s[0:3], 0 offen offset:8
	;; [unrolled: 1-line block ×3, first 2 shown]
	s_waitcnt vmcnt(0)
	ds_write_b128 v14, v[1:4]
	s_waitcnt lgkmcnt(0)
	s_waitcnt_vscnt null, 0x0
	s_barrier
	buffer_gl0_inv
	s_and_saveexec_b32 s6, s4
	s_cbranch_execz .LBB51_43
; %bb.36:
	ds_read_b128 v[1:4], v14
	s_andn2_b32 vcc_lo, exec_lo, s60
	s_cbranch_vccnz .LBB51_38
; %bb.37:
	s_clause 0x3
	buffer_load_dword v15, v13, s[0:3], 0 offen offset:8
	buffer_load_dword v16, v13, s[0:3], 0 offen offset:12
	buffer_load_dword v113, v13, s[0:3], 0 offen
	buffer_load_dword v114, v13, s[0:3], 0 offen offset:4
	s_waitcnt vmcnt(2) lgkmcnt(0)
	v_mul_f64 v[115:116], v[3:4], v[15:16]
	v_mul_f64 v[15:16], v[1:2], v[15:16]
	s_waitcnt vmcnt(0)
	v_fma_f64 v[1:2], v[1:2], v[113:114], -v[115:116]
	v_fma_f64 v[3:4], v[3:4], v[113:114], v[15:16]
.LBB51_38:
	s_and_saveexec_b32 s8, s5
	s_cbranch_execz .LBB51_42
; %bb.39:
	v_subrev_nc_u32_e32 v15, 47, v0
	s_movk_i32 s61, 0x630
	s_mov_b32 s5, 0
	s_mov_b32 s62, s12
	.p2align	6
.LBB51_40:                              ; =>This Inner Loop Header: Depth=1
	v_mov_b32_e32 v16, s62
	v_add_nc_u32_e32 v15, -1, v15
	s_add_i32 s62, s62, 16
	s_clause 0x3
	buffer_load_dword v117, v16, s[0:3], 0 offen offset:8
	buffer_load_dword v118, v16, s[0:3], 0 offen offset:12
	buffer_load_dword v119, v16, s[0:3], 0 offen
	buffer_load_dword v120, v16, s[0:3], 0 offen offset:4
	v_mov_b32_e32 v16, s61
	v_cmp_eq_u32_e32 vcc_lo, 0, v15
	s_add_i32 s61, s61, 16
	ds_read_b128 v[113:116], v16
	s_or_b32 s5, vcc_lo, s5
	s_waitcnt vmcnt(2) lgkmcnt(0)
	v_mul_f64 v[121:122], v[115:116], v[117:118]
	v_mul_f64 v[117:118], v[113:114], v[117:118]
	s_waitcnt vmcnt(0)
	v_fma_f64 v[113:114], v[113:114], v[119:120], -v[121:122]
	v_fma_f64 v[115:116], v[115:116], v[119:120], v[117:118]
	v_add_f64 v[1:2], v[1:2], v[113:114]
	v_add_f64 v[3:4], v[3:4], v[115:116]
	s_andn2_b32 exec_lo, exec_lo, s5
	s_cbranch_execnz .LBB51_40
; %bb.41:
	s_or_b32 exec_lo, exec_lo, s5
.LBB51_42:
	s_or_b32 exec_lo, exec_lo, s8
	v_mov_b32_e32 v15, 0
	ds_read_b128 v[113:116], v15 offset:736
	s_waitcnt lgkmcnt(0)
	v_mul_f64 v[15:16], v[3:4], v[115:116]
	v_mul_f64 v[115:116], v[1:2], v[115:116]
	v_fma_f64 v[1:2], v[1:2], v[113:114], -v[15:16]
	v_fma_f64 v[3:4], v[3:4], v[113:114], v[115:116]
	buffer_store_dword v2, off, s[0:3], 0 offset:740
	buffer_store_dword v1, off, s[0:3], 0 offset:736
	;; [unrolled: 1-line block ×4, first 2 shown]
.LBB51_43:
	s_or_b32 exec_lo, exec_lo, s6
	v_mov_b32_e32 v4, s14
	v_cmp_lt_u32_e64 s5, 45, v0
	s_clause 0x3
	buffer_load_dword v1, v4, s[0:3], 0 offen
	buffer_load_dword v2, v4, s[0:3], 0 offen offset:4
	buffer_load_dword v3, v4, s[0:3], 0 offen offset:8
	;; [unrolled: 1-line block ×3, first 2 shown]
	s_waitcnt vmcnt(0)
	ds_write_b128 v14, v[1:4]
	s_waitcnt lgkmcnt(0)
	s_waitcnt_vscnt null, 0x0
	s_barrier
	buffer_gl0_inv
	s_and_saveexec_b32 s6, s5
	s_cbranch_execz .LBB51_51
; %bb.44:
	ds_read_b128 v[1:4], v14
	s_andn2_b32 vcc_lo, exec_lo, s60
	s_cbranch_vccnz .LBB51_46
; %bb.45:
	s_clause 0x3
	buffer_load_dword v15, v13, s[0:3], 0 offen offset:8
	buffer_load_dword v16, v13, s[0:3], 0 offen offset:12
	buffer_load_dword v113, v13, s[0:3], 0 offen
	buffer_load_dword v114, v13, s[0:3], 0 offen offset:4
	s_waitcnt vmcnt(2) lgkmcnt(0)
	v_mul_f64 v[115:116], v[3:4], v[15:16]
	v_mul_f64 v[15:16], v[1:2], v[15:16]
	s_waitcnt vmcnt(0)
	v_fma_f64 v[1:2], v[1:2], v[113:114], -v[115:116]
	v_fma_f64 v[3:4], v[3:4], v[113:114], v[15:16]
.LBB51_46:
	s_and_saveexec_b32 s8, s4
	s_cbranch_execz .LBB51_50
; %bb.47:
	v_subrev_nc_u32_e32 v15, 46, v0
	s_movk_i32 s61, 0x620
	s_mov_b32 s4, 0
	s_mov_b32 s62, s13
	.p2align	6
.LBB51_48:                              ; =>This Inner Loop Header: Depth=1
	v_mov_b32_e32 v16, s62
	v_add_nc_u32_e32 v15, -1, v15
	s_add_i32 s62, s62, 16
	s_clause 0x3
	buffer_load_dword v117, v16, s[0:3], 0 offen offset:8
	buffer_load_dword v118, v16, s[0:3], 0 offen offset:12
	buffer_load_dword v119, v16, s[0:3], 0 offen
	buffer_load_dword v120, v16, s[0:3], 0 offen offset:4
	v_mov_b32_e32 v16, s61
	v_cmp_eq_u32_e32 vcc_lo, 0, v15
	s_add_i32 s61, s61, 16
	ds_read_b128 v[113:116], v16
	s_or_b32 s4, vcc_lo, s4
	s_waitcnt vmcnt(2) lgkmcnt(0)
	v_mul_f64 v[121:122], v[115:116], v[117:118]
	v_mul_f64 v[117:118], v[113:114], v[117:118]
	s_waitcnt vmcnt(0)
	v_fma_f64 v[113:114], v[113:114], v[119:120], -v[121:122]
	v_fma_f64 v[115:116], v[115:116], v[119:120], v[117:118]
	v_add_f64 v[1:2], v[1:2], v[113:114]
	v_add_f64 v[3:4], v[3:4], v[115:116]
	s_andn2_b32 exec_lo, exec_lo, s4
	s_cbranch_execnz .LBB51_48
; %bb.49:
	s_or_b32 exec_lo, exec_lo, s4
.LBB51_50:
	s_or_b32 exec_lo, exec_lo, s8
	v_mov_b32_e32 v15, 0
	ds_read_b128 v[113:116], v15 offset:720
	s_waitcnt lgkmcnt(0)
	v_mul_f64 v[15:16], v[3:4], v[115:116]
	v_mul_f64 v[115:116], v[1:2], v[115:116]
	v_fma_f64 v[1:2], v[1:2], v[113:114], -v[15:16]
	v_fma_f64 v[3:4], v[3:4], v[113:114], v[115:116]
	buffer_store_dword v2, off, s[0:3], 0 offset:724
	buffer_store_dword v1, off, s[0:3], 0 offset:720
	;; [unrolled: 1-line block ×4, first 2 shown]
.LBB51_51:
	s_or_b32 exec_lo, exec_lo, s6
	v_mov_b32_e32 v4, s15
	v_cmp_lt_u32_e64 s4, 44, v0
	s_clause 0x3
	buffer_load_dword v1, v4, s[0:3], 0 offen
	buffer_load_dword v2, v4, s[0:3], 0 offen offset:4
	buffer_load_dword v3, v4, s[0:3], 0 offen offset:8
	;; [unrolled: 1-line block ×3, first 2 shown]
	s_waitcnt vmcnt(0)
	ds_write_b128 v14, v[1:4]
	s_waitcnt lgkmcnt(0)
	s_waitcnt_vscnt null, 0x0
	s_barrier
	buffer_gl0_inv
	s_and_saveexec_b32 s6, s4
	s_cbranch_execz .LBB51_59
; %bb.52:
	ds_read_b128 v[1:4], v14
	s_andn2_b32 vcc_lo, exec_lo, s60
	s_cbranch_vccnz .LBB51_54
; %bb.53:
	s_clause 0x3
	buffer_load_dword v15, v13, s[0:3], 0 offen offset:8
	buffer_load_dword v16, v13, s[0:3], 0 offen offset:12
	buffer_load_dword v113, v13, s[0:3], 0 offen
	buffer_load_dword v114, v13, s[0:3], 0 offen offset:4
	s_waitcnt vmcnt(2) lgkmcnt(0)
	v_mul_f64 v[115:116], v[3:4], v[15:16]
	v_mul_f64 v[15:16], v[1:2], v[15:16]
	s_waitcnt vmcnt(0)
	v_fma_f64 v[1:2], v[1:2], v[113:114], -v[115:116]
	v_fma_f64 v[3:4], v[3:4], v[113:114], v[15:16]
.LBB51_54:
	s_and_saveexec_b32 s8, s5
	s_cbranch_execz .LBB51_58
; %bb.55:
	v_subrev_nc_u32_e32 v15, 45, v0
	s_movk_i32 s61, 0x610
	s_mov_b32 s5, 0
	s_mov_b32 s62, s14
	.p2align	6
.LBB51_56:                              ; =>This Inner Loop Header: Depth=1
	v_mov_b32_e32 v16, s62
	v_add_nc_u32_e32 v15, -1, v15
	s_add_i32 s62, s62, 16
	s_clause 0x3
	buffer_load_dword v117, v16, s[0:3], 0 offen offset:8
	buffer_load_dword v118, v16, s[0:3], 0 offen offset:12
	buffer_load_dword v119, v16, s[0:3], 0 offen
	buffer_load_dword v120, v16, s[0:3], 0 offen offset:4
	v_mov_b32_e32 v16, s61
	v_cmp_eq_u32_e32 vcc_lo, 0, v15
	s_add_i32 s61, s61, 16
	ds_read_b128 v[113:116], v16
	s_or_b32 s5, vcc_lo, s5
	s_waitcnt vmcnt(2) lgkmcnt(0)
	v_mul_f64 v[121:122], v[115:116], v[117:118]
	v_mul_f64 v[117:118], v[113:114], v[117:118]
	s_waitcnt vmcnt(0)
	v_fma_f64 v[113:114], v[113:114], v[119:120], -v[121:122]
	v_fma_f64 v[115:116], v[115:116], v[119:120], v[117:118]
	v_add_f64 v[1:2], v[1:2], v[113:114]
	v_add_f64 v[3:4], v[3:4], v[115:116]
	s_andn2_b32 exec_lo, exec_lo, s5
	s_cbranch_execnz .LBB51_56
; %bb.57:
	s_or_b32 exec_lo, exec_lo, s5
.LBB51_58:
	s_or_b32 exec_lo, exec_lo, s8
	v_mov_b32_e32 v15, 0
	ds_read_b128 v[113:116], v15 offset:704
	s_waitcnt lgkmcnt(0)
	v_mul_f64 v[15:16], v[3:4], v[115:116]
	v_mul_f64 v[115:116], v[1:2], v[115:116]
	v_fma_f64 v[1:2], v[1:2], v[113:114], -v[15:16]
	v_fma_f64 v[3:4], v[3:4], v[113:114], v[115:116]
	buffer_store_dword v2, off, s[0:3], 0 offset:708
	buffer_store_dword v1, off, s[0:3], 0 offset:704
	;; [unrolled: 1-line block ×4, first 2 shown]
.LBB51_59:
	s_or_b32 exec_lo, exec_lo, s6
	v_mov_b32_e32 v4, s16
	v_cmp_lt_u32_e64 s5, 43, v0
	s_clause 0x3
	buffer_load_dword v1, v4, s[0:3], 0 offen
	buffer_load_dword v2, v4, s[0:3], 0 offen offset:4
	buffer_load_dword v3, v4, s[0:3], 0 offen offset:8
	;; [unrolled: 1-line block ×3, first 2 shown]
	s_waitcnt vmcnt(0)
	ds_write_b128 v14, v[1:4]
	s_waitcnt lgkmcnt(0)
	s_waitcnt_vscnt null, 0x0
	s_barrier
	buffer_gl0_inv
	s_and_saveexec_b32 s6, s5
	s_cbranch_execz .LBB51_67
; %bb.60:
	ds_read_b128 v[1:4], v14
	s_andn2_b32 vcc_lo, exec_lo, s60
	s_cbranch_vccnz .LBB51_62
; %bb.61:
	s_clause 0x3
	buffer_load_dword v15, v13, s[0:3], 0 offen offset:8
	buffer_load_dword v16, v13, s[0:3], 0 offen offset:12
	buffer_load_dword v113, v13, s[0:3], 0 offen
	buffer_load_dword v114, v13, s[0:3], 0 offen offset:4
	s_waitcnt vmcnt(2) lgkmcnt(0)
	v_mul_f64 v[115:116], v[3:4], v[15:16]
	v_mul_f64 v[15:16], v[1:2], v[15:16]
	s_waitcnt vmcnt(0)
	v_fma_f64 v[1:2], v[1:2], v[113:114], -v[115:116]
	v_fma_f64 v[3:4], v[3:4], v[113:114], v[15:16]
.LBB51_62:
	s_and_saveexec_b32 s8, s4
	s_cbranch_execz .LBB51_66
; %bb.63:
	v_subrev_nc_u32_e32 v15, 44, v0
	s_movk_i32 s61, 0x600
	s_mov_b32 s4, 0
	s_mov_b32 s62, s15
	.p2align	6
.LBB51_64:                              ; =>This Inner Loop Header: Depth=1
	v_mov_b32_e32 v16, s62
	v_add_nc_u32_e32 v15, -1, v15
	s_add_i32 s62, s62, 16
	s_clause 0x3
	buffer_load_dword v117, v16, s[0:3], 0 offen offset:8
	buffer_load_dword v118, v16, s[0:3], 0 offen offset:12
	buffer_load_dword v119, v16, s[0:3], 0 offen
	buffer_load_dword v120, v16, s[0:3], 0 offen offset:4
	v_mov_b32_e32 v16, s61
	v_cmp_eq_u32_e32 vcc_lo, 0, v15
	s_add_i32 s61, s61, 16
	ds_read_b128 v[113:116], v16
	s_or_b32 s4, vcc_lo, s4
	s_waitcnt vmcnt(2) lgkmcnt(0)
	v_mul_f64 v[121:122], v[115:116], v[117:118]
	v_mul_f64 v[117:118], v[113:114], v[117:118]
	s_waitcnt vmcnt(0)
	v_fma_f64 v[113:114], v[113:114], v[119:120], -v[121:122]
	v_fma_f64 v[115:116], v[115:116], v[119:120], v[117:118]
	v_add_f64 v[1:2], v[1:2], v[113:114]
	v_add_f64 v[3:4], v[3:4], v[115:116]
	s_andn2_b32 exec_lo, exec_lo, s4
	s_cbranch_execnz .LBB51_64
; %bb.65:
	s_or_b32 exec_lo, exec_lo, s4
.LBB51_66:
	s_or_b32 exec_lo, exec_lo, s8
	v_mov_b32_e32 v15, 0
	ds_read_b128 v[113:116], v15 offset:688
	s_waitcnt lgkmcnt(0)
	v_mul_f64 v[15:16], v[3:4], v[115:116]
	v_mul_f64 v[115:116], v[1:2], v[115:116]
	v_fma_f64 v[1:2], v[1:2], v[113:114], -v[15:16]
	v_fma_f64 v[3:4], v[3:4], v[113:114], v[115:116]
	buffer_store_dword v2, off, s[0:3], 0 offset:692
	buffer_store_dword v1, off, s[0:3], 0 offset:688
	;; [unrolled: 1-line block ×4, first 2 shown]
.LBB51_67:
	s_or_b32 exec_lo, exec_lo, s6
	v_mov_b32_e32 v4, s17
	v_cmp_lt_u32_e64 s4, 42, v0
	s_clause 0x3
	buffer_load_dword v1, v4, s[0:3], 0 offen
	buffer_load_dword v2, v4, s[0:3], 0 offen offset:4
	buffer_load_dword v3, v4, s[0:3], 0 offen offset:8
	;; [unrolled: 1-line block ×3, first 2 shown]
	s_waitcnt vmcnt(0)
	ds_write_b128 v14, v[1:4]
	s_waitcnt lgkmcnt(0)
	s_waitcnt_vscnt null, 0x0
	s_barrier
	buffer_gl0_inv
	s_and_saveexec_b32 s6, s4
	s_cbranch_execz .LBB51_75
; %bb.68:
	ds_read_b128 v[1:4], v14
	s_andn2_b32 vcc_lo, exec_lo, s60
	s_cbranch_vccnz .LBB51_70
; %bb.69:
	s_clause 0x3
	buffer_load_dword v15, v13, s[0:3], 0 offen offset:8
	buffer_load_dword v16, v13, s[0:3], 0 offen offset:12
	buffer_load_dword v113, v13, s[0:3], 0 offen
	buffer_load_dword v114, v13, s[0:3], 0 offen offset:4
	s_waitcnt vmcnt(2) lgkmcnt(0)
	v_mul_f64 v[115:116], v[3:4], v[15:16]
	v_mul_f64 v[15:16], v[1:2], v[15:16]
	s_waitcnt vmcnt(0)
	v_fma_f64 v[1:2], v[1:2], v[113:114], -v[115:116]
	v_fma_f64 v[3:4], v[3:4], v[113:114], v[15:16]
.LBB51_70:
	s_and_saveexec_b32 s8, s5
	s_cbranch_execz .LBB51_74
; %bb.71:
	v_subrev_nc_u32_e32 v15, 43, v0
	s_movk_i32 s61, 0x5f0
	s_mov_b32 s5, 0
	s_mov_b32 s62, s16
	.p2align	6
.LBB51_72:                              ; =>This Inner Loop Header: Depth=1
	v_mov_b32_e32 v16, s62
	v_add_nc_u32_e32 v15, -1, v15
	s_add_i32 s62, s62, 16
	s_clause 0x3
	buffer_load_dword v117, v16, s[0:3], 0 offen offset:8
	buffer_load_dword v118, v16, s[0:3], 0 offen offset:12
	buffer_load_dword v119, v16, s[0:3], 0 offen
	buffer_load_dword v120, v16, s[0:3], 0 offen offset:4
	v_mov_b32_e32 v16, s61
	v_cmp_eq_u32_e32 vcc_lo, 0, v15
	s_add_i32 s61, s61, 16
	ds_read_b128 v[113:116], v16
	s_or_b32 s5, vcc_lo, s5
	s_waitcnt vmcnt(2) lgkmcnt(0)
	v_mul_f64 v[121:122], v[115:116], v[117:118]
	v_mul_f64 v[117:118], v[113:114], v[117:118]
	s_waitcnt vmcnt(0)
	v_fma_f64 v[113:114], v[113:114], v[119:120], -v[121:122]
	v_fma_f64 v[115:116], v[115:116], v[119:120], v[117:118]
	v_add_f64 v[1:2], v[1:2], v[113:114]
	v_add_f64 v[3:4], v[3:4], v[115:116]
	s_andn2_b32 exec_lo, exec_lo, s5
	s_cbranch_execnz .LBB51_72
; %bb.73:
	s_or_b32 exec_lo, exec_lo, s5
.LBB51_74:
	s_or_b32 exec_lo, exec_lo, s8
	v_mov_b32_e32 v15, 0
	ds_read_b128 v[113:116], v15 offset:672
	s_waitcnt lgkmcnt(0)
	v_mul_f64 v[15:16], v[3:4], v[115:116]
	v_mul_f64 v[115:116], v[1:2], v[115:116]
	v_fma_f64 v[1:2], v[1:2], v[113:114], -v[15:16]
	v_fma_f64 v[3:4], v[3:4], v[113:114], v[115:116]
	buffer_store_dword v2, off, s[0:3], 0 offset:676
	buffer_store_dword v1, off, s[0:3], 0 offset:672
	;; [unrolled: 1-line block ×4, first 2 shown]
.LBB51_75:
	s_or_b32 exec_lo, exec_lo, s6
	v_mov_b32_e32 v4, s18
	v_cmp_lt_u32_e64 s5, 41, v0
	s_clause 0x3
	buffer_load_dword v1, v4, s[0:3], 0 offen
	buffer_load_dword v2, v4, s[0:3], 0 offen offset:4
	buffer_load_dword v3, v4, s[0:3], 0 offen offset:8
	;; [unrolled: 1-line block ×3, first 2 shown]
	s_waitcnt vmcnt(0)
	ds_write_b128 v14, v[1:4]
	s_waitcnt lgkmcnt(0)
	s_waitcnt_vscnt null, 0x0
	s_barrier
	buffer_gl0_inv
	s_and_saveexec_b32 s6, s5
	s_cbranch_execz .LBB51_83
; %bb.76:
	ds_read_b128 v[1:4], v14
	s_andn2_b32 vcc_lo, exec_lo, s60
	s_cbranch_vccnz .LBB51_78
; %bb.77:
	s_clause 0x3
	buffer_load_dword v15, v13, s[0:3], 0 offen offset:8
	buffer_load_dword v16, v13, s[0:3], 0 offen offset:12
	buffer_load_dword v113, v13, s[0:3], 0 offen
	buffer_load_dword v114, v13, s[0:3], 0 offen offset:4
	s_waitcnt vmcnt(2) lgkmcnt(0)
	v_mul_f64 v[115:116], v[3:4], v[15:16]
	v_mul_f64 v[15:16], v[1:2], v[15:16]
	s_waitcnt vmcnt(0)
	v_fma_f64 v[1:2], v[1:2], v[113:114], -v[115:116]
	v_fma_f64 v[3:4], v[3:4], v[113:114], v[15:16]
.LBB51_78:
	s_and_saveexec_b32 s8, s4
	s_cbranch_execz .LBB51_82
; %bb.79:
	v_subrev_nc_u32_e32 v15, 42, v0
	s_movk_i32 s61, 0x5e0
	s_mov_b32 s4, 0
	s_mov_b32 s62, s17
	.p2align	6
.LBB51_80:                              ; =>This Inner Loop Header: Depth=1
	v_mov_b32_e32 v16, s62
	v_add_nc_u32_e32 v15, -1, v15
	s_add_i32 s62, s62, 16
	s_clause 0x3
	buffer_load_dword v117, v16, s[0:3], 0 offen offset:8
	buffer_load_dword v118, v16, s[0:3], 0 offen offset:12
	buffer_load_dword v119, v16, s[0:3], 0 offen
	buffer_load_dword v120, v16, s[0:3], 0 offen offset:4
	v_mov_b32_e32 v16, s61
	v_cmp_eq_u32_e32 vcc_lo, 0, v15
	s_add_i32 s61, s61, 16
	ds_read_b128 v[113:116], v16
	s_or_b32 s4, vcc_lo, s4
	s_waitcnt vmcnt(2) lgkmcnt(0)
	v_mul_f64 v[121:122], v[115:116], v[117:118]
	v_mul_f64 v[117:118], v[113:114], v[117:118]
	s_waitcnt vmcnt(0)
	v_fma_f64 v[113:114], v[113:114], v[119:120], -v[121:122]
	v_fma_f64 v[115:116], v[115:116], v[119:120], v[117:118]
	v_add_f64 v[1:2], v[1:2], v[113:114]
	v_add_f64 v[3:4], v[3:4], v[115:116]
	s_andn2_b32 exec_lo, exec_lo, s4
	s_cbranch_execnz .LBB51_80
; %bb.81:
	s_or_b32 exec_lo, exec_lo, s4
.LBB51_82:
	s_or_b32 exec_lo, exec_lo, s8
	v_mov_b32_e32 v15, 0
	ds_read_b128 v[113:116], v15 offset:656
	s_waitcnt lgkmcnt(0)
	v_mul_f64 v[15:16], v[3:4], v[115:116]
	v_mul_f64 v[115:116], v[1:2], v[115:116]
	v_fma_f64 v[1:2], v[1:2], v[113:114], -v[15:16]
	v_fma_f64 v[3:4], v[3:4], v[113:114], v[115:116]
	buffer_store_dword v2, off, s[0:3], 0 offset:660
	buffer_store_dword v1, off, s[0:3], 0 offset:656
	;; [unrolled: 1-line block ×4, first 2 shown]
.LBB51_83:
	s_or_b32 exec_lo, exec_lo, s6
	v_mov_b32_e32 v4, s19
	v_cmp_lt_u32_e64 s4, 40, v0
	s_clause 0x3
	buffer_load_dword v1, v4, s[0:3], 0 offen
	buffer_load_dword v2, v4, s[0:3], 0 offen offset:4
	buffer_load_dword v3, v4, s[0:3], 0 offen offset:8
	;; [unrolled: 1-line block ×3, first 2 shown]
	s_waitcnt vmcnt(0)
	ds_write_b128 v14, v[1:4]
	s_waitcnt lgkmcnt(0)
	s_waitcnt_vscnt null, 0x0
	s_barrier
	buffer_gl0_inv
	s_and_saveexec_b32 s6, s4
	s_cbranch_execz .LBB51_91
; %bb.84:
	ds_read_b128 v[1:4], v14
	s_andn2_b32 vcc_lo, exec_lo, s60
	s_cbranch_vccnz .LBB51_86
; %bb.85:
	s_clause 0x3
	buffer_load_dword v15, v13, s[0:3], 0 offen offset:8
	buffer_load_dword v16, v13, s[0:3], 0 offen offset:12
	buffer_load_dword v113, v13, s[0:3], 0 offen
	buffer_load_dword v114, v13, s[0:3], 0 offen offset:4
	s_waitcnt vmcnt(2) lgkmcnt(0)
	v_mul_f64 v[115:116], v[3:4], v[15:16]
	v_mul_f64 v[15:16], v[1:2], v[15:16]
	s_waitcnt vmcnt(0)
	v_fma_f64 v[1:2], v[1:2], v[113:114], -v[115:116]
	v_fma_f64 v[3:4], v[3:4], v[113:114], v[15:16]
.LBB51_86:
	s_and_saveexec_b32 s8, s5
	s_cbranch_execz .LBB51_90
; %bb.87:
	v_subrev_nc_u32_e32 v15, 41, v0
	s_movk_i32 s61, 0x5d0
	s_mov_b32 s5, 0
	s_mov_b32 s62, s18
	.p2align	6
.LBB51_88:                              ; =>This Inner Loop Header: Depth=1
	v_mov_b32_e32 v16, s62
	v_add_nc_u32_e32 v15, -1, v15
	s_add_i32 s62, s62, 16
	s_clause 0x3
	buffer_load_dword v117, v16, s[0:3], 0 offen offset:8
	buffer_load_dword v118, v16, s[0:3], 0 offen offset:12
	buffer_load_dword v119, v16, s[0:3], 0 offen
	buffer_load_dword v120, v16, s[0:3], 0 offen offset:4
	v_mov_b32_e32 v16, s61
	v_cmp_eq_u32_e32 vcc_lo, 0, v15
	s_add_i32 s61, s61, 16
	ds_read_b128 v[113:116], v16
	s_or_b32 s5, vcc_lo, s5
	s_waitcnt vmcnt(2) lgkmcnt(0)
	v_mul_f64 v[121:122], v[115:116], v[117:118]
	v_mul_f64 v[117:118], v[113:114], v[117:118]
	s_waitcnt vmcnt(0)
	v_fma_f64 v[113:114], v[113:114], v[119:120], -v[121:122]
	v_fma_f64 v[115:116], v[115:116], v[119:120], v[117:118]
	v_add_f64 v[1:2], v[1:2], v[113:114]
	v_add_f64 v[3:4], v[3:4], v[115:116]
	s_andn2_b32 exec_lo, exec_lo, s5
	s_cbranch_execnz .LBB51_88
; %bb.89:
	s_or_b32 exec_lo, exec_lo, s5
.LBB51_90:
	s_or_b32 exec_lo, exec_lo, s8
	v_mov_b32_e32 v15, 0
	ds_read_b128 v[113:116], v15 offset:640
	s_waitcnt lgkmcnt(0)
	v_mul_f64 v[15:16], v[3:4], v[115:116]
	v_mul_f64 v[115:116], v[1:2], v[115:116]
	v_fma_f64 v[1:2], v[1:2], v[113:114], -v[15:16]
	v_fma_f64 v[3:4], v[3:4], v[113:114], v[115:116]
	buffer_store_dword v2, off, s[0:3], 0 offset:644
	buffer_store_dword v1, off, s[0:3], 0 offset:640
	;; [unrolled: 1-line block ×4, first 2 shown]
.LBB51_91:
	s_or_b32 exec_lo, exec_lo, s6
	v_mov_b32_e32 v4, s20
	v_cmp_lt_u32_e64 s5, 39, v0
	s_clause 0x3
	buffer_load_dword v1, v4, s[0:3], 0 offen
	buffer_load_dword v2, v4, s[0:3], 0 offen offset:4
	buffer_load_dword v3, v4, s[0:3], 0 offen offset:8
	;; [unrolled: 1-line block ×3, first 2 shown]
	s_waitcnt vmcnt(0)
	ds_write_b128 v14, v[1:4]
	s_waitcnt lgkmcnt(0)
	s_waitcnt_vscnt null, 0x0
	s_barrier
	buffer_gl0_inv
	s_and_saveexec_b32 s6, s5
	s_cbranch_execz .LBB51_99
; %bb.92:
	ds_read_b128 v[1:4], v14
	s_andn2_b32 vcc_lo, exec_lo, s60
	s_cbranch_vccnz .LBB51_94
; %bb.93:
	s_clause 0x3
	buffer_load_dword v15, v13, s[0:3], 0 offen offset:8
	buffer_load_dword v16, v13, s[0:3], 0 offen offset:12
	buffer_load_dword v113, v13, s[0:3], 0 offen
	buffer_load_dword v114, v13, s[0:3], 0 offen offset:4
	s_waitcnt vmcnt(2) lgkmcnt(0)
	v_mul_f64 v[115:116], v[3:4], v[15:16]
	v_mul_f64 v[15:16], v[1:2], v[15:16]
	s_waitcnt vmcnt(0)
	v_fma_f64 v[1:2], v[1:2], v[113:114], -v[115:116]
	v_fma_f64 v[3:4], v[3:4], v[113:114], v[15:16]
.LBB51_94:
	s_and_saveexec_b32 s8, s4
	s_cbranch_execz .LBB51_98
; %bb.95:
	v_subrev_nc_u32_e32 v15, 40, v0
	s_movk_i32 s61, 0x5c0
	s_mov_b32 s4, 0
	s_mov_b32 s62, s19
	.p2align	6
.LBB51_96:                              ; =>This Inner Loop Header: Depth=1
	v_mov_b32_e32 v16, s62
	v_add_nc_u32_e32 v15, -1, v15
	s_add_i32 s62, s62, 16
	s_clause 0x3
	buffer_load_dword v117, v16, s[0:3], 0 offen offset:8
	buffer_load_dword v118, v16, s[0:3], 0 offen offset:12
	buffer_load_dword v119, v16, s[0:3], 0 offen
	buffer_load_dword v120, v16, s[0:3], 0 offen offset:4
	v_mov_b32_e32 v16, s61
	v_cmp_eq_u32_e32 vcc_lo, 0, v15
	s_add_i32 s61, s61, 16
	ds_read_b128 v[113:116], v16
	s_or_b32 s4, vcc_lo, s4
	s_waitcnt vmcnt(2) lgkmcnt(0)
	v_mul_f64 v[121:122], v[115:116], v[117:118]
	v_mul_f64 v[117:118], v[113:114], v[117:118]
	s_waitcnt vmcnt(0)
	v_fma_f64 v[113:114], v[113:114], v[119:120], -v[121:122]
	v_fma_f64 v[115:116], v[115:116], v[119:120], v[117:118]
	v_add_f64 v[1:2], v[1:2], v[113:114]
	v_add_f64 v[3:4], v[3:4], v[115:116]
	s_andn2_b32 exec_lo, exec_lo, s4
	s_cbranch_execnz .LBB51_96
; %bb.97:
	s_or_b32 exec_lo, exec_lo, s4
.LBB51_98:
	s_or_b32 exec_lo, exec_lo, s8
	v_mov_b32_e32 v15, 0
	ds_read_b128 v[113:116], v15 offset:624
	s_waitcnt lgkmcnt(0)
	v_mul_f64 v[15:16], v[3:4], v[115:116]
	v_mul_f64 v[115:116], v[1:2], v[115:116]
	v_fma_f64 v[1:2], v[1:2], v[113:114], -v[15:16]
	v_fma_f64 v[3:4], v[3:4], v[113:114], v[115:116]
	buffer_store_dword v2, off, s[0:3], 0 offset:628
	buffer_store_dword v1, off, s[0:3], 0 offset:624
	;; [unrolled: 1-line block ×4, first 2 shown]
.LBB51_99:
	s_or_b32 exec_lo, exec_lo, s6
	v_mov_b32_e32 v4, s21
	v_cmp_lt_u32_e64 s4, 38, v0
	s_clause 0x3
	buffer_load_dword v1, v4, s[0:3], 0 offen
	buffer_load_dword v2, v4, s[0:3], 0 offen offset:4
	buffer_load_dword v3, v4, s[0:3], 0 offen offset:8
	;; [unrolled: 1-line block ×3, first 2 shown]
	s_waitcnt vmcnt(0)
	ds_write_b128 v14, v[1:4]
	s_waitcnt lgkmcnt(0)
	s_waitcnt_vscnt null, 0x0
	s_barrier
	buffer_gl0_inv
	s_and_saveexec_b32 s6, s4
	s_cbranch_execz .LBB51_107
; %bb.100:
	ds_read_b128 v[1:4], v14
	s_andn2_b32 vcc_lo, exec_lo, s60
	s_cbranch_vccnz .LBB51_102
; %bb.101:
	s_clause 0x3
	buffer_load_dword v15, v13, s[0:3], 0 offen offset:8
	buffer_load_dword v16, v13, s[0:3], 0 offen offset:12
	buffer_load_dword v113, v13, s[0:3], 0 offen
	buffer_load_dword v114, v13, s[0:3], 0 offen offset:4
	s_waitcnt vmcnt(2) lgkmcnt(0)
	v_mul_f64 v[115:116], v[3:4], v[15:16]
	v_mul_f64 v[15:16], v[1:2], v[15:16]
	s_waitcnt vmcnt(0)
	v_fma_f64 v[1:2], v[1:2], v[113:114], -v[115:116]
	v_fma_f64 v[3:4], v[3:4], v[113:114], v[15:16]
.LBB51_102:
	s_and_saveexec_b32 s8, s5
	s_cbranch_execz .LBB51_106
; %bb.103:
	v_subrev_nc_u32_e32 v15, 39, v0
	s_movk_i32 s61, 0x5b0
	s_mov_b32 s5, 0
	s_mov_b32 s62, s20
	.p2align	6
.LBB51_104:                             ; =>This Inner Loop Header: Depth=1
	v_mov_b32_e32 v16, s62
	v_add_nc_u32_e32 v15, -1, v15
	s_add_i32 s62, s62, 16
	s_clause 0x3
	buffer_load_dword v117, v16, s[0:3], 0 offen offset:8
	buffer_load_dword v118, v16, s[0:3], 0 offen offset:12
	buffer_load_dword v119, v16, s[0:3], 0 offen
	buffer_load_dword v120, v16, s[0:3], 0 offen offset:4
	v_mov_b32_e32 v16, s61
	v_cmp_eq_u32_e32 vcc_lo, 0, v15
	s_add_i32 s61, s61, 16
	ds_read_b128 v[113:116], v16
	s_or_b32 s5, vcc_lo, s5
	s_waitcnt vmcnt(2) lgkmcnt(0)
	v_mul_f64 v[121:122], v[115:116], v[117:118]
	v_mul_f64 v[117:118], v[113:114], v[117:118]
	s_waitcnt vmcnt(0)
	v_fma_f64 v[113:114], v[113:114], v[119:120], -v[121:122]
	v_fma_f64 v[115:116], v[115:116], v[119:120], v[117:118]
	v_add_f64 v[1:2], v[1:2], v[113:114]
	v_add_f64 v[3:4], v[3:4], v[115:116]
	s_andn2_b32 exec_lo, exec_lo, s5
	s_cbranch_execnz .LBB51_104
; %bb.105:
	s_or_b32 exec_lo, exec_lo, s5
.LBB51_106:
	s_or_b32 exec_lo, exec_lo, s8
	v_mov_b32_e32 v15, 0
	ds_read_b128 v[113:116], v15 offset:608
	s_waitcnt lgkmcnt(0)
	v_mul_f64 v[15:16], v[3:4], v[115:116]
	v_mul_f64 v[115:116], v[1:2], v[115:116]
	v_fma_f64 v[1:2], v[1:2], v[113:114], -v[15:16]
	v_fma_f64 v[3:4], v[3:4], v[113:114], v[115:116]
	buffer_store_dword v2, off, s[0:3], 0 offset:612
	buffer_store_dword v1, off, s[0:3], 0 offset:608
	;; [unrolled: 1-line block ×4, first 2 shown]
.LBB51_107:
	s_or_b32 exec_lo, exec_lo, s6
	v_mov_b32_e32 v4, s22
	v_cmp_lt_u32_e64 s5, 37, v0
	s_clause 0x3
	buffer_load_dword v1, v4, s[0:3], 0 offen
	buffer_load_dword v2, v4, s[0:3], 0 offen offset:4
	buffer_load_dword v3, v4, s[0:3], 0 offen offset:8
	;; [unrolled: 1-line block ×3, first 2 shown]
	s_waitcnt vmcnt(0)
	ds_write_b128 v14, v[1:4]
	s_waitcnt lgkmcnt(0)
	s_waitcnt_vscnt null, 0x0
	s_barrier
	buffer_gl0_inv
	s_and_saveexec_b32 s6, s5
	s_cbranch_execz .LBB51_115
; %bb.108:
	ds_read_b128 v[1:4], v14
	s_andn2_b32 vcc_lo, exec_lo, s60
	s_cbranch_vccnz .LBB51_110
; %bb.109:
	s_clause 0x3
	buffer_load_dword v15, v13, s[0:3], 0 offen offset:8
	buffer_load_dword v16, v13, s[0:3], 0 offen offset:12
	buffer_load_dword v113, v13, s[0:3], 0 offen
	buffer_load_dword v114, v13, s[0:3], 0 offen offset:4
	s_waitcnt vmcnt(2) lgkmcnt(0)
	v_mul_f64 v[115:116], v[3:4], v[15:16]
	v_mul_f64 v[15:16], v[1:2], v[15:16]
	s_waitcnt vmcnt(0)
	v_fma_f64 v[1:2], v[1:2], v[113:114], -v[115:116]
	v_fma_f64 v[3:4], v[3:4], v[113:114], v[15:16]
.LBB51_110:
	s_and_saveexec_b32 s8, s4
	s_cbranch_execz .LBB51_114
; %bb.111:
	v_subrev_nc_u32_e32 v15, 38, v0
	s_movk_i32 s61, 0x5a0
	s_mov_b32 s4, 0
	s_mov_b32 s62, s21
	.p2align	6
.LBB51_112:                             ; =>This Inner Loop Header: Depth=1
	v_mov_b32_e32 v16, s62
	v_add_nc_u32_e32 v15, -1, v15
	s_add_i32 s62, s62, 16
	s_clause 0x3
	buffer_load_dword v117, v16, s[0:3], 0 offen offset:8
	buffer_load_dword v118, v16, s[0:3], 0 offen offset:12
	buffer_load_dword v119, v16, s[0:3], 0 offen
	buffer_load_dword v120, v16, s[0:3], 0 offen offset:4
	v_mov_b32_e32 v16, s61
	v_cmp_eq_u32_e32 vcc_lo, 0, v15
	s_add_i32 s61, s61, 16
	ds_read_b128 v[113:116], v16
	s_or_b32 s4, vcc_lo, s4
	s_waitcnt vmcnt(2) lgkmcnt(0)
	v_mul_f64 v[121:122], v[115:116], v[117:118]
	v_mul_f64 v[117:118], v[113:114], v[117:118]
	s_waitcnt vmcnt(0)
	v_fma_f64 v[113:114], v[113:114], v[119:120], -v[121:122]
	v_fma_f64 v[115:116], v[115:116], v[119:120], v[117:118]
	v_add_f64 v[1:2], v[1:2], v[113:114]
	v_add_f64 v[3:4], v[3:4], v[115:116]
	s_andn2_b32 exec_lo, exec_lo, s4
	s_cbranch_execnz .LBB51_112
; %bb.113:
	s_or_b32 exec_lo, exec_lo, s4
.LBB51_114:
	s_or_b32 exec_lo, exec_lo, s8
	v_mov_b32_e32 v15, 0
	ds_read_b128 v[113:116], v15 offset:592
	s_waitcnt lgkmcnt(0)
	v_mul_f64 v[15:16], v[3:4], v[115:116]
	v_mul_f64 v[115:116], v[1:2], v[115:116]
	v_fma_f64 v[1:2], v[1:2], v[113:114], -v[15:16]
	v_fma_f64 v[3:4], v[3:4], v[113:114], v[115:116]
	buffer_store_dword v2, off, s[0:3], 0 offset:596
	buffer_store_dword v1, off, s[0:3], 0 offset:592
	;; [unrolled: 1-line block ×4, first 2 shown]
.LBB51_115:
	s_or_b32 exec_lo, exec_lo, s6
	v_mov_b32_e32 v4, s23
	v_cmp_lt_u32_e64 s4, 36, v0
	s_clause 0x3
	buffer_load_dword v1, v4, s[0:3], 0 offen
	buffer_load_dword v2, v4, s[0:3], 0 offen offset:4
	buffer_load_dword v3, v4, s[0:3], 0 offen offset:8
	;; [unrolled: 1-line block ×3, first 2 shown]
	s_waitcnt vmcnt(0)
	ds_write_b128 v14, v[1:4]
	s_waitcnt lgkmcnt(0)
	s_waitcnt_vscnt null, 0x0
	s_barrier
	buffer_gl0_inv
	s_and_saveexec_b32 s6, s4
	s_cbranch_execz .LBB51_123
; %bb.116:
	ds_read_b128 v[1:4], v14
	s_andn2_b32 vcc_lo, exec_lo, s60
	s_cbranch_vccnz .LBB51_118
; %bb.117:
	s_clause 0x3
	buffer_load_dword v15, v13, s[0:3], 0 offen offset:8
	buffer_load_dword v16, v13, s[0:3], 0 offen offset:12
	buffer_load_dword v113, v13, s[0:3], 0 offen
	buffer_load_dword v114, v13, s[0:3], 0 offen offset:4
	s_waitcnt vmcnt(2) lgkmcnt(0)
	v_mul_f64 v[115:116], v[3:4], v[15:16]
	v_mul_f64 v[15:16], v[1:2], v[15:16]
	s_waitcnt vmcnt(0)
	v_fma_f64 v[1:2], v[1:2], v[113:114], -v[115:116]
	v_fma_f64 v[3:4], v[3:4], v[113:114], v[15:16]
.LBB51_118:
	s_and_saveexec_b32 s8, s5
	s_cbranch_execz .LBB51_122
; %bb.119:
	v_subrev_nc_u32_e32 v15, 37, v0
	s_movk_i32 s61, 0x590
	s_mov_b32 s5, 0
	s_mov_b32 s62, s22
	.p2align	6
.LBB51_120:                             ; =>This Inner Loop Header: Depth=1
	v_mov_b32_e32 v16, s62
	v_add_nc_u32_e32 v15, -1, v15
	s_add_i32 s62, s62, 16
	s_clause 0x3
	buffer_load_dword v117, v16, s[0:3], 0 offen offset:8
	buffer_load_dword v118, v16, s[0:3], 0 offen offset:12
	buffer_load_dword v119, v16, s[0:3], 0 offen
	buffer_load_dword v120, v16, s[0:3], 0 offen offset:4
	v_mov_b32_e32 v16, s61
	v_cmp_eq_u32_e32 vcc_lo, 0, v15
	s_add_i32 s61, s61, 16
	ds_read_b128 v[113:116], v16
	s_or_b32 s5, vcc_lo, s5
	s_waitcnt vmcnt(2) lgkmcnt(0)
	v_mul_f64 v[121:122], v[115:116], v[117:118]
	v_mul_f64 v[117:118], v[113:114], v[117:118]
	s_waitcnt vmcnt(0)
	v_fma_f64 v[113:114], v[113:114], v[119:120], -v[121:122]
	v_fma_f64 v[115:116], v[115:116], v[119:120], v[117:118]
	v_add_f64 v[1:2], v[1:2], v[113:114]
	v_add_f64 v[3:4], v[3:4], v[115:116]
	s_andn2_b32 exec_lo, exec_lo, s5
	s_cbranch_execnz .LBB51_120
; %bb.121:
	s_or_b32 exec_lo, exec_lo, s5
.LBB51_122:
	s_or_b32 exec_lo, exec_lo, s8
	v_mov_b32_e32 v15, 0
	ds_read_b128 v[113:116], v15 offset:576
	s_waitcnt lgkmcnt(0)
	v_mul_f64 v[15:16], v[3:4], v[115:116]
	v_mul_f64 v[115:116], v[1:2], v[115:116]
	v_fma_f64 v[1:2], v[1:2], v[113:114], -v[15:16]
	v_fma_f64 v[3:4], v[3:4], v[113:114], v[115:116]
	buffer_store_dword v2, off, s[0:3], 0 offset:580
	buffer_store_dword v1, off, s[0:3], 0 offset:576
	;; [unrolled: 1-line block ×4, first 2 shown]
.LBB51_123:
	s_or_b32 exec_lo, exec_lo, s6
	v_mov_b32_e32 v4, s24
	v_cmp_lt_u32_e64 s5, 35, v0
	s_clause 0x3
	buffer_load_dword v1, v4, s[0:3], 0 offen
	buffer_load_dword v2, v4, s[0:3], 0 offen offset:4
	buffer_load_dword v3, v4, s[0:3], 0 offen offset:8
	;; [unrolled: 1-line block ×3, first 2 shown]
	s_waitcnt vmcnt(0)
	ds_write_b128 v14, v[1:4]
	s_waitcnt lgkmcnt(0)
	s_waitcnt_vscnt null, 0x0
	s_barrier
	buffer_gl0_inv
	s_and_saveexec_b32 s6, s5
	s_cbranch_execz .LBB51_131
; %bb.124:
	ds_read_b128 v[1:4], v14
	s_andn2_b32 vcc_lo, exec_lo, s60
	s_cbranch_vccnz .LBB51_126
; %bb.125:
	s_clause 0x3
	buffer_load_dword v15, v13, s[0:3], 0 offen offset:8
	buffer_load_dword v16, v13, s[0:3], 0 offen offset:12
	buffer_load_dword v113, v13, s[0:3], 0 offen
	buffer_load_dword v114, v13, s[0:3], 0 offen offset:4
	s_waitcnt vmcnt(2) lgkmcnt(0)
	v_mul_f64 v[115:116], v[3:4], v[15:16]
	v_mul_f64 v[15:16], v[1:2], v[15:16]
	s_waitcnt vmcnt(0)
	v_fma_f64 v[1:2], v[1:2], v[113:114], -v[115:116]
	v_fma_f64 v[3:4], v[3:4], v[113:114], v[15:16]
.LBB51_126:
	s_and_saveexec_b32 s8, s4
	s_cbranch_execz .LBB51_130
; %bb.127:
	v_subrev_nc_u32_e32 v15, 36, v0
	s_movk_i32 s61, 0x580
	s_mov_b32 s4, 0
	s_mov_b32 s62, s23
	.p2align	6
.LBB51_128:                             ; =>This Inner Loop Header: Depth=1
	v_mov_b32_e32 v16, s62
	v_add_nc_u32_e32 v15, -1, v15
	s_add_i32 s62, s62, 16
	s_clause 0x3
	buffer_load_dword v117, v16, s[0:3], 0 offen offset:8
	buffer_load_dword v118, v16, s[0:3], 0 offen offset:12
	buffer_load_dword v119, v16, s[0:3], 0 offen
	buffer_load_dword v120, v16, s[0:3], 0 offen offset:4
	v_mov_b32_e32 v16, s61
	v_cmp_eq_u32_e32 vcc_lo, 0, v15
	s_add_i32 s61, s61, 16
	ds_read_b128 v[113:116], v16
	s_or_b32 s4, vcc_lo, s4
	s_waitcnt vmcnt(2) lgkmcnt(0)
	v_mul_f64 v[121:122], v[115:116], v[117:118]
	v_mul_f64 v[117:118], v[113:114], v[117:118]
	s_waitcnt vmcnt(0)
	v_fma_f64 v[113:114], v[113:114], v[119:120], -v[121:122]
	v_fma_f64 v[115:116], v[115:116], v[119:120], v[117:118]
	v_add_f64 v[1:2], v[1:2], v[113:114]
	v_add_f64 v[3:4], v[3:4], v[115:116]
	s_andn2_b32 exec_lo, exec_lo, s4
	s_cbranch_execnz .LBB51_128
; %bb.129:
	s_or_b32 exec_lo, exec_lo, s4
.LBB51_130:
	s_or_b32 exec_lo, exec_lo, s8
	v_mov_b32_e32 v15, 0
	ds_read_b128 v[113:116], v15 offset:560
	s_waitcnt lgkmcnt(0)
	v_mul_f64 v[15:16], v[3:4], v[115:116]
	v_mul_f64 v[115:116], v[1:2], v[115:116]
	v_fma_f64 v[1:2], v[1:2], v[113:114], -v[15:16]
	v_fma_f64 v[3:4], v[3:4], v[113:114], v[115:116]
	buffer_store_dword v2, off, s[0:3], 0 offset:564
	buffer_store_dword v1, off, s[0:3], 0 offset:560
	;; [unrolled: 1-line block ×4, first 2 shown]
.LBB51_131:
	s_or_b32 exec_lo, exec_lo, s6
	v_mov_b32_e32 v4, s25
	v_cmp_lt_u32_e64 s4, 34, v0
	s_clause 0x3
	buffer_load_dword v1, v4, s[0:3], 0 offen
	buffer_load_dword v2, v4, s[0:3], 0 offen offset:4
	buffer_load_dword v3, v4, s[0:3], 0 offen offset:8
	;; [unrolled: 1-line block ×3, first 2 shown]
	s_waitcnt vmcnt(0)
	ds_write_b128 v14, v[1:4]
	s_waitcnt lgkmcnt(0)
	s_waitcnt_vscnt null, 0x0
	s_barrier
	buffer_gl0_inv
	s_and_saveexec_b32 s6, s4
	s_cbranch_execz .LBB51_139
; %bb.132:
	ds_read_b128 v[1:4], v14
	s_andn2_b32 vcc_lo, exec_lo, s60
	s_cbranch_vccnz .LBB51_134
; %bb.133:
	s_clause 0x3
	buffer_load_dword v15, v13, s[0:3], 0 offen offset:8
	buffer_load_dword v16, v13, s[0:3], 0 offen offset:12
	buffer_load_dword v113, v13, s[0:3], 0 offen
	buffer_load_dword v114, v13, s[0:3], 0 offen offset:4
	s_waitcnt vmcnt(2) lgkmcnt(0)
	v_mul_f64 v[115:116], v[3:4], v[15:16]
	v_mul_f64 v[15:16], v[1:2], v[15:16]
	s_waitcnt vmcnt(0)
	v_fma_f64 v[1:2], v[1:2], v[113:114], -v[115:116]
	v_fma_f64 v[3:4], v[3:4], v[113:114], v[15:16]
.LBB51_134:
	s_and_saveexec_b32 s8, s5
	s_cbranch_execz .LBB51_138
; %bb.135:
	v_subrev_nc_u32_e32 v15, 35, v0
	s_movk_i32 s61, 0x570
	s_mov_b32 s5, 0
	s_mov_b32 s62, s24
	.p2align	6
.LBB51_136:                             ; =>This Inner Loop Header: Depth=1
	v_mov_b32_e32 v16, s62
	v_add_nc_u32_e32 v15, -1, v15
	s_add_i32 s62, s62, 16
	s_clause 0x3
	buffer_load_dword v117, v16, s[0:3], 0 offen offset:8
	buffer_load_dword v118, v16, s[0:3], 0 offen offset:12
	buffer_load_dword v119, v16, s[0:3], 0 offen
	buffer_load_dword v120, v16, s[0:3], 0 offen offset:4
	v_mov_b32_e32 v16, s61
	v_cmp_eq_u32_e32 vcc_lo, 0, v15
	s_add_i32 s61, s61, 16
	ds_read_b128 v[113:116], v16
	s_or_b32 s5, vcc_lo, s5
	s_waitcnt vmcnt(2) lgkmcnt(0)
	v_mul_f64 v[121:122], v[115:116], v[117:118]
	v_mul_f64 v[117:118], v[113:114], v[117:118]
	s_waitcnt vmcnt(0)
	v_fma_f64 v[113:114], v[113:114], v[119:120], -v[121:122]
	v_fma_f64 v[115:116], v[115:116], v[119:120], v[117:118]
	v_add_f64 v[1:2], v[1:2], v[113:114]
	v_add_f64 v[3:4], v[3:4], v[115:116]
	s_andn2_b32 exec_lo, exec_lo, s5
	s_cbranch_execnz .LBB51_136
; %bb.137:
	s_or_b32 exec_lo, exec_lo, s5
.LBB51_138:
	s_or_b32 exec_lo, exec_lo, s8
	v_mov_b32_e32 v15, 0
	ds_read_b128 v[113:116], v15 offset:544
	s_waitcnt lgkmcnt(0)
	v_mul_f64 v[15:16], v[3:4], v[115:116]
	v_mul_f64 v[115:116], v[1:2], v[115:116]
	v_fma_f64 v[1:2], v[1:2], v[113:114], -v[15:16]
	v_fma_f64 v[3:4], v[3:4], v[113:114], v[115:116]
	buffer_store_dword v2, off, s[0:3], 0 offset:548
	buffer_store_dword v1, off, s[0:3], 0 offset:544
	;; [unrolled: 1-line block ×4, first 2 shown]
.LBB51_139:
	s_or_b32 exec_lo, exec_lo, s6
	v_mov_b32_e32 v4, s26
	v_cmp_lt_u32_e64 s5, 33, v0
	s_clause 0x3
	buffer_load_dword v1, v4, s[0:3], 0 offen
	buffer_load_dword v2, v4, s[0:3], 0 offen offset:4
	buffer_load_dword v3, v4, s[0:3], 0 offen offset:8
	;; [unrolled: 1-line block ×3, first 2 shown]
	s_waitcnt vmcnt(0)
	ds_write_b128 v14, v[1:4]
	s_waitcnt lgkmcnt(0)
	s_waitcnt_vscnt null, 0x0
	s_barrier
	buffer_gl0_inv
	s_and_saveexec_b32 s6, s5
	s_cbranch_execz .LBB51_147
; %bb.140:
	ds_read_b128 v[1:4], v14
	s_andn2_b32 vcc_lo, exec_lo, s60
	s_cbranch_vccnz .LBB51_142
; %bb.141:
	s_clause 0x3
	buffer_load_dword v15, v13, s[0:3], 0 offen offset:8
	buffer_load_dword v16, v13, s[0:3], 0 offen offset:12
	buffer_load_dword v113, v13, s[0:3], 0 offen
	buffer_load_dword v114, v13, s[0:3], 0 offen offset:4
	s_waitcnt vmcnt(2) lgkmcnt(0)
	v_mul_f64 v[115:116], v[3:4], v[15:16]
	v_mul_f64 v[15:16], v[1:2], v[15:16]
	s_waitcnt vmcnt(0)
	v_fma_f64 v[1:2], v[1:2], v[113:114], -v[115:116]
	v_fma_f64 v[3:4], v[3:4], v[113:114], v[15:16]
.LBB51_142:
	s_and_saveexec_b32 s8, s4
	s_cbranch_execz .LBB51_146
; %bb.143:
	v_subrev_nc_u32_e32 v15, 34, v0
	s_movk_i32 s61, 0x560
	s_mov_b32 s4, 0
	s_mov_b32 s62, s25
	.p2align	6
.LBB51_144:                             ; =>This Inner Loop Header: Depth=1
	v_mov_b32_e32 v16, s62
	v_add_nc_u32_e32 v15, -1, v15
	s_add_i32 s62, s62, 16
	s_clause 0x3
	buffer_load_dword v117, v16, s[0:3], 0 offen offset:8
	buffer_load_dword v118, v16, s[0:3], 0 offen offset:12
	buffer_load_dword v119, v16, s[0:3], 0 offen
	buffer_load_dword v120, v16, s[0:3], 0 offen offset:4
	v_mov_b32_e32 v16, s61
	v_cmp_eq_u32_e32 vcc_lo, 0, v15
	s_add_i32 s61, s61, 16
	ds_read_b128 v[113:116], v16
	s_or_b32 s4, vcc_lo, s4
	s_waitcnt vmcnt(2) lgkmcnt(0)
	v_mul_f64 v[121:122], v[115:116], v[117:118]
	v_mul_f64 v[117:118], v[113:114], v[117:118]
	s_waitcnt vmcnt(0)
	v_fma_f64 v[113:114], v[113:114], v[119:120], -v[121:122]
	v_fma_f64 v[115:116], v[115:116], v[119:120], v[117:118]
	v_add_f64 v[1:2], v[1:2], v[113:114]
	v_add_f64 v[3:4], v[3:4], v[115:116]
	s_andn2_b32 exec_lo, exec_lo, s4
	s_cbranch_execnz .LBB51_144
; %bb.145:
	s_or_b32 exec_lo, exec_lo, s4
.LBB51_146:
	s_or_b32 exec_lo, exec_lo, s8
	v_mov_b32_e32 v15, 0
	ds_read_b128 v[113:116], v15 offset:528
	s_waitcnt lgkmcnt(0)
	v_mul_f64 v[15:16], v[3:4], v[115:116]
	v_mul_f64 v[115:116], v[1:2], v[115:116]
	v_fma_f64 v[1:2], v[1:2], v[113:114], -v[15:16]
	v_fma_f64 v[3:4], v[3:4], v[113:114], v[115:116]
	buffer_store_dword v2, off, s[0:3], 0 offset:532
	buffer_store_dword v1, off, s[0:3], 0 offset:528
	;; [unrolled: 1-line block ×4, first 2 shown]
.LBB51_147:
	s_or_b32 exec_lo, exec_lo, s6
	v_mov_b32_e32 v4, s27
	v_cmp_lt_u32_e64 s4, 32, v0
	s_clause 0x3
	buffer_load_dword v1, v4, s[0:3], 0 offen
	buffer_load_dword v2, v4, s[0:3], 0 offen offset:4
	buffer_load_dword v3, v4, s[0:3], 0 offen offset:8
	;; [unrolled: 1-line block ×3, first 2 shown]
	s_waitcnt vmcnt(0)
	ds_write_b128 v14, v[1:4]
	s_waitcnt lgkmcnt(0)
	s_waitcnt_vscnt null, 0x0
	s_barrier
	buffer_gl0_inv
	s_and_saveexec_b32 s6, s4
	s_cbranch_execz .LBB51_155
; %bb.148:
	ds_read_b128 v[1:4], v14
	s_andn2_b32 vcc_lo, exec_lo, s60
	s_cbranch_vccnz .LBB51_150
; %bb.149:
	s_clause 0x3
	buffer_load_dword v15, v13, s[0:3], 0 offen offset:8
	buffer_load_dword v16, v13, s[0:3], 0 offen offset:12
	buffer_load_dword v113, v13, s[0:3], 0 offen
	buffer_load_dword v114, v13, s[0:3], 0 offen offset:4
	s_waitcnt vmcnt(2) lgkmcnt(0)
	v_mul_f64 v[115:116], v[3:4], v[15:16]
	v_mul_f64 v[15:16], v[1:2], v[15:16]
	s_waitcnt vmcnt(0)
	v_fma_f64 v[1:2], v[1:2], v[113:114], -v[115:116]
	v_fma_f64 v[3:4], v[3:4], v[113:114], v[15:16]
.LBB51_150:
	s_and_saveexec_b32 s8, s5
	s_cbranch_execz .LBB51_154
; %bb.151:
	v_subrev_nc_u32_e32 v15, 33, v0
	s_movk_i32 s61, 0x550
	s_mov_b32 s5, 0
	s_mov_b32 s62, s26
	.p2align	6
.LBB51_152:                             ; =>This Inner Loop Header: Depth=1
	v_mov_b32_e32 v16, s62
	v_add_nc_u32_e32 v15, -1, v15
	s_add_i32 s62, s62, 16
	s_clause 0x3
	buffer_load_dword v117, v16, s[0:3], 0 offen offset:8
	buffer_load_dword v118, v16, s[0:3], 0 offen offset:12
	buffer_load_dword v119, v16, s[0:3], 0 offen
	buffer_load_dword v120, v16, s[0:3], 0 offen offset:4
	v_mov_b32_e32 v16, s61
	v_cmp_eq_u32_e32 vcc_lo, 0, v15
	s_add_i32 s61, s61, 16
	ds_read_b128 v[113:116], v16
	s_or_b32 s5, vcc_lo, s5
	s_waitcnt vmcnt(2) lgkmcnt(0)
	v_mul_f64 v[121:122], v[115:116], v[117:118]
	v_mul_f64 v[117:118], v[113:114], v[117:118]
	s_waitcnt vmcnt(0)
	v_fma_f64 v[113:114], v[113:114], v[119:120], -v[121:122]
	v_fma_f64 v[115:116], v[115:116], v[119:120], v[117:118]
	v_add_f64 v[1:2], v[1:2], v[113:114]
	v_add_f64 v[3:4], v[3:4], v[115:116]
	s_andn2_b32 exec_lo, exec_lo, s5
	s_cbranch_execnz .LBB51_152
; %bb.153:
	s_or_b32 exec_lo, exec_lo, s5
.LBB51_154:
	s_or_b32 exec_lo, exec_lo, s8
	v_mov_b32_e32 v15, 0
	ds_read_b128 v[113:116], v15 offset:512
	s_waitcnt lgkmcnt(0)
	v_mul_f64 v[15:16], v[3:4], v[115:116]
	v_mul_f64 v[115:116], v[1:2], v[115:116]
	v_fma_f64 v[1:2], v[1:2], v[113:114], -v[15:16]
	v_fma_f64 v[3:4], v[3:4], v[113:114], v[115:116]
	buffer_store_dword v2, off, s[0:3], 0 offset:516
	buffer_store_dword v1, off, s[0:3], 0 offset:512
	;; [unrolled: 1-line block ×4, first 2 shown]
.LBB51_155:
	s_or_b32 exec_lo, exec_lo, s6
	v_mov_b32_e32 v4, s28
	v_cmp_lt_u32_e64 s5, 31, v0
	s_clause 0x3
	buffer_load_dword v1, v4, s[0:3], 0 offen
	buffer_load_dword v2, v4, s[0:3], 0 offen offset:4
	buffer_load_dword v3, v4, s[0:3], 0 offen offset:8
	;; [unrolled: 1-line block ×3, first 2 shown]
	s_waitcnt vmcnt(0)
	ds_write_b128 v14, v[1:4]
	s_waitcnt lgkmcnt(0)
	s_waitcnt_vscnt null, 0x0
	s_barrier
	buffer_gl0_inv
	s_and_saveexec_b32 s6, s5
	s_cbranch_execz .LBB51_163
; %bb.156:
	ds_read_b128 v[1:4], v14
	s_andn2_b32 vcc_lo, exec_lo, s60
	s_cbranch_vccnz .LBB51_158
; %bb.157:
	s_clause 0x3
	buffer_load_dword v15, v13, s[0:3], 0 offen offset:8
	buffer_load_dword v16, v13, s[0:3], 0 offen offset:12
	buffer_load_dword v113, v13, s[0:3], 0 offen
	buffer_load_dword v114, v13, s[0:3], 0 offen offset:4
	s_waitcnt vmcnt(2) lgkmcnt(0)
	v_mul_f64 v[115:116], v[3:4], v[15:16]
	v_mul_f64 v[15:16], v[1:2], v[15:16]
	s_waitcnt vmcnt(0)
	v_fma_f64 v[1:2], v[1:2], v[113:114], -v[115:116]
	v_fma_f64 v[3:4], v[3:4], v[113:114], v[15:16]
.LBB51_158:
	s_and_saveexec_b32 s8, s4
	s_cbranch_execz .LBB51_162
; %bb.159:
	v_subrev_nc_u32_e32 v15, 32, v0
	s_movk_i32 s61, 0x540
	s_mov_b32 s4, 0
	s_mov_b32 s62, s27
	.p2align	6
.LBB51_160:                             ; =>This Inner Loop Header: Depth=1
	v_mov_b32_e32 v16, s62
	v_add_nc_u32_e32 v15, -1, v15
	s_add_i32 s62, s62, 16
	s_clause 0x3
	buffer_load_dword v117, v16, s[0:3], 0 offen offset:8
	buffer_load_dword v118, v16, s[0:3], 0 offen offset:12
	buffer_load_dword v119, v16, s[0:3], 0 offen
	buffer_load_dword v120, v16, s[0:3], 0 offen offset:4
	v_mov_b32_e32 v16, s61
	v_cmp_eq_u32_e32 vcc_lo, 0, v15
	s_add_i32 s61, s61, 16
	ds_read_b128 v[113:116], v16
	s_or_b32 s4, vcc_lo, s4
	s_waitcnt vmcnt(2) lgkmcnt(0)
	v_mul_f64 v[121:122], v[115:116], v[117:118]
	v_mul_f64 v[117:118], v[113:114], v[117:118]
	s_waitcnt vmcnt(0)
	v_fma_f64 v[113:114], v[113:114], v[119:120], -v[121:122]
	v_fma_f64 v[115:116], v[115:116], v[119:120], v[117:118]
	v_add_f64 v[1:2], v[1:2], v[113:114]
	v_add_f64 v[3:4], v[3:4], v[115:116]
	s_andn2_b32 exec_lo, exec_lo, s4
	s_cbranch_execnz .LBB51_160
; %bb.161:
	s_or_b32 exec_lo, exec_lo, s4
.LBB51_162:
	s_or_b32 exec_lo, exec_lo, s8
	v_mov_b32_e32 v15, 0
	ds_read_b128 v[113:116], v15 offset:496
	s_waitcnt lgkmcnt(0)
	v_mul_f64 v[15:16], v[3:4], v[115:116]
	v_mul_f64 v[115:116], v[1:2], v[115:116]
	v_fma_f64 v[1:2], v[1:2], v[113:114], -v[15:16]
	v_fma_f64 v[3:4], v[3:4], v[113:114], v[115:116]
	buffer_store_dword v2, off, s[0:3], 0 offset:500
	buffer_store_dword v1, off, s[0:3], 0 offset:496
	;; [unrolled: 1-line block ×4, first 2 shown]
.LBB51_163:
	s_or_b32 exec_lo, exec_lo, s6
	v_mov_b32_e32 v4, s29
	v_cmp_lt_u32_e64 s4, 30, v0
	s_clause 0x3
	buffer_load_dword v1, v4, s[0:3], 0 offen
	buffer_load_dword v2, v4, s[0:3], 0 offen offset:4
	buffer_load_dword v3, v4, s[0:3], 0 offen offset:8
	;; [unrolled: 1-line block ×3, first 2 shown]
	s_waitcnt vmcnt(0)
	ds_write_b128 v14, v[1:4]
	s_waitcnt lgkmcnt(0)
	s_waitcnt_vscnt null, 0x0
	s_barrier
	buffer_gl0_inv
	s_and_saveexec_b32 s6, s4
	s_cbranch_execz .LBB51_171
; %bb.164:
	ds_read_b128 v[1:4], v14
	s_andn2_b32 vcc_lo, exec_lo, s60
	s_cbranch_vccnz .LBB51_166
; %bb.165:
	s_clause 0x3
	buffer_load_dword v15, v13, s[0:3], 0 offen offset:8
	buffer_load_dword v16, v13, s[0:3], 0 offen offset:12
	buffer_load_dword v113, v13, s[0:3], 0 offen
	buffer_load_dword v114, v13, s[0:3], 0 offen offset:4
	s_waitcnt vmcnt(2) lgkmcnt(0)
	v_mul_f64 v[115:116], v[3:4], v[15:16]
	v_mul_f64 v[15:16], v[1:2], v[15:16]
	s_waitcnt vmcnt(0)
	v_fma_f64 v[1:2], v[1:2], v[113:114], -v[115:116]
	v_fma_f64 v[3:4], v[3:4], v[113:114], v[15:16]
.LBB51_166:
	s_and_saveexec_b32 s8, s5
	s_cbranch_execz .LBB51_170
; %bb.167:
	v_subrev_nc_u32_e32 v15, 31, v0
	s_movk_i32 s61, 0x530
	s_mov_b32 s5, 0
	s_mov_b32 s62, s28
	.p2align	6
.LBB51_168:                             ; =>This Inner Loop Header: Depth=1
	v_mov_b32_e32 v16, s62
	v_add_nc_u32_e32 v15, -1, v15
	s_add_i32 s62, s62, 16
	s_clause 0x3
	buffer_load_dword v117, v16, s[0:3], 0 offen offset:8
	buffer_load_dword v118, v16, s[0:3], 0 offen offset:12
	buffer_load_dword v119, v16, s[0:3], 0 offen
	buffer_load_dword v120, v16, s[0:3], 0 offen offset:4
	v_mov_b32_e32 v16, s61
	v_cmp_eq_u32_e32 vcc_lo, 0, v15
	s_add_i32 s61, s61, 16
	ds_read_b128 v[113:116], v16
	s_or_b32 s5, vcc_lo, s5
	s_waitcnt vmcnt(2) lgkmcnt(0)
	v_mul_f64 v[121:122], v[115:116], v[117:118]
	v_mul_f64 v[117:118], v[113:114], v[117:118]
	s_waitcnt vmcnt(0)
	v_fma_f64 v[113:114], v[113:114], v[119:120], -v[121:122]
	v_fma_f64 v[115:116], v[115:116], v[119:120], v[117:118]
	v_add_f64 v[1:2], v[1:2], v[113:114]
	v_add_f64 v[3:4], v[3:4], v[115:116]
	s_andn2_b32 exec_lo, exec_lo, s5
	s_cbranch_execnz .LBB51_168
; %bb.169:
	s_or_b32 exec_lo, exec_lo, s5
.LBB51_170:
	s_or_b32 exec_lo, exec_lo, s8
	v_mov_b32_e32 v15, 0
	ds_read_b128 v[113:116], v15 offset:480
	s_waitcnt lgkmcnt(0)
	v_mul_f64 v[15:16], v[3:4], v[115:116]
	v_mul_f64 v[115:116], v[1:2], v[115:116]
	v_fma_f64 v[1:2], v[1:2], v[113:114], -v[15:16]
	v_fma_f64 v[3:4], v[3:4], v[113:114], v[115:116]
	buffer_store_dword v2, off, s[0:3], 0 offset:484
	buffer_store_dword v1, off, s[0:3], 0 offset:480
	;; [unrolled: 1-line block ×4, first 2 shown]
.LBB51_171:
	s_or_b32 exec_lo, exec_lo, s6
	v_mov_b32_e32 v4, s30
	v_cmp_lt_u32_e64 s5, 29, v0
	s_clause 0x3
	buffer_load_dword v1, v4, s[0:3], 0 offen
	buffer_load_dword v2, v4, s[0:3], 0 offen offset:4
	buffer_load_dword v3, v4, s[0:3], 0 offen offset:8
	;; [unrolled: 1-line block ×3, first 2 shown]
	s_waitcnt vmcnt(0)
	ds_write_b128 v14, v[1:4]
	s_waitcnt lgkmcnt(0)
	s_waitcnt_vscnt null, 0x0
	s_barrier
	buffer_gl0_inv
	s_and_saveexec_b32 s6, s5
	s_cbranch_execz .LBB51_179
; %bb.172:
	ds_read_b128 v[1:4], v14
	s_andn2_b32 vcc_lo, exec_lo, s60
	s_cbranch_vccnz .LBB51_174
; %bb.173:
	s_clause 0x3
	buffer_load_dword v15, v13, s[0:3], 0 offen offset:8
	buffer_load_dword v16, v13, s[0:3], 0 offen offset:12
	buffer_load_dword v113, v13, s[0:3], 0 offen
	buffer_load_dword v114, v13, s[0:3], 0 offen offset:4
	s_waitcnt vmcnt(2) lgkmcnt(0)
	v_mul_f64 v[115:116], v[3:4], v[15:16]
	v_mul_f64 v[15:16], v[1:2], v[15:16]
	s_waitcnt vmcnt(0)
	v_fma_f64 v[1:2], v[1:2], v[113:114], -v[115:116]
	v_fma_f64 v[3:4], v[3:4], v[113:114], v[15:16]
.LBB51_174:
	s_and_saveexec_b32 s8, s4
	s_cbranch_execz .LBB51_178
; %bb.175:
	v_subrev_nc_u32_e32 v15, 30, v0
	s_movk_i32 s61, 0x520
	s_mov_b32 s4, 0
	s_mov_b32 s62, s29
	.p2align	6
.LBB51_176:                             ; =>This Inner Loop Header: Depth=1
	v_mov_b32_e32 v16, s62
	v_add_nc_u32_e32 v15, -1, v15
	s_add_i32 s62, s62, 16
	s_clause 0x3
	buffer_load_dword v117, v16, s[0:3], 0 offen offset:8
	buffer_load_dword v118, v16, s[0:3], 0 offen offset:12
	buffer_load_dword v119, v16, s[0:3], 0 offen
	buffer_load_dword v120, v16, s[0:3], 0 offen offset:4
	v_mov_b32_e32 v16, s61
	v_cmp_eq_u32_e32 vcc_lo, 0, v15
	s_add_i32 s61, s61, 16
	ds_read_b128 v[113:116], v16
	s_or_b32 s4, vcc_lo, s4
	s_waitcnt vmcnt(2) lgkmcnt(0)
	v_mul_f64 v[121:122], v[115:116], v[117:118]
	v_mul_f64 v[117:118], v[113:114], v[117:118]
	s_waitcnt vmcnt(0)
	v_fma_f64 v[113:114], v[113:114], v[119:120], -v[121:122]
	v_fma_f64 v[115:116], v[115:116], v[119:120], v[117:118]
	v_add_f64 v[1:2], v[1:2], v[113:114]
	v_add_f64 v[3:4], v[3:4], v[115:116]
	s_andn2_b32 exec_lo, exec_lo, s4
	s_cbranch_execnz .LBB51_176
; %bb.177:
	s_or_b32 exec_lo, exec_lo, s4
.LBB51_178:
	s_or_b32 exec_lo, exec_lo, s8
	v_mov_b32_e32 v15, 0
	ds_read_b128 v[113:116], v15 offset:464
	s_waitcnt lgkmcnt(0)
	v_mul_f64 v[15:16], v[3:4], v[115:116]
	v_mul_f64 v[115:116], v[1:2], v[115:116]
	v_fma_f64 v[1:2], v[1:2], v[113:114], -v[15:16]
	v_fma_f64 v[3:4], v[3:4], v[113:114], v[115:116]
	buffer_store_dword v2, off, s[0:3], 0 offset:468
	buffer_store_dword v1, off, s[0:3], 0 offset:464
	;; [unrolled: 1-line block ×4, first 2 shown]
.LBB51_179:
	s_or_b32 exec_lo, exec_lo, s6
	v_mov_b32_e32 v4, s31
	v_cmp_lt_u32_e64 s4, 28, v0
	s_clause 0x3
	buffer_load_dword v1, v4, s[0:3], 0 offen
	buffer_load_dword v2, v4, s[0:3], 0 offen offset:4
	buffer_load_dword v3, v4, s[0:3], 0 offen offset:8
	;; [unrolled: 1-line block ×3, first 2 shown]
	s_waitcnt vmcnt(0)
	ds_write_b128 v14, v[1:4]
	s_waitcnt lgkmcnt(0)
	s_waitcnt_vscnt null, 0x0
	s_barrier
	buffer_gl0_inv
	s_and_saveexec_b32 s6, s4
	s_cbranch_execz .LBB51_187
; %bb.180:
	ds_read_b128 v[1:4], v14
	s_andn2_b32 vcc_lo, exec_lo, s60
	s_cbranch_vccnz .LBB51_182
; %bb.181:
	s_clause 0x3
	buffer_load_dword v15, v13, s[0:3], 0 offen offset:8
	buffer_load_dword v16, v13, s[0:3], 0 offen offset:12
	buffer_load_dword v113, v13, s[0:3], 0 offen
	buffer_load_dword v114, v13, s[0:3], 0 offen offset:4
	s_waitcnt vmcnt(2) lgkmcnt(0)
	v_mul_f64 v[115:116], v[3:4], v[15:16]
	v_mul_f64 v[15:16], v[1:2], v[15:16]
	s_waitcnt vmcnt(0)
	v_fma_f64 v[1:2], v[1:2], v[113:114], -v[115:116]
	v_fma_f64 v[3:4], v[3:4], v[113:114], v[15:16]
.LBB51_182:
	s_and_saveexec_b32 s8, s5
	s_cbranch_execz .LBB51_186
; %bb.183:
	v_subrev_nc_u32_e32 v15, 29, v0
	s_movk_i32 s61, 0x510
	s_mov_b32 s5, 0
	s_mov_b32 s62, s30
	.p2align	6
.LBB51_184:                             ; =>This Inner Loop Header: Depth=1
	v_mov_b32_e32 v16, s62
	v_add_nc_u32_e32 v15, -1, v15
	s_add_i32 s62, s62, 16
	s_clause 0x3
	buffer_load_dword v117, v16, s[0:3], 0 offen offset:8
	buffer_load_dword v118, v16, s[0:3], 0 offen offset:12
	buffer_load_dword v119, v16, s[0:3], 0 offen
	buffer_load_dword v120, v16, s[0:3], 0 offen offset:4
	v_mov_b32_e32 v16, s61
	v_cmp_eq_u32_e32 vcc_lo, 0, v15
	s_add_i32 s61, s61, 16
	ds_read_b128 v[113:116], v16
	s_or_b32 s5, vcc_lo, s5
	s_waitcnt vmcnt(2) lgkmcnt(0)
	v_mul_f64 v[121:122], v[115:116], v[117:118]
	v_mul_f64 v[117:118], v[113:114], v[117:118]
	s_waitcnt vmcnt(0)
	v_fma_f64 v[113:114], v[113:114], v[119:120], -v[121:122]
	v_fma_f64 v[115:116], v[115:116], v[119:120], v[117:118]
	v_add_f64 v[1:2], v[1:2], v[113:114]
	v_add_f64 v[3:4], v[3:4], v[115:116]
	s_andn2_b32 exec_lo, exec_lo, s5
	s_cbranch_execnz .LBB51_184
; %bb.185:
	s_or_b32 exec_lo, exec_lo, s5
.LBB51_186:
	s_or_b32 exec_lo, exec_lo, s8
	v_mov_b32_e32 v15, 0
	ds_read_b128 v[113:116], v15 offset:448
	s_waitcnt lgkmcnt(0)
	v_mul_f64 v[15:16], v[3:4], v[115:116]
	v_mul_f64 v[115:116], v[1:2], v[115:116]
	v_fma_f64 v[1:2], v[1:2], v[113:114], -v[15:16]
	v_fma_f64 v[3:4], v[3:4], v[113:114], v[115:116]
	buffer_store_dword v2, off, s[0:3], 0 offset:452
	buffer_store_dword v1, off, s[0:3], 0 offset:448
	;; [unrolled: 1-line block ×4, first 2 shown]
.LBB51_187:
	s_or_b32 exec_lo, exec_lo, s6
	v_mov_b32_e32 v4, s33
	v_cmp_lt_u32_e64 s5, 27, v0
	s_clause 0x3
	buffer_load_dword v1, v4, s[0:3], 0 offen
	buffer_load_dword v2, v4, s[0:3], 0 offen offset:4
	buffer_load_dword v3, v4, s[0:3], 0 offen offset:8
	;; [unrolled: 1-line block ×3, first 2 shown]
	s_waitcnt vmcnt(0)
	ds_write_b128 v14, v[1:4]
	s_waitcnt lgkmcnt(0)
	s_waitcnt_vscnt null, 0x0
	s_barrier
	buffer_gl0_inv
	s_and_saveexec_b32 s6, s5
	s_cbranch_execz .LBB51_195
; %bb.188:
	ds_read_b128 v[1:4], v14
	s_andn2_b32 vcc_lo, exec_lo, s60
	s_cbranch_vccnz .LBB51_190
; %bb.189:
	s_clause 0x3
	buffer_load_dword v15, v13, s[0:3], 0 offen offset:8
	buffer_load_dword v16, v13, s[0:3], 0 offen offset:12
	buffer_load_dword v113, v13, s[0:3], 0 offen
	buffer_load_dword v114, v13, s[0:3], 0 offen offset:4
	s_waitcnt vmcnt(2) lgkmcnt(0)
	v_mul_f64 v[115:116], v[3:4], v[15:16]
	v_mul_f64 v[15:16], v[1:2], v[15:16]
	s_waitcnt vmcnt(0)
	v_fma_f64 v[1:2], v[1:2], v[113:114], -v[115:116]
	v_fma_f64 v[3:4], v[3:4], v[113:114], v[15:16]
.LBB51_190:
	s_and_saveexec_b32 s8, s4
	s_cbranch_execz .LBB51_194
; %bb.191:
	v_subrev_nc_u32_e32 v15, 28, v0
	s_movk_i32 s61, 0x500
	s_mov_b32 s4, 0
	s_mov_b32 s62, s31
	.p2align	6
.LBB51_192:                             ; =>This Inner Loop Header: Depth=1
	v_mov_b32_e32 v16, s62
	v_add_nc_u32_e32 v15, -1, v15
	s_add_i32 s62, s62, 16
	s_clause 0x3
	buffer_load_dword v117, v16, s[0:3], 0 offen offset:8
	buffer_load_dword v118, v16, s[0:3], 0 offen offset:12
	buffer_load_dword v119, v16, s[0:3], 0 offen
	buffer_load_dword v120, v16, s[0:3], 0 offen offset:4
	v_mov_b32_e32 v16, s61
	v_cmp_eq_u32_e32 vcc_lo, 0, v15
	s_add_i32 s61, s61, 16
	ds_read_b128 v[113:116], v16
	s_or_b32 s4, vcc_lo, s4
	s_waitcnt vmcnt(2) lgkmcnt(0)
	v_mul_f64 v[121:122], v[115:116], v[117:118]
	v_mul_f64 v[117:118], v[113:114], v[117:118]
	s_waitcnt vmcnt(0)
	v_fma_f64 v[113:114], v[113:114], v[119:120], -v[121:122]
	v_fma_f64 v[115:116], v[115:116], v[119:120], v[117:118]
	v_add_f64 v[1:2], v[1:2], v[113:114]
	v_add_f64 v[3:4], v[3:4], v[115:116]
	s_andn2_b32 exec_lo, exec_lo, s4
	s_cbranch_execnz .LBB51_192
; %bb.193:
	s_or_b32 exec_lo, exec_lo, s4
.LBB51_194:
	s_or_b32 exec_lo, exec_lo, s8
	v_mov_b32_e32 v15, 0
	ds_read_b128 v[113:116], v15 offset:432
	s_waitcnt lgkmcnt(0)
	v_mul_f64 v[15:16], v[3:4], v[115:116]
	v_mul_f64 v[115:116], v[1:2], v[115:116]
	v_fma_f64 v[1:2], v[1:2], v[113:114], -v[15:16]
	v_fma_f64 v[3:4], v[3:4], v[113:114], v[115:116]
	buffer_store_dword v2, off, s[0:3], 0 offset:436
	buffer_store_dword v1, off, s[0:3], 0 offset:432
	;; [unrolled: 1-line block ×4, first 2 shown]
.LBB51_195:
	s_or_b32 exec_lo, exec_lo, s6
	v_mov_b32_e32 v4, s34
	v_cmp_lt_u32_e64 s4, 26, v0
	s_clause 0x3
	buffer_load_dword v1, v4, s[0:3], 0 offen
	buffer_load_dword v2, v4, s[0:3], 0 offen offset:4
	buffer_load_dword v3, v4, s[0:3], 0 offen offset:8
	;; [unrolled: 1-line block ×3, first 2 shown]
	s_waitcnt vmcnt(0)
	ds_write_b128 v14, v[1:4]
	s_waitcnt lgkmcnt(0)
	s_waitcnt_vscnt null, 0x0
	s_barrier
	buffer_gl0_inv
	s_and_saveexec_b32 s6, s4
	s_cbranch_execz .LBB51_203
; %bb.196:
	ds_read_b128 v[1:4], v14
	s_andn2_b32 vcc_lo, exec_lo, s60
	s_cbranch_vccnz .LBB51_198
; %bb.197:
	s_clause 0x3
	buffer_load_dword v15, v13, s[0:3], 0 offen offset:8
	buffer_load_dword v16, v13, s[0:3], 0 offen offset:12
	buffer_load_dword v113, v13, s[0:3], 0 offen
	buffer_load_dword v114, v13, s[0:3], 0 offen offset:4
	s_waitcnt vmcnt(2) lgkmcnt(0)
	v_mul_f64 v[115:116], v[3:4], v[15:16]
	v_mul_f64 v[15:16], v[1:2], v[15:16]
	s_waitcnt vmcnt(0)
	v_fma_f64 v[1:2], v[1:2], v[113:114], -v[115:116]
	v_fma_f64 v[3:4], v[3:4], v[113:114], v[15:16]
.LBB51_198:
	s_and_saveexec_b32 s8, s5
	s_cbranch_execz .LBB51_202
; %bb.199:
	v_subrev_nc_u32_e32 v15, 27, v0
	s_movk_i32 s61, 0x4f0
	s_mov_b32 s5, 0
	s_mov_b32 s62, s33
	.p2align	6
.LBB51_200:                             ; =>This Inner Loop Header: Depth=1
	v_mov_b32_e32 v16, s62
	v_add_nc_u32_e32 v15, -1, v15
	s_add_i32 s62, s62, 16
	s_clause 0x3
	buffer_load_dword v117, v16, s[0:3], 0 offen offset:8
	buffer_load_dword v118, v16, s[0:3], 0 offen offset:12
	buffer_load_dword v119, v16, s[0:3], 0 offen
	buffer_load_dword v120, v16, s[0:3], 0 offen offset:4
	v_mov_b32_e32 v16, s61
	v_cmp_eq_u32_e32 vcc_lo, 0, v15
	s_add_i32 s61, s61, 16
	ds_read_b128 v[113:116], v16
	s_or_b32 s5, vcc_lo, s5
	s_waitcnt vmcnt(2) lgkmcnt(0)
	v_mul_f64 v[121:122], v[115:116], v[117:118]
	v_mul_f64 v[117:118], v[113:114], v[117:118]
	s_waitcnt vmcnt(0)
	v_fma_f64 v[113:114], v[113:114], v[119:120], -v[121:122]
	v_fma_f64 v[115:116], v[115:116], v[119:120], v[117:118]
	v_add_f64 v[1:2], v[1:2], v[113:114]
	v_add_f64 v[3:4], v[3:4], v[115:116]
	s_andn2_b32 exec_lo, exec_lo, s5
	s_cbranch_execnz .LBB51_200
; %bb.201:
	s_or_b32 exec_lo, exec_lo, s5
.LBB51_202:
	s_or_b32 exec_lo, exec_lo, s8
	v_mov_b32_e32 v15, 0
	ds_read_b128 v[113:116], v15 offset:416
	s_waitcnt lgkmcnt(0)
	v_mul_f64 v[15:16], v[3:4], v[115:116]
	v_mul_f64 v[115:116], v[1:2], v[115:116]
	v_fma_f64 v[1:2], v[1:2], v[113:114], -v[15:16]
	v_fma_f64 v[3:4], v[3:4], v[113:114], v[115:116]
	buffer_store_dword v2, off, s[0:3], 0 offset:420
	buffer_store_dword v1, off, s[0:3], 0 offset:416
	;; [unrolled: 1-line block ×4, first 2 shown]
.LBB51_203:
	s_or_b32 exec_lo, exec_lo, s6
	v_mov_b32_e32 v4, s35
	v_cmp_lt_u32_e64 s5, 25, v0
	s_clause 0x3
	buffer_load_dword v1, v4, s[0:3], 0 offen
	buffer_load_dword v2, v4, s[0:3], 0 offen offset:4
	buffer_load_dword v3, v4, s[0:3], 0 offen offset:8
	buffer_load_dword v4, v4, s[0:3], 0 offen offset:12
	s_waitcnt vmcnt(0)
	ds_write_b128 v14, v[1:4]
	s_waitcnt lgkmcnt(0)
	s_waitcnt_vscnt null, 0x0
	s_barrier
	buffer_gl0_inv
	s_and_saveexec_b32 s6, s5
	s_cbranch_execz .LBB51_211
; %bb.204:
	ds_read_b128 v[1:4], v14
	s_andn2_b32 vcc_lo, exec_lo, s60
	s_cbranch_vccnz .LBB51_206
; %bb.205:
	s_clause 0x3
	buffer_load_dword v15, v13, s[0:3], 0 offen offset:8
	buffer_load_dword v16, v13, s[0:3], 0 offen offset:12
	buffer_load_dword v113, v13, s[0:3], 0 offen
	buffer_load_dword v114, v13, s[0:3], 0 offen offset:4
	s_waitcnt vmcnt(2) lgkmcnt(0)
	v_mul_f64 v[115:116], v[3:4], v[15:16]
	v_mul_f64 v[15:16], v[1:2], v[15:16]
	s_waitcnt vmcnt(0)
	v_fma_f64 v[1:2], v[1:2], v[113:114], -v[115:116]
	v_fma_f64 v[3:4], v[3:4], v[113:114], v[15:16]
.LBB51_206:
	s_and_saveexec_b32 s8, s4
	s_cbranch_execz .LBB51_210
; %bb.207:
	v_subrev_nc_u32_e32 v15, 26, v0
	s_movk_i32 s61, 0x4e0
	s_mov_b32 s4, 0
	s_mov_b32 s62, s34
	.p2align	6
.LBB51_208:                             ; =>This Inner Loop Header: Depth=1
	v_mov_b32_e32 v16, s62
	v_add_nc_u32_e32 v15, -1, v15
	s_add_i32 s62, s62, 16
	s_clause 0x3
	buffer_load_dword v117, v16, s[0:3], 0 offen offset:8
	buffer_load_dword v118, v16, s[0:3], 0 offen offset:12
	buffer_load_dword v119, v16, s[0:3], 0 offen
	buffer_load_dword v120, v16, s[0:3], 0 offen offset:4
	v_mov_b32_e32 v16, s61
	v_cmp_eq_u32_e32 vcc_lo, 0, v15
	s_add_i32 s61, s61, 16
	ds_read_b128 v[113:116], v16
	s_or_b32 s4, vcc_lo, s4
	s_waitcnt vmcnt(2) lgkmcnt(0)
	v_mul_f64 v[121:122], v[115:116], v[117:118]
	v_mul_f64 v[117:118], v[113:114], v[117:118]
	s_waitcnt vmcnt(0)
	v_fma_f64 v[113:114], v[113:114], v[119:120], -v[121:122]
	v_fma_f64 v[115:116], v[115:116], v[119:120], v[117:118]
	v_add_f64 v[1:2], v[1:2], v[113:114]
	v_add_f64 v[3:4], v[3:4], v[115:116]
	s_andn2_b32 exec_lo, exec_lo, s4
	s_cbranch_execnz .LBB51_208
; %bb.209:
	s_or_b32 exec_lo, exec_lo, s4
.LBB51_210:
	s_or_b32 exec_lo, exec_lo, s8
	v_mov_b32_e32 v15, 0
	ds_read_b128 v[113:116], v15 offset:400
	s_waitcnt lgkmcnt(0)
	v_mul_f64 v[15:16], v[3:4], v[115:116]
	v_mul_f64 v[115:116], v[1:2], v[115:116]
	v_fma_f64 v[1:2], v[1:2], v[113:114], -v[15:16]
	v_fma_f64 v[3:4], v[3:4], v[113:114], v[115:116]
	buffer_store_dword v2, off, s[0:3], 0 offset:404
	buffer_store_dword v1, off, s[0:3], 0 offset:400
	buffer_store_dword v4, off, s[0:3], 0 offset:412
	buffer_store_dword v3, off, s[0:3], 0 offset:408
.LBB51_211:
	s_or_b32 exec_lo, exec_lo, s6
	v_mov_b32_e32 v4, s36
	v_cmp_lt_u32_e64 s4, 24, v0
	s_clause 0x3
	buffer_load_dword v1, v4, s[0:3], 0 offen
	buffer_load_dword v2, v4, s[0:3], 0 offen offset:4
	buffer_load_dword v3, v4, s[0:3], 0 offen offset:8
	;; [unrolled: 1-line block ×3, first 2 shown]
	s_waitcnt vmcnt(0)
	ds_write_b128 v14, v[1:4]
	s_waitcnt lgkmcnt(0)
	s_waitcnt_vscnt null, 0x0
	s_barrier
	buffer_gl0_inv
	s_and_saveexec_b32 s6, s4
	s_cbranch_execz .LBB51_219
; %bb.212:
	ds_read_b128 v[1:4], v14
	s_andn2_b32 vcc_lo, exec_lo, s60
	s_cbranch_vccnz .LBB51_214
; %bb.213:
	s_clause 0x3
	buffer_load_dword v15, v13, s[0:3], 0 offen offset:8
	buffer_load_dword v16, v13, s[0:3], 0 offen offset:12
	buffer_load_dword v113, v13, s[0:3], 0 offen
	buffer_load_dword v114, v13, s[0:3], 0 offen offset:4
	s_waitcnt vmcnt(2) lgkmcnt(0)
	v_mul_f64 v[115:116], v[3:4], v[15:16]
	v_mul_f64 v[15:16], v[1:2], v[15:16]
	s_waitcnt vmcnt(0)
	v_fma_f64 v[1:2], v[1:2], v[113:114], -v[115:116]
	v_fma_f64 v[3:4], v[3:4], v[113:114], v[15:16]
.LBB51_214:
	s_and_saveexec_b32 s8, s5
	s_cbranch_execz .LBB51_218
; %bb.215:
	v_subrev_nc_u32_e32 v15, 25, v0
	s_movk_i32 s61, 0x4d0
	s_mov_b32 s5, 0
	s_mov_b32 s62, s35
	.p2align	6
.LBB51_216:                             ; =>This Inner Loop Header: Depth=1
	v_mov_b32_e32 v16, s62
	v_add_nc_u32_e32 v15, -1, v15
	s_add_i32 s62, s62, 16
	s_clause 0x3
	buffer_load_dword v117, v16, s[0:3], 0 offen offset:8
	buffer_load_dword v118, v16, s[0:3], 0 offen offset:12
	buffer_load_dword v119, v16, s[0:3], 0 offen
	buffer_load_dword v120, v16, s[0:3], 0 offen offset:4
	v_mov_b32_e32 v16, s61
	v_cmp_eq_u32_e32 vcc_lo, 0, v15
	s_add_i32 s61, s61, 16
	ds_read_b128 v[113:116], v16
	s_or_b32 s5, vcc_lo, s5
	s_waitcnt vmcnt(2) lgkmcnt(0)
	v_mul_f64 v[121:122], v[115:116], v[117:118]
	v_mul_f64 v[117:118], v[113:114], v[117:118]
	s_waitcnt vmcnt(0)
	v_fma_f64 v[113:114], v[113:114], v[119:120], -v[121:122]
	v_fma_f64 v[115:116], v[115:116], v[119:120], v[117:118]
	v_add_f64 v[1:2], v[1:2], v[113:114]
	v_add_f64 v[3:4], v[3:4], v[115:116]
	s_andn2_b32 exec_lo, exec_lo, s5
	s_cbranch_execnz .LBB51_216
; %bb.217:
	s_or_b32 exec_lo, exec_lo, s5
.LBB51_218:
	s_or_b32 exec_lo, exec_lo, s8
	v_mov_b32_e32 v15, 0
	ds_read_b128 v[113:116], v15 offset:384
	s_waitcnt lgkmcnt(0)
	v_mul_f64 v[15:16], v[3:4], v[115:116]
	v_mul_f64 v[115:116], v[1:2], v[115:116]
	v_fma_f64 v[1:2], v[1:2], v[113:114], -v[15:16]
	v_fma_f64 v[3:4], v[3:4], v[113:114], v[115:116]
	buffer_store_dword v2, off, s[0:3], 0 offset:388
	buffer_store_dword v1, off, s[0:3], 0 offset:384
	;; [unrolled: 1-line block ×4, first 2 shown]
.LBB51_219:
	s_or_b32 exec_lo, exec_lo, s6
	v_mov_b32_e32 v4, s37
	v_cmp_lt_u32_e64 s5, 23, v0
	s_clause 0x3
	buffer_load_dword v1, v4, s[0:3], 0 offen
	buffer_load_dword v2, v4, s[0:3], 0 offen offset:4
	buffer_load_dword v3, v4, s[0:3], 0 offen offset:8
	;; [unrolled: 1-line block ×3, first 2 shown]
	s_waitcnt vmcnt(0)
	ds_write_b128 v14, v[1:4]
	s_waitcnt lgkmcnt(0)
	s_waitcnt_vscnt null, 0x0
	s_barrier
	buffer_gl0_inv
	s_and_saveexec_b32 s6, s5
	s_cbranch_execz .LBB51_227
; %bb.220:
	ds_read_b128 v[1:4], v14
	s_andn2_b32 vcc_lo, exec_lo, s60
	s_cbranch_vccnz .LBB51_222
; %bb.221:
	s_clause 0x3
	buffer_load_dword v15, v13, s[0:3], 0 offen offset:8
	buffer_load_dword v16, v13, s[0:3], 0 offen offset:12
	buffer_load_dword v113, v13, s[0:3], 0 offen
	buffer_load_dword v114, v13, s[0:3], 0 offen offset:4
	s_waitcnt vmcnt(2) lgkmcnt(0)
	v_mul_f64 v[115:116], v[3:4], v[15:16]
	v_mul_f64 v[15:16], v[1:2], v[15:16]
	s_waitcnt vmcnt(0)
	v_fma_f64 v[1:2], v[1:2], v[113:114], -v[115:116]
	v_fma_f64 v[3:4], v[3:4], v[113:114], v[15:16]
.LBB51_222:
	s_and_saveexec_b32 s8, s4
	s_cbranch_execz .LBB51_226
; %bb.223:
	v_subrev_nc_u32_e32 v15, 24, v0
	s_movk_i32 s61, 0x4c0
	s_mov_b32 s4, 0
	s_mov_b32 s62, s36
	.p2align	6
.LBB51_224:                             ; =>This Inner Loop Header: Depth=1
	v_mov_b32_e32 v16, s62
	v_add_nc_u32_e32 v15, -1, v15
	s_add_i32 s62, s62, 16
	s_clause 0x3
	buffer_load_dword v117, v16, s[0:3], 0 offen offset:8
	buffer_load_dword v118, v16, s[0:3], 0 offen offset:12
	buffer_load_dword v119, v16, s[0:3], 0 offen
	buffer_load_dword v120, v16, s[0:3], 0 offen offset:4
	v_mov_b32_e32 v16, s61
	v_cmp_eq_u32_e32 vcc_lo, 0, v15
	s_add_i32 s61, s61, 16
	ds_read_b128 v[113:116], v16
	s_or_b32 s4, vcc_lo, s4
	s_waitcnt vmcnt(2) lgkmcnt(0)
	v_mul_f64 v[121:122], v[115:116], v[117:118]
	v_mul_f64 v[117:118], v[113:114], v[117:118]
	s_waitcnt vmcnt(0)
	v_fma_f64 v[113:114], v[113:114], v[119:120], -v[121:122]
	v_fma_f64 v[115:116], v[115:116], v[119:120], v[117:118]
	v_add_f64 v[1:2], v[1:2], v[113:114]
	v_add_f64 v[3:4], v[3:4], v[115:116]
	s_andn2_b32 exec_lo, exec_lo, s4
	s_cbranch_execnz .LBB51_224
; %bb.225:
	s_or_b32 exec_lo, exec_lo, s4
.LBB51_226:
	s_or_b32 exec_lo, exec_lo, s8
	v_mov_b32_e32 v15, 0
	ds_read_b128 v[113:116], v15 offset:368
	s_waitcnt lgkmcnt(0)
	v_mul_f64 v[15:16], v[3:4], v[115:116]
	v_mul_f64 v[115:116], v[1:2], v[115:116]
	v_fma_f64 v[1:2], v[1:2], v[113:114], -v[15:16]
	v_fma_f64 v[3:4], v[3:4], v[113:114], v[115:116]
	buffer_store_dword v2, off, s[0:3], 0 offset:372
	buffer_store_dword v1, off, s[0:3], 0 offset:368
	;; [unrolled: 1-line block ×4, first 2 shown]
.LBB51_227:
	s_or_b32 exec_lo, exec_lo, s6
	v_mov_b32_e32 v4, s38
	v_cmp_lt_u32_e64 s4, 22, v0
	s_clause 0x3
	buffer_load_dword v1, v4, s[0:3], 0 offen
	buffer_load_dword v2, v4, s[0:3], 0 offen offset:4
	buffer_load_dword v3, v4, s[0:3], 0 offen offset:8
	;; [unrolled: 1-line block ×3, first 2 shown]
	s_waitcnt vmcnt(0)
	ds_write_b128 v14, v[1:4]
	s_waitcnt lgkmcnt(0)
	s_waitcnt_vscnt null, 0x0
	s_barrier
	buffer_gl0_inv
	s_and_saveexec_b32 s6, s4
	s_cbranch_execz .LBB51_235
; %bb.228:
	ds_read_b128 v[1:4], v14
	s_andn2_b32 vcc_lo, exec_lo, s60
	s_cbranch_vccnz .LBB51_230
; %bb.229:
	s_clause 0x3
	buffer_load_dword v15, v13, s[0:3], 0 offen offset:8
	buffer_load_dword v16, v13, s[0:3], 0 offen offset:12
	buffer_load_dword v113, v13, s[0:3], 0 offen
	buffer_load_dword v114, v13, s[0:3], 0 offen offset:4
	s_waitcnt vmcnt(2) lgkmcnt(0)
	v_mul_f64 v[115:116], v[3:4], v[15:16]
	v_mul_f64 v[15:16], v[1:2], v[15:16]
	s_waitcnt vmcnt(0)
	v_fma_f64 v[1:2], v[1:2], v[113:114], -v[115:116]
	v_fma_f64 v[3:4], v[3:4], v[113:114], v[15:16]
.LBB51_230:
	s_and_saveexec_b32 s8, s5
	s_cbranch_execz .LBB51_234
; %bb.231:
	v_subrev_nc_u32_e32 v15, 23, v0
	s_movk_i32 s61, 0x4b0
	s_mov_b32 s5, 0
	s_mov_b32 s62, s37
	.p2align	6
.LBB51_232:                             ; =>This Inner Loop Header: Depth=1
	v_mov_b32_e32 v16, s62
	v_add_nc_u32_e32 v15, -1, v15
	s_add_i32 s62, s62, 16
	s_clause 0x3
	buffer_load_dword v117, v16, s[0:3], 0 offen offset:8
	buffer_load_dword v118, v16, s[0:3], 0 offen offset:12
	buffer_load_dword v119, v16, s[0:3], 0 offen
	buffer_load_dword v120, v16, s[0:3], 0 offen offset:4
	v_mov_b32_e32 v16, s61
	v_cmp_eq_u32_e32 vcc_lo, 0, v15
	s_add_i32 s61, s61, 16
	ds_read_b128 v[113:116], v16
	s_or_b32 s5, vcc_lo, s5
	s_waitcnt vmcnt(2) lgkmcnt(0)
	v_mul_f64 v[121:122], v[115:116], v[117:118]
	v_mul_f64 v[117:118], v[113:114], v[117:118]
	s_waitcnt vmcnt(0)
	v_fma_f64 v[113:114], v[113:114], v[119:120], -v[121:122]
	v_fma_f64 v[115:116], v[115:116], v[119:120], v[117:118]
	v_add_f64 v[1:2], v[1:2], v[113:114]
	v_add_f64 v[3:4], v[3:4], v[115:116]
	s_andn2_b32 exec_lo, exec_lo, s5
	s_cbranch_execnz .LBB51_232
; %bb.233:
	s_or_b32 exec_lo, exec_lo, s5
.LBB51_234:
	s_or_b32 exec_lo, exec_lo, s8
	v_mov_b32_e32 v15, 0
	ds_read_b128 v[113:116], v15 offset:352
	s_waitcnt lgkmcnt(0)
	v_mul_f64 v[15:16], v[3:4], v[115:116]
	v_mul_f64 v[115:116], v[1:2], v[115:116]
	v_fma_f64 v[1:2], v[1:2], v[113:114], -v[15:16]
	v_fma_f64 v[3:4], v[3:4], v[113:114], v[115:116]
	buffer_store_dword v2, off, s[0:3], 0 offset:356
	buffer_store_dword v1, off, s[0:3], 0 offset:352
	;; [unrolled: 1-line block ×4, first 2 shown]
.LBB51_235:
	s_or_b32 exec_lo, exec_lo, s6
	v_mov_b32_e32 v4, s39
	v_cmp_lt_u32_e64 s5, 21, v0
	s_clause 0x3
	buffer_load_dword v1, v4, s[0:3], 0 offen
	buffer_load_dword v2, v4, s[0:3], 0 offen offset:4
	buffer_load_dword v3, v4, s[0:3], 0 offen offset:8
	;; [unrolled: 1-line block ×3, first 2 shown]
	s_waitcnt vmcnt(0)
	ds_write_b128 v14, v[1:4]
	s_waitcnt lgkmcnt(0)
	s_waitcnt_vscnt null, 0x0
	s_barrier
	buffer_gl0_inv
	s_and_saveexec_b32 s6, s5
	s_cbranch_execz .LBB51_243
; %bb.236:
	ds_read_b128 v[1:4], v14
	s_andn2_b32 vcc_lo, exec_lo, s60
	s_cbranch_vccnz .LBB51_238
; %bb.237:
	s_clause 0x3
	buffer_load_dword v15, v13, s[0:3], 0 offen offset:8
	buffer_load_dword v16, v13, s[0:3], 0 offen offset:12
	buffer_load_dword v113, v13, s[0:3], 0 offen
	buffer_load_dword v114, v13, s[0:3], 0 offen offset:4
	s_waitcnt vmcnt(2) lgkmcnt(0)
	v_mul_f64 v[115:116], v[3:4], v[15:16]
	v_mul_f64 v[15:16], v[1:2], v[15:16]
	s_waitcnt vmcnt(0)
	v_fma_f64 v[1:2], v[1:2], v[113:114], -v[115:116]
	v_fma_f64 v[3:4], v[3:4], v[113:114], v[15:16]
.LBB51_238:
	s_and_saveexec_b32 s8, s4
	s_cbranch_execz .LBB51_242
; %bb.239:
	v_subrev_nc_u32_e32 v15, 22, v0
	s_movk_i32 s61, 0x4a0
	s_mov_b32 s4, 0
	s_mov_b32 s62, s38
	.p2align	6
.LBB51_240:                             ; =>This Inner Loop Header: Depth=1
	v_mov_b32_e32 v16, s62
	v_add_nc_u32_e32 v15, -1, v15
	s_add_i32 s62, s62, 16
	s_clause 0x3
	buffer_load_dword v117, v16, s[0:3], 0 offen offset:8
	buffer_load_dword v118, v16, s[0:3], 0 offen offset:12
	buffer_load_dword v119, v16, s[0:3], 0 offen
	buffer_load_dword v120, v16, s[0:3], 0 offen offset:4
	v_mov_b32_e32 v16, s61
	v_cmp_eq_u32_e32 vcc_lo, 0, v15
	s_add_i32 s61, s61, 16
	ds_read_b128 v[113:116], v16
	s_or_b32 s4, vcc_lo, s4
	s_waitcnt vmcnt(2) lgkmcnt(0)
	v_mul_f64 v[121:122], v[115:116], v[117:118]
	v_mul_f64 v[117:118], v[113:114], v[117:118]
	s_waitcnt vmcnt(0)
	v_fma_f64 v[113:114], v[113:114], v[119:120], -v[121:122]
	v_fma_f64 v[115:116], v[115:116], v[119:120], v[117:118]
	v_add_f64 v[1:2], v[1:2], v[113:114]
	v_add_f64 v[3:4], v[3:4], v[115:116]
	s_andn2_b32 exec_lo, exec_lo, s4
	s_cbranch_execnz .LBB51_240
; %bb.241:
	s_or_b32 exec_lo, exec_lo, s4
.LBB51_242:
	s_or_b32 exec_lo, exec_lo, s8
	v_mov_b32_e32 v15, 0
	ds_read_b128 v[113:116], v15 offset:336
	s_waitcnt lgkmcnt(0)
	v_mul_f64 v[15:16], v[3:4], v[115:116]
	v_mul_f64 v[115:116], v[1:2], v[115:116]
	v_fma_f64 v[1:2], v[1:2], v[113:114], -v[15:16]
	v_fma_f64 v[3:4], v[3:4], v[113:114], v[115:116]
	buffer_store_dword v2, off, s[0:3], 0 offset:340
	buffer_store_dword v1, off, s[0:3], 0 offset:336
	buffer_store_dword v4, off, s[0:3], 0 offset:348
	buffer_store_dword v3, off, s[0:3], 0 offset:344
.LBB51_243:
	s_or_b32 exec_lo, exec_lo, s6
	v_mov_b32_e32 v4, s40
	v_cmp_lt_u32_e64 s4, 20, v0
	s_clause 0x3
	buffer_load_dword v1, v4, s[0:3], 0 offen
	buffer_load_dword v2, v4, s[0:3], 0 offen offset:4
	buffer_load_dword v3, v4, s[0:3], 0 offen offset:8
	;; [unrolled: 1-line block ×3, first 2 shown]
	s_waitcnt vmcnt(0)
	ds_write_b128 v14, v[1:4]
	s_waitcnt lgkmcnt(0)
	s_waitcnt_vscnt null, 0x0
	s_barrier
	buffer_gl0_inv
	s_and_saveexec_b32 s6, s4
	s_cbranch_execz .LBB51_251
; %bb.244:
	ds_read_b128 v[1:4], v14
	s_andn2_b32 vcc_lo, exec_lo, s60
	s_cbranch_vccnz .LBB51_246
; %bb.245:
	s_clause 0x3
	buffer_load_dword v15, v13, s[0:3], 0 offen offset:8
	buffer_load_dword v16, v13, s[0:3], 0 offen offset:12
	buffer_load_dword v113, v13, s[0:3], 0 offen
	buffer_load_dword v114, v13, s[0:3], 0 offen offset:4
	s_waitcnt vmcnt(2) lgkmcnt(0)
	v_mul_f64 v[115:116], v[3:4], v[15:16]
	v_mul_f64 v[15:16], v[1:2], v[15:16]
	s_waitcnt vmcnt(0)
	v_fma_f64 v[1:2], v[1:2], v[113:114], -v[115:116]
	v_fma_f64 v[3:4], v[3:4], v[113:114], v[15:16]
.LBB51_246:
	s_and_saveexec_b32 s8, s5
	s_cbranch_execz .LBB51_250
; %bb.247:
	v_subrev_nc_u32_e32 v15, 21, v0
	s_movk_i32 s61, 0x490
	s_mov_b32 s5, 0
	s_mov_b32 s62, s39
	.p2align	6
.LBB51_248:                             ; =>This Inner Loop Header: Depth=1
	v_mov_b32_e32 v16, s62
	v_add_nc_u32_e32 v15, -1, v15
	s_add_i32 s62, s62, 16
	s_clause 0x3
	buffer_load_dword v117, v16, s[0:3], 0 offen offset:8
	buffer_load_dword v118, v16, s[0:3], 0 offen offset:12
	buffer_load_dword v119, v16, s[0:3], 0 offen
	buffer_load_dword v120, v16, s[0:3], 0 offen offset:4
	v_mov_b32_e32 v16, s61
	v_cmp_eq_u32_e32 vcc_lo, 0, v15
	s_add_i32 s61, s61, 16
	ds_read_b128 v[113:116], v16
	s_or_b32 s5, vcc_lo, s5
	s_waitcnt vmcnt(2) lgkmcnt(0)
	v_mul_f64 v[121:122], v[115:116], v[117:118]
	v_mul_f64 v[117:118], v[113:114], v[117:118]
	s_waitcnt vmcnt(0)
	v_fma_f64 v[113:114], v[113:114], v[119:120], -v[121:122]
	v_fma_f64 v[115:116], v[115:116], v[119:120], v[117:118]
	v_add_f64 v[1:2], v[1:2], v[113:114]
	v_add_f64 v[3:4], v[3:4], v[115:116]
	s_andn2_b32 exec_lo, exec_lo, s5
	s_cbranch_execnz .LBB51_248
; %bb.249:
	s_or_b32 exec_lo, exec_lo, s5
.LBB51_250:
	s_or_b32 exec_lo, exec_lo, s8
	v_mov_b32_e32 v15, 0
	ds_read_b128 v[113:116], v15 offset:320
	s_waitcnt lgkmcnt(0)
	v_mul_f64 v[15:16], v[3:4], v[115:116]
	v_mul_f64 v[115:116], v[1:2], v[115:116]
	v_fma_f64 v[1:2], v[1:2], v[113:114], -v[15:16]
	v_fma_f64 v[3:4], v[3:4], v[113:114], v[115:116]
	buffer_store_dword v2, off, s[0:3], 0 offset:324
	buffer_store_dword v1, off, s[0:3], 0 offset:320
	;; [unrolled: 1-line block ×4, first 2 shown]
.LBB51_251:
	s_or_b32 exec_lo, exec_lo, s6
	v_mov_b32_e32 v4, s41
	v_cmp_lt_u32_e64 s5, 19, v0
	s_clause 0x3
	buffer_load_dword v1, v4, s[0:3], 0 offen
	buffer_load_dword v2, v4, s[0:3], 0 offen offset:4
	buffer_load_dword v3, v4, s[0:3], 0 offen offset:8
	;; [unrolled: 1-line block ×3, first 2 shown]
	s_waitcnt vmcnt(0)
	ds_write_b128 v14, v[1:4]
	s_waitcnt lgkmcnt(0)
	s_waitcnt_vscnt null, 0x0
	s_barrier
	buffer_gl0_inv
	s_and_saveexec_b32 s6, s5
	s_cbranch_execz .LBB51_259
; %bb.252:
	ds_read_b128 v[1:4], v14
	s_andn2_b32 vcc_lo, exec_lo, s60
	s_cbranch_vccnz .LBB51_254
; %bb.253:
	s_clause 0x3
	buffer_load_dword v15, v13, s[0:3], 0 offen offset:8
	buffer_load_dword v16, v13, s[0:3], 0 offen offset:12
	buffer_load_dword v113, v13, s[0:3], 0 offen
	buffer_load_dword v114, v13, s[0:3], 0 offen offset:4
	s_waitcnt vmcnt(2) lgkmcnt(0)
	v_mul_f64 v[115:116], v[3:4], v[15:16]
	v_mul_f64 v[15:16], v[1:2], v[15:16]
	s_waitcnt vmcnt(0)
	v_fma_f64 v[1:2], v[1:2], v[113:114], -v[115:116]
	v_fma_f64 v[3:4], v[3:4], v[113:114], v[15:16]
.LBB51_254:
	s_and_saveexec_b32 s8, s4
	s_cbranch_execz .LBB51_258
; %bb.255:
	v_subrev_nc_u32_e32 v15, 20, v0
	s_movk_i32 s61, 0x480
	s_mov_b32 s4, 0
	s_mov_b32 s62, s40
	.p2align	6
.LBB51_256:                             ; =>This Inner Loop Header: Depth=1
	v_mov_b32_e32 v16, s62
	v_add_nc_u32_e32 v15, -1, v15
	s_add_i32 s62, s62, 16
	s_clause 0x3
	buffer_load_dword v117, v16, s[0:3], 0 offen offset:8
	buffer_load_dword v118, v16, s[0:3], 0 offen offset:12
	buffer_load_dword v119, v16, s[0:3], 0 offen
	buffer_load_dword v120, v16, s[0:3], 0 offen offset:4
	v_mov_b32_e32 v16, s61
	v_cmp_eq_u32_e32 vcc_lo, 0, v15
	s_add_i32 s61, s61, 16
	ds_read_b128 v[113:116], v16
	s_or_b32 s4, vcc_lo, s4
	s_waitcnt vmcnt(2) lgkmcnt(0)
	v_mul_f64 v[121:122], v[115:116], v[117:118]
	v_mul_f64 v[117:118], v[113:114], v[117:118]
	s_waitcnt vmcnt(0)
	v_fma_f64 v[113:114], v[113:114], v[119:120], -v[121:122]
	v_fma_f64 v[115:116], v[115:116], v[119:120], v[117:118]
	v_add_f64 v[1:2], v[1:2], v[113:114]
	v_add_f64 v[3:4], v[3:4], v[115:116]
	s_andn2_b32 exec_lo, exec_lo, s4
	s_cbranch_execnz .LBB51_256
; %bb.257:
	s_or_b32 exec_lo, exec_lo, s4
.LBB51_258:
	s_or_b32 exec_lo, exec_lo, s8
	v_mov_b32_e32 v15, 0
	ds_read_b128 v[113:116], v15 offset:304
	s_waitcnt lgkmcnt(0)
	v_mul_f64 v[15:16], v[3:4], v[115:116]
	v_mul_f64 v[115:116], v[1:2], v[115:116]
	v_fma_f64 v[1:2], v[1:2], v[113:114], -v[15:16]
	v_fma_f64 v[3:4], v[3:4], v[113:114], v[115:116]
	buffer_store_dword v2, off, s[0:3], 0 offset:308
	buffer_store_dword v1, off, s[0:3], 0 offset:304
	;; [unrolled: 1-line block ×4, first 2 shown]
.LBB51_259:
	s_or_b32 exec_lo, exec_lo, s6
	v_mov_b32_e32 v4, s42
	v_cmp_lt_u32_e64 s4, 18, v0
	s_clause 0x3
	buffer_load_dword v1, v4, s[0:3], 0 offen
	buffer_load_dword v2, v4, s[0:3], 0 offen offset:4
	buffer_load_dword v3, v4, s[0:3], 0 offen offset:8
	buffer_load_dword v4, v4, s[0:3], 0 offen offset:12
	s_waitcnt vmcnt(0)
	ds_write_b128 v14, v[1:4]
	s_waitcnt lgkmcnt(0)
	s_waitcnt_vscnt null, 0x0
	s_barrier
	buffer_gl0_inv
	s_and_saveexec_b32 s6, s4
	s_cbranch_execz .LBB51_267
; %bb.260:
	ds_read_b128 v[1:4], v14
	s_andn2_b32 vcc_lo, exec_lo, s60
	s_cbranch_vccnz .LBB51_262
; %bb.261:
	s_clause 0x3
	buffer_load_dword v15, v13, s[0:3], 0 offen offset:8
	buffer_load_dword v16, v13, s[0:3], 0 offen offset:12
	buffer_load_dword v113, v13, s[0:3], 0 offen
	buffer_load_dword v114, v13, s[0:3], 0 offen offset:4
	s_waitcnt vmcnt(2) lgkmcnt(0)
	v_mul_f64 v[115:116], v[3:4], v[15:16]
	v_mul_f64 v[15:16], v[1:2], v[15:16]
	s_waitcnt vmcnt(0)
	v_fma_f64 v[1:2], v[1:2], v[113:114], -v[115:116]
	v_fma_f64 v[3:4], v[3:4], v[113:114], v[15:16]
.LBB51_262:
	s_and_saveexec_b32 s8, s5
	s_cbranch_execz .LBB51_266
; %bb.263:
	v_subrev_nc_u32_e32 v15, 19, v0
	s_movk_i32 s61, 0x470
	s_mov_b32 s5, 0
	s_mov_b32 s62, s41
	.p2align	6
.LBB51_264:                             ; =>This Inner Loop Header: Depth=1
	v_mov_b32_e32 v16, s62
	v_add_nc_u32_e32 v15, -1, v15
	s_add_i32 s62, s62, 16
	s_clause 0x3
	buffer_load_dword v117, v16, s[0:3], 0 offen offset:8
	buffer_load_dword v118, v16, s[0:3], 0 offen offset:12
	buffer_load_dword v119, v16, s[0:3], 0 offen
	buffer_load_dword v120, v16, s[0:3], 0 offen offset:4
	v_mov_b32_e32 v16, s61
	v_cmp_eq_u32_e32 vcc_lo, 0, v15
	s_add_i32 s61, s61, 16
	ds_read_b128 v[113:116], v16
	s_or_b32 s5, vcc_lo, s5
	s_waitcnt vmcnt(2) lgkmcnt(0)
	v_mul_f64 v[121:122], v[115:116], v[117:118]
	v_mul_f64 v[117:118], v[113:114], v[117:118]
	s_waitcnt vmcnt(0)
	v_fma_f64 v[113:114], v[113:114], v[119:120], -v[121:122]
	v_fma_f64 v[115:116], v[115:116], v[119:120], v[117:118]
	v_add_f64 v[1:2], v[1:2], v[113:114]
	v_add_f64 v[3:4], v[3:4], v[115:116]
	s_andn2_b32 exec_lo, exec_lo, s5
	s_cbranch_execnz .LBB51_264
; %bb.265:
	s_or_b32 exec_lo, exec_lo, s5
.LBB51_266:
	s_or_b32 exec_lo, exec_lo, s8
	v_mov_b32_e32 v15, 0
	ds_read_b128 v[113:116], v15 offset:288
	s_waitcnt lgkmcnt(0)
	v_mul_f64 v[15:16], v[3:4], v[115:116]
	v_mul_f64 v[115:116], v[1:2], v[115:116]
	v_fma_f64 v[1:2], v[1:2], v[113:114], -v[15:16]
	v_fma_f64 v[3:4], v[3:4], v[113:114], v[115:116]
	buffer_store_dword v2, off, s[0:3], 0 offset:292
	buffer_store_dword v1, off, s[0:3], 0 offset:288
	;; [unrolled: 1-line block ×4, first 2 shown]
.LBB51_267:
	s_or_b32 exec_lo, exec_lo, s6
	v_mov_b32_e32 v4, s43
	v_cmp_lt_u32_e64 s5, 17, v0
	s_clause 0x3
	buffer_load_dword v1, v4, s[0:3], 0 offen
	buffer_load_dword v2, v4, s[0:3], 0 offen offset:4
	buffer_load_dword v3, v4, s[0:3], 0 offen offset:8
	;; [unrolled: 1-line block ×3, first 2 shown]
	s_waitcnt vmcnt(0)
	ds_write_b128 v14, v[1:4]
	s_waitcnt lgkmcnt(0)
	s_waitcnt_vscnt null, 0x0
	s_barrier
	buffer_gl0_inv
	s_and_saveexec_b32 s6, s5
	s_cbranch_execz .LBB51_275
; %bb.268:
	ds_read_b128 v[1:4], v14
	s_andn2_b32 vcc_lo, exec_lo, s60
	s_cbranch_vccnz .LBB51_270
; %bb.269:
	s_clause 0x3
	buffer_load_dword v15, v13, s[0:3], 0 offen offset:8
	buffer_load_dword v16, v13, s[0:3], 0 offen offset:12
	buffer_load_dword v113, v13, s[0:3], 0 offen
	buffer_load_dword v114, v13, s[0:3], 0 offen offset:4
	s_waitcnt vmcnt(2) lgkmcnt(0)
	v_mul_f64 v[115:116], v[3:4], v[15:16]
	v_mul_f64 v[15:16], v[1:2], v[15:16]
	s_waitcnt vmcnt(0)
	v_fma_f64 v[1:2], v[1:2], v[113:114], -v[115:116]
	v_fma_f64 v[3:4], v[3:4], v[113:114], v[15:16]
.LBB51_270:
	s_and_saveexec_b32 s8, s4
	s_cbranch_execz .LBB51_274
; %bb.271:
	v_subrev_nc_u32_e32 v15, 18, v0
	s_movk_i32 s61, 0x460
	s_mov_b32 s4, 0
	s_mov_b32 s62, s42
	.p2align	6
.LBB51_272:                             ; =>This Inner Loop Header: Depth=1
	v_mov_b32_e32 v16, s62
	v_add_nc_u32_e32 v15, -1, v15
	s_add_i32 s62, s62, 16
	s_clause 0x3
	buffer_load_dword v117, v16, s[0:3], 0 offen offset:8
	buffer_load_dword v118, v16, s[0:3], 0 offen offset:12
	buffer_load_dword v119, v16, s[0:3], 0 offen
	buffer_load_dword v120, v16, s[0:3], 0 offen offset:4
	v_mov_b32_e32 v16, s61
	v_cmp_eq_u32_e32 vcc_lo, 0, v15
	s_add_i32 s61, s61, 16
	ds_read_b128 v[113:116], v16
	s_or_b32 s4, vcc_lo, s4
	s_waitcnt vmcnt(2) lgkmcnt(0)
	v_mul_f64 v[121:122], v[115:116], v[117:118]
	v_mul_f64 v[117:118], v[113:114], v[117:118]
	s_waitcnt vmcnt(0)
	v_fma_f64 v[113:114], v[113:114], v[119:120], -v[121:122]
	v_fma_f64 v[115:116], v[115:116], v[119:120], v[117:118]
	v_add_f64 v[1:2], v[1:2], v[113:114]
	v_add_f64 v[3:4], v[3:4], v[115:116]
	s_andn2_b32 exec_lo, exec_lo, s4
	s_cbranch_execnz .LBB51_272
; %bb.273:
	s_or_b32 exec_lo, exec_lo, s4
.LBB51_274:
	s_or_b32 exec_lo, exec_lo, s8
	v_mov_b32_e32 v15, 0
	ds_read_b128 v[113:116], v15 offset:272
	s_waitcnt lgkmcnt(0)
	v_mul_f64 v[15:16], v[3:4], v[115:116]
	v_mul_f64 v[115:116], v[1:2], v[115:116]
	v_fma_f64 v[1:2], v[1:2], v[113:114], -v[15:16]
	v_fma_f64 v[3:4], v[3:4], v[113:114], v[115:116]
	buffer_store_dword v2, off, s[0:3], 0 offset:276
	buffer_store_dword v1, off, s[0:3], 0 offset:272
	buffer_store_dword v4, off, s[0:3], 0 offset:284
	buffer_store_dword v3, off, s[0:3], 0 offset:280
.LBB51_275:
	s_or_b32 exec_lo, exec_lo, s6
	v_mov_b32_e32 v4, s44
	v_cmp_lt_u32_e64 s4, 16, v0
	s_clause 0x3
	buffer_load_dword v1, v4, s[0:3], 0 offen
	buffer_load_dword v2, v4, s[0:3], 0 offen offset:4
	buffer_load_dword v3, v4, s[0:3], 0 offen offset:8
	;; [unrolled: 1-line block ×3, first 2 shown]
	s_waitcnt vmcnt(0)
	ds_write_b128 v14, v[1:4]
	s_waitcnt lgkmcnt(0)
	s_waitcnt_vscnt null, 0x0
	s_barrier
	buffer_gl0_inv
	s_and_saveexec_b32 s6, s4
	s_cbranch_execz .LBB51_283
; %bb.276:
	ds_read_b128 v[1:4], v14
	s_andn2_b32 vcc_lo, exec_lo, s60
	s_cbranch_vccnz .LBB51_278
; %bb.277:
	s_clause 0x3
	buffer_load_dword v15, v13, s[0:3], 0 offen offset:8
	buffer_load_dword v16, v13, s[0:3], 0 offen offset:12
	buffer_load_dword v113, v13, s[0:3], 0 offen
	buffer_load_dword v114, v13, s[0:3], 0 offen offset:4
	s_waitcnt vmcnt(2) lgkmcnt(0)
	v_mul_f64 v[115:116], v[3:4], v[15:16]
	v_mul_f64 v[15:16], v[1:2], v[15:16]
	s_waitcnt vmcnt(0)
	v_fma_f64 v[1:2], v[1:2], v[113:114], -v[115:116]
	v_fma_f64 v[3:4], v[3:4], v[113:114], v[15:16]
.LBB51_278:
	s_and_saveexec_b32 s8, s5
	s_cbranch_execz .LBB51_282
; %bb.279:
	v_subrev_nc_u32_e32 v15, 17, v0
	s_movk_i32 s61, 0x450
	s_mov_b32 s5, 0
	s_mov_b32 s62, s43
	.p2align	6
.LBB51_280:                             ; =>This Inner Loop Header: Depth=1
	v_mov_b32_e32 v16, s62
	v_add_nc_u32_e32 v15, -1, v15
	s_add_i32 s62, s62, 16
	s_clause 0x3
	buffer_load_dword v117, v16, s[0:3], 0 offen offset:8
	buffer_load_dword v118, v16, s[0:3], 0 offen offset:12
	buffer_load_dword v119, v16, s[0:3], 0 offen
	buffer_load_dword v120, v16, s[0:3], 0 offen offset:4
	v_mov_b32_e32 v16, s61
	v_cmp_eq_u32_e32 vcc_lo, 0, v15
	s_add_i32 s61, s61, 16
	ds_read_b128 v[113:116], v16
	s_or_b32 s5, vcc_lo, s5
	s_waitcnt vmcnt(2) lgkmcnt(0)
	v_mul_f64 v[121:122], v[115:116], v[117:118]
	v_mul_f64 v[117:118], v[113:114], v[117:118]
	s_waitcnt vmcnt(0)
	v_fma_f64 v[113:114], v[113:114], v[119:120], -v[121:122]
	v_fma_f64 v[115:116], v[115:116], v[119:120], v[117:118]
	v_add_f64 v[1:2], v[1:2], v[113:114]
	v_add_f64 v[3:4], v[3:4], v[115:116]
	s_andn2_b32 exec_lo, exec_lo, s5
	s_cbranch_execnz .LBB51_280
; %bb.281:
	s_or_b32 exec_lo, exec_lo, s5
.LBB51_282:
	s_or_b32 exec_lo, exec_lo, s8
	v_mov_b32_e32 v15, 0
	ds_read_b128 v[113:116], v15 offset:256
	s_waitcnt lgkmcnt(0)
	v_mul_f64 v[15:16], v[3:4], v[115:116]
	v_mul_f64 v[115:116], v[1:2], v[115:116]
	v_fma_f64 v[1:2], v[1:2], v[113:114], -v[15:16]
	v_fma_f64 v[3:4], v[3:4], v[113:114], v[115:116]
	buffer_store_dword v2, off, s[0:3], 0 offset:260
	buffer_store_dword v1, off, s[0:3], 0 offset:256
	;; [unrolled: 1-line block ×4, first 2 shown]
.LBB51_283:
	s_or_b32 exec_lo, exec_lo, s6
	v_mov_b32_e32 v4, s45
	v_cmp_lt_u32_e64 s5, 15, v0
	s_clause 0x3
	buffer_load_dword v1, v4, s[0:3], 0 offen
	buffer_load_dword v2, v4, s[0:3], 0 offen offset:4
	buffer_load_dword v3, v4, s[0:3], 0 offen offset:8
	;; [unrolled: 1-line block ×3, first 2 shown]
	s_waitcnt vmcnt(0)
	ds_write_b128 v14, v[1:4]
	s_waitcnt lgkmcnt(0)
	s_waitcnt_vscnt null, 0x0
	s_barrier
	buffer_gl0_inv
	s_and_saveexec_b32 s6, s5
	s_cbranch_execz .LBB51_291
; %bb.284:
	ds_read_b128 v[1:4], v14
	s_andn2_b32 vcc_lo, exec_lo, s60
	s_cbranch_vccnz .LBB51_286
; %bb.285:
	s_clause 0x3
	buffer_load_dword v15, v13, s[0:3], 0 offen offset:8
	buffer_load_dword v16, v13, s[0:3], 0 offen offset:12
	buffer_load_dword v113, v13, s[0:3], 0 offen
	buffer_load_dword v114, v13, s[0:3], 0 offen offset:4
	s_waitcnt vmcnt(2) lgkmcnt(0)
	v_mul_f64 v[115:116], v[3:4], v[15:16]
	v_mul_f64 v[15:16], v[1:2], v[15:16]
	s_waitcnt vmcnt(0)
	v_fma_f64 v[1:2], v[1:2], v[113:114], -v[115:116]
	v_fma_f64 v[3:4], v[3:4], v[113:114], v[15:16]
.LBB51_286:
	s_and_saveexec_b32 s8, s4
	s_cbranch_execz .LBB51_290
; %bb.287:
	v_add_nc_u32_e32 v15, -16, v0
	s_movk_i32 s61, 0x440
	s_mov_b32 s4, 0
	s_mov_b32 s62, s44
	.p2align	6
.LBB51_288:                             ; =>This Inner Loop Header: Depth=1
	v_mov_b32_e32 v16, s62
	v_add_nc_u32_e32 v15, -1, v15
	s_add_i32 s62, s62, 16
	s_clause 0x3
	buffer_load_dword v117, v16, s[0:3], 0 offen offset:8
	buffer_load_dword v118, v16, s[0:3], 0 offen offset:12
	buffer_load_dword v119, v16, s[0:3], 0 offen
	buffer_load_dword v120, v16, s[0:3], 0 offen offset:4
	v_mov_b32_e32 v16, s61
	v_cmp_eq_u32_e32 vcc_lo, 0, v15
	s_add_i32 s61, s61, 16
	ds_read_b128 v[113:116], v16
	s_or_b32 s4, vcc_lo, s4
	s_waitcnt vmcnt(2) lgkmcnt(0)
	v_mul_f64 v[121:122], v[115:116], v[117:118]
	v_mul_f64 v[117:118], v[113:114], v[117:118]
	s_waitcnt vmcnt(0)
	v_fma_f64 v[113:114], v[113:114], v[119:120], -v[121:122]
	v_fma_f64 v[115:116], v[115:116], v[119:120], v[117:118]
	v_add_f64 v[1:2], v[1:2], v[113:114]
	v_add_f64 v[3:4], v[3:4], v[115:116]
	s_andn2_b32 exec_lo, exec_lo, s4
	s_cbranch_execnz .LBB51_288
; %bb.289:
	s_or_b32 exec_lo, exec_lo, s4
.LBB51_290:
	s_or_b32 exec_lo, exec_lo, s8
	v_mov_b32_e32 v15, 0
	ds_read_b128 v[113:116], v15 offset:240
	s_waitcnt lgkmcnt(0)
	v_mul_f64 v[15:16], v[3:4], v[115:116]
	v_mul_f64 v[115:116], v[1:2], v[115:116]
	v_fma_f64 v[1:2], v[1:2], v[113:114], -v[15:16]
	v_fma_f64 v[3:4], v[3:4], v[113:114], v[115:116]
	buffer_store_dword v2, off, s[0:3], 0 offset:244
	buffer_store_dword v1, off, s[0:3], 0 offset:240
	;; [unrolled: 1-line block ×4, first 2 shown]
.LBB51_291:
	s_or_b32 exec_lo, exec_lo, s6
	v_mov_b32_e32 v4, s46
	v_cmp_lt_u32_e64 s4, 14, v0
	s_clause 0x3
	buffer_load_dword v1, v4, s[0:3], 0 offen
	buffer_load_dword v2, v4, s[0:3], 0 offen offset:4
	buffer_load_dword v3, v4, s[0:3], 0 offen offset:8
	buffer_load_dword v4, v4, s[0:3], 0 offen offset:12
	s_waitcnt vmcnt(0)
	ds_write_b128 v14, v[1:4]
	s_waitcnt lgkmcnt(0)
	s_waitcnt_vscnt null, 0x0
	s_barrier
	buffer_gl0_inv
	s_and_saveexec_b32 s6, s4
	s_cbranch_execz .LBB51_299
; %bb.292:
	ds_read_b128 v[1:4], v14
	s_andn2_b32 vcc_lo, exec_lo, s60
	s_cbranch_vccnz .LBB51_294
; %bb.293:
	s_clause 0x3
	buffer_load_dword v15, v13, s[0:3], 0 offen offset:8
	buffer_load_dword v16, v13, s[0:3], 0 offen offset:12
	buffer_load_dword v113, v13, s[0:3], 0 offen
	buffer_load_dword v114, v13, s[0:3], 0 offen offset:4
	s_waitcnt vmcnt(2) lgkmcnt(0)
	v_mul_f64 v[115:116], v[3:4], v[15:16]
	v_mul_f64 v[15:16], v[1:2], v[15:16]
	s_waitcnt vmcnt(0)
	v_fma_f64 v[1:2], v[1:2], v[113:114], -v[115:116]
	v_fma_f64 v[3:4], v[3:4], v[113:114], v[15:16]
.LBB51_294:
	s_and_saveexec_b32 s8, s5
	s_cbranch_execz .LBB51_298
; %bb.295:
	v_add_nc_u32_e32 v15, -15, v0
	s_movk_i32 s61, 0x430
	s_mov_b32 s5, 0
	s_mov_b32 s62, s45
	.p2align	6
.LBB51_296:                             ; =>This Inner Loop Header: Depth=1
	v_mov_b32_e32 v16, s62
	v_add_nc_u32_e32 v15, -1, v15
	s_add_i32 s62, s62, 16
	s_clause 0x3
	buffer_load_dword v117, v16, s[0:3], 0 offen offset:8
	buffer_load_dword v118, v16, s[0:3], 0 offen offset:12
	buffer_load_dword v119, v16, s[0:3], 0 offen
	buffer_load_dword v120, v16, s[0:3], 0 offen offset:4
	v_mov_b32_e32 v16, s61
	v_cmp_eq_u32_e32 vcc_lo, 0, v15
	s_add_i32 s61, s61, 16
	ds_read_b128 v[113:116], v16
	s_or_b32 s5, vcc_lo, s5
	s_waitcnt vmcnt(2) lgkmcnt(0)
	v_mul_f64 v[121:122], v[115:116], v[117:118]
	v_mul_f64 v[117:118], v[113:114], v[117:118]
	s_waitcnt vmcnt(0)
	v_fma_f64 v[113:114], v[113:114], v[119:120], -v[121:122]
	v_fma_f64 v[115:116], v[115:116], v[119:120], v[117:118]
	v_add_f64 v[1:2], v[1:2], v[113:114]
	v_add_f64 v[3:4], v[3:4], v[115:116]
	s_andn2_b32 exec_lo, exec_lo, s5
	s_cbranch_execnz .LBB51_296
; %bb.297:
	s_or_b32 exec_lo, exec_lo, s5
.LBB51_298:
	s_or_b32 exec_lo, exec_lo, s8
	v_mov_b32_e32 v15, 0
	ds_read_b128 v[113:116], v15 offset:224
	s_waitcnt lgkmcnt(0)
	v_mul_f64 v[15:16], v[3:4], v[115:116]
	v_mul_f64 v[115:116], v[1:2], v[115:116]
	v_fma_f64 v[1:2], v[1:2], v[113:114], -v[15:16]
	v_fma_f64 v[3:4], v[3:4], v[113:114], v[115:116]
	buffer_store_dword v2, off, s[0:3], 0 offset:228
	buffer_store_dword v1, off, s[0:3], 0 offset:224
	buffer_store_dword v4, off, s[0:3], 0 offset:236
	buffer_store_dword v3, off, s[0:3], 0 offset:232
.LBB51_299:
	s_or_b32 exec_lo, exec_lo, s6
	v_mov_b32_e32 v4, s47
	v_cmp_lt_u32_e64 s5, 13, v0
	s_clause 0x3
	buffer_load_dword v1, v4, s[0:3], 0 offen
	buffer_load_dword v2, v4, s[0:3], 0 offen offset:4
	buffer_load_dword v3, v4, s[0:3], 0 offen offset:8
	;; [unrolled: 1-line block ×3, first 2 shown]
	s_waitcnt vmcnt(0)
	ds_write_b128 v14, v[1:4]
	s_waitcnt lgkmcnt(0)
	s_waitcnt_vscnt null, 0x0
	s_barrier
	buffer_gl0_inv
	s_and_saveexec_b32 s6, s5
	s_cbranch_execz .LBB51_307
; %bb.300:
	ds_read_b128 v[1:4], v14
	s_andn2_b32 vcc_lo, exec_lo, s60
	s_cbranch_vccnz .LBB51_302
; %bb.301:
	s_clause 0x3
	buffer_load_dword v15, v13, s[0:3], 0 offen offset:8
	buffer_load_dword v16, v13, s[0:3], 0 offen offset:12
	buffer_load_dword v113, v13, s[0:3], 0 offen
	buffer_load_dword v114, v13, s[0:3], 0 offen offset:4
	s_waitcnt vmcnt(2) lgkmcnt(0)
	v_mul_f64 v[115:116], v[3:4], v[15:16]
	v_mul_f64 v[15:16], v[1:2], v[15:16]
	s_waitcnt vmcnt(0)
	v_fma_f64 v[1:2], v[1:2], v[113:114], -v[115:116]
	v_fma_f64 v[3:4], v[3:4], v[113:114], v[15:16]
.LBB51_302:
	s_and_saveexec_b32 s8, s4
	s_cbranch_execz .LBB51_306
; %bb.303:
	v_add_nc_u32_e32 v15, -14, v0
	s_movk_i32 s61, 0x420
	s_mov_b32 s4, 0
	s_mov_b32 s62, s46
	.p2align	6
.LBB51_304:                             ; =>This Inner Loop Header: Depth=1
	v_mov_b32_e32 v16, s62
	v_add_nc_u32_e32 v15, -1, v15
	s_add_i32 s62, s62, 16
	s_clause 0x3
	buffer_load_dword v117, v16, s[0:3], 0 offen offset:8
	buffer_load_dword v118, v16, s[0:3], 0 offen offset:12
	buffer_load_dword v119, v16, s[0:3], 0 offen
	buffer_load_dword v120, v16, s[0:3], 0 offen offset:4
	v_mov_b32_e32 v16, s61
	v_cmp_eq_u32_e32 vcc_lo, 0, v15
	s_add_i32 s61, s61, 16
	ds_read_b128 v[113:116], v16
	s_or_b32 s4, vcc_lo, s4
	s_waitcnt vmcnt(2) lgkmcnt(0)
	v_mul_f64 v[121:122], v[115:116], v[117:118]
	v_mul_f64 v[117:118], v[113:114], v[117:118]
	s_waitcnt vmcnt(0)
	v_fma_f64 v[113:114], v[113:114], v[119:120], -v[121:122]
	v_fma_f64 v[115:116], v[115:116], v[119:120], v[117:118]
	v_add_f64 v[1:2], v[1:2], v[113:114]
	v_add_f64 v[3:4], v[3:4], v[115:116]
	s_andn2_b32 exec_lo, exec_lo, s4
	s_cbranch_execnz .LBB51_304
; %bb.305:
	s_or_b32 exec_lo, exec_lo, s4
.LBB51_306:
	s_or_b32 exec_lo, exec_lo, s8
	v_mov_b32_e32 v15, 0
	ds_read_b128 v[113:116], v15 offset:208
	s_waitcnt lgkmcnt(0)
	v_mul_f64 v[15:16], v[3:4], v[115:116]
	v_mul_f64 v[115:116], v[1:2], v[115:116]
	v_fma_f64 v[1:2], v[1:2], v[113:114], -v[15:16]
	v_fma_f64 v[3:4], v[3:4], v[113:114], v[115:116]
	buffer_store_dword v2, off, s[0:3], 0 offset:212
	buffer_store_dword v1, off, s[0:3], 0 offset:208
	buffer_store_dword v4, off, s[0:3], 0 offset:220
	buffer_store_dword v3, off, s[0:3], 0 offset:216
.LBB51_307:
	s_or_b32 exec_lo, exec_lo, s6
	v_mov_b32_e32 v4, s48
	v_cmp_lt_u32_e64 s4, 12, v0
	s_clause 0x3
	buffer_load_dword v1, v4, s[0:3], 0 offen
	buffer_load_dword v2, v4, s[0:3], 0 offen offset:4
	buffer_load_dword v3, v4, s[0:3], 0 offen offset:8
	;; [unrolled: 1-line block ×3, first 2 shown]
	s_waitcnt vmcnt(0)
	ds_write_b128 v14, v[1:4]
	s_waitcnt lgkmcnt(0)
	s_waitcnt_vscnt null, 0x0
	s_barrier
	buffer_gl0_inv
	s_and_saveexec_b32 s6, s4
	s_cbranch_execz .LBB51_315
; %bb.308:
	ds_read_b128 v[1:4], v14
	s_andn2_b32 vcc_lo, exec_lo, s60
	s_cbranch_vccnz .LBB51_310
; %bb.309:
	s_clause 0x3
	buffer_load_dword v15, v13, s[0:3], 0 offen offset:8
	buffer_load_dword v16, v13, s[0:3], 0 offen offset:12
	buffer_load_dword v113, v13, s[0:3], 0 offen
	buffer_load_dword v114, v13, s[0:3], 0 offen offset:4
	s_waitcnt vmcnt(2) lgkmcnt(0)
	v_mul_f64 v[115:116], v[3:4], v[15:16]
	v_mul_f64 v[15:16], v[1:2], v[15:16]
	s_waitcnt vmcnt(0)
	v_fma_f64 v[1:2], v[1:2], v[113:114], -v[115:116]
	v_fma_f64 v[3:4], v[3:4], v[113:114], v[15:16]
.LBB51_310:
	s_and_saveexec_b32 s8, s5
	s_cbranch_execz .LBB51_314
; %bb.311:
	v_add_nc_u32_e32 v15, -13, v0
	s_movk_i32 s61, 0x410
	s_mov_b32 s5, 0
	s_mov_b32 s62, s47
	.p2align	6
.LBB51_312:                             ; =>This Inner Loop Header: Depth=1
	v_mov_b32_e32 v16, s62
	v_add_nc_u32_e32 v15, -1, v15
	s_add_i32 s62, s62, 16
	s_clause 0x3
	buffer_load_dword v117, v16, s[0:3], 0 offen offset:8
	buffer_load_dword v118, v16, s[0:3], 0 offen offset:12
	buffer_load_dword v119, v16, s[0:3], 0 offen
	buffer_load_dword v120, v16, s[0:3], 0 offen offset:4
	v_mov_b32_e32 v16, s61
	v_cmp_eq_u32_e32 vcc_lo, 0, v15
	s_add_i32 s61, s61, 16
	ds_read_b128 v[113:116], v16
	s_or_b32 s5, vcc_lo, s5
	s_waitcnt vmcnt(2) lgkmcnt(0)
	v_mul_f64 v[121:122], v[115:116], v[117:118]
	v_mul_f64 v[117:118], v[113:114], v[117:118]
	s_waitcnt vmcnt(0)
	v_fma_f64 v[113:114], v[113:114], v[119:120], -v[121:122]
	v_fma_f64 v[115:116], v[115:116], v[119:120], v[117:118]
	v_add_f64 v[1:2], v[1:2], v[113:114]
	v_add_f64 v[3:4], v[3:4], v[115:116]
	s_andn2_b32 exec_lo, exec_lo, s5
	s_cbranch_execnz .LBB51_312
; %bb.313:
	s_or_b32 exec_lo, exec_lo, s5
.LBB51_314:
	s_or_b32 exec_lo, exec_lo, s8
	v_mov_b32_e32 v15, 0
	ds_read_b128 v[113:116], v15 offset:192
	s_waitcnt lgkmcnt(0)
	v_mul_f64 v[15:16], v[3:4], v[115:116]
	v_mul_f64 v[115:116], v[1:2], v[115:116]
	v_fma_f64 v[1:2], v[1:2], v[113:114], -v[15:16]
	v_fma_f64 v[3:4], v[3:4], v[113:114], v[115:116]
	buffer_store_dword v2, off, s[0:3], 0 offset:196
	buffer_store_dword v1, off, s[0:3], 0 offset:192
	;; [unrolled: 1-line block ×4, first 2 shown]
.LBB51_315:
	s_or_b32 exec_lo, exec_lo, s6
	v_mov_b32_e32 v4, s49
	v_cmp_lt_u32_e64 s5, 11, v0
	s_clause 0x3
	buffer_load_dword v1, v4, s[0:3], 0 offen
	buffer_load_dword v2, v4, s[0:3], 0 offen offset:4
	buffer_load_dword v3, v4, s[0:3], 0 offen offset:8
	;; [unrolled: 1-line block ×3, first 2 shown]
	s_waitcnt vmcnt(0)
	ds_write_b128 v14, v[1:4]
	s_waitcnt lgkmcnt(0)
	s_waitcnt_vscnt null, 0x0
	s_barrier
	buffer_gl0_inv
	s_and_saveexec_b32 s6, s5
	s_cbranch_execz .LBB51_323
; %bb.316:
	ds_read_b128 v[1:4], v14
	s_andn2_b32 vcc_lo, exec_lo, s60
	s_cbranch_vccnz .LBB51_318
; %bb.317:
	s_clause 0x3
	buffer_load_dword v15, v13, s[0:3], 0 offen offset:8
	buffer_load_dword v16, v13, s[0:3], 0 offen offset:12
	buffer_load_dword v113, v13, s[0:3], 0 offen
	buffer_load_dword v114, v13, s[0:3], 0 offen offset:4
	s_waitcnt vmcnt(2) lgkmcnt(0)
	v_mul_f64 v[115:116], v[3:4], v[15:16]
	v_mul_f64 v[15:16], v[1:2], v[15:16]
	s_waitcnt vmcnt(0)
	v_fma_f64 v[1:2], v[1:2], v[113:114], -v[115:116]
	v_fma_f64 v[3:4], v[3:4], v[113:114], v[15:16]
.LBB51_318:
	s_and_saveexec_b32 s8, s4
	s_cbranch_execz .LBB51_322
; %bb.319:
	v_add_nc_u32_e32 v15, -12, v0
	s_movk_i32 s61, 0x400
	s_mov_b32 s4, 0
	s_mov_b32 s62, s48
	.p2align	6
.LBB51_320:                             ; =>This Inner Loop Header: Depth=1
	v_mov_b32_e32 v16, s62
	v_add_nc_u32_e32 v15, -1, v15
	s_add_i32 s62, s62, 16
	s_clause 0x3
	buffer_load_dword v117, v16, s[0:3], 0 offen offset:8
	buffer_load_dword v118, v16, s[0:3], 0 offen offset:12
	buffer_load_dword v119, v16, s[0:3], 0 offen
	buffer_load_dword v120, v16, s[0:3], 0 offen offset:4
	v_mov_b32_e32 v16, s61
	v_cmp_eq_u32_e32 vcc_lo, 0, v15
	s_add_i32 s61, s61, 16
	ds_read_b128 v[113:116], v16
	s_or_b32 s4, vcc_lo, s4
	s_waitcnt vmcnt(2) lgkmcnt(0)
	v_mul_f64 v[121:122], v[115:116], v[117:118]
	v_mul_f64 v[117:118], v[113:114], v[117:118]
	s_waitcnt vmcnt(0)
	v_fma_f64 v[113:114], v[113:114], v[119:120], -v[121:122]
	v_fma_f64 v[115:116], v[115:116], v[119:120], v[117:118]
	v_add_f64 v[1:2], v[1:2], v[113:114]
	v_add_f64 v[3:4], v[3:4], v[115:116]
	s_andn2_b32 exec_lo, exec_lo, s4
	s_cbranch_execnz .LBB51_320
; %bb.321:
	s_or_b32 exec_lo, exec_lo, s4
.LBB51_322:
	s_or_b32 exec_lo, exec_lo, s8
	v_mov_b32_e32 v15, 0
	ds_read_b128 v[113:116], v15 offset:176
	s_waitcnt lgkmcnt(0)
	v_mul_f64 v[15:16], v[3:4], v[115:116]
	v_mul_f64 v[115:116], v[1:2], v[115:116]
	v_fma_f64 v[1:2], v[1:2], v[113:114], -v[15:16]
	v_fma_f64 v[3:4], v[3:4], v[113:114], v[115:116]
	buffer_store_dword v2, off, s[0:3], 0 offset:180
	buffer_store_dword v1, off, s[0:3], 0 offset:176
	;; [unrolled: 1-line block ×4, first 2 shown]
.LBB51_323:
	s_or_b32 exec_lo, exec_lo, s6
	v_mov_b32_e32 v4, s50
	v_cmp_lt_u32_e64 s4, 10, v0
	s_clause 0x3
	buffer_load_dword v1, v4, s[0:3], 0 offen
	buffer_load_dword v2, v4, s[0:3], 0 offen offset:4
	buffer_load_dword v3, v4, s[0:3], 0 offen offset:8
	;; [unrolled: 1-line block ×3, first 2 shown]
	s_waitcnt vmcnt(0)
	ds_write_b128 v14, v[1:4]
	s_waitcnt lgkmcnt(0)
	s_waitcnt_vscnt null, 0x0
	s_barrier
	buffer_gl0_inv
	s_and_saveexec_b32 s6, s4
	s_cbranch_execz .LBB51_331
; %bb.324:
	ds_read_b128 v[1:4], v14
	s_andn2_b32 vcc_lo, exec_lo, s60
	s_cbranch_vccnz .LBB51_326
; %bb.325:
	s_clause 0x3
	buffer_load_dword v15, v13, s[0:3], 0 offen offset:8
	buffer_load_dword v16, v13, s[0:3], 0 offen offset:12
	buffer_load_dword v113, v13, s[0:3], 0 offen
	buffer_load_dword v114, v13, s[0:3], 0 offen offset:4
	s_waitcnt vmcnt(2) lgkmcnt(0)
	v_mul_f64 v[115:116], v[3:4], v[15:16]
	v_mul_f64 v[15:16], v[1:2], v[15:16]
	s_waitcnt vmcnt(0)
	v_fma_f64 v[1:2], v[1:2], v[113:114], -v[115:116]
	v_fma_f64 v[3:4], v[3:4], v[113:114], v[15:16]
.LBB51_326:
	s_and_saveexec_b32 s8, s5
	s_cbranch_execz .LBB51_330
; %bb.327:
	v_add_nc_u32_e32 v15, -11, v0
	s_movk_i32 s61, 0x3f0
	s_mov_b32 s5, 0
	s_mov_b32 s62, s49
	.p2align	6
.LBB51_328:                             ; =>This Inner Loop Header: Depth=1
	v_mov_b32_e32 v16, s62
	v_add_nc_u32_e32 v15, -1, v15
	s_add_i32 s62, s62, 16
	s_clause 0x3
	buffer_load_dword v117, v16, s[0:3], 0 offen offset:8
	buffer_load_dword v118, v16, s[0:3], 0 offen offset:12
	buffer_load_dword v119, v16, s[0:3], 0 offen
	buffer_load_dword v120, v16, s[0:3], 0 offen offset:4
	v_mov_b32_e32 v16, s61
	v_cmp_eq_u32_e32 vcc_lo, 0, v15
	s_add_i32 s61, s61, 16
	ds_read_b128 v[113:116], v16
	s_or_b32 s5, vcc_lo, s5
	s_waitcnt vmcnt(2) lgkmcnt(0)
	v_mul_f64 v[121:122], v[115:116], v[117:118]
	v_mul_f64 v[117:118], v[113:114], v[117:118]
	s_waitcnt vmcnt(0)
	v_fma_f64 v[113:114], v[113:114], v[119:120], -v[121:122]
	v_fma_f64 v[115:116], v[115:116], v[119:120], v[117:118]
	v_add_f64 v[1:2], v[1:2], v[113:114]
	v_add_f64 v[3:4], v[3:4], v[115:116]
	s_andn2_b32 exec_lo, exec_lo, s5
	s_cbranch_execnz .LBB51_328
; %bb.329:
	s_or_b32 exec_lo, exec_lo, s5
.LBB51_330:
	s_or_b32 exec_lo, exec_lo, s8
	v_mov_b32_e32 v15, 0
	ds_read_b128 v[113:116], v15 offset:160
	s_waitcnt lgkmcnt(0)
	v_mul_f64 v[15:16], v[3:4], v[115:116]
	v_mul_f64 v[115:116], v[1:2], v[115:116]
	v_fma_f64 v[1:2], v[1:2], v[113:114], -v[15:16]
	v_fma_f64 v[3:4], v[3:4], v[113:114], v[115:116]
	buffer_store_dword v2, off, s[0:3], 0 offset:164
	buffer_store_dword v1, off, s[0:3], 0 offset:160
	;; [unrolled: 1-line block ×4, first 2 shown]
.LBB51_331:
	s_or_b32 exec_lo, exec_lo, s6
	v_mov_b32_e32 v4, s51
	v_cmp_lt_u32_e64 s5, 9, v0
	s_clause 0x3
	buffer_load_dword v1, v4, s[0:3], 0 offen
	buffer_load_dword v2, v4, s[0:3], 0 offen offset:4
	buffer_load_dword v3, v4, s[0:3], 0 offen offset:8
	;; [unrolled: 1-line block ×3, first 2 shown]
	s_waitcnt vmcnt(0)
	ds_write_b128 v14, v[1:4]
	s_waitcnt lgkmcnt(0)
	s_waitcnt_vscnt null, 0x0
	s_barrier
	buffer_gl0_inv
	s_and_saveexec_b32 s6, s5
	s_cbranch_execz .LBB51_339
; %bb.332:
	ds_read_b128 v[1:4], v14
	s_andn2_b32 vcc_lo, exec_lo, s60
	s_cbranch_vccnz .LBB51_334
; %bb.333:
	s_clause 0x3
	buffer_load_dword v15, v13, s[0:3], 0 offen offset:8
	buffer_load_dword v16, v13, s[0:3], 0 offen offset:12
	buffer_load_dword v113, v13, s[0:3], 0 offen
	buffer_load_dword v114, v13, s[0:3], 0 offen offset:4
	s_waitcnt vmcnt(2) lgkmcnt(0)
	v_mul_f64 v[115:116], v[3:4], v[15:16]
	v_mul_f64 v[15:16], v[1:2], v[15:16]
	s_waitcnt vmcnt(0)
	v_fma_f64 v[1:2], v[1:2], v[113:114], -v[115:116]
	v_fma_f64 v[3:4], v[3:4], v[113:114], v[15:16]
.LBB51_334:
	s_and_saveexec_b32 s8, s4
	s_cbranch_execz .LBB51_338
; %bb.335:
	v_add_nc_u32_e32 v15, -10, v0
	s_movk_i32 s61, 0x3e0
	s_mov_b32 s4, 0
	s_mov_b32 s62, s50
	.p2align	6
.LBB51_336:                             ; =>This Inner Loop Header: Depth=1
	v_mov_b32_e32 v16, s62
	v_add_nc_u32_e32 v15, -1, v15
	s_add_i32 s62, s62, 16
	s_clause 0x3
	buffer_load_dword v117, v16, s[0:3], 0 offen offset:8
	buffer_load_dword v118, v16, s[0:3], 0 offen offset:12
	buffer_load_dword v119, v16, s[0:3], 0 offen
	buffer_load_dword v120, v16, s[0:3], 0 offen offset:4
	v_mov_b32_e32 v16, s61
	v_cmp_eq_u32_e32 vcc_lo, 0, v15
	s_add_i32 s61, s61, 16
	ds_read_b128 v[113:116], v16
	s_or_b32 s4, vcc_lo, s4
	s_waitcnt vmcnt(2) lgkmcnt(0)
	v_mul_f64 v[121:122], v[115:116], v[117:118]
	v_mul_f64 v[117:118], v[113:114], v[117:118]
	s_waitcnt vmcnt(0)
	v_fma_f64 v[113:114], v[113:114], v[119:120], -v[121:122]
	v_fma_f64 v[115:116], v[115:116], v[119:120], v[117:118]
	v_add_f64 v[1:2], v[1:2], v[113:114]
	v_add_f64 v[3:4], v[3:4], v[115:116]
	s_andn2_b32 exec_lo, exec_lo, s4
	s_cbranch_execnz .LBB51_336
; %bb.337:
	s_or_b32 exec_lo, exec_lo, s4
.LBB51_338:
	s_or_b32 exec_lo, exec_lo, s8
	v_mov_b32_e32 v15, 0
	ds_read_b128 v[113:116], v15 offset:144
	s_waitcnt lgkmcnt(0)
	v_mul_f64 v[15:16], v[3:4], v[115:116]
	v_mul_f64 v[115:116], v[1:2], v[115:116]
	v_fma_f64 v[1:2], v[1:2], v[113:114], -v[15:16]
	v_fma_f64 v[3:4], v[3:4], v[113:114], v[115:116]
	buffer_store_dword v2, off, s[0:3], 0 offset:148
	buffer_store_dword v1, off, s[0:3], 0 offset:144
	;; [unrolled: 1-line block ×4, first 2 shown]
.LBB51_339:
	s_or_b32 exec_lo, exec_lo, s6
	v_mov_b32_e32 v4, s52
	v_cmp_lt_u32_e64 s4, 8, v0
	s_clause 0x3
	buffer_load_dword v1, v4, s[0:3], 0 offen
	buffer_load_dword v2, v4, s[0:3], 0 offen offset:4
	buffer_load_dword v3, v4, s[0:3], 0 offen offset:8
	;; [unrolled: 1-line block ×3, first 2 shown]
	s_waitcnt vmcnt(0)
	ds_write_b128 v14, v[1:4]
	s_waitcnt lgkmcnt(0)
	s_waitcnt_vscnt null, 0x0
	s_barrier
	buffer_gl0_inv
	s_and_saveexec_b32 s6, s4
	s_cbranch_execz .LBB51_347
; %bb.340:
	ds_read_b128 v[1:4], v14
	s_andn2_b32 vcc_lo, exec_lo, s60
	s_cbranch_vccnz .LBB51_342
; %bb.341:
	s_clause 0x3
	buffer_load_dword v15, v13, s[0:3], 0 offen offset:8
	buffer_load_dword v16, v13, s[0:3], 0 offen offset:12
	buffer_load_dword v113, v13, s[0:3], 0 offen
	buffer_load_dword v114, v13, s[0:3], 0 offen offset:4
	s_waitcnt vmcnt(2) lgkmcnt(0)
	v_mul_f64 v[115:116], v[3:4], v[15:16]
	v_mul_f64 v[15:16], v[1:2], v[15:16]
	s_waitcnt vmcnt(0)
	v_fma_f64 v[1:2], v[1:2], v[113:114], -v[115:116]
	v_fma_f64 v[3:4], v[3:4], v[113:114], v[15:16]
.LBB51_342:
	s_and_saveexec_b32 s8, s5
	s_cbranch_execz .LBB51_346
; %bb.343:
	v_add_nc_u32_e32 v15, -9, v0
	s_movk_i32 s61, 0x3d0
	s_mov_b32 s5, 0
	s_mov_b32 s62, s51
	.p2align	6
.LBB51_344:                             ; =>This Inner Loop Header: Depth=1
	v_mov_b32_e32 v16, s62
	v_add_nc_u32_e32 v15, -1, v15
	s_add_i32 s62, s62, 16
	s_clause 0x3
	buffer_load_dword v117, v16, s[0:3], 0 offen offset:8
	buffer_load_dword v118, v16, s[0:3], 0 offen offset:12
	buffer_load_dword v119, v16, s[0:3], 0 offen
	buffer_load_dword v120, v16, s[0:3], 0 offen offset:4
	v_mov_b32_e32 v16, s61
	v_cmp_eq_u32_e32 vcc_lo, 0, v15
	s_add_i32 s61, s61, 16
	ds_read_b128 v[113:116], v16
	s_or_b32 s5, vcc_lo, s5
	s_waitcnt vmcnt(2) lgkmcnt(0)
	v_mul_f64 v[121:122], v[115:116], v[117:118]
	v_mul_f64 v[117:118], v[113:114], v[117:118]
	s_waitcnt vmcnt(0)
	v_fma_f64 v[113:114], v[113:114], v[119:120], -v[121:122]
	v_fma_f64 v[115:116], v[115:116], v[119:120], v[117:118]
	v_add_f64 v[1:2], v[1:2], v[113:114]
	v_add_f64 v[3:4], v[3:4], v[115:116]
	s_andn2_b32 exec_lo, exec_lo, s5
	s_cbranch_execnz .LBB51_344
; %bb.345:
	s_or_b32 exec_lo, exec_lo, s5
.LBB51_346:
	s_or_b32 exec_lo, exec_lo, s8
	v_mov_b32_e32 v15, 0
	ds_read_b128 v[113:116], v15 offset:128
	s_waitcnt lgkmcnt(0)
	v_mul_f64 v[15:16], v[3:4], v[115:116]
	v_mul_f64 v[115:116], v[1:2], v[115:116]
	v_fma_f64 v[1:2], v[1:2], v[113:114], -v[15:16]
	v_fma_f64 v[3:4], v[3:4], v[113:114], v[115:116]
	buffer_store_dword v2, off, s[0:3], 0 offset:132
	buffer_store_dword v1, off, s[0:3], 0 offset:128
	;; [unrolled: 1-line block ×4, first 2 shown]
.LBB51_347:
	s_or_b32 exec_lo, exec_lo, s6
	v_mov_b32_e32 v4, s53
	v_cmp_lt_u32_e64 s5, 7, v0
	s_clause 0x3
	buffer_load_dword v1, v4, s[0:3], 0 offen
	buffer_load_dword v2, v4, s[0:3], 0 offen offset:4
	buffer_load_dword v3, v4, s[0:3], 0 offen offset:8
	;; [unrolled: 1-line block ×3, first 2 shown]
	s_waitcnt vmcnt(0)
	ds_write_b128 v14, v[1:4]
	s_waitcnt lgkmcnt(0)
	s_waitcnt_vscnt null, 0x0
	s_barrier
	buffer_gl0_inv
	s_and_saveexec_b32 s6, s5
	s_cbranch_execz .LBB51_355
; %bb.348:
	ds_read_b128 v[1:4], v14
	s_andn2_b32 vcc_lo, exec_lo, s60
	s_cbranch_vccnz .LBB51_350
; %bb.349:
	s_clause 0x3
	buffer_load_dword v15, v13, s[0:3], 0 offen offset:8
	buffer_load_dword v16, v13, s[0:3], 0 offen offset:12
	buffer_load_dword v113, v13, s[0:3], 0 offen
	buffer_load_dword v114, v13, s[0:3], 0 offen offset:4
	s_waitcnt vmcnt(2) lgkmcnt(0)
	v_mul_f64 v[115:116], v[3:4], v[15:16]
	v_mul_f64 v[15:16], v[1:2], v[15:16]
	s_waitcnt vmcnt(0)
	v_fma_f64 v[1:2], v[1:2], v[113:114], -v[115:116]
	v_fma_f64 v[3:4], v[3:4], v[113:114], v[15:16]
.LBB51_350:
	s_and_saveexec_b32 s8, s4
	s_cbranch_execz .LBB51_354
; %bb.351:
	v_add_nc_u32_e32 v15, -8, v0
	s_movk_i32 s61, 0x3c0
	s_mov_b32 s4, 0
	s_mov_b32 s62, s52
	.p2align	6
.LBB51_352:                             ; =>This Inner Loop Header: Depth=1
	v_mov_b32_e32 v16, s62
	v_add_nc_u32_e32 v15, -1, v15
	s_add_i32 s62, s62, 16
	s_clause 0x3
	buffer_load_dword v117, v16, s[0:3], 0 offen offset:8
	buffer_load_dword v118, v16, s[0:3], 0 offen offset:12
	buffer_load_dword v119, v16, s[0:3], 0 offen
	buffer_load_dword v120, v16, s[0:3], 0 offen offset:4
	v_mov_b32_e32 v16, s61
	v_cmp_eq_u32_e32 vcc_lo, 0, v15
	s_add_i32 s61, s61, 16
	ds_read_b128 v[113:116], v16
	s_or_b32 s4, vcc_lo, s4
	s_waitcnt vmcnt(2) lgkmcnt(0)
	v_mul_f64 v[121:122], v[115:116], v[117:118]
	v_mul_f64 v[117:118], v[113:114], v[117:118]
	s_waitcnt vmcnt(0)
	v_fma_f64 v[113:114], v[113:114], v[119:120], -v[121:122]
	v_fma_f64 v[115:116], v[115:116], v[119:120], v[117:118]
	v_add_f64 v[1:2], v[1:2], v[113:114]
	v_add_f64 v[3:4], v[3:4], v[115:116]
	s_andn2_b32 exec_lo, exec_lo, s4
	s_cbranch_execnz .LBB51_352
; %bb.353:
	s_or_b32 exec_lo, exec_lo, s4
.LBB51_354:
	s_or_b32 exec_lo, exec_lo, s8
	v_mov_b32_e32 v15, 0
	ds_read_b128 v[113:116], v15 offset:112
	s_waitcnt lgkmcnt(0)
	v_mul_f64 v[15:16], v[3:4], v[115:116]
	v_mul_f64 v[115:116], v[1:2], v[115:116]
	v_fma_f64 v[1:2], v[1:2], v[113:114], -v[15:16]
	v_fma_f64 v[3:4], v[3:4], v[113:114], v[115:116]
	buffer_store_dword v2, off, s[0:3], 0 offset:116
	buffer_store_dword v1, off, s[0:3], 0 offset:112
	;; [unrolled: 1-line block ×4, first 2 shown]
.LBB51_355:
	s_or_b32 exec_lo, exec_lo, s6
	v_mov_b32_e32 v4, s54
	v_cmp_lt_u32_e64 s4, 6, v0
	s_clause 0x3
	buffer_load_dword v1, v4, s[0:3], 0 offen
	buffer_load_dword v2, v4, s[0:3], 0 offen offset:4
	buffer_load_dword v3, v4, s[0:3], 0 offen offset:8
	;; [unrolled: 1-line block ×3, first 2 shown]
	s_waitcnt vmcnt(0)
	ds_write_b128 v14, v[1:4]
	s_waitcnt lgkmcnt(0)
	s_waitcnt_vscnt null, 0x0
	s_barrier
	buffer_gl0_inv
	s_and_saveexec_b32 s6, s4
	s_cbranch_execz .LBB51_363
; %bb.356:
	ds_read_b128 v[1:4], v14
	s_andn2_b32 vcc_lo, exec_lo, s60
	s_cbranch_vccnz .LBB51_358
; %bb.357:
	s_clause 0x3
	buffer_load_dword v15, v13, s[0:3], 0 offen offset:8
	buffer_load_dword v16, v13, s[0:3], 0 offen offset:12
	buffer_load_dword v113, v13, s[0:3], 0 offen
	buffer_load_dword v114, v13, s[0:3], 0 offen offset:4
	s_waitcnt vmcnt(2) lgkmcnt(0)
	v_mul_f64 v[115:116], v[3:4], v[15:16]
	v_mul_f64 v[15:16], v[1:2], v[15:16]
	s_waitcnt vmcnt(0)
	v_fma_f64 v[1:2], v[1:2], v[113:114], -v[115:116]
	v_fma_f64 v[3:4], v[3:4], v[113:114], v[15:16]
.LBB51_358:
	s_and_saveexec_b32 s8, s5
	s_cbranch_execz .LBB51_362
; %bb.359:
	v_add_nc_u32_e32 v15, -7, v0
	s_movk_i32 s61, 0x3b0
	s_mov_b32 s5, 0
	s_mov_b32 s62, s53
	.p2align	6
.LBB51_360:                             ; =>This Inner Loop Header: Depth=1
	v_mov_b32_e32 v16, s62
	v_add_nc_u32_e32 v15, -1, v15
	s_add_i32 s62, s62, 16
	s_clause 0x3
	buffer_load_dword v117, v16, s[0:3], 0 offen offset:8
	buffer_load_dword v118, v16, s[0:3], 0 offen offset:12
	buffer_load_dword v119, v16, s[0:3], 0 offen
	buffer_load_dword v120, v16, s[0:3], 0 offen offset:4
	v_mov_b32_e32 v16, s61
	v_cmp_eq_u32_e32 vcc_lo, 0, v15
	s_add_i32 s61, s61, 16
	ds_read_b128 v[113:116], v16
	s_or_b32 s5, vcc_lo, s5
	s_waitcnt vmcnt(2) lgkmcnt(0)
	v_mul_f64 v[121:122], v[115:116], v[117:118]
	v_mul_f64 v[117:118], v[113:114], v[117:118]
	s_waitcnt vmcnt(0)
	v_fma_f64 v[113:114], v[113:114], v[119:120], -v[121:122]
	v_fma_f64 v[115:116], v[115:116], v[119:120], v[117:118]
	v_add_f64 v[1:2], v[1:2], v[113:114]
	v_add_f64 v[3:4], v[3:4], v[115:116]
	s_andn2_b32 exec_lo, exec_lo, s5
	s_cbranch_execnz .LBB51_360
; %bb.361:
	s_or_b32 exec_lo, exec_lo, s5
.LBB51_362:
	s_or_b32 exec_lo, exec_lo, s8
	v_mov_b32_e32 v15, 0
	ds_read_b128 v[113:116], v15 offset:96
	s_waitcnt lgkmcnt(0)
	v_mul_f64 v[15:16], v[3:4], v[115:116]
	v_mul_f64 v[115:116], v[1:2], v[115:116]
	v_fma_f64 v[1:2], v[1:2], v[113:114], -v[15:16]
	v_fma_f64 v[3:4], v[3:4], v[113:114], v[115:116]
	buffer_store_dword v2, off, s[0:3], 0 offset:100
	buffer_store_dword v1, off, s[0:3], 0 offset:96
	;; [unrolled: 1-line block ×4, first 2 shown]
.LBB51_363:
	s_or_b32 exec_lo, exec_lo, s6
	v_mov_b32_e32 v4, s55
	v_cmp_lt_u32_e64 s5, 5, v0
	s_clause 0x3
	buffer_load_dword v1, v4, s[0:3], 0 offen
	buffer_load_dword v2, v4, s[0:3], 0 offen offset:4
	buffer_load_dword v3, v4, s[0:3], 0 offen offset:8
	buffer_load_dword v4, v4, s[0:3], 0 offen offset:12
	s_waitcnt vmcnt(0)
	ds_write_b128 v14, v[1:4]
	s_waitcnt lgkmcnt(0)
	s_waitcnt_vscnt null, 0x0
	s_barrier
	buffer_gl0_inv
	s_and_saveexec_b32 s6, s5
	s_cbranch_execz .LBB51_371
; %bb.364:
	ds_read_b128 v[1:4], v14
	s_andn2_b32 vcc_lo, exec_lo, s60
	s_cbranch_vccnz .LBB51_366
; %bb.365:
	s_clause 0x3
	buffer_load_dword v15, v13, s[0:3], 0 offen offset:8
	buffer_load_dword v16, v13, s[0:3], 0 offen offset:12
	buffer_load_dword v113, v13, s[0:3], 0 offen
	buffer_load_dword v114, v13, s[0:3], 0 offen offset:4
	s_waitcnt vmcnt(2) lgkmcnt(0)
	v_mul_f64 v[115:116], v[3:4], v[15:16]
	v_mul_f64 v[15:16], v[1:2], v[15:16]
	s_waitcnt vmcnt(0)
	v_fma_f64 v[1:2], v[1:2], v[113:114], -v[115:116]
	v_fma_f64 v[3:4], v[3:4], v[113:114], v[15:16]
.LBB51_366:
	s_and_saveexec_b32 s8, s4
	s_cbranch_execz .LBB51_370
; %bb.367:
	v_add_nc_u32_e32 v15, -6, v0
	s_movk_i32 s61, 0x3a0
	s_mov_b32 s4, 0
	s_mov_b32 s62, s54
	.p2align	6
.LBB51_368:                             ; =>This Inner Loop Header: Depth=1
	v_mov_b32_e32 v16, s62
	v_add_nc_u32_e32 v15, -1, v15
	s_add_i32 s62, s62, 16
	s_clause 0x3
	buffer_load_dword v117, v16, s[0:3], 0 offen offset:8
	buffer_load_dword v118, v16, s[0:3], 0 offen offset:12
	buffer_load_dword v119, v16, s[0:3], 0 offen
	buffer_load_dword v120, v16, s[0:3], 0 offen offset:4
	v_mov_b32_e32 v16, s61
	v_cmp_eq_u32_e32 vcc_lo, 0, v15
	s_add_i32 s61, s61, 16
	ds_read_b128 v[113:116], v16
	s_or_b32 s4, vcc_lo, s4
	s_waitcnt vmcnt(2) lgkmcnt(0)
	v_mul_f64 v[121:122], v[115:116], v[117:118]
	v_mul_f64 v[117:118], v[113:114], v[117:118]
	s_waitcnt vmcnt(0)
	v_fma_f64 v[113:114], v[113:114], v[119:120], -v[121:122]
	v_fma_f64 v[115:116], v[115:116], v[119:120], v[117:118]
	v_add_f64 v[1:2], v[1:2], v[113:114]
	v_add_f64 v[3:4], v[3:4], v[115:116]
	s_andn2_b32 exec_lo, exec_lo, s4
	s_cbranch_execnz .LBB51_368
; %bb.369:
	s_or_b32 exec_lo, exec_lo, s4
.LBB51_370:
	s_or_b32 exec_lo, exec_lo, s8
	v_mov_b32_e32 v15, 0
	ds_read_b128 v[113:116], v15 offset:80
	s_waitcnt lgkmcnt(0)
	v_mul_f64 v[15:16], v[3:4], v[115:116]
	v_mul_f64 v[115:116], v[1:2], v[115:116]
	v_fma_f64 v[1:2], v[1:2], v[113:114], -v[15:16]
	v_fma_f64 v[3:4], v[3:4], v[113:114], v[115:116]
	buffer_store_dword v2, off, s[0:3], 0 offset:84
	buffer_store_dword v1, off, s[0:3], 0 offset:80
	;; [unrolled: 1-line block ×4, first 2 shown]
.LBB51_371:
	s_or_b32 exec_lo, exec_lo, s6
	v_mov_b32_e32 v4, s56
	v_cmp_lt_u32_e64 s4, 4, v0
	s_clause 0x3
	buffer_load_dword v1, v4, s[0:3], 0 offen
	buffer_load_dword v2, v4, s[0:3], 0 offen offset:4
	buffer_load_dword v3, v4, s[0:3], 0 offen offset:8
	;; [unrolled: 1-line block ×3, first 2 shown]
	s_waitcnt vmcnt(0)
	ds_write_b128 v14, v[1:4]
	s_waitcnt lgkmcnt(0)
	s_waitcnt_vscnt null, 0x0
	s_barrier
	buffer_gl0_inv
	s_and_saveexec_b32 s6, s4
	s_cbranch_execz .LBB51_379
; %bb.372:
	ds_read_b128 v[1:4], v14
	s_andn2_b32 vcc_lo, exec_lo, s60
	s_cbranch_vccnz .LBB51_374
; %bb.373:
	s_clause 0x3
	buffer_load_dword v15, v13, s[0:3], 0 offen offset:8
	buffer_load_dword v16, v13, s[0:3], 0 offen offset:12
	buffer_load_dword v113, v13, s[0:3], 0 offen
	buffer_load_dword v114, v13, s[0:3], 0 offen offset:4
	s_waitcnt vmcnt(2) lgkmcnt(0)
	v_mul_f64 v[115:116], v[3:4], v[15:16]
	v_mul_f64 v[15:16], v[1:2], v[15:16]
	s_waitcnt vmcnt(0)
	v_fma_f64 v[1:2], v[1:2], v[113:114], -v[115:116]
	v_fma_f64 v[3:4], v[3:4], v[113:114], v[15:16]
.LBB51_374:
	s_and_saveexec_b32 s8, s5
	s_cbranch_execz .LBB51_378
; %bb.375:
	v_add_nc_u32_e32 v15, -5, v0
	s_movk_i32 s61, 0x390
	s_mov_b32 s5, 0
	s_mov_b32 s62, s55
	.p2align	6
.LBB51_376:                             ; =>This Inner Loop Header: Depth=1
	v_mov_b32_e32 v16, s62
	v_add_nc_u32_e32 v15, -1, v15
	s_add_i32 s62, s62, 16
	s_clause 0x3
	buffer_load_dword v117, v16, s[0:3], 0 offen offset:8
	buffer_load_dword v118, v16, s[0:3], 0 offen offset:12
	buffer_load_dword v119, v16, s[0:3], 0 offen
	buffer_load_dword v120, v16, s[0:3], 0 offen offset:4
	v_mov_b32_e32 v16, s61
	v_cmp_eq_u32_e32 vcc_lo, 0, v15
	s_add_i32 s61, s61, 16
	ds_read_b128 v[113:116], v16
	s_or_b32 s5, vcc_lo, s5
	s_waitcnt vmcnt(2) lgkmcnt(0)
	v_mul_f64 v[121:122], v[115:116], v[117:118]
	v_mul_f64 v[117:118], v[113:114], v[117:118]
	s_waitcnt vmcnt(0)
	v_fma_f64 v[113:114], v[113:114], v[119:120], -v[121:122]
	v_fma_f64 v[115:116], v[115:116], v[119:120], v[117:118]
	v_add_f64 v[1:2], v[1:2], v[113:114]
	v_add_f64 v[3:4], v[3:4], v[115:116]
	s_andn2_b32 exec_lo, exec_lo, s5
	s_cbranch_execnz .LBB51_376
; %bb.377:
	s_or_b32 exec_lo, exec_lo, s5
.LBB51_378:
	s_or_b32 exec_lo, exec_lo, s8
	v_mov_b32_e32 v15, 0
	ds_read_b128 v[113:116], v15 offset:64
	s_waitcnt lgkmcnt(0)
	v_mul_f64 v[15:16], v[3:4], v[115:116]
	v_mul_f64 v[115:116], v[1:2], v[115:116]
	v_fma_f64 v[1:2], v[1:2], v[113:114], -v[15:16]
	v_fma_f64 v[3:4], v[3:4], v[113:114], v[115:116]
	buffer_store_dword v2, off, s[0:3], 0 offset:68
	buffer_store_dword v1, off, s[0:3], 0 offset:64
	;; [unrolled: 1-line block ×4, first 2 shown]
.LBB51_379:
	s_or_b32 exec_lo, exec_lo, s6
	v_mov_b32_e32 v4, s57
	v_cmp_lt_u32_e64 s5, 3, v0
	s_clause 0x3
	buffer_load_dword v1, v4, s[0:3], 0 offen
	buffer_load_dword v2, v4, s[0:3], 0 offen offset:4
	buffer_load_dword v3, v4, s[0:3], 0 offen offset:8
	;; [unrolled: 1-line block ×3, first 2 shown]
	s_waitcnt vmcnt(0)
	ds_write_b128 v14, v[1:4]
	s_waitcnt lgkmcnt(0)
	s_waitcnt_vscnt null, 0x0
	s_barrier
	buffer_gl0_inv
	s_and_saveexec_b32 s6, s5
	s_cbranch_execz .LBB51_387
; %bb.380:
	ds_read_b128 v[1:4], v14
	s_andn2_b32 vcc_lo, exec_lo, s60
	s_cbranch_vccnz .LBB51_382
; %bb.381:
	s_clause 0x3
	buffer_load_dword v15, v13, s[0:3], 0 offen offset:8
	buffer_load_dword v16, v13, s[0:3], 0 offen offset:12
	buffer_load_dword v113, v13, s[0:3], 0 offen
	buffer_load_dword v114, v13, s[0:3], 0 offen offset:4
	s_waitcnt vmcnt(2) lgkmcnt(0)
	v_mul_f64 v[115:116], v[3:4], v[15:16]
	v_mul_f64 v[15:16], v[1:2], v[15:16]
	s_waitcnt vmcnt(0)
	v_fma_f64 v[1:2], v[1:2], v[113:114], -v[115:116]
	v_fma_f64 v[3:4], v[3:4], v[113:114], v[15:16]
.LBB51_382:
	s_and_saveexec_b32 s8, s4
	s_cbranch_execz .LBB51_386
; %bb.383:
	v_add_nc_u32_e32 v15, -4, v0
	s_movk_i32 s61, 0x380
	s_mov_b32 s4, 0
	s_mov_b32 s62, s56
	.p2align	6
.LBB51_384:                             ; =>This Inner Loop Header: Depth=1
	v_mov_b32_e32 v16, s62
	v_add_nc_u32_e32 v15, -1, v15
	s_add_i32 s62, s62, 16
	s_clause 0x3
	buffer_load_dword v117, v16, s[0:3], 0 offen offset:8
	buffer_load_dword v118, v16, s[0:3], 0 offen offset:12
	buffer_load_dword v119, v16, s[0:3], 0 offen
	buffer_load_dword v120, v16, s[0:3], 0 offen offset:4
	v_mov_b32_e32 v16, s61
	v_cmp_eq_u32_e32 vcc_lo, 0, v15
	s_add_i32 s61, s61, 16
	ds_read_b128 v[113:116], v16
	s_or_b32 s4, vcc_lo, s4
	s_waitcnt vmcnt(2) lgkmcnt(0)
	v_mul_f64 v[121:122], v[115:116], v[117:118]
	v_mul_f64 v[117:118], v[113:114], v[117:118]
	s_waitcnt vmcnt(0)
	v_fma_f64 v[113:114], v[113:114], v[119:120], -v[121:122]
	v_fma_f64 v[115:116], v[115:116], v[119:120], v[117:118]
	v_add_f64 v[1:2], v[1:2], v[113:114]
	v_add_f64 v[3:4], v[3:4], v[115:116]
	s_andn2_b32 exec_lo, exec_lo, s4
	s_cbranch_execnz .LBB51_384
; %bb.385:
	s_or_b32 exec_lo, exec_lo, s4
.LBB51_386:
	s_or_b32 exec_lo, exec_lo, s8
	v_mov_b32_e32 v15, 0
	ds_read_b128 v[113:116], v15 offset:48
	s_waitcnt lgkmcnt(0)
	v_mul_f64 v[15:16], v[3:4], v[115:116]
	v_mul_f64 v[115:116], v[1:2], v[115:116]
	v_fma_f64 v[1:2], v[1:2], v[113:114], -v[15:16]
	v_fma_f64 v[3:4], v[3:4], v[113:114], v[115:116]
	buffer_store_dword v2, off, s[0:3], 0 offset:52
	buffer_store_dword v1, off, s[0:3], 0 offset:48
	;; [unrolled: 1-line block ×4, first 2 shown]
.LBB51_387:
	s_or_b32 exec_lo, exec_lo, s6
	v_mov_b32_e32 v4, s59
	v_cmp_lt_u32_e64 s6, 2, v0
	s_clause 0x3
	buffer_load_dword v1, v4, s[0:3], 0 offen
	buffer_load_dword v2, v4, s[0:3], 0 offen offset:4
	buffer_load_dword v3, v4, s[0:3], 0 offen offset:8
	;; [unrolled: 1-line block ×3, first 2 shown]
	s_waitcnt vmcnt(0)
	ds_write_b128 v14, v[1:4]
	s_waitcnt lgkmcnt(0)
	s_waitcnt_vscnt null, 0x0
	s_barrier
	buffer_gl0_inv
	s_and_saveexec_b32 s4, s6
	s_cbranch_execz .LBB51_395
; %bb.388:
	ds_read_b128 v[1:4], v14
	s_andn2_b32 vcc_lo, exec_lo, s60
	s_cbranch_vccnz .LBB51_390
; %bb.389:
	s_clause 0x3
	buffer_load_dword v15, v13, s[0:3], 0 offen offset:8
	buffer_load_dword v16, v13, s[0:3], 0 offen offset:12
	buffer_load_dword v113, v13, s[0:3], 0 offen
	buffer_load_dword v114, v13, s[0:3], 0 offen offset:4
	s_waitcnt vmcnt(2) lgkmcnt(0)
	v_mul_f64 v[115:116], v[3:4], v[15:16]
	v_mul_f64 v[15:16], v[1:2], v[15:16]
	s_waitcnt vmcnt(0)
	v_fma_f64 v[1:2], v[1:2], v[113:114], -v[115:116]
	v_fma_f64 v[3:4], v[3:4], v[113:114], v[15:16]
.LBB51_390:
	s_and_saveexec_b32 s8, s5
	s_cbranch_execz .LBB51_394
; %bb.391:
	v_add_nc_u32_e32 v15, -3, v0
	s_movk_i32 s61, 0x370
	s_mov_b32 s5, 0
	s_mov_b32 s62, s57
	.p2align	6
.LBB51_392:                             ; =>This Inner Loop Header: Depth=1
	v_mov_b32_e32 v16, s62
	v_add_nc_u32_e32 v15, -1, v15
	s_add_i32 s62, s62, 16
	s_clause 0x3
	buffer_load_dword v117, v16, s[0:3], 0 offen offset:8
	buffer_load_dword v118, v16, s[0:3], 0 offen offset:12
	buffer_load_dword v119, v16, s[0:3], 0 offen
	buffer_load_dword v120, v16, s[0:3], 0 offen offset:4
	v_mov_b32_e32 v16, s61
	v_cmp_eq_u32_e32 vcc_lo, 0, v15
	s_add_i32 s61, s61, 16
	ds_read_b128 v[113:116], v16
	s_or_b32 s5, vcc_lo, s5
	s_waitcnt vmcnt(2) lgkmcnt(0)
	v_mul_f64 v[121:122], v[115:116], v[117:118]
	v_mul_f64 v[117:118], v[113:114], v[117:118]
	s_waitcnt vmcnt(0)
	v_fma_f64 v[113:114], v[113:114], v[119:120], -v[121:122]
	v_fma_f64 v[115:116], v[115:116], v[119:120], v[117:118]
	v_add_f64 v[1:2], v[1:2], v[113:114]
	v_add_f64 v[3:4], v[3:4], v[115:116]
	s_andn2_b32 exec_lo, exec_lo, s5
	s_cbranch_execnz .LBB51_392
; %bb.393:
	s_or_b32 exec_lo, exec_lo, s5
.LBB51_394:
	s_or_b32 exec_lo, exec_lo, s8
	v_mov_b32_e32 v15, 0
	ds_read_b128 v[113:116], v15 offset:32
	s_waitcnt lgkmcnt(0)
	v_mul_f64 v[15:16], v[3:4], v[115:116]
	v_mul_f64 v[115:116], v[1:2], v[115:116]
	v_fma_f64 v[1:2], v[1:2], v[113:114], -v[15:16]
	v_fma_f64 v[3:4], v[3:4], v[113:114], v[115:116]
	buffer_store_dword v2, off, s[0:3], 0 offset:36
	buffer_store_dword v1, off, s[0:3], 0 offset:32
	;; [unrolled: 1-line block ×4, first 2 shown]
.LBB51_395:
	s_or_b32 exec_lo, exec_lo, s4
	v_mov_b32_e32 v4, s58
	v_cmp_lt_u32_e64 s4, 1, v0
	s_clause 0x3
	buffer_load_dword v1, v4, s[0:3], 0 offen
	buffer_load_dword v2, v4, s[0:3], 0 offen offset:4
	buffer_load_dword v3, v4, s[0:3], 0 offen offset:8
	;; [unrolled: 1-line block ×3, first 2 shown]
	s_waitcnt vmcnt(0)
	ds_write_b128 v14, v[1:4]
	s_waitcnt lgkmcnt(0)
	s_waitcnt_vscnt null, 0x0
	s_barrier
	buffer_gl0_inv
	s_and_saveexec_b32 s5, s4
	s_cbranch_execz .LBB51_403
; %bb.396:
	ds_read_b128 v[1:4], v14
	s_andn2_b32 vcc_lo, exec_lo, s60
	s_cbranch_vccnz .LBB51_398
; %bb.397:
	s_clause 0x3
	buffer_load_dword v15, v13, s[0:3], 0 offen offset:8
	buffer_load_dword v16, v13, s[0:3], 0 offen offset:12
	buffer_load_dword v113, v13, s[0:3], 0 offen
	buffer_load_dword v114, v13, s[0:3], 0 offen offset:4
	s_waitcnt vmcnt(2) lgkmcnt(0)
	v_mul_f64 v[115:116], v[3:4], v[15:16]
	v_mul_f64 v[15:16], v[1:2], v[15:16]
	s_waitcnt vmcnt(0)
	v_fma_f64 v[1:2], v[1:2], v[113:114], -v[115:116]
	v_fma_f64 v[3:4], v[3:4], v[113:114], v[15:16]
.LBB51_398:
	s_and_saveexec_b32 s8, s6
	s_cbranch_execz .LBB51_402
; %bb.399:
	v_add_nc_u32_e32 v15, -2, v0
	s_movk_i32 s61, 0x360
	s_mov_b32 s6, 0
	s_mov_b32 s62, s59
	.p2align	6
.LBB51_400:                             ; =>This Inner Loop Header: Depth=1
	v_mov_b32_e32 v16, s62
	v_add_nc_u32_e32 v15, -1, v15
	s_add_i32 s62, s62, 16
	s_clause 0x3
	buffer_load_dword v117, v16, s[0:3], 0 offen offset:8
	buffer_load_dword v118, v16, s[0:3], 0 offen offset:12
	buffer_load_dword v119, v16, s[0:3], 0 offen
	buffer_load_dword v120, v16, s[0:3], 0 offen offset:4
	v_mov_b32_e32 v16, s61
	v_cmp_eq_u32_e32 vcc_lo, 0, v15
	s_add_i32 s61, s61, 16
	ds_read_b128 v[113:116], v16
	s_or_b32 s6, vcc_lo, s6
	s_waitcnt vmcnt(2) lgkmcnt(0)
	v_mul_f64 v[121:122], v[115:116], v[117:118]
	v_mul_f64 v[117:118], v[113:114], v[117:118]
	s_waitcnt vmcnt(0)
	v_fma_f64 v[113:114], v[113:114], v[119:120], -v[121:122]
	v_fma_f64 v[115:116], v[115:116], v[119:120], v[117:118]
	v_add_f64 v[1:2], v[1:2], v[113:114]
	v_add_f64 v[3:4], v[3:4], v[115:116]
	s_andn2_b32 exec_lo, exec_lo, s6
	s_cbranch_execnz .LBB51_400
; %bb.401:
	s_or_b32 exec_lo, exec_lo, s6
.LBB51_402:
	s_or_b32 exec_lo, exec_lo, s8
	v_mov_b32_e32 v15, 0
	ds_read_b128 v[113:116], v15 offset:16
	s_waitcnt lgkmcnt(0)
	v_mul_f64 v[15:16], v[3:4], v[115:116]
	v_mul_f64 v[115:116], v[1:2], v[115:116]
	v_fma_f64 v[1:2], v[1:2], v[113:114], -v[15:16]
	v_fma_f64 v[3:4], v[3:4], v[113:114], v[115:116]
	buffer_store_dword v2, off, s[0:3], 0 offset:20
	buffer_store_dword v1, off, s[0:3], 0 offset:16
	;; [unrolled: 1-line block ×4, first 2 shown]
.LBB51_403:
	s_or_b32 exec_lo, exec_lo, s5
	s_clause 0x3
	buffer_load_dword v1, off, s[0:3], 0
	buffer_load_dword v2, off, s[0:3], 0 offset:4
	buffer_load_dword v3, off, s[0:3], 0 offset:8
	;; [unrolled: 1-line block ×3, first 2 shown]
	s_mov_b32 s6, 0
	s_mov_b32 s5, 0
	s_mov_b32 s8, exec_lo
                                        ; implicit-def: $sgpr61
	s_waitcnt vmcnt(0)
	ds_write_b128 v14, v[1:4]
	s_waitcnt lgkmcnt(0)
	s_waitcnt_vscnt null, 0x0
	s_barrier
	buffer_gl0_inv
                                        ; implicit-def: $vgpr1_vgpr2
	v_cmpx_ne_u32_e32 0, v0
	s_cbranch_execz .LBB51_411
; %bb.404:
	ds_read_b128 v[1:4], v14
	s_andn2_b32 vcc_lo, exec_lo, s60
	s_cbranch_vccnz .LBB51_406
; %bb.405:
	s_clause 0x3
	buffer_load_dword v15, v13, s[0:3], 0 offen offset:8
	buffer_load_dword v16, v13, s[0:3], 0 offen offset:12
	buffer_load_dword v113, v13, s[0:3], 0 offen
	buffer_load_dword v114, v13, s[0:3], 0 offen offset:4
	s_waitcnt vmcnt(2) lgkmcnt(0)
	v_mul_f64 v[115:116], v[3:4], v[15:16]
	v_mul_f64 v[15:16], v[1:2], v[15:16]
	s_waitcnt vmcnt(0)
	v_fma_f64 v[1:2], v[1:2], v[113:114], -v[115:116]
	v_fma_f64 v[3:4], v[3:4], v[113:114], v[15:16]
.LBB51_406:
	s_and_saveexec_b32 s5, s4
	s_cbranch_execz .LBB51_410
; %bb.407:
	v_add_nc_u32_e32 v15, -1, v0
	s_movk_i32 s61, 0x350
	s_mov_b32 s4, 0
	s_mov_b32 s62, s58
	.p2align	6
.LBB51_408:                             ; =>This Inner Loop Header: Depth=1
	v_mov_b32_e32 v16, s62
	v_add_nc_u32_e32 v15, -1, v15
	s_add_i32 s62, s62, 16
	s_clause 0x3
	buffer_load_dword v117, v16, s[0:3], 0 offen offset:8
	buffer_load_dword v118, v16, s[0:3], 0 offen offset:12
	buffer_load_dword v119, v16, s[0:3], 0 offen
	buffer_load_dword v120, v16, s[0:3], 0 offen offset:4
	v_mov_b32_e32 v16, s61
	v_cmp_eq_u32_e32 vcc_lo, 0, v15
	s_add_i32 s61, s61, 16
	ds_read_b128 v[113:116], v16
	s_or_b32 s4, vcc_lo, s4
	s_waitcnt vmcnt(2) lgkmcnt(0)
	v_mul_f64 v[121:122], v[115:116], v[117:118]
	v_mul_f64 v[117:118], v[113:114], v[117:118]
	s_waitcnt vmcnt(0)
	v_fma_f64 v[113:114], v[113:114], v[119:120], -v[121:122]
	v_fma_f64 v[115:116], v[115:116], v[119:120], v[117:118]
	v_add_f64 v[1:2], v[1:2], v[113:114]
	v_add_f64 v[3:4], v[3:4], v[115:116]
	s_andn2_b32 exec_lo, exec_lo, s4
	s_cbranch_execnz .LBB51_408
; %bb.409:
	s_or_b32 exec_lo, exec_lo, s4
.LBB51_410:
	s_or_b32 exec_lo, exec_lo, s5
	v_mov_b32_e32 v15, 0
	s_mov_b32 s5, exec_lo
	s_or_b32 s61, 0, 8
	ds_read_b128 v[113:116], v15
	s_waitcnt lgkmcnt(0)
	v_mul_f64 v[15:16], v[3:4], v[115:116]
	v_mul_f64 v[115:116], v[1:2], v[115:116]
	v_fma_f64 v[15:16], v[1:2], v[113:114], -v[15:16]
	v_fma_f64 v[1:2], v[3:4], v[113:114], v[115:116]
	buffer_store_dword v16, off, s[0:3], 0 offset:4
	buffer_store_dword v15, off, s[0:3], 0
.LBB51_411:
	s_or_b32 exec_lo, exec_lo, s8
	s_and_b32 vcc_lo, exec_lo, s6
	s_cbranch_vccnz .LBB51_413
	s_branch .LBB51_816
.LBB51_412:
	s_mov_b32 s5, 0
                                        ; implicit-def: $vgpr1_vgpr2
                                        ; implicit-def: $sgpr61
	s_cbranch_execz .LBB51_816
.LBB51_413:
	v_mov_b32_e32 v4, s58
	v_cmp_eq_u32_e64 s4, 0, v0
	v_cndmask_b32_e64 v15, 0, 1, s60
	s_clause 0x3
	buffer_load_dword v1, v4, s[0:3], 0 offen
	buffer_load_dword v2, v4, s[0:3], 0 offen offset:4
	buffer_load_dword v3, v4, s[0:3], 0 offen offset:8
	;; [unrolled: 1-line block ×3, first 2 shown]
	s_waitcnt vmcnt(0)
	ds_write_b128 v14, v[1:4]
	s_waitcnt lgkmcnt(0)
	s_waitcnt_vscnt null, 0x0
	s_barrier
	buffer_gl0_inv
	s_and_saveexec_b32 s6, s4
	s_cbranch_execz .LBB51_417
; %bb.414:
	ds_read_b128 v[1:4], v14
	s_andn2_b32 vcc_lo, exec_lo, s60
	s_cbranch_vccnz .LBB51_416
; %bb.415:
	s_clause 0x3
	buffer_load_dword v113, v13, s[0:3], 0 offen offset:8
	buffer_load_dword v114, v13, s[0:3], 0 offen offset:12
	buffer_load_dword v115, v13, s[0:3], 0 offen
	buffer_load_dword v116, v13, s[0:3], 0 offen offset:4
	s_waitcnt vmcnt(2) lgkmcnt(0)
	v_mul_f64 v[117:118], v[3:4], v[113:114]
	v_mul_f64 v[113:114], v[1:2], v[113:114]
	s_waitcnt vmcnt(0)
	v_fma_f64 v[1:2], v[1:2], v[115:116], -v[117:118]
	v_fma_f64 v[3:4], v[3:4], v[115:116], v[113:114]
.LBB51_416:
	v_mov_b32_e32 v16, 0
	ds_read_b128 v[113:116], v16 offset:16
	s_waitcnt lgkmcnt(0)
	v_mul_f64 v[117:118], v[3:4], v[115:116]
	v_mul_f64 v[115:116], v[1:2], v[115:116]
	v_fma_f64 v[1:2], v[1:2], v[113:114], -v[117:118]
	v_fma_f64 v[3:4], v[3:4], v[113:114], v[115:116]
	buffer_store_dword v2, off, s[0:3], 0 offset:20
	buffer_store_dword v1, off, s[0:3], 0 offset:16
	;; [unrolled: 1-line block ×4, first 2 shown]
.LBB51_417:
	s_or_b32 exec_lo, exec_lo, s6
	v_mov_b32_e32 v4, s59
	s_mov_b32 s6, exec_lo
	s_clause 0x3
	buffer_load_dword v1, v4, s[0:3], 0 offen
	buffer_load_dword v2, v4, s[0:3], 0 offen offset:4
	buffer_load_dword v3, v4, s[0:3], 0 offen offset:8
	;; [unrolled: 1-line block ×3, first 2 shown]
	s_waitcnt vmcnt(0)
	ds_write_b128 v14, v[1:4]
	s_waitcnt lgkmcnt(0)
	s_waitcnt_vscnt null, 0x0
	s_barrier
	buffer_gl0_inv
	v_cmpx_gt_u32_e32 2, v0
	s_cbranch_execz .LBB51_423
; %bb.418:
	ds_read_b128 v[1:4], v14
	v_cmp_ne_u32_e32 vcc_lo, 1, v15
	s_cbranch_vccnz .LBB51_420
; %bb.419:
	s_clause 0x3
	buffer_load_dword v113, v13, s[0:3], 0 offen offset:8
	buffer_load_dword v114, v13, s[0:3], 0 offen offset:12
	buffer_load_dword v115, v13, s[0:3], 0 offen
	buffer_load_dword v116, v13, s[0:3], 0 offen offset:4
	s_waitcnt vmcnt(2) lgkmcnt(0)
	v_mul_f64 v[117:118], v[3:4], v[113:114]
	v_mul_f64 v[113:114], v[1:2], v[113:114]
	s_waitcnt vmcnt(0)
	v_fma_f64 v[1:2], v[1:2], v[115:116], -v[117:118]
	v_fma_f64 v[3:4], v[3:4], v[115:116], v[113:114]
.LBB51_420:
	s_and_saveexec_b32 s8, s4
	s_cbranch_execz .LBB51_422
; %bb.421:
	s_clause 0x3
	buffer_load_dword v117, off, s[0:3], 0 offset:24
	buffer_load_dword v118, off, s[0:3], 0 offset:28
	;; [unrolled: 1-line block ×4, first 2 shown]
	v_mov_b32_e32 v16, 0
	ds_read_b128 v[113:116], v16 offset:848
	s_waitcnt vmcnt(2) lgkmcnt(0)
	v_mul_f64 v[121:122], v[115:116], v[117:118]
	v_mul_f64 v[117:118], v[113:114], v[117:118]
	s_waitcnt vmcnt(0)
	v_fma_f64 v[113:114], v[113:114], v[119:120], -v[121:122]
	v_fma_f64 v[115:116], v[115:116], v[119:120], v[117:118]
	v_add_f64 v[1:2], v[1:2], v[113:114]
	v_add_f64 v[3:4], v[3:4], v[115:116]
.LBB51_422:
	s_or_b32 exec_lo, exec_lo, s8
	v_mov_b32_e32 v16, 0
	ds_read_b128 v[113:116], v16 offset:32
	s_waitcnt lgkmcnt(0)
	v_mul_f64 v[117:118], v[3:4], v[115:116]
	v_mul_f64 v[115:116], v[1:2], v[115:116]
	v_fma_f64 v[1:2], v[1:2], v[113:114], -v[117:118]
	v_fma_f64 v[3:4], v[3:4], v[113:114], v[115:116]
	buffer_store_dword v2, off, s[0:3], 0 offset:36
	buffer_store_dword v1, off, s[0:3], 0 offset:32
	;; [unrolled: 1-line block ×4, first 2 shown]
.LBB51_423:
	s_or_b32 exec_lo, exec_lo, s6
	v_mov_b32_e32 v4, s57
	s_mov_b32 s6, exec_lo
	s_clause 0x3
	buffer_load_dword v1, v4, s[0:3], 0 offen
	buffer_load_dword v2, v4, s[0:3], 0 offen offset:4
	buffer_load_dword v3, v4, s[0:3], 0 offen offset:8
	;; [unrolled: 1-line block ×3, first 2 shown]
	s_waitcnt vmcnt(0)
	ds_write_b128 v14, v[1:4]
	s_waitcnt lgkmcnt(0)
	s_waitcnt_vscnt null, 0x0
	s_barrier
	buffer_gl0_inv
	v_cmpx_gt_u32_e32 3, v0
	s_cbranch_execz .LBB51_431
; %bb.424:
	ds_read_b128 v[1:4], v14
	v_cmp_ne_u32_e32 vcc_lo, 1, v15
	s_cbranch_vccnz .LBB51_426
; %bb.425:
	s_clause 0x3
	buffer_load_dword v113, v13, s[0:3], 0 offen offset:8
	buffer_load_dword v114, v13, s[0:3], 0 offen offset:12
	buffer_load_dword v115, v13, s[0:3], 0 offen
	buffer_load_dword v116, v13, s[0:3], 0 offen offset:4
	s_waitcnt vmcnt(2) lgkmcnt(0)
	v_mul_f64 v[117:118], v[3:4], v[113:114]
	v_mul_f64 v[113:114], v[1:2], v[113:114]
	s_waitcnt vmcnt(0)
	v_fma_f64 v[1:2], v[1:2], v[115:116], -v[117:118]
	v_fma_f64 v[3:4], v[3:4], v[115:116], v[113:114]
.LBB51_426:
	s_mov_b32 s8, exec_lo
	v_cmpx_ne_u32_e32 2, v0
	s_cbranch_execz .LBB51_430
; %bb.427:
	s_clause 0x3
	buffer_load_dword v117, v13, s[0:3], 0 offen offset:24
	buffer_load_dword v118, v13, s[0:3], 0 offen offset:28
	;; [unrolled: 1-line block ×4, first 2 shown]
	ds_read_b128 v[113:116], v14 offset:16
	s_waitcnt vmcnt(2) lgkmcnt(0)
	v_mul_f64 v[121:122], v[115:116], v[117:118]
	v_mul_f64 v[117:118], v[113:114], v[117:118]
	s_waitcnt vmcnt(0)
	v_fma_f64 v[113:114], v[113:114], v[119:120], -v[121:122]
	v_fma_f64 v[115:116], v[115:116], v[119:120], v[117:118]
	v_add_f64 v[1:2], v[1:2], v[113:114]
	v_add_f64 v[3:4], v[3:4], v[115:116]
	s_and_saveexec_b32 s60, s4
	s_cbranch_execz .LBB51_429
; %bb.428:
	s_clause 0x3
	buffer_load_dword v117, off, s[0:3], 0 offset:40
	buffer_load_dword v118, off, s[0:3], 0 offset:44
	;; [unrolled: 1-line block ×4, first 2 shown]
	v_mov_b32_e32 v16, 0
	ds_read_b128 v[113:116], v16 offset:864
	s_waitcnt vmcnt(2) lgkmcnt(0)
	v_mul_f64 v[121:122], v[113:114], v[117:118]
	v_mul_f64 v[117:118], v[115:116], v[117:118]
	s_waitcnt vmcnt(0)
	v_fma_f64 v[115:116], v[115:116], v[119:120], v[121:122]
	v_fma_f64 v[113:114], v[113:114], v[119:120], -v[117:118]
	v_add_f64 v[3:4], v[3:4], v[115:116]
	v_add_f64 v[1:2], v[1:2], v[113:114]
.LBB51_429:
	s_or_b32 exec_lo, exec_lo, s60
.LBB51_430:
	s_or_b32 exec_lo, exec_lo, s8
	v_mov_b32_e32 v16, 0
	ds_read_b128 v[113:116], v16 offset:48
	s_waitcnt lgkmcnt(0)
	v_mul_f64 v[117:118], v[3:4], v[115:116]
	v_mul_f64 v[115:116], v[1:2], v[115:116]
	v_fma_f64 v[1:2], v[1:2], v[113:114], -v[117:118]
	v_fma_f64 v[3:4], v[3:4], v[113:114], v[115:116]
	buffer_store_dword v2, off, s[0:3], 0 offset:52
	buffer_store_dword v1, off, s[0:3], 0 offset:48
	;; [unrolled: 1-line block ×4, first 2 shown]
.LBB51_431:
	s_or_b32 exec_lo, exec_lo, s6
	v_mov_b32_e32 v4, s56
	s_mov_b32 s4, exec_lo
	s_clause 0x3
	buffer_load_dword v1, v4, s[0:3], 0 offen
	buffer_load_dword v2, v4, s[0:3], 0 offen offset:4
	buffer_load_dword v3, v4, s[0:3], 0 offen offset:8
	;; [unrolled: 1-line block ×3, first 2 shown]
	s_waitcnt vmcnt(0)
	ds_write_b128 v14, v[1:4]
	s_waitcnt lgkmcnt(0)
	s_waitcnt_vscnt null, 0x0
	s_barrier
	buffer_gl0_inv
	v_cmpx_gt_u32_e32 4, v0
	s_cbranch_execz .LBB51_439
; %bb.432:
	ds_read_b128 v[1:4], v14
	v_cmp_ne_u32_e32 vcc_lo, 1, v15
	s_cbranch_vccnz .LBB51_434
; %bb.433:
	s_clause 0x3
	buffer_load_dword v113, v13, s[0:3], 0 offen offset:8
	buffer_load_dword v114, v13, s[0:3], 0 offen offset:12
	buffer_load_dword v115, v13, s[0:3], 0 offen
	buffer_load_dword v116, v13, s[0:3], 0 offen offset:4
	s_waitcnt vmcnt(2) lgkmcnt(0)
	v_mul_f64 v[117:118], v[3:4], v[113:114]
	v_mul_f64 v[113:114], v[1:2], v[113:114]
	s_waitcnt vmcnt(0)
	v_fma_f64 v[1:2], v[1:2], v[115:116], -v[117:118]
	v_fma_f64 v[3:4], v[3:4], v[115:116], v[113:114]
.LBB51_434:
	s_mov_b32 s6, exec_lo
	v_cmpx_ne_u32_e32 3, v0
	s_cbranch_execz .LBB51_438
; %bb.435:
	v_add_nc_u32_e32 v16, 0x350, v147
	v_add3_u32 v113, 0, v147, 16
	v_mov_b32_e32 v114, v0
	s_mov_b32 s8, 0
	.p2align	6
.LBB51_436:                             ; =>This Inner Loop Header: Depth=1
	s_clause 0x3
	buffer_load_dword v119, v113, s[0:3], 0 offen offset:8
	buffer_load_dword v120, v113, s[0:3], 0 offen offset:12
	buffer_load_dword v121, v113, s[0:3], 0 offen
	buffer_load_dword v122, v113, s[0:3], 0 offen offset:4
	ds_read_b128 v[115:118], v16
	v_add_nc_u32_e32 v114, 1, v114
	v_add_nc_u32_e32 v16, 16, v16
	;; [unrolled: 1-line block ×3, first 2 shown]
	v_cmp_lt_u32_e32 vcc_lo, 2, v114
	s_or_b32 s8, vcc_lo, s8
	s_waitcnt vmcnt(2) lgkmcnt(0)
	v_mul_f64 v[123:124], v[117:118], v[119:120]
	v_mul_f64 v[119:120], v[115:116], v[119:120]
	s_waitcnt vmcnt(0)
	v_fma_f64 v[115:116], v[115:116], v[121:122], -v[123:124]
	v_fma_f64 v[117:118], v[117:118], v[121:122], v[119:120]
	v_add_f64 v[1:2], v[1:2], v[115:116]
	v_add_f64 v[3:4], v[3:4], v[117:118]
	s_andn2_b32 exec_lo, exec_lo, s8
	s_cbranch_execnz .LBB51_436
; %bb.437:
	s_or_b32 exec_lo, exec_lo, s8
.LBB51_438:
	s_or_b32 exec_lo, exec_lo, s6
	v_mov_b32_e32 v16, 0
	ds_read_b128 v[113:116], v16 offset:64
	s_waitcnt lgkmcnt(0)
	v_mul_f64 v[117:118], v[3:4], v[115:116]
	v_mul_f64 v[115:116], v[1:2], v[115:116]
	v_fma_f64 v[1:2], v[1:2], v[113:114], -v[117:118]
	v_fma_f64 v[3:4], v[3:4], v[113:114], v[115:116]
	buffer_store_dword v2, off, s[0:3], 0 offset:68
	buffer_store_dword v1, off, s[0:3], 0 offset:64
	;; [unrolled: 1-line block ×4, first 2 shown]
.LBB51_439:
	s_or_b32 exec_lo, exec_lo, s4
	v_mov_b32_e32 v4, s55
	s_mov_b32 s4, exec_lo
	s_clause 0x3
	buffer_load_dword v1, v4, s[0:3], 0 offen
	buffer_load_dword v2, v4, s[0:3], 0 offen offset:4
	buffer_load_dword v3, v4, s[0:3], 0 offen offset:8
	;; [unrolled: 1-line block ×3, first 2 shown]
	s_waitcnt vmcnt(0)
	ds_write_b128 v14, v[1:4]
	s_waitcnt lgkmcnt(0)
	s_waitcnt_vscnt null, 0x0
	s_barrier
	buffer_gl0_inv
	v_cmpx_gt_u32_e32 5, v0
	s_cbranch_execz .LBB51_447
; %bb.440:
	ds_read_b128 v[1:4], v14
	v_cmp_ne_u32_e32 vcc_lo, 1, v15
	s_cbranch_vccnz .LBB51_442
; %bb.441:
	s_clause 0x3
	buffer_load_dword v113, v13, s[0:3], 0 offen offset:8
	buffer_load_dword v114, v13, s[0:3], 0 offen offset:12
	buffer_load_dword v115, v13, s[0:3], 0 offen
	buffer_load_dword v116, v13, s[0:3], 0 offen offset:4
	s_waitcnt vmcnt(2) lgkmcnt(0)
	v_mul_f64 v[117:118], v[3:4], v[113:114]
	v_mul_f64 v[113:114], v[1:2], v[113:114]
	s_waitcnt vmcnt(0)
	v_fma_f64 v[1:2], v[1:2], v[115:116], -v[117:118]
	v_fma_f64 v[3:4], v[3:4], v[115:116], v[113:114]
.LBB51_442:
	s_mov_b32 s6, exec_lo
	v_cmpx_ne_u32_e32 4, v0
	s_cbranch_execz .LBB51_446
; %bb.443:
	v_add_nc_u32_e32 v16, 0x350, v147
	v_add3_u32 v113, 0, v147, 16
	v_mov_b32_e32 v114, v0
	s_mov_b32 s8, 0
	.p2align	6
.LBB51_444:                             ; =>This Inner Loop Header: Depth=1
	s_clause 0x3
	buffer_load_dword v119, v113, s[0:3], 0 offen offset:8
	buffer_load_dword v120, v113, s[0:3], 0 offen offset:12
	buffer_load_dword v121, v113, s[0:3], 0 offen
	buffer_load_dword v122, v113, s[0:3], 0 offen offset:4
	ds_read_b128 v[115:118], v16
	v_add_nc_u32_e32 v114, 1, v114
	v_add_nc_u32_e32 v16, 16, v16
	;; [unrolled: 1-line block ×3, first 2 shown]
	v_cmp_lt_u32_e32 vcc_lo, 3, v114
	s_or_b32 s8, vcc_lo, s8
	s_waitcnt vmcnt(2) lgkmcnt(0)
	v_mul_f64 v[123:124], v[117:118], v[119:120]
	v_mul_f64 v[119:120], v[115:116], v[119:120]
	s_waitcnt vmcnt(0)
	v_fma_f64 v[115:116], v[115:116], v[121:122], -v[123:124]
	v_fma_f64 v[117:118], v[117:118], v[121:122], v[119:120]
	v_add_f64 v[1:2], v[1:2], v[115:116]
	v_add_f64 v[3:4], v[3:4], v[117:118]
	s_andn2_b32 exec_lo, exec_lo, s8
	s_cbranch_execnz .LBB51_444
; %bb.445:
	s_or_b32 exec_lo, exec_lo, s8
.LBB51_446:
	s_or_b32 exec_lo, exec_lo, s6
	v_mov_b32_e32 v16, 0
	ds_read_b128 v[113:116], v16 offset:80
	s_waitcnt lgkmcnt(0)
	v_mul_f64 v[117:118], v[3:4], v[115:116]
	v_mul_f64 v[115:116], v[1:2], v[115:116]
	v_fma_f64 v[1:2], v[1:2], v[113:114], -v[117:118]
	v_fma_f64 v[3:4], v[3:4], v[113:114], v[115:116]
	buffer_store_dword v2, off, s[0:3], 0 offset:84
	buffer_store_dword v1, off, s[0:3], 0 offset:80
	;; [unrolled: 1-line block ×4, first 2 shown]
.LBB51_447:
	s_or_b32 exec_lo, exec_lo, s4
	v_mov_b32_e32 v4, s54
	s_mov_b32 s4, exec_lo
	s_clause 0x3
	buffer_load_dword v1, v4, s[0:3], 0 offen
	buffer_load_dword v2, v4, s[0:3], 0 offen offset:4
	buffer_load_dword v3, v4, s[0:3], 0 offen offset:8
	;; [unrolled: 1-line block ×3, first 2 shown]
	s_waitcnt vmcnt(0)
	ds_write_b128 v14, v[1:4]
	s_waitcnt lgkmcnt(0)
	s_waitcnt_vscnt null, 0x0
	s_barrier
	buffer_gl0_inv
	v_cmpx_gt_u32_e32 6, v0
	s_cbranch_execz .LBB51_455
; %bb.448:
	ds_read_b128 v[1:4], v14
	v_cmp_ne_u32_e32 vcc_lo, 1, v15
	s_cbranch_vccnz .LBB51_450
; %bb.449:
	s_clause 0x3
	buffer_load_dword v113, v13, s[0:3], 0 offen offset:8
	buffer_load_dword v114, v13, s[0:3], 0 offen offset:12
	buffer_load_dword v115, v13, s[0:3], 0 offen
	buffer_load_dword v116, v13, s[0:3], 0 offen offset:4
	s_waitcnt vmcnt(2) lgkmcnt(0)
	v_mul_f64 v[117:118], v[3:4], v[113:114]
	v_mul_f64 v[113:114], v[1:2], v[113:114]
	s_waitcnt vmcnt(0)
	v_fma_f64 v[1:2], v[1:2], v[115:116], -v[117:118]
	v_fma_f64 v[3:4], v[3:4], v[115:116], v[113:114]
.LBB51_450:
	s_mov_b32 s6, exec_lo
	v_cmpx_ne_u32_e32 5, v0
	s_cbranch_execz .LBB51_454
; %bb.451:
	v_add_nc_u32_e32 v16, 0x350, v147
	v_add3_u32 v113, 0, v147, 16
	v_mov_b32_e32 v114, v0
	s_mov_b32 s8, 0
	.p2align	6
.LBB51_452:                             ; =>This Inner Loop Header: Depth=1
	s_clause 0x3
	buffer_load_dword v119, v113, s[0:3], 0 offen offset:8
	buffer_load_dword v120, v113, s[0:3], 0 offen offset:12
	buffer_load_dword v121, v113, s[0:3], 0 offen
	buffer_load_dword v122, v113, s[0:3], 0 offen offset:4
	ds_read_b128 v[115:118], v16
	v_add_nc_u32_e32 v114, 1, v114
	v_add_nc_u32_e32 v16, 16, v16
	;; [unrolled: 1-line block ×3, first 2 shown]
	v_cmp_lt_u32_e32 vcc_lo, 4, v114
	s_or_b32 s8, vcc_lo, s8
	s_waitcnt vmcnt(2) lgkmcnt(0)
	v_mul_f64 v[123:124], v[117:118], v[119:120]
	v_mul_f64 v[119:120], v[115:116], v[119:120]
	s_waitcnt vmcnt(0)
	v_fma_f64 v[115:116], v[115:116], v[121:122], -v[123:124]
	v_fma_f64 v[117:118], v[117:118], v[121:122], v[119:120]
	v_add_f64 v[1:2], v[1:2], v[115:116]
	v_add_f64 v[3:4], v[3:4], v[117:118]
	s_andn2_b32 exec_lo, exec_lo, s8
	s_cbranch_execnz .LBB51_452
; %bb.453:
	s_or_b32 exec_lo, exec_lo, s8
.LBB51_454:
	s_or_b32 exec_lo, exec_lo, s6
	v_mov_b32_e32 v16, 0
	ds_read_b128 v[113:116], v16 offset:96
	s_waitcnt lgkmcnt(0)
	v_mul_f64 v[117:118], v[3:4], v[115:116]
	v_mul_f64 v[115:116], v[1:2], v[115:116]
	v_fma_f64 v[1:2], v[1:2], v[113:114], -v[117:118]
	v_fma_f64 v[3:4], v[3:4], v[113:114], v[115:116]
	buffer_store_dword v2, off, s[0:3], 0 offset:100
	buffer_store_dword v1, off, s[0:3], 0 offset:96
	;; [unrolled: 1-line block ×4, first 2 shown]
.LBB51_455:
	s_or_b32 exec_lo, exec_lo, s4
	v_mov_b32_e32 v4, s53
	s_mov_b32 s4, exec_lo
	s_clause 0x3
	buffer_load_dword v1, v4, s[0:3], 0 offen
	buffer_load_dword v2, v4, s[0:3], 0 offen offset:4
	buffer_load_dword v3, v4, s[0:3], 0 offen offset:8
	;; [unrolled: 1-line block ×3, first 2 shown]
	s_waitcnt vmcnt(0)
	ds_write_b128 v14, v[1:4]
	s_waitcnt lgkmcnt(0)
	s_waitcnt_vscnt null, 0x0
	s_barrier
	buffer_gl0_inv
	v_cmpx_gt_u32_e32 7, v0
	s_cbranch_execz .LBB51_463
; %bb.456:
	ds_read_b128 v[1:4], v14
	v_cmp_ne_u32_e32 vcc_lo, 1, v15
	s_cbranch_vccnz .LBB51_458
; %bb.457:
	s_clause 0x3
	buffer_load_dword v113, v13, s[0:3], 0 offen offset:8
	buffer_load_dword v114, v13, s[0:3], 0 offen offset:12
	buffer_load_dword v115, v13, s[0:3], 0 offen
	buffer_load_dword v116, v13, s[0:3], 0 offen offset:4
	s_waitcnt vmcnt(2) lgkmcnt(0)
	v_mul_f64 v[117:118], v[3:4], v[113:114]
	v_mul_f64 v[113:114], v[1:2], v[113:114]
	s_waitcnt vmcnt(0)
	v_fma_f64 v[1:2], v[1:2], v[115:116], -v[117:118]
	v_fma_f64 v[3:4], v[3:4], v[115:116], v[113:114]
.LBB51_458:
	s_mov_b32 s6, exec_lo
	v_cmpx_ne_u32_e32 6, v0
	s_cbranch_execz .LBB51_462
; %bb.459:
	v_add_nc_u32_e32 v16, 0x350, v147
	v_add3_u32 v113, 0, v147, 16
	v_mov_b32_e32 v114, v0
	s_mov_b32 s8, 0
	.p2align	6
.LBB51_460:                             ; =>This Inner Loop Header: Depth=1
	s_clause 0x3
	buffer_load_dword v119, v113, s[0:3], 0 offen offset:8
	buffer_load_dword v120, v113, s[0:3], 0 offen offset:12
	buffer_load_dword v121, v113, s[0:3], 0 offen
	buffer_load_dword v122, v113, s[0:3], 0 offen offset:4
	ds_read_b128 v[115:118], v16
	v_add_nc_u32_e32 v114, 1, v114
	v_add_nc_u32_e32 v16, 16, v16
	;; [unrolled: 1-line block ×3, first 2 shown]
	v_cmp_lt_u32_e32 vcc_lo, 5, v114
	s_or_b32 s8, vcc_lo, s8
	s_waitcnt vmcnt(2) lgkmcnt(0)
	v_mul_f64 v[123:124], v[117:118], v[119:120]
	v_mul_f64 v[119:120], v[115:116], v[119:120]
	s_waitcnt vmcnt(0)
	v_fma_f64 v[115:116], v[115:116], v[121:122], -v[123:124]
	v_fma_f64 v[117:118], v[117:118], v[121:122], v[119:120]
	v_add_f64 v[1:2], v[1:2], v[115:116]
	v_add_f64 v[3:4], v[3:4], v[117:118]
	s_andn2_b32 exec_lo, exec_lo, s8
	s_cbranch_execnz .LBB51_460
; %bb.461:
	s_or_b32 exec_lo, exec_lo, s8
.LBB51_462:
	s_or_b32 exec_lo, exec_lo, s6
	v_mov_b32_e32 v16, 0
	ds_read_b128 v[113:116], v16 offset:112
	s_waitcnt lgkmcnt(0)
	v_mul_f64 v[117:118], v[3:4], v[115:116]
	v_mul_f64 v[115:116], v[1:2], v[115:116]
	v_fma_f64 v[1:2], v[1:2], v[113:114], -v[117:118]
	v_fma_f64 v[3:4], v[3:4], v[113:114], v[115:116]
	buffer_store_dword v2, off, s[0:3], 0 offset:116
	buffer_store_dword v1, off, s[0:3], 0 offset:112
	;; [unrolled: 1-line block ×4, first 2 shown]
.LBB51_463:
	s_or_b32 exec_lo, exec_lo, s4
	v_mov_b32_e32 v4, s52
	s_mov_b32 s4, exec_lo
	s_clause 0x3
	buffer_load_dword v1, v4, s[0:3], 0 offen
	buffer_load_dword v2, v4, s[0:3], 0 offen offset:4
	buffer_load_dword v3, v4, s[0:3], 0 offen offset:8
	;; [unrolled: 1-line block ×3, first 2 shown]
	s_waitcnt vmcnt(0)
	ds_write_b128 v14, v[1:4]
	s_waitcnt lgkmcnt(0)
	s_waitcnt_vscnt null, 0x0
	s_barrier
	buffer_gl0_inv
	v_cmpx_gt_u32_e32 8, v0
	s_cbranch_execz .LBB51_471
; %bb.464:
	ds_read_b128 v[1:4], v14
	v_cmp_ne_u32_e32 vcc_lo, 1, v15
	s_cbranch_vccnz .LBB51_466
; %bb.465:
	s_clause 0x3
	buffer_load_dword v113, v13, s[0:3], 0 offen offset:8
	buffer_load_dword v114, v13, s[0:3], 0 offen offset:12
	buffer_load_dword v115, v13, s[0:3], 0 offen
	buffer_load_dword v116, v13, s[0:3], 0 offen offset:4
	s_waitcnt vmcnt(2) lgkmcnt(0)
	v_mul_f64 v[117:118], v[3:4], v[113:114]
	v_mul_f64 v[113:114], v[1:2], v[113:114]
	s_waitcnt vmcnt(0)
	v_fma_f64 v[1:2], v[1:2], v[115:116], -v[117:118]
	v_fma_f64 v[3:4], v[3:4], v[115:116], v[113:114]
.LBB51_466:
	s_mov_b32 s6, exec_lo
	v_cmpx_ne_u32_e32 7, v0
	s_cbranch_execz .LBB51_470
; %bb.467:
	v_add_nc_u32_e32 v16, 0x350, v147
	v_add3_u32 v113, 0, v147, 16
	v_mov_b32_e32 v114, v0
	s_mov_b32 s8, 0
	.p2align	6
.LBB51_468:                             ; =>This Inner Loop Header: Depth=1
	s_clause 0x3
	buffer_load_dword v119, v113, s[0:3], 0 offen offset:8
	buffer_load_dword v120, v113, s[0:3], 0 offen offset:12
	buffer_load_dword v121, v113, s[0:3], 0 offen
	buffer_load_dword v122, v113, s[0:3], 0 offen offset:4
	ds_read_b128 v[115:118], v16
	v_add_nc_u32_e32 v114, 1, v114
	v_add_nc_u32_e32 v16, 16, v16
	;; [unrolled: 1-line block ×3, first 2 shown]
	v_cmp_lt_u32_e32 vcc_lo, 6, v114
	s_or_b32 s8, vcc_lo, s8
	s_waitcnt vmcnt(2) lgkmcnt(0)
	v_mul_f64 v[123:124], v[117:118], v[119:120]
	v_mul_f64 v[119:120], v[115:116], v[119:120]
	s_waitcnt vmcnt(0)
	v_fma_f64 v[115:116], v[115:116], v[121:122], -v[123:124]
	v_fma_f64 v[117:118], v[117:118], v[121:122], v[119:120]
	v_add_f64 v[1:2], v[1:2], v[115:116]
	v_add_f64 v[3:4], v[3:4], v[117:118]
	s_andn2_b32 exec_lo, exec_lo, s8
	s_cbranch_execnz .LBB51_468
; %bb.469:
	s_or_b32 exec_lo, exec_lo, s8
.LBB51_470:
	s_or_b32 exec_lo, exec_lo, s6
	v_mov_b32_e32 v16, 0
	ds_read_b128 v[113:116], v16 offset:128
	s_waitcnt lgkmcnt(0)
	v_mul_f64 v[117:118], v[3:4], v[115:116]
	v_mul_f64 v[115:116], v[1:2], v[115:116]
	v_fma_f64 v[1:2], v[1:2], v[113:114], -v[117:118]
	v_fma_f64 v[3:4], v[3:4], v[113:114], v[115:116]
	buffer_store_dword v2, off, s[0:3], 0 offset:132
	buffer_store_dword v1, off, s[0:3], 0 offset:128
	;; [unrolled: 1-line block ×4, first 2 shown]
.LBB51_471:
	s_or_b32 exec_lo, exec_lo, s4
	v_mov_b32_e32 v4, s51
	s_mov_b32 s4, exec_lo
	s_clause 0x3
	buffer_load_dword v1, v4, s[0:3], 0 offen
	buffer_load_dword v2, v4, s[0:3], 0 offen offset:4
	buffer_load_dword v3, v4, s[0:3], 0 offen offset:8
	;; [unrolled: 1-line block ×3, first 2 shown]
	s_waitcnt vmcnt(0)
	ds_write_b128 v14, v[1:4]
	s_waitcnt lgkmcnt(0)
	s_waitcnt_vscnt null, 0x0
	s_barrier
	buffer_gl0_inv
	v_cmpx_gt_u32_e32 9, v0
	s_cbranch_execz .LBB51_479
; %bb.472:
	ds_read_b128 v[1:4], v14
	v_cmp_ne_u32_e32 vcc_lo, 1, v15
	s_cbranch_vccnz .LBB51_474
; %bb.473:
	s_clause 0x3
	buffer_load_dword v113, v13, s[0:3], 0 offen offset:8
	buffer_load_dword v114, v13, s[0:3], 0 offen offset:12
	buffer_load_dword v115, v13, s[0:3], 0 offen
	buffer_load_dword v116, v13, s[0:3], 0 offen offset:4
	s_waitcnt vmcnt(2) lgkmcnt(0)
	v_mul_f64 v[117:118], v[3:4], v[113:114]
	v_mul_f64 v[113:114], v[1:2], v[113:114]
	s_waitcnt vmcnt(0)
	v_fma_f64 v[1:2], v[1:2], v[115:116], -v[117:118]
	v_fma_f64 v[3:4], v[3:4], v[115:116], v[113:114]
.LBB51_474:
	s_mov_b32 s6, exec_lo
	v_cmpx_ne_u32_e32 8, v0
	s_cbranch_execz .LBB51_478
; %bb.475:
	v_add_nc_u32_e32 v16, 0x350, v147
	v_add3_u32 v113, 0, v147, 16
	v_mov_b32_e32 v114, v0
	s_mov_b32 s8, 0
	.p2align	6
.LBB51_476:                             ; =>This Inner Loop Header: Depth=1
	s_clause 0x3
	buffer_load_dword v119, v113, s[0:3], 0 offen offset:8
	buffer_load_dword v120, v113, s[0:3], 0 offen offset:12
	buffer_load_dword v121, v113, s[0:3], 0 offen
	buffer_load_dword v122, v113, s[0:3], 0 offen offset:4
	ds_read_b128 v[115:118], v16
	v_add_nc_u32_e32 v114, 1, v114
	v_add_nc_u32_e32 v16, 16, v16
	;; [unrolled: 1-line block ×3, first 2 shown]
	v_cmp_lt_u32_e32 vcc_lo, 7, v114
	s_or_b32 s8, vcc_lo, s8
	s_waitcnt vmcnt(2) lgkmcnt(0)
	v_mul_f64 v[123:124], v[117:118], v[119:120]
	v_mul_f64 v[119:120], v[115:116], v[119:120]
	s_waitcnt vmcnt(0)
	v_fma_f64 v[115:116], v[115:116], v[121:122], -v[123:124]
	v_fma_f64 v[117:118], v[117:118], v[121:122], v[119:120]
	v_add_f64 v[1:2], v[1:2], v[115:116]
	v_add_f64 v[3:4], v[3:4], v[117:118]
	s_andn2_b32 exec_lo, exec_lo, s8
	s_cbranch_execnz .LBB51_476
; %bb.477:
	s_or_b32 exec_lo, exec_lo, s8
.LBB51_478:
	s_or_b32 exec_lo, exec_lo, s6
	v_mov_b32_e32 v16, 0
	ds_read_b128 v[113:116], v16 offset:144
	s_waitcnt lgkmcnt(0)
	v_mul_f64 v[117:118], v[3:4], v[115:116]
	v_mul_f64 v[115:116], v[1:2], v[115:116]
	v_fma_f64 v[1:2], v[1:2], v[113:114], -v[117:118]
	v_fma_f64 v[3:4], v[3:4], v[113:114], v[115:116]
	buffer_store_dword v2, off, s[0:3], 0 offset:148
	buffer_store_dword v1, off, s[0:3], 0 offset:144
	;; [unrolled: 1-line block ×4, first 2 shown]
.LBB51_479:
	s_or_b32 exec_lo, exec_lo, s4
	v_mov_b32_e32 v4, s50
	s_mov_b32 s4, exec_lo
	s_clause 0x3
	buffer_load_dword v1, v4, s[0:3], 0 offen
	buffer_load_dword v2, v4, s[0:3], 0 offen offset:4
	buffer_load_dword v3, v4, s[0:3], 0 offen offset:8
	;; [unrolled: 1-line block ×3, first 2 shown]
	s_waitcnt vmcnt(0)
	ds_write_b128 v14, v[1:4]
	s_waitcnt lgkmcnt(0)
	s_waitcnt_vscnt null, 0x0
	s_barrier
	buffer_gl0_inv
	v_cmpx_gt_u32_e32 10, v0
	s_cbranch_execz .LBB51_487
; %bb.480:
	ds_read_b128 v[1:4], v14
	v_cmp_ne_u32_e32 vcc_lo, 1, v15
	s_cbranch_vccnz .LBB51_482
; %bb.481:
	s_clause 0x3
	buffer_load_dword v113, v13, s[0:3], 0 offen offset:8
	buffer_load_dword v114, v13, s[0:3], 0 offen offset:12
	buffer_load_dword v115, v13, s[0:3], 0 offen
	buffer_load_dword v116, v13, s[0:3], 0 offen offset:4
	s_waitcnt vmcnt(2) lgkmcnt(0)
	v_mul_f64 v[117:118], v[3:4], v[113:114]
	v_mul_f64 v[113:114], v[1:2], v[113:114]
	s_waitcnt vmcnt(0)
	v_fma_f64 v[1:2], v[1:2], v[115:116], -v[117:118]
	v_fma_f64 v[3:4], v[3:4], v[115:116], v[113:114]
.LBB51_482:
	s_mov_b32 s6, exec_lo
	v_cmpx_ne_u32_e32 9, v0
	s_cbranch_execz .LBB51_486
; %bb.483:
	v_add_nc_u32_e32 v16, 0x350, v147
	v_add3_u32 v113, 0, v147, 16
	v_mov_b32_e32 v114, v0
	s_mov_b32 s8, 0
	.p2align	6
.LBB51_484:                             ; =>This Inner Loop Header: Depth=1
	s_clause 0x3
	buffer_load_dword v119, v113, s[0:3], 0 offen offset:8
	buffer_load_dword v120, v113, s[0:3], 0 offen offset:12
	buffer_load_dword v121, v113, s[0:3], 0 offen
	buffer_load_dword v122, v113, s[0:3], 0 offen offset:4
	ds_read_b128 v[115:118], v16
	v_add_nc_u32_e32 v114, 1, v114
	v_add_nc_u32_e32 v16, 16, v16
	;; [unrolled: 1-line block ×3, first 2 shown]
	v_cmp_lt_u32_e32 vcc_lo, 8, v114
	s_or_b32 s8, vcc_lo, s8
	s_waitcnt vmcnt(2) lgkmcnt(0)
	v_mul_f64 v[123:124], v[117:118], v[119:120]
	v_mul_f64 v[119:120], v[115:116], v[119:120]
	s_waitcnt vmcnt(0)
	v_fma_f64 v[115:116], v[115:116], v[121:122], -v[123:124]
	v_fma_f64 v[117:118], v[117:118], v[121:122], v[119:120]
	v_add_f64 v[1:2], v[1:2], v[115:116]
	v_add_f64 v[3:4], v[3:4], v[117:118]
	s_andn2_b32 exec_lo, exec_lo, s8
	s_cbranch_execnz .LBB51_484
; %bb.485:
	s_or_b32 exec_lo, exec_lo, s8
.LBB51_486:
	s_or_b32 exec_lo, exec_lo, s6
	v_mov_b32_e32 v16, 0
	ds_read_b128 v[113:116], v16 offset:160
	s_waitcnt lgkmcnt(0)
	v_mul_f64 v[117:118], v[3:4], v[115:116]
	v_mul_f64 v[115:116], v[1:2], v[115:116]
	v_fma_f64 v[1:2], v[1:2], v[113:114], -v[117:118]
	v_fma_f64 v[3:4], v[3:4], v[113:114], v[115:116]
	buffer_store_dword v2, off, s[0:3], 0 offset:164
	buffer_store_dword v1, off, s[0:3], 0 offset:160
	;; [unrolled: 1-line block ×4, first 2 shown]
.LBB51_487:
	s_or_b32 exec_lo, exec_lo, s4
	v_mov_b32_e32 v4, s49
	s_mov_b32 s4, exec_lo
	s_clause 0x3
	buffer_load_dword v1, v4, s[0:3], 0 offen
	buffer_load_dword v2, v4, s[0:3], 0 offen offset:4
	buffer_load_dword v3, v4, s[0:3], 0 offen offset:8
	;; [unrolled: 1-line block ×3, first 2 shown]
	s_waitcnt vmcnt(0)
	ds_write_b128 v14, v[1:4]
	s_waitcnt lgkmcnt(0)
	s_waitcnt_vscnt null, 0x0
	s_barrier
	buffer_gl0_inv
	v_cmpx_gt_u32_e32 11, v0
	s_cbranch_execz .LBB51_495
; %bb.488:
	ds_read_b128 v[1:4], v14
	v_cmp_ne_u32_e32 vcc_lo, 1, v15
	s_cbranch_vccnz .LBB51_490
; %bb.489:
	s_clause 0x3
	buffer_load_dword v113, v13, s[0:3], 0 offen offset:8
	buffer_load_dword v114, v13, s[0:3], 0 offen offset:12
	buffer_load_dword v115, v13, s[0:3], 0 offen
	buffer_load_dword v116, v13, s[0:3], 0 offen offset:4
	s_waitcnt vmcnt(2) lgkmcnt(0)
	v_mul_f64 v[117:118], v[3:4], v[113:114]
	v_mul_f64 v[113:114], v[1:2], v[113:114]
	s_waitcnt vmcnt(0)
	v_fma_f64 v[1:2], v[1:2], v[115:116], -v[117:118]
	v_fma_f64 v[3:4], v[3:4], v[115:116], v[113:114]
.LBB51_490:
	s_mov_b32 s6, exec_lo
	v_cmpx_ne_u32_e32 10, v0
	s_cbranch_execz .LBB51_494
; %bb.491:
	v_add_nc_u32_e32 v16, 0x350, v147
	v_add3_u32 v113, 0, v147, 16
	v_mov_b32_e32 v114, v0
	s_mov_b32 s8, 0
	.p2align	6
.LBB51_492:                             ; =>This Inner Loop Header: Depth=1
	s_clause 0x3
	buffer_load_dword v119, v113, s[0:3], 0 offen offset:8
	buffer_load_dword v120, v113, s[0:3], 0 offen offset:12
	buffer_load_dword v121, v113, s[0:3], 0 offen
	buffer_load_dword v122, v113, s[0:3], 0 offen offset:4
	ds_read_b128 v[115:118], v16
	v_add_nc_u32_e32 v114, 1, v114
	v_add_nc_u32_e32 v16, 16, v16
	;; [unrolled: 1-line block ×3, first 2 shown]
	v_cmp_lt_u32_e32 vcc_lo, 9, v114
	s_or_b32 s8, vcc_lo, s8
	s_waitcnt vmcnt(2) lgkmcnt(0)
	v_mul_f64 v[123:124], v[117:118], v[119:120]
	v_mul_f64 v[119:120], v[115:116], v[119:120]
	s_waitcnt vmcnt(0)
	v_fma_f64 v[115:116], v[115:116], v[121:122], -v[123:124]
	v_fma_f64 v[117:118], v[117:118], v[121:122], v[119:120]
	v_add_f64 v[1:2], v[1:2], v[115:116]
	v_add_f64 v[3:4], v[3:4], v[117:118]
	s_andn2_b32 exec_lo, exec_lo, s8
	s_cbranch_execnz .LBB51_492
; %bb.493:
	s_or_b32 exec_lo, exec_lo, s8
.LBB51_494:
	s_or_b32 exec_lo, exec_lo, s6
	v_mov_b32_e32 v16, 0
	ds_read_b128 v[113:116], v16 offset:176
	s_waitcnt lgkmcnt(0)
	v_mul_f64 v[117:118], v[3:4], v[115:116]
	v_mul_f64 v[115:116], v[1:2], v[115:116]
	v_fma_f64 v[1:2], v[1:2], v[113:114], -v[117:118]
	v_fma_f64 v[3:4], v[3:4], v[113:114], v[115:116]
	buffer_store_dword v2, off, s[0:3], 0 offset:180
	buffer_store_dword v1, off, s[0:3], 0 offset:176
	;; [unrolled: 1-line block ×4, first 2 shown]
.LBB51_495:
	s_or_b32 exec_lo, exec_lo, s4
	v_mov_b32_e32 v4, s48
	s_mov_b32 s4, exec_lo
	s_clause 0x3
	buffer_load_dword v1, v4, s[0:3], 0 offen
	buffer_load_dword v2, v4, s[0:3], 0 offen offset:4
	buffer_load_dword v3, v4, s[0:3], 0 offen offset:8
	;; [unrolled: 1-line block ×3, first 2 shown]
	s_waitcnt vmcnt(0)
	ds_write_b128 v14, v[1:4]
	s_waitcnt lgkmcnt(0)
	s_waitcnt_vscnt null, 0x0
	s_barrier
	buffer_gl0_inv
	v_cmpx_gt_u32_e32 12, v0
	s_cbranch_execz .LBB51_503
; %bb.496:
	ds_read_b128 v[1:4], v14
	v_cmp_ne_u32_e32 vcc_lo, 1, v15
	s_cbranch_vccnz .LBB51_498
; %bb.497:
	s_clause 0x3
	buffer_load_dword v113, v13, s[0:3], 0 offen offset:8
	buffer_load_dword v114, v13, s[0:3], 0 offen offset:12
	buffer_load_dword v115, v13, s[0:3], 0 offen
	buffer_load_dword v116, v13, s[0:3], 0 offen offset:4
	s_waitcnt vmcnt(2) lgkmcnt(0)
	v_mul_f64 v[117:118], v[3:4], v[113:114]
	v_mul_f64 v[113:114], v[1:2], v[113:114]
	s_waitcnt vmcnt(0)
	v_fma_f64 v[1:2], v[1:2], v[115:116], -v[117:118]
	v_fma_f64 v[3:4], v[3:4], v[115:116], v[113:114]
.LBB51_498:
	s_mov_b32 s6, exec_lo
	v_cmpx_ne_u32_e32 11, v0
	s_cbranch_execz .LBB51_502
; %bb.499:
	v_add_nc_u32_e32 v16, 0x350, v147
	v_add3_u32 v113, 0, v147, 16
	v_mov_b32_e32 v114, v0
	s_mov_b32 s8, 0
	.p2align	6
.LBB51_500:                             ; =>This Inner Loop Header: Depth=1
	s_clause 0x3
	buffer_load_dword v119, v113, s[0:3], 0 offen offset:8
	buffer_load_dword v120, v113, s[0:3], 0 offen offset:12
	buffer_load_dword v121, v113, s[0:3], 0 offen
	buffer_load_dword v122, v113, s[0:3], 0 offen offset:4
	ds_read_b128 v[115:118], v16
	v_add_nc_u32_e32 v114, 1, v114
	v_add_nc_u32_e32 v16, 16, v16
	;; [unrolled: 1-line block ×3, first 2 shown]
	v_cmp_lt_u32_e32 vcc_lo, 10, v114
	s_or_b32 s8, vcc_lo, s8
	s_waitcnt vmcnt(2) lgkmcnt(0)
	v_mul_f64 v[123:124], v[117:118], v[119:120]
	v_mul_f64 v[119:120], v[115:116], v[119:120]
	s_waitcnt vmcnt(0)
	v_fma_f64 v[115:116], v[115:116], v[121:122], -v[123:124]
	v_fma_f64 v[117:118], v[117:118], v[121:122], v[119:120]
	v_add_f64 v[1:2], v[1:2], v[115:116]
	v_add_f64 v[3:4], v[3:4], v[117:118]
	s_andn2_b32 exec_lo, exec_lo, s8
	s_cbranch_execnz .LBB51_500
; %bb.501:
	s_or_b32 exec_lo, exec_lo, s8
.LBB51_502:
	s_or_b32 exec_lo, exec_lo, s6
	v_mov_b32_e32 v16, 0
	ds_read_b128 v[113:116], v16 offset:192
	s_waitcnt lgkmcnt(0)
	v_mul_f64 v[117:118], v[3:4], v[115:116]
	v_mul_f64 v[115:116], v[1:2], v[115:116]
	v_fma_f64 v[1:2], v[1:2], v[113:114], -v[117:118]
	v_fma_f64 v[3:4], v[3:4], v[113:114], v[115:116]
	buffer_store_dword v2, off, s[0:3], 0 offset:196
	buffer_store_dword v1, off, s[0:3], 0 offset:192
	;; [unrolled: 1-line block ×4, first 2 shown]
.LBB51_503:
	s_or_b32 exec_lo, exec_lo, s4
	v_mov_b32_e32 v4, s47
	s_mov_b32 s4, exec_lo
	s_clause 0x3
	buffer_load_dword v1, v4, s[0:3], 0 offen
	buffer_load_dword v2, v4, s[0:3], 0 offen offset:4
	buffer_load_dword v3, v4, s[0:3], 0 offen offset:8
	;; [unrolled: 1-line block ×3, first 2 shown]
	s_waitcnt vmcnt(0)
	ds_write_b128 v14, v[1:4]
	s_waitcnt lgkmcnt(0)
	s_waitcnt_vscnt null, 0x0
	s_barrier
	buffer_gl0_inv
	v_cmpx_gt_u32_e32 13, v0
	s_cbranch_execz .LBB51_511
; %bb.504:
	ds_read_b128 v[1:4], v14
	v_cmp_ne_u32_e32 vcc_lo, 1, v15
	s_cbranch_vccnz .LBB51_506
; %bb.505:
	s_clause 0x3
	buffer_load_dword v113, v13, s[0:3], 0 offen offset:8
	buffer_load_dword v114, v13, s[0:3], 0 offen offset:12
	buffer_load_dword v115, v13, s[0:3], 0 offen
	buffer_load_dword v116, v13, s[0:3], 0 offen offset:4
	s_waitcnt vmcnt(2) lgkmcnt(0)
	v_mul_f64 v[117:118], v[3:4], v[113:114]
	v_mul_f64 v[113:114], v[1:2], v[113:114]
	s_waitcnt vmcnt(0)
	v_fma_f64 v[1:2], v[1:2], v[115:116], -v[117:118]
	v_fma_f64 v[3:4], v[3:4], v[115:116], v[113:114]
.LBB51_506:
	s_mov_b32 s6, exec_lo
	v_cmpx_ne_u32_e32 12, v0
	s_cbranch_execz .LBB51_510
; %bb.507:
	v_add_nc_u32_e32 v16, 0x350, v147
	v_add3_u32 v113, 0, v147, 16
	v_mov_b32_e32 v114, v0
	s_mov_b32 s8, 0
	.p2align	6
.LBB51_508:                             ; =>This Inner Loop Header: Depth=1
	s_clause 0x3
	buffer_load_dword v119, v113, s[0:3], 0 offen offset:8
	buffer_load_dword v120, v113, s[0:3], 0 offen offset:12
	buffer_load_dword v121, v113, s[0:3], 0 offen
	buffer_load_dword v122, v113, s[0:3], 0 offen offset:4
	ds_read_b128 v[115:118], v16
	v_add_nc_u32_e32 v114, 1, v114
	v_add_nc_u32_e32 v16, 16, v16
	;; [unrolled: 1-line block ×3, first 2 shown]
	v_cmp_lt_u32_e32 vcc_lo, 11, v114
	s_or_b32 s8, vcc_lo, s8
	s_waitcnt vmcnt(2) lgkmcnt(0)
	v_mul_f64 v[123:124], v[117:118], v[119:120]
	v_mul_f64 v[119:120], v[115:116], v[119:120]
	s_waitcnt vmcnt(0)
	v_fma_f64 v[115:116], v[115:116], v[121:122], -v[123:124]
	v_fma_f64 v[117:118], v[117:118], v[121:122], v[119:120]
	v_add_f64 v[1:2], v[1:2], v[115:116]
	v_add_f64 v[3:4], v[3:4], v[117:118]
	s_andn2_b32 exec_lo, exec_lo, s8
	s_cbranch_execnz .LBB51_508
; %bb.509:
	s_or_b32 exec_lo, exec_lo, s8
.LBB51_510:
	s_or_b32 exec_lo, exec_lo, s6
	v_mov_b32_e32 v16, 0
	ds_read_b128 v[113:116], v16 offset:208
	s_waitcnt lgkmcnt(0)
	v_mul_f64 v[117:118], v[3:4], v[115:116]
	v_mul_f64 v[115:116], v[1:2], v[115:116]
	v_fma_f64 v[1:2], v[1:2], v[113:114], -v[117:118]
	v_fma_f64 v[3:4], v[3:4], v[113:114], v[115:116]
	buffer_store_dword v2, off, s[0:3], 0 offset:212
	buffer_store_dword v1, off, s[0:3], 0 offset:208
	;; [unrolled: 1-line block ×4, first 2 shown]
.LBB51_511:
	s_or_b32 exec_lo, exec_lo, s4
	v_mov_b32_e32 v4, s46
	s_mov_b32 s4, exec_lo
	s_clause 0x3
	buffer_load_dword v1, v4, s[0:3], 0 offen
	buffer_load_dword v2, v4, s[0:3], 0 offen offset:4
	buffer_load_dword v3, v4, s[0:3], 0 offen offset:8
	;; [unrolled: 1-line block ×3, first 2 shown]
	s_waitcnt vmcnt(0)
	ds_write_b128 v14, v[1:4]
	s_waitcnt lgkmcnt(0)
	s_waitcnt_vscnt null, 0x0
	s_barrier
	buffer_gl0_inv
	v_cmpx_gt_u32_e32 14, v0
	s_cbranch_execz .LBB51_519
; %bb.512:
	ds_read_b128 v[1:4], v14
	v_cmp_ne_u32_e32 vcc_lo, 1, v15
	s_cbranch_vccnz .LBB51_514
; %bb.513:
	s_clause 0x3
	buffer_load_dword v113, v13, s[0:3], 0 offen offset:8
	buffer_load_dword v114, v13, s[0:3], 0 offen offset:12
	buffer_load_dword v115, v13, s[0:3], 0 offen
	buffer_load_dword v116, v13, s[0:3], 0 offen offset:4
	s_waitcnt vmcnt(2) lgkmcnt(0)
	v_mul_f64 v[117:118], v[3:4], v[113:114]
	v_mul_f64 v[113:114], v[1:2], v[113:114]
	s_waitcnt vmcnt(0)
	v_fma_f64 v[1:2], v[1:2], v[115:116], -v[117:118]
	v_fma_f64 v[3:4], v[3:4], v[115:116], v[113:114]
.LBB51_514:
	s_mov_b32 s6, exec_lo
	v_cmpx_ne_u32_e32 13, v0
	s_cbranch_execz .LBB51_518
; %bb.515:
	v_add_nc_u32_e32 v16, 0x350, v147
	v_add3_u32 v113, 0, v147, 16
	v_mov_b32_e32 v114, v0
	s_mov_b32 s8, 0
	.p2align	6
.LBB51_516:                             ; =>This Inner Loop Header: Depth=1
	s_clause 0x3
	buffer_load_dword v119, v113, s[0:3], 0 offen offset:8
	buffer_load_dword v120, v113, s[0:3], 0 offen offset:12
	buffer_load_dword v121, v113, s[0:3], 0 offen
	buffer_load_dword v122, v113, s[0:3], 0 offen offset:4
	ds_read_b128 v[115:118], v16
	v_add_nc_u32_e32 v114, 1, v114
	v_add_nc_u32_e32 v16, 16, v16
	;; [unrolled: 1-line block ×3, first 2 shown]
	v_cmp_lt_u32_e32 vcc_lo, 12, v114
	s_or_b32 s8, vcc_lo, s8
	s_waitcnt vmcnt(2) lgkmcnt(0)
	v_mul_f64 v[123:124], v[117:118], v[119:120]
	v_mul_f64 v[119:120], v[115:116], v[119:120]
	s_waitcnt vmcnt(0)
	v_fma_f64 v[115:116], v[115:116], v[121:122], -v[123:124]
	v_fma_f64 v[117:118], v[117:118], v[121:122], v[119:120]
	v_add_f64 v[1:2], v[1:2], v[115:116]
	v_add_f64 v[3:4], v[3:4], v[117:118]
	s_andn2_b32 exec_lo, exec_lo, s8
	s_cbranch_execnz .LBB51_516
; %bb.517:
	s_or_b32 exec_lo, exec_lo, s8
.LBB51_518:
	s_or_b32 exec_lo, exec_lo, s6
	v_mov_b32_e32 v16, 0
	ds_read_b128 v[113:116], v16 offset:224
	s_waitcnt lgkmcnt(0)
	v_mul_f64 v[117:118], v[3:4], v[115:116]
	v_mul_f64 v[115:116], v[1:2], v[115:116]
	v_fma_f64 v[1:2], v[1:2], v[113:114], -v[117:118]
	v_fma_f64 v[3:4], v[3:4], v[113:114], v[115:116]
	buffer_store_dword v2, off, s[0:3], 0 offset:228
	buffer_store_dword v1, off, s[0:3], 0 offset:224
	;; [unrolled: 1-line block ×4, first 2 shown]
.LBB51_519:
	s_or_b32 exec_lo, exec_lo, s4
	v_mov_b32_e32 v4, s45
	s_mov_b32 s4, exec_lo
	s_clause 0x3
	buffer_load_dword v1, v4, s[0:3], 0 offen
	buffer_load_dword v2, v4, s[0:3], 0 offen offset:4
	buffer_load_dword v3, v4, s[0:3], 0 offen offset:8
	;; [unrolled: 1-line block ×3, first 2 shown]
	s_waitcnt vmcnt(0)
	ds_write_b128 v14, v[1:4]
	s_waitcnt lgkmcnt(0)
	s_waitcnt_vscnt null, 0x0
	s_barrier
	buffer_gl0_inv
	v_cmpx_gt_u32_e32 15, v0
	s_cbranch_execz .LBB51_527
; %bb.520:
	ds_read_b128 v[1:4], v14
	v_cmp_ne_u32_e32 vcc_lo, 1, v15
	s_cbranch_vccnz .LBB51_522
; %bb.521:
	s_clause 0x3
	buffer_load_dword v113, v13, s[0:3], 0 offen offset:8
	buffer_load_dword v114, v13, s[0:3], 0 offen offset:12
	buffer_load_dword v115, v13, s[0:3], 0 offen
	buffer_load_dword v116, v13, s[0:3], 0 offen offset:4
	s_waitcnt vmcnt(2) lgkmcnt(0)
	v_mul_f64 v[117:118], v[3:4], v[113:114]
	v_mul_f64 v[113:114], v[1:2], v[113:114]
	s_waitcnt vmcnt(0)
	v_fma_f64 v[1:2], v[1:2], v[115:116], -v[117:118]
	v_fma_f64 v[3:4], v[3:4], v[115:116], v[113:114]
.LBB51_522:
	s_mov_b32 s6, exec_lo
	v_cmpx_ne_u32_e32 14, v0
	s_cbranch_execz .LBB51_526
; %bb.523:
	v_add_nc_u32_e32 v16, 0x350, v147
	v_add3_u32 v113, 0, v147, 16
	v_mov_b32_e32 v114, v0
	s_mov_b32 s8, 0
	.p2align	6
.LBB51_524:                             ; =>This Inner Loop Header: Depth=1
	s_clause 0x3
	buffer_load_dword v119, v113, s[0:3], 0 offen offset:8
	buffer_load_dword v120, v113, s[0:3], 0 offen offset:12
	buffer_load_dword v121, v113, s[0:3], 0 offen
	buffer_load_dword v122, v113, s[0:3], 0 offen offset:4
	ds_read_b128 v[115:118], v16
	v_add_nc_u32_e32 v114, 1, v114
	v_add_nc_u32_e32 v16, 16, v16
	;; [unrolled: 1-line block ×3, first 2 shown]
	v_cmp_lt_u32_e32 vcc_lo, 13, v114
	s_or_b32 s8, vcc_lo, s8
	s_waitcnt vmcnt(2) lgkmcnt(0)
	v_mul_f64 v[123:124], v[117:118], v[119:120]
	v_mul_f64 v[119:120], v[115:116], v[119:120]
	s_waitcnt vmcnt(0)
	v_fma_f64 v[115:116], v[115:116], v[121:122], -v[123:124]
	v_fma_f64 v[117:118], v[117:118], v[121:122], v[119:120]
	v_add_f64 v[1:2], v[1:2], v[115:116]
	v_add_f64 v[3:4], v[3:4], v[117:118]
	s_andn2_b32 exec_lo, exec_lo, s8
	s_cbranch_execnz .LBB51_524
; %bb.525:
	s_or_b32 exec_lo, exec_lo, s8
.LBB51_526:
	s_or_b32 exec_lo, exec_lo, s6
	v_mov_b32_e32 v16, 0
	ds_read_b128 v[113:116], v16 offset:240
	s_waitcnt lgkmcnt(0)
	v_mul_f64 v[117:118], v[3:4], v[115:116]
	v_mul_f64 v[115:116], v[1:2], v[115:116]
	v_fma_f64 v[1:2], v[1:2], v[113:114], -v[117:118]
	v_fma_f64 v[3:4], v[3:4], v[113:114], v[115:116]
	buffer_store_dword v2, off, s[0:3], 0 offset:244
	buffer_store_dword v1, off, s[0:3], 0 offset:240
	;; [unrolled: 1-line block ×4, first 2 shown]
.LBB51_527:
	s_or_b32 exec_lo, exec_lo, s4
	v_mov_b32_e32 v4, s44
	s_mov_b32 s4, exec_lo
	s_clause 0x3
	buffer_load_dword v1, v4, s[0:3], 0 offen
	buffer_load_dword v2, v4, s[0:3], 0 offen offset:4
	buffer_load_dword v3, v4, s[0:3], 0 offen offset:8
	;; [unrolled: 1-line block ×3, first 2 shown]
	s_waitcnt vmcnt(0)
	ds_write_b128 v14, v[1:4]
	s_waitcnt lgkmcnt(0)
	s_waitcnt_vscnt null, 0x0
	s_barrier
	buffer_gl0_inv
	v_cmpx_gt_u32_e32 16, v0
	s_cbranch_execz .LBB51_535
; %bb.528:
	ds_read_b128 v[1:4], v14
	v_cmp_ne_u32_e32 vcc_lo, 1, v15
	s_cbranch_vccnz .LBB51_530
; %bb.529:
	s_clause 0x3
	buffer_load_dword v113, v13, s[0:3], 0 offen offset:8
	buffer_load_dword v114, v13, s[0:3], 0 offen offset:12
	buffer_load_dword v115, v13, s[0:3], 0 offen
	buffer_load_dword v116, v13, s[0:3], 0 offen offset:4
	s_waitcnt vmcnt(2) lgkmcnt(0)
	v_mul_f64 v[117:118], v[3:4], v[113:114]
	v_mul_f64 v[113:114], v[1:2], v[113:114]
	s_waitcnt vmcnt(0)
	v_fma_f64 v[1:2], v[1:2], v[115:116], -v[117:118]
	v_fma_f64 v[3:4], v[3:4], v[115:116], v[113:114]
.LBB51_530:
	s_mov_b32 s6, exec_lo
	v_cmpx_ne_u32_e32 15, v0
	s_cbranch_execz .LBB51_534
; %bb.531:
	v_add_nc_u32_e32 v16, 0x350, v147
	v_add3_u32 v113, 0, v147, 16
	v_mov_b32_e32 v114, v0
	s_mov_b32 s8, 0
	.p2align	6
.LBB51_532:                             ; =>This Inner Loop Header: Depth=1
	s_clause 0x3
	buffer_load_dword v119, v113, s[0:3], 0 offen offset:8
	buffer_load_dword v120, v113, s[0:3], 0 offen offset:12
	buffer_load_dword v121, v113, s[0:3], 0 offen
	buffer_load_dword v122, v113, s[0:3], 0 offen offset:4
	ds_read_b128 v[115:118], v16
	v_add_nc_u32_e32 v114, 1, v114
	v_add_nc_u32_e32 v16, 16, v16
	v_add_nc_u32_e32 v113, 16, v113
	v_cmp_lt_u32_e32 vcc_lo, 14, v114
	s_or_b32 s8, vcc_lo, s8
	s_waitcnt vmcnt(2) lgkmcnt(0)
	v_mul_f64 v[123:124], v[117:118], v[119:120]
	v_mul_f64 v[119:120], v[115:116], v[119:120]
	s_waitcnt vmcnt(0)
	v_fma_f64 v[115:116], v[115:116], v[121:122], -v[123:124]
	v_fma_f64 v[117:118], v[117:118], v[121:122], v[119:120]
	v_add_f64 v[1:2], v[1:2], v[115:116]
	v_add_f64 v[3:4], v[3:4], v[117:118]
	s_andn2_b32 exec_lo, exec_lo, s8
	s_cbranch_execnz .LBB51_532
; %bb.533:
	s_or_b32 exec_lo, exec_lo, s8
.LBB51_534:
	s_or_b32 exec_lo, exec_lo, s6
	v_mov_b32_e32 v16, 0
	ds_read_b128 v[113:116], v16 offset:256
	s_waitcnt lgkmcnt(0)
	v_mul_f64 v[117:118], v[3:4], v[115:116]
	v_mul_f64 v[115:116], v[1:2], v[115:116]
	v_fma_f64 v[1:2], v[1:2], v[113:114], -v[117:118]
	v_fma_f64 v[3:4], v[3:4], v[113:114], v[115:116]
	buffer_store_dword v2, off, s[0:3], 0 offset:260
	buffer_store_dword v1, off, s[0:3], 0 offset:256
	;; [unrolled: 1-line block ×4, first 2 shown]
.LBB51_535:
	s_or_b32 exec_lo, exec_lo, s4
	v_mov_b32_e32 v4, s43
	s_mov_b32 s4, exec_lo
	s_clause 0x3
	buffer_load_dword v1, v4, s[0:3], 0 offen
	buffer_load_dword v2, v4, s[0:3], 0 offen offset:4
	buffer_load_dword v3, v4, s[0:3], 0 offen offset:8
	;; [unrolled: 1-line block ×3, first 2 shown]
	s_waitcnt vmcnt(0)
	ds_write_b128 v14, v[1:4]
	s_waitcnt lgkmcnt(0)
	s_waitcnt_vscnt null, 0x0
	s_barrier
	buffer_gl0_inv
	v_cmpx_gt_u32_e32 17, v0
	s_cbranch_execz .LBB51_543
; %bb.536:
	ds_read_b128 v[1:4], v14
	v_cmp_ne_u32_e32 vcc_lo, 1, v15
	s_cbranch_vccnz .LBB51_538
; %bb.537:
	s_clause 0x3
	buffer_load_dword v113, v13, s[0:3], 0 offen offset:8
	buffer_load_dword v114, v13, s[0:3], 0 offen offset:12
	buffer_load_dword v115, v13, s[0:3], 0 offen
	buffer_load_dword v116, v13, s[0:3], 0 offen offset:4
	s_waitcnt vmcnt(2) lgkmcnt(0)
	v_mul_f64 v[117:118], v[3:4], v[113:114]
	v_mul_f64 v[113:114], v[1:2], v[113:114]
	s_waitcnt vmcnt(0)
	v_fma_f64 v[1:2], v[1:2], v[115:116], -v[117:118]
	v_fma_f64 v[3:4], v[3:4], v[115:116], v[113:114]
.LBB51_538:
	s_mov_b32 s6, exec_lo
	v_cmpx_ne_u32_e32 16, v0
	s_cbranch_execz .LBB51_542
; %bb.539:
	v_add_nc_u32_e32 v16, 0x350, v147
	v_add3_u32 v113, 0, v147, 16
	v_mov_b32_e32 v114, v0
	s_mov_b32 s8, 0
	.p2align	6
.LBB51_540:                             ; =>This Inner Loop Header: Depth=1
	s_clause 0x3
	buffer_load_dword v119, v113, s[0:3], 0 offen offset:8
	buffer_load_dword v120, v113, s[0:3], 0 offen offset:12
	buffer_load_dword v121, v113, s[0:3], 0 offen
	buffer_load_dword v122, v113, s[0:3], 0 offen offset:4
	ds_read_b128 v[115:118], v16
	v_add_nc_u32_e32 v114, 1, v114
	v_add_nc_u32_e32 v16, 16, v16
	;; [unrolled: 1-line block ×3, first 2 shown]
	v_cmp_lt_u32_e32 vcc_lo, 15, v114
	s_or_b32 s8, vcc_lo, s8
	s_waitcnt vmcnt(2) lgkmcnt(0)
	v_mul_f64 v[123:124], v[117:118], v[119:120]
	v_mul_f64 v[119:120], v[115:116], v[119:120]
	s_waitcnt vmcnt(0)
	v_fma_f64 v[115:116], v[115:116], v[121:122], -v[123:124]
	v_fma_f64 v[117:118], v[117:118], v[121:122], v[119:120]
	v_add_f64 v[1:2], v[1:2], v[115:116]
	v_add_f64 v[3:4], v[3:4], v[117:118]
	s_andn2_b32 exec_lo, exec_lo, s8
	s_cbranch_execnz .LBB51_540
; %bb.541:
	s_or_b32 exec_lo, exec_lo, s8
.LBB51_542:
	s_or_b32 exec_lo, exec_lo, s6
	v_mov_b32_e32 v16, 0
	ds_read_b128 v[113:116], v16 offset:272
	s_waitcnt lgkmcnt(0)
	v_mul_f64 v[117:118], v[3:4], v[115:116]
	v_mul_f64 v[115:116], v[1:2], v[115:116]
	v_fma_f64 v[1:2], v[1:2], v[113:114], -v[117:118]
	v_fma_f64 v[3:4], v[3:4], v[113:114], v[115:116]
	buffer_store_dword v2, off, s[0:3], 0 offset:276
	buffer_store_dword v1, off, s[0:3], 0 offset:272
	;; [unrolled: 1-line block ×4, first 2 shown]
.LBB51_543:
	s_or_b32 exec_lo, exec_lo, s4
	v_mov_b32_e32 v4, s42
	s_mov_b32 s4, exec_lo
	s_clause 0x3
	buffer_load_dword v1, v4, s[0:3], 0 offen
	buffer_load_dword v2, v4, s[0:3], 0 offen offset:4
	buffer_load_dword v3, v4, s[0:3], 0 offen offset:8
	;; [unrolled: 1-line block ×3, first 2 shown]
	s_waitcnt vmcnt(0)
	ds_write_b128 v14, v[1:4]
	s_waitcnt lgkmcnt(0)
	s_waitcnt_vscnt null, 0x0
	s_barrier
	buffer_gl0_inv
	v_cmpx_gt_u32_e32 18, v0
	s_cbranch_execz .LBB51_551
; %bb.544:
	ds_read_b128 v[1:4], v14
	v_cmp_ne_u32_e32 vcc_lo, 1, v15
	s_cbranch_vccnz .LBB51_546
; %bb.545:
	s_clause 0x3
	buffer_load_dword v113, v13, s[0:3], 0 offen offset:8
	buffer_load_dword v114, v13, s[0:3], 0 offen offset:12
	buffer_load_dword v115, v13, s[0:3], 0 offen
	buffer_load_dword v116, v13, s[0:3], 0 offen offset:4
	s_waitcnt vmcnt(2) lgkmcnt(0)
	v_mul_f64 v[117:118], v[3:4], v[113:114]
	v_mul_f64 v[113:114], v[1:2], v[113:114]
	s_waitcnt vmcnt(0)
	v_fma_f64 v[1:2], v[1:2], v[115:116], -v[117:118]
	v_fma_f64 v[3:4], v[3:4], v[115:116], v[113:114]
.LBB51_546:
	s_mov_b32 s6, exec_lo
	v_cmpx_ne_u32_e32 17, v0
	s_cbranch_execz .LBB51_550
; %bb.547:
	v_add_nc_u32_e32 v16, 0x350, v147
	v_add3_u32 v113, 0, v147, 16
	v_mov_b32_e32 v114, v0
	s_mov_b32 s8, 0
	.p2align	6
.LBB51_548:                             ; =>This Inner Loop Header: Depth=1
	s_clause 0x3
	buffer_load_dword v119, v113, s[0:3], 0 offen offset:8
	buffer_load_dword v120, v113, s[0:3], 0 offen offset:12
	buffer_load_dword v121, v113, s[0:3], 0 offen
	buffer_load_dword v122, v113, s[0:3], 0 offen offset:4
	ds_read_b128 v[115:118], v16
	v_add_nc_u32_e32 v114, 1, v114
	v_add_nc_u32_e32 v16, 16, v16
	v_add_nc_u32_e32 v113, 16, v113
	v_cmp_lt_u32_e32 vcc_lo, 16, v114
	s_or_b32 s8, vcc_lo, s8
	s_waitcnt vmcnt(2) lgkmcnt(0)
	v_mul_f64 v[123:124], v[117:118], v[119:120]
	v_mul_f64 v[119:120], v[115:116], v[119:120]
	s_waitcnt vmcnt(0)
	v_fma_f64 v[115:116], v[115:116], v[121:122], -v[123:124]
	v_fma_f64 v[117:118], v[117:118], v[121:122], v[119:120]
	v_add_f64 v[1:2], v[1:2], v[115:116]
	v_add_f64 v[3:4], v[3:4], v[117:118]
	s_andn2_b32 exec_lo, exec_lo, s8
	s_cbranch_execnz .LBB51_548
; %bb.549:
	s_or_b32 exec_lo, exec_lo, s8
.LBB51_550:
	s_or_b32 exec_lo, exec_lo, s6
	v_mov_b32_e32 v16, 0
	ds_read_b128 v[113:116], v16 offset:288
	s_waitcnt lgkmcnt(0)
	v_mul_f64 v[117:118], v[3:4], v[115:116]
	v_mul_f64 v[115:116], v[1:2], v[115:116]
	v_fma_f64 v[1:2], v[1:2], v[113:114], -v[117:118]
	v_fma_f64 v[3:4], v[3:4], v[113:114], v[115:116]
	buffer_store_dword v2, off, s[0:3], 0 offset:292
	buffer_store_dword v1, off, s[0:3], 0 offset:288
	;; [unrolled: 1-line block ×4, first 2 shown]
.LBB51_551:
	s_or_b32 exec_lo, exec_lo, s4
	v_mov_b32_e32 v4, s41
	s_mov_b32 s4, exec_lo
	s_clause 0x3
	buffer_load_dword v1, v4, s[0:3], 0 offen
	buffer_load_dword v2, v4, s[0:3], 0 offen offset:4
	buffer_load_dword v3, v4, s[0:3], 0 offen offset:8
	;; [unrolled: 1-line block ×3, first 2 shown]
	s_waitcnt vmcnt(0)
	ds_write_b128 v14, v[1:4]
	s_waitcnt lgkmcnt(0)
	s_waitcnt_vscnt null, 0x0
	s_barrier
	buffer_gl0_inv
	v_cmpx_gt_u32_e32 19, v0
	s_cbranch_execz .LBB51_559
; %bb.552:
	ds_read_b128 v[1:4], v14
	v_cmp_ne_u32_e32 vcc_lo, 1, v15
	s_cbranch_vccnz .LBB51_554
; %bb.553:
	s_clause 0x3
	buffer_load_dword v113, v13, s[0:3], 0 offen offset:8
	buffer_load_dword v114, v13, s[0:3], 0 offen offset:12
	buffer_load_dword v115, v13, s[0:3], 0 offen
	buffer_load_dword v116, v13, s[0:3], 0 offen offset:4
	s_waitcnt vmcnt(2) lgkmcnt(0)
	v_mul_f64 v[117:118], v[3:4], v[113:114]
	v_mul_f64 v[113:114], v[1:2], v[113:114]
	s_waitcnt vmcnt(0)
	v_fma_f64 v[1:2], v[1:2], v[115:116], -v[117:118]
	v_fma_f64 v[3:4], v[3:4], v[115:116], v[113:114]
.LBB51_554:
	s_mov_b32 s6, exec_lo
	v_cmpx_ne_u32_e32 18, v0
	s_cbranch_execz .LBB51_558
; %bb.555:
	v_add_nc_u32_e32 v16, 0x350, v147
	v_add3_u32 v113, 0, v147, 16
	v_mov_b32_e32 v114, v0
	s_mov_b32 s8, 0
	.p2align	6
.LBB51_556:                             ; =>This Inner Loop Header: Depth=1
	s_clause 0x3
	buffer_load_dword v119, v113, s[0:3], 0 offen offset:8
	buffer_load_dword v120, v113, s[0:3], 0 offen offset:12
	buffer_load_dword v121, v113, s[0:3], 0 offen
	buffer_load_dword v122, v113, s[0:3], 0 offen offset:4
	ds_read_b128 v[115:118], v16
	v_add_nc_u32_e32 v114, 1, v114
	v_add_nc_u32_e32 v16, 16, v16
	;; [unrolled: 1-line block ×3, first 2 shown]
	v_cmp_lt_u32_e32 vcc_lo, 17, v114
	s_or_b32 s8, vcc_lo, s8
	s_waitcnt vmcnt(2) lgkmcnt(0)
	v_mul_f64 v[123:124], v[117:118], v[119:120]
	v_mul_f64 v[119:120], v[115:116], v[119:120]
	s_waitcnt vmcnt(0)
	v_fma_f64 v[115:116], v[115:116], v[121:122], -v[123:124]
	v_fma_f64 v[117:118], v[117:118], v[121:122], v[119:120]
	v_add_f64 v[1:2], v[1:2], v[115:116]
	v_add_f64 v[3:4], v[3:4], v[117:118]
	s_andn2_b32 exec_lo, exec_lo, s8
	s_cbranch_execnz .LBB51_556
; %bb.557:
	s_or_b32 exec_lo, exec_lo, s8
.LBB51_558:
	s_or_b32 exec_lo, exec_lo, s6
	v_mov_b32_e32 v16, 0
	ds_read_b128 v[113:116], v16 offset:304
	s_waitcnt lgkmcnt(0)
	v_mul_f64 v[117:118], v[3:4], v[115:116]
	v_mul_f64 v[115:116], v[1:2], v[115:116]
	v_fma_f64 v[1:2], v[1:2], v[113:114], -v[117:118]
	v_fma_f64 v[3:4], v[3:4], v[113:114], v[115:116]
	buffer_store_dword v2, off, s[0:3], 0 offset:308
	buffer_store_dword v1, off, s[0:3], 0 offset:304
	;; [unrolled: 1-line block ×4, first 2 shown]
.LBB51_559:
	s_or_b32 exec_lo, exec_lo, s4
	v_mov_b32_e32 v4, s40
	s_mov_b32 s4, exec_lo
	s_clause 0x3
	buffer_load_dword v1, v4, s[0:3], 0 offen
	buffer_load_dword v2, v4, s[0:3], 0 offen offset:4
	buffer_load_dword v3, v4, s[0:3], 0 offen offset:8
	;; [unrolled: 1-line block ×3, first 2 shown]
	s_waitcnt vmcnt(0)
	ds_write_b128 v14, v[1:4]
	s_waitcnt lgkmcnt(0)
	s_waitcnt_vscnt null, 0x0
	s_barrier
	buffer_gl0_inv
	v_cmpx_gt_u32_e32 20, v0
	s_cbranch_execz .LBB51_567
; %bb.560:
	ds_read_b128 v[1:4], v14
	v_cmp_ne_u32_e32 vcc_lo, 1, v15
	s_cbranch_vccnz .LBB51_562
; %bb.561:
	s_clause 0x3
	buffer_load_dword v113, v13, s[0:3], 0 offen offset:8
	buffer_load_dword v114, v13, s[0:3], 0 offen offset:12
	buffer_load_dword v115, v13, s[0:3], 0 offen
	buffer_load_dword v116, v13, s[0:3], 0 offen offset:4
	s_waitcnt vmcnt(2) lgkmcnt(0)
	v_mul_f64 v[117:118], v[3:4], v[113:114]
	v_mul_f64 v[113:114], v[1:2], v[113:114]
	s_waitcnt vmcnt(0)
	v_fma_f64 v[1:2], v[1:2], v[115:116], -v[117:118]
	v_fma_f64 v[3:4], v[3:4], v[115:116], v[113:114]
.LBB51_562:
	s_mov_b32 s6, exec_lo
	v_cmpx_ne_u32_e32 19, v0
	s_cbranch_execz .LBB51_566
; %bb.563:
	v_add_nc_u32_e32 v16, 0x350, v147
	v_add3_u32 v113, 0, v147, 16
	v_mov_b32_e32 v114, v0
	s_mov_b32 s8, 0
	.p2align	6
.LBB51_564:                             ; =>This Inner Loop Header: Depth=1
	s_clause 0x3
	buffer_load_dword v119, v113, s[0:3], 0 offen offset:8
	buffer_load_dword v120, v113, s[0:3], 0 offen offset:12
	buffer_load_dword v121, v113, s[0:3], 0 offen
	buffer_load_dword v122, v113, s[0:3], 0 offen offset:4
	ds_read_b128 v[115:118], v16
	v_add_nc_u32_e32 v114, 1, v114
	v_add_nc_u32_e32 v16, 16, v16
	v_add_nc_u32_e32 v113, 16, v113
	v_cmp_lt_u32_e32 vcc_lo, 18, v114
	s_or_b32 s8, vcc_lo, s8
	s_waitcnt vmcnt(2) lgkmcnt(0)
	v_mul_f64 v[123:124], v[117:118], v[119:120]
	v_mul_f64 v[119:120], v[115:116], v[119:120]
	s_waitcnt vmcnt(0)
	v_fma_f64 v[115:116], v[115:116], v[121:122], -v[123:124]
	v_fma_f64 v[117:118], v[117:118], v[121:122], v[119:120]
	v_add_f64 v[1:2], v[1:2], v[115:116]
	v_add_f64 v[3:4], v[3:4], v[117:118]
	s_andn2_b32 exec_lo, exec_lo, s8
	s_cbranch_execnz .LBB51_564
; %bb.565:
	s_or_b32 exec_lo, exec_lo, s8
.LBB51_566:
	s_or_b32 exec_lo, exec_lo, s6
	v_mov_b32_e32 v16, 0
	ds_read_b128 v[113:116], v16 offset:320
	s_waitcnt lgkmcnt(0)
	v_mul_f64 v[117:118], v[3:4], v[115:116]
	v_mul_f64 v[115:116], v[1:2], v[115:116]
	v_fma_f64 v[1:2], v[1:2], v[113:114], -v[117:118]
	v_fma_f64 v[3:4], v[3:4], v[113:114], v[115:116]
	buffer_store_dword v2, off, s[0:3], 0 offset:324
	buffer_store_dword v1, off, s[0:3], 0 offset:320
	;; [unrolled: 1-line block ×4, first 2 shown]
.LBB51_567:
	s_or_b32 exec_lo, exec_lo, s4
	v_mov_b32_e32 v4, s39
	s_mov_b32 s4, exec_lo
	s_clause 0x3
	buffer_load_dword v1, v4, s[0:3], 0 offen
	buffer_load_dword v2, v4, s[0:3], 0 offen offset:4
	buffer_load_dword v3, v4, s[0:3], 0 offen offset:8
	;; [unrolled: 1-line block ×3, first 2 shown]
	s_waitcnt vmcnt(0)
	ds_write_b128 v14, v[1:4]
	s_waitcnt lgkmcnt(0)
	s_waitcnt_vscnt null, 0x0
	s_barrier
	buffer_gl0_inv
	v_cmpx_gt_u32_e32 21, v0
	s_cbranch_execz .LBB51_575
; %bb.568:
	ds_read_b128 v[1:4], v14
	v_cmp_ne_u32_e32 vcc_lo, 1, v15
	s_cbranch_vccnz .LBB51_570
; %bb.569:
	s_clause 0x3
	buffer_load_dword v113, v13, s[0:3], 0 offen offset:8
	buffer_load_dword v114, v13, s[0:3], 0 offen offset:12
	buffer_load_dword v115, v13, s[0:3], 0 offen
	buffer_load_dword v116, v13, s[0:3], 0 offen offset:4
	s_waitcnt vmcnt(2) lgkmcnt(0)
	v_mul_f64 v[117:118], v[3:4], v[113:114]
	v_mul_f64 v[113:114], v[1:2], v[113:114]
	s_waitcnt vmcnt(0)
	v_fma_f64 v[1:2], v[1:2], v[115:116], -v[117:118]
	v_fma_f64 v[3:4], v[3:4], v[115:116], v[113:114]
.LBB51_570:
	s_mov_b32 s6, exec_lo
	v_cmpx_ne_u32_e32 20, v0
	s_cbranch_execz .LBB51_574
; %bb.571:
	v_add_nc_u32_e32 v16, 0x350, v147
	v_add3_u32 v113, 0, v147, 16
	v_mov_b32_e32 v114, v0
	s_mov_b32 s8, 0
	.p2align	6
.LBB51_572:                             ; =>This Inner Loop Header: Depth=1
	s_clause 0x3
	buffer_load_dword v119, v113, s[0:3], 0 offen offset:8
	buffer_load_dword v120, v113, s[0:3], 0 offen offset:12
	buffer_load_dword v121, v113, s[0:3], 0 offen
	buffer_load_dword v122, v113, s[0:3], 0 offen offset:4
	ds_read_b128 v[115:118], v16
	v_add_nc_u32_e32 v114, 1, v114
	v_add_nc_u32_e32 v16, 16, v16
	;; [unrolled: 1-line block ×3, first 2 shown]
	v_cmp_lt_u32_e32 vcc_lo, 19, v114
	s_or_b32 s8, vcc_lo, s8
	s_waitcnt vmcnt(2) lgkmcnt(0)
	v_mul_f64 v[123:124], v[117:118], v[119:120]
	v_mul_f64 v[119:120], v[115:116], v[119:120]
	s_waitcnt vmcnt(0)
	v_fma_f64 v[115:116], v[115:116], v[121:122], -v[123:124]
	v_fma_f64 v[117:118], v[117:118], v[121:122], v[119:120]
	v_add_f64 v[1:2], v[1:2], v[115:116]
	v_add_f64 v[3:4], v[3:4], v[117:118]
	s_andn2_b32 exec_lo, exec_lo, s8
	s_cbranch_execnz .LBB51_572
; %bb.573:
	s_or_b32 exec_lo, exec_lo, s8
.LBB51_574:
	s_or_b32 exec_lo, exec_lo, s6
	v_mov_b32_e32 v16, 0
	ds_read_b128 v[113:116], v16 offset:336
	s_waitcnt lgkmcnt(0)
	v_mul_f64 v[117:118], v[3:4], v[115:116]
	v_mul_f64 v[115:116], v[1:2], v[115:116]
	v_fma_f64 v[1:2], v[1:2], v[113:114], -v[117:118]
	v_fma_f64 v[3:4], v[3:4], v[113:114], v[115:116]
	buffer_store_dword v2, off, s[0:3], 0 offset:340
	buffer_store_dword v1, off, s[0:3], 0 offset:336
	;; [unrolled: 1-line block ×4, first 2 shown]
.LBB51_575:
	s_or_b32 exec_lo, exec_lo, s4
	v_mov_b32_e32 v4, s38
	s_mov_b32 s4, exec_lo
	s_clause 0x3
	buffer_load_dword v1, v4, s[0:3], 0 offen
	buffer_load_dword v2, v4, s[0:3], 0 offen offset:4
	buffer_load_dword v3, v4, s[0:3], 0 offen offset:8
	;; [unrolled: 1-line block ×3, first 2 shown]
	s_waitcnt vmcnt(0)
	ds_write_b128 v14, v[1:4]
	s_waitcnt lgkmcnt(0)
	s_waitcnt_vscnt null, 0x0
	s_barrier
	buffer_gl0_inv
	v_cmpx_gt_u32_e32 22, v0
	s_cbranch_execz .LBB51_583
; %bb.576:
	ds_read_b128 v[1:4], v14
	v_cmp_ne_u32_e32 vcc_lo, 1, v15
	s_cbranch_vccnz .LBB51_578
; %bb.577:
	s_clause 0x3
	buffer_load_dword v113, v13, s[0:3], 0 offen offset:8
	buffer_load_dword v114, v13, s[0:3], 0 offen offset:12
	buffer_load_dword v115, v13, s[0:3], 0 offen
	buffer_load_dword v116, v13, s[0:3], 0 offen offset:4
	s_waitcnt vmcnt(2) lgkmcnt(0)
	v_mul_f64 v[117:118], v[3:4], v[113:114]
	v_mul_f64 v[113:114], v[1:2], v[113:114]
	s_waitcnt vmcnt(0)
	v_fma_f64 v[1:2], v[1:2], v[115:116], -v[117:118]
	v_fma_f64 v[3:4], v[3:4], v[115:116], v[113:114]
.LBB51_578:
	s_mov_b32 s6, exec_lo
	v_cmpx_ne_u32_e32 21, v0
	s_cbranch_execz .LBB51_582
; %bb.579:
	v_add_nc_u32_e32 v16, 0x350, v147
	v_add3_u32 v113, 0, v147, 16
	v_mov_b32_e32 v114, v0
	s_mov_b32 s8, 0
	.p2align	6
.LBB51_580:                             ; =>This Inner Loop Header: Depth=1
	s_clause 0x3
	buffer_load_dword v119, v113, s[0:3], 0 offen offset:8
	buffer_load_dword v120, v113, s[0:3], 0 offen offset:12
	buffer_load_dword v121, v113, s[0:3], 0 offen
	buffer_load_dword v122, v113, s[0:3], 0 offen offset:4
	ds_read_b128 v[115:118], v16
	v_add_nc_u32_e32 v114, 1, v114
	v_add_nc_u32_e32 v16, 16, v16
	;; [unrolled: 1-line block ×3, first 2 shown]
	v_cmp_lt_u32_e32 vcc_lo, 20, v114
	s_or_b32 s8, vcc_lo, s8
	s_waitcnt vmcnt(2) lgkmcnt(0)
	v_mul_f64 v[123:124], v[117:118], v[119:120]
	v_mul_f64 v[119:120], v[115:116], v[119:120]
	s_waitcnt vmcnt(0)
	v_fma_f64 v[115:116], v[115:116], v[121:122], -v[123:124]
	v_fma_f64 v[117:118], v[117:118], v[121:122], v[119:120]
	v_add_f64 v[1:2], v[1:2], v[115:116]
	v_add_f64 v[3:4], v[3:4], v[117:118]
	s_andn2_b32 exec_lo, exec_lo, s8
	s_cbranch_execnz .LBB51_580
; %bb.581:
	s_or_b32 exec_lo, exec_lo, s8
.LBB51_582:
	s_or_b32 exec_lo, exec_lo, s6
	v_mov_b32_e32 v16, 0
	ds_read_b128 v[113:116], v16 offset:352
	s_waitcnt lgkmcnt(0)
	v_mul_f64 v[117:118], v[3:4], v[115:116]
	v_mul_f64 v[115:116], v[1:2], v[115:116]
	v_fma_f64 v[1:2], v[1:2], v[113:114], -v[117:118]
	v_fma_f64 v[3:4], v[3:4], v[113:114], v[115:116]
	buffer_store_dword v2, off, s[0:3], 0 offset:356
	buffer_store_dword v1, off, s[0:3], 0 offset:352
	;; [unrolled: 1-line block ×4, first 2 shown]
.LBB51_583:
	s_or_b32 exec_lo, exec_lo, s4
	v_mov_b32_e32 v4, s37
	s_mov_b32 s4, exec_lo
	s_clause 0x3
	buffer_load_dword v1, v4, s[0:3], 0 offen
	buffer_load_dword v2, v4, s[0:3], 0 offen offset:4
	buffer_load_dword v3, v4, s[0:3], 0 offen offset:8
	;; [unrolled: 1-line block ×3, first 2 shown]
	s_waitcnt vmcnt(0)
	ds_write_b128 v14, v[1:4]
	s_waitcnt lgkmcnt(0)
	s_waitcnt_vscnt null, 0x0
	s_barrier
	buffer_gl0_inv
	v_cmpx_gt_u32_e32 23, v0
	s_cbranch_execz .LBB51_591
; %bb.584:
	ds_read_b128 v[1:4], v14
	v_cmp_ne_u32_e32 vcc_lo, 1, v15
	s_cbranch_vccnz .LBB51_586
; %bb.585:
	s_clause 0x3
	buffer_load_dword v113, v13, s[0:3], 0 offen offset:8
	buffer_load_dword v114, v13, s[0:3], 0 offen offset:12
	buffer_load_dword v115, v13, s[0:3], 0 offen
	buffer_load_dword v116, v13, s[0:3], 0 offen offset:4
	s_waitcnt vmcnt(2) lgkmcnt(0)
	v_mul_f64 v[117:118], v[3:4], v[113:114]
	v_mul_f64 v[113:114], v[1:2], v[113:114]
	s_waitcnt vmcnt(0)
	v_fma_f64 v[1:2], v[1:2], v[115:116], -v[117:118]
	v_fma_f64 v[3:4], v[3:4], v[115:116], v[113:114]
.LBB51_586:
	s_mov_b32 s6, exec_lo
	v_cmpx_ne_u32_e32 22, v0
	s_cbranch_execz .LBB51_590
; %bb.587:
	v_add_nc_u32_e32 v16, 0x350, v147
	v_add3_u32 v113, 0, v147, 16
	v_mov_b32_e32 v114, v0
	s_mov_b32 s8, 0
	.p2align	6
.LBB51_588:                             ; =>This Inner Loop Header: Depth=1
	s_clause 0x3
	buffer_load_dword v119, v113, s[0:3], 0 offen offset:8
	buffer_load_dword v120, v113, s[0:3], 0 offen offset:12
	buffer_load_dword v121, v113, s[0:3], 0 offen
	buffer_load_dword v122, v113, s[0:3], 0 offen offset:4
	ds_read_b128 v[115:118], v16
	v_add_nc_u32_e32 v114, 1, v114
	v_add_nc_u32_e32 v16, 16, v16
	;; [unrolled: 1-line block ×3, first 2 shown]
	v_cmp_lt_u32_e32 vcc_lo, 21, v114
	s_or_b32 s8, vcc_lo, s8
	s_waitcnt vmcnt(2) lgkmcnt(0)
	v_mul_f64 v[123:124], v[117:118], v[119:120]
	v_mul_f64 v[119:120], v[115:116], v[119:120]
	s_waitcnt vmcnt(0)
	v_fma_f64 v[115:116], v[115:116], v[121:122], -v[123:124]
	v_fma_f64 v[117:118], v[117:118], v[121:122], v[119:120]
	v_add_f64 v[1:2], v[1:2], v[115:116]
	v_add_f64 v[3:4], v[3:4], v[117:118]
	s_andn2_b32 exec_lo, exec_lo, s8
	s_cbranch_execnz .LBB51_588
; %bb.589:
	s_or_b32 exec_lo, exec_lo, s8
.LBB51_590:
	s_or_b32 exec_lo, exec_lo, s6
	v_mov_b32_e32 v16, 0
	ds_read_b128 v[113:116], v16 offset:368
	s_waitcnt lgkmcnt(0)
	v_mul_f64 v[117:118], v[3:4], v[115:116]
	v_mul_f64 v[115:116], v[1:2], v[115:116]
	v_fma_f64 v[1:2], v[1:2], v[113:114], -v[117:118]
	v_fma_f64 v[3:4], v[3:4], v[113:114], v[115:116]
	buffer_store_dword v2, off, s[0:3], 0 offset:372
	buffer_store_dword v1, off, s[0:3], 0 offset:368
	;; [unrolled: 1-line block ×4, first 2 shown]
.LBB51_591:
	s_or_b32 exec_lo, exec_lo, s4
	v_mov_b32_e32 v4, s36
	s_mov_b32 s4, exec_lo
	s_clause 0x3
	buffer_load_dword v1, v4, s[0:3], 0 offen
	buffer_load_dword v2, v4, s[0:3], 0 offen offset:4
	buffer_load_dword v3, v4, s[0:3], 0 offen offset:8
	;; [unrolled: 1-line block ×3, first 2 shown]
	s_waitcnt vmcnt(0)
	ds_write_b128 v14, v[1:4]
	s_waitcnt lgkmcnt(0)
	s_waitcnt_vscnt null, 0x0
	s_barrier
	buffer_gl0_inv
	v_cmpx_gt_u32_e32 24, v0
	s_cbranch_execz .LBB51_599
; %bb.592:
	ds_read_b128 v[1:4], v14
	v_cmp_ne_u32_e32 vcc_lo, 1, v15
	s_cbranch_vccnz .LBB51_594
; %bb.593:
	s_clause 0x3
	buffer_load_dword v113, v13, s[0:3], 0 offen offset:8
	buffer_load_dword v114, v13, s[0:3], 0 offen offset:12
	buffer_load_dword v115, v13, s[0:3], 0 offen
	buffer_load_dword v116, v13, s[0:3], 0 offen offset:4
	s_waitcnt vmcnt(2) lgkmcnt(0)
	v_mul_f64 v[117:118], v[3:4], v[113:114]
	v_mul_f64 v[113:114], v[1:2], v[113:114]
	s_waitcnt vmcnt(0)
	v_fma_f64 v[1:2], v[1:2], v[115:116], -v[117:118]
	v_fma_f64 v[3:4], v[3:4], v[115:116], v[113:114]
.LBB51_594:
	s_mov_b32 s6, exec_lo
	v_cmpx_ne_u32_e32 23, v0
	s_cbranch_execz .LBB51_598
; %bb.595:
	v_add_nc_u32_e32 v16, 0x350, v147
	v_add3_u32 v113, 0, v147, 16
	v_mov_b32_e32 v114, v0
	s_mov_b32 s8, 0
	.p2align	6
.LBB51_596:                             ; =>This Inner Loop Header: Depth=1
	s_clause 0x3
	buffer_load_dword v119, v113, s[0:3], 0 offen offset:8
	buffer_load_dword v120, v113, s[0:3], 0 offen offset:12
	buffer_load_dword v121, v113, s[0:3], 0 offen
	buffer_load_dword v122, v113, s[0:3], 0 offen offset:4
	ds_read_b128 v[115:118], v16
	v_add_nc_u32_e32 v114, 1, v114
	v_add_nc_u32_e32 v16, 16, v16
	v_add_nc_u32_e32 v113, 16, v113
	v_cmp_lt_u32_e32 vcc_lo, 22, v114
	s_or_b32 s8, vcc_lo, s8
	s_waitcnt vmcnt(2) lgkmcnt(0)
	v_mul_f64 v[123:124], v[117:118], v[119:120]
	v_mul_f64 v[119:120], v[115:116], v[119:120]
	s_waitcnt vmcnt(0)
	v_fma_f64 v[115:116], v[115:116], v[121:122], -v[123:124]
	v_fma_f64 v[117:118], v[117:118], v[121:122], v[119:120]
	v_add_f64 v[1:2], v[1:2], v[115:116]
	v_add_f64 v[3:4], v[3:4], v[117:118]
	s_andn2_b32 exec_lo, exec_lo, s8
	s_cbranch_execnz .LBB51_596
; %bb.597:
	s_or_b32 exec_lo, exec_lo, s8
.LBB51_598:
	s_or_b32 exec_lo, exec_lo, s6
	v_mov_b32_e32 v16, 0
	ds_read_b128 v[113:116], v16 offset:384
	s_waitcnt lgkmcnt(0)
	v_mul_f64 v[117:118], v[3:4], v[115:116]
	v_mul_f64 v[115:116], v[1:2], v[115:116]
	v_fma_f64 v[1:2], v[1:2], v[113:114], -v[117:118]
	v_fma_f64 v[3:4], v[3:4], v[113:114], v[115:116]
	buffer_store_dword v2, off, s[0:3], 0 offset:388
	buffer_store_dword v1, off, s[0:3], 0 offset:384
	;; [unrolled: 1-line block ×4, first 2 shown]
.LBB51_599:
	s_or_b32 exec_lo, exec_lo, s4
	v_mov_b32_e32 v4, s35
	s_mov_b32 s4, exec_lo
	s_clause 0x3
	buffer_load_dword v1, v4, s[0:3], 0 offen
	buffer_load_dword v2, v4, s[0:3], 0 offen offset:4
	buffer_load_dword v3, v4, s[0:3], 0 offen offset:8
	;; [unrolled: 1-line block ×3, first 2 shown]
	s_waitcnt vmcnt(0)
	ds_write_b128 v14, v[1:4]
	s_waitcnt lgkmcnt(0)
	s_waitcnt_vscnt null, 0x0
	s_barrier
	buffer_gl0_inv
	v_cmpx_gt_u32_e32 25, v0
	s_cbranch_execz .LBB51_607
; %bb.600:
	ds_read_b128 v[1:4], v14
	v_cmp_ne_u32_e32 vcc_lo, 1, v15
	s_cbranch_vccnz .LBB51_602
; %bb.601:
	s_clause 0x3
	buffer_load_dword v113, v13, s[0:3], 0 offen offset:8
	buffer_load_dword v114, v13, s[0:3], 0 offen offset:12
	buffer_load_dword v115, v13, s[0:3], 0 offen
	buffer_load_dword v116, v13, s[0:3], 0 offen offset:4
	s_waitcnt vmcnt(2) lgkmcnt(0)
	v_mul_f64 v[117:118], v[3:4], v[113:114]
	v_mul_f64 v[113:114], v[1:2], v[113:114]
	s_waitcnt vmcnt(0)
	v_fma_f64 v[1:2], v[1:2], v[115:116], -v[117:118]
	v_fma_f64 v[3:4], v[3:4], v[115:116], v[113:114]
.LBB51_602:
	s_mov_b32 s6, exec_lo
	v_cmpx_ne_u32_e32 24, v0
	s_cbranch_execz .LBB51_606
; %bb.603:
	v_add_nc_u32_e32 v16, 0x350, v147
	v_add3_u32 v113, 0, v147, 16
	v_mov_b32_e32 v114, v0
	s_mov_b32 s8, 0
	.p2align	6
.LBB51_604:                             ; =>This Inner Loop Header: Depth=1
	s_clause 0x3
	buffer_load_dword v119, v113, s[0:3], 0 offen offset:8
	buffer_load_dword v120, v113, s[0:3], 0 offen offset:12
	buffer_load_dword v121, v113, s[0:3], 0 offen
	buffer_load_dword v122, v113, s[0:3], 0 offen offset:4
	ds_read_b128 v[115:118], v16
	v_add_nc_u32_e32 v114, 1, v114
	v_add_nc_u32_e32 v16, 16, v16
	;; [unrolled: 1-line block ×3, first 2 shown]
	v_cmp_lt_u32_e32 vcc_lo, 23, v114
	s_or_b32 s8, vcc_lo, s8
	s_waitcnt vmcnt(2) lgkmcnt(0)
	v_mul_f64 v[123:124], v[117:118], v[119:120]
	v_mul_f64 v[119:120], v[115:116], v[119:120]
	s_waitcnt vmcnt(0)
	v_fma_f64 v[115:116], v[115:116], v[121:122], -v[123:124]
	v_fma_f64 v[117:118], v[117:118], v[121:122], v[119:120]
	v_add_f64 v[1:2], v[1:2], v[115:116]
	v_add_f64 v[3:4], v[3:4], v[117:118]
	s_andn2_b32 exec_lo, exec_lo, s8
	s_cbranch_execnz .LBB51_604
; %bb.605:
	s_or_b32 exec_lo, exec_lo, s8
.LBB51_606:
	s_or_b32 exec_lo, exec_lo, s6
	v_mov_b32_e32 v16, 0
	ds_read_b128 v[113:116], v16 offset:400
	s_waitcnt lgkmcnt(0)
	v_mul_f64 v[117:118], v[3:4], v[115:116]
	v_mul_f64 v[115:116], v[1:2], v[115:116]
	v_fma_f64 v[1:2], v[1:2], v[113:114], -v[117:118]
	v_fma_f64 v[3:4], v[3:4], v[113:114], v[115:116]
	buffer_store_dword v2, off, s[0:3], 0 offset:404
	buffer_store_dword v1, off, s[0:3], 0 offset:400
	;; [unrolled: 1-line block ×4, first 2 shown]
.LBB51_607:
	s_or_b32 exec_lo, exec_lo, s4
	v_mov_b32_e32 v4, s34
	s_mov_b32 s4, exec_lo
	s_clause 0x3
	buffer_load_dword v1, v4, s[0:3], 0 offen
	buffer_load_dword v2, v4, s[0:3], 0 offen offset:4
	buffer_load_dword v3, v4, s[0:3], 0 offen offset:8
	;; [unrolled: 1-line block ×3, first 2 shown]
	s_waitcnt vmcnt(0)
	ds_write_b128 v14, v[1:4]
	s_waitcnt lgkmcnt(0)
	s_waitcnt_vscnt null, 0x0
	s_barrier
	buffer_gl0_inv
	v_cmpx_gt_u32_e32 26, v0
	s_cbranch_execz .LBB51_615
; %bb.608:
	ds_read_b128 v[1:4], v14
	v_cmp_ne_u32_e32 vcc_lo, 1, v15
	s_cbranch_vccnz .LBB51_610
; %bb.609:
	s_clause 0x3
	buffer_load_dword v113, v13, s[0:3], 0 offen offset:8
	buffer_load_dword v114, v13, s[0:3], 0 offen offset:12
	buffer_load_dword v115, v13, s[0:3], 0 offen
	buffer_load_dword v116, v13, s[0:3], 0 offen offset:4
	s_waitcnt vmcnt(2) lgkmcnt(0)
	v_mul_f64 v[117:118], v[3:4], v[113:114]
	v_mul_f64 v[113:114], v[1:2], v[113:114]
	s_waitcnt vmcnt(0)
	v_fma_f64 v[1:2], v[1:2], v[115:116], -v[117:118]
	v_fma_f64 v[3:4], v[3:4], v[115:116], v[113:114]
.LBB51_610:
	s_mov_b32 s6, exec_lo
	v_cmpx_ne_u32_e32 25, v0
	s_cbranch_execz .LBB51_614
; %bb.611:
	v_add_nc_u32_e32 v16, 0x350, v147
	v_add3_u32 v113, 0, v147, 16
	v_mov_b32_e32 v114, v0
	s_mov_b32 s8, 0
	.p2align	6
.LBB51_612:                             ; =>This Inner Loop Header: Depth=1
	s_clause 0x3
	buffer_load_dword v119, v113, s[0:3], 0 offen offset:8
	buffer_load_dword v120, v113, s[0:3], 0 offen offset:12
	buffer_load_dword v121, v113, s[0:3], 0 offen
	buffer_load_dword v122, v113, s[0:3], 0 offen offset:4
	ds_read_b128 v[115:118], v16
	v_add_nc_u32_e32 v114, 1, v114
	v_add_nc_u32_e32 v16, 16, v16
	;; [unrolled: 1-line block ×3, first 2 shown]
	v_cmp_lt_u32_e32 vcc_lo, 24, v114
	s_or_b32 s8, vcc_lo, s8
	s_waitcnt vmcnt(2) lgkmcnt(0)
	v_mul_f64 v[123:124], v[117:118], v[119:120]
	v_mul_f64 v[119:120], v[115:116], v[119:120]
	s_waitcnt vmcnt(0)
	v_fma_f64 v[115:116], v[115:116], v[121:122], -v[123:124]
	v_fma_f64 v[117:118], v[117:118], v[121:122], v[119:120]
	v_add_f64 v[1:2], v[1:2], v[115:116]
	v_add_f64 v[3:4], v[3:4], v[117:118]
	s_andn2_b32 exec_lo, exec_lo, s8
	s_cbranch_execnz .LBB51_612
; %bb.613:
	s_or_b32 exec_lo, exec_lo, s8
.LBB51_614:
	s_or_b32 exec_lo, exec_lo, s6
	v_mov_b32_e32 v16, 0
	ds_read_b128 v[113:116], v16 offset:416
	s_waitcnt lgkmcnt(0)
	v_mul_f64 v[117:118], v[3:4], v[115:116]
	v_mul_f64 v[115:116], v[1:2], v[115:116]
	v_fma_f64 v[1:2], v[1:2], v[113:114], -v[117:118]
	v_fma_f64 v[3:4], v[3:4], v[113:114], v[115:116]
	buffer_store_dword v2, off, s[0:3], 0 offset:420
	buffer_store_dword v1, off, s[0:3], 0 offset:416
	;; [unrolled: 1-line block ×4, first 2 shown]
.LBB51_615:
	s_or_b32 exec_lo, exec_lo, s4
	v_mov_b32_e32 v4, s33
	s_mov_b32 s4, exec_lo
	s_clause 0x3
	buffer_load_dword v1, v4, s[0:3], 0 offen
	buffer_load_dword v2, v4, s[0:3], 0 offen offset:4
	buffer_load_dword v3, v4, s[0:3], 0 offen offset:8
	;; [unrolled: 1-line block ×3, first 2 shown]
	s_waitcnt vmcnt(0)
	ds_write_b128 v14, v[1:4]
	s_waitcnt lgkmcnt(0)
	s_waitcnt_vscnt null, 0x0
	s_barrier
	buffer_gl0_inv
	v_cmpx_gt_u32_e32 27, v0
	s_cbranch_execz .LBB51_623
; %bb.616:
	ds_read_b128 v[1:4], v14
	v_cmp_ne_u32_e32 vcc_lo, 1, v15
	s_cbranch_vccnz .LBB51_618
; %bb.617:
	s_clause 0x3
	buffer_load_dword v113, v13, s[0:3], 0 offen offset:8
	buffer_load_dword v114, v13, s[0:3], 0 offen offset:12
	buffer_load_dword v115, v13, s[0:3], 0 offen
	buffer_load_dword v116, v13, s[0:3], 0 offen offset:4
	s_waitcnt vmcnt(2) lgkmcnt(0)
	v_mul_f64 v[117:118], v[3:4], v[113:114]
	v_mul_f64 v[113:114], v[1:2], v[113:114]
	s_waitcnt vmcnt(0)
	v_fma_f64 v[1:2], v[1:2], v[115:116], -v[117:118]
	v_fma_f64 v[3:4], v[3:4], v[115:116], v[113:114]
.LBB51_618:
	s_mov_b32 s6, exec_lo
	v_cmpx_ne_u32_e32 26, v0
	s_cbranch_execz .LBB51_622
; %bb.619:
	v_add_nc_u32_e32 v16, 0x350, v147
	v_add3_u32 v113, 0, v147, 16
	v_mov_b32_e32 v114, v0
	s_mov_b32 s8, 0
	.p2align	6
.LBB51_620:                             ; =>This Inner Loop Header: Depth=1
	s_clause 0x3
	buffer_load_dword v119, v113, s[0:3], 0 offen offset:8
	buffer_load_dword v120, v113, s[0:3], 0 offen offset:12
	buffer_load_dword v121, v113, s[0:3], 0 offen
	buffer_load_dword v122, v113, s[0:3], 0 offen offset:4
	ds_read_b128 v[115:118], v16
	v_add_nc_u32_e32 v114, 1, v114
	v_add_nc_u32_e32 v16, 16, v16
	;; [unrolled: 1-line block ×3, first 2 shown]
	v_cmp_lt_u32_e32 vcc_lo, 25, v114
	s_or_b32 s8, vcc_lo, s8
	s_waitcnt vmcnt(2) lgkmcnt(0)
	v_mul_f64 v[123:124], v[117:118], v[119:120]
	v_mul_f64 v[119:120], v[115:116], v[119:120]
	s_waitcnt vmcnt(0)
	v_fma_f64 v[115:116], v[115:116], v[121:122], -v[123:124]
	v_fma_f64 v[117:118], v[117:118], v[121:122], v[119:120]
	v_add_f64 v[1:2], v[1:2], v[115:116]
	v_add_f64 v[3:4], v[3:4], v[117:118]
	s_andn2_b32 exec_lo, exec_lo, s8
	s_cbranch_execnz .LBB51_620
; %bb.621:
	s_or_b32 exec_lo, exec_lo, s8
.LBB51_622:
	s_or_b32 exec_lo, exec_lo, s6
	v_mov_b32_e32 v16, 0
	ds_read_b128 v[113:116], v16 offset:432
	s_waitcnt lgkmcnt(0)
	v_mul_f64 v[117:118], v[3:4], v[115:116]
	v_mul_f64 v[115:116], v[1:2], v[115:116]
	v_fma_f64 v[1:2], v[1:2], v[113:114], -v[117:118]
	v_fma_f64 v[3:4], v[3:4], v[113:114], v[115:116]
	buffer_store_dword v2, off, s[0:3], 0 offset:436
	buffer_store_dword v1, off, s[0:3], 0 offset:432
	;; [unrolled: 1-line block ×4, first 2 shown]
.LBB51_623:
	s_or_b32 exec_lo, exec_lo, s4
	v_mov_b32_e32 v4, s31
	s_mov_b32 s4, exec_lo
	s_clause 0x3
	buffer_load_dword v1, v4, s[0:3], 0 offen
	buffer_load_dword v2, v4, s[0:3], 0 offen offset:4
	buffer_load_dword v3, v4, s[0:3], 0 offen offset:8
	;; [unrolled: 1-line block ×3, first 2 shown]
	s_waitcnt vmcnt(0)
	ds_write_b128 v14, v[1:4]
	s_waitcnt lgkmcnt(0)
	s_waitcnt_vscnt null, 0x0
	s_barrier
	buffer_gl0_inv
	v_cmpx_gt_u32_e32 28, v0
	s_cbranch_execz .LBB51_631
; %bb.624:
	ds_read_b128 v[1:4], v14
	v_cmp_ne_u32_e32 vcc_lo, 1, v15
	s_cbranch_vccnz .LBB51_626
; %bb.625:
	s_clause 0x3
	buffer_load_dword v113, v13, s[0:3], 0 offen offset:8
	buffer_load_dword v114, v13, s[0:3], 0 offen offset:12
	buffer_load_dword v115, v13, s[0:3], 0 offen
	buffer_load_dword v116, v13, s[0:3], 0 offen offset:4
	s_waitcnt vmcnt(2) lgkmcnt(0)
	v_mul_f64 v[117:118], v[3:4], v[113:114]
	v_mul_f64 v[113:114], v[1:2], v[113:114]
	s_waitcnt vmcnt(0)
	v_fma_f64 v[1:2], v[1:2], v[115:116], -v[117:118]
	v_fma_f64 v[3:4], v[3:4], v[115:116], v[113:114]
.LBB51_626:
	s_mov_b32 s6, exec_lo
	v_cmpx_ne_u32_e32 27, v0
	s_cbranch_execz .LBB51_630
; %bb.627:
	v_add_nc_u32_e32 v16, 0x350, v147
	v_add3_u32 v113, 0, v147, 16
	v_mov_b32_e32 v114, v0
	s_mov_b32 s8, 0
	.p2align	6
.LBB51_628:                             ; =>This Inner Loop Header: Depth=1
	s_clause 0x3
	buffer_load_dword v119, v113, s[0:3], 0 offen offset:8
	buffer_load_dword v120, v113, s[0:3], 0 offen offset:12
	buffer_load_dword v121, v113, s[0:3], 0 offen
	buffer_load_dword v122, v113, s[0:3], 0 offen offset:4
	ds_read_b128 v[115:118], v16
	v_add_nc_u32_e32 v114, 1, v114
	v_add_nc_u32_e32 v16, 16, v16
	;; [unrolled: 1-line block ×3, first 2 shown]
	v_cmp_lt_u32_e32 vcc_lo, 26, v114
	s_or_b32 s8, vcc_lo, s8
	s_waitcnt vmcnt(2) lgkmcnt(0)
	v_mul_f64 v[123:124], v[117:118], v[119:120]
	v_mul_f64 v[119:120], v[115:116], v[119:120]
	s_waitcnt vmcnt(0)
	v_fma_f64 v[115:116], v[115:116], v[121:122], -v[123:124]
	v_fma_f64 v[117:118], v[117:118], v[121:122], v[119:120]
	v_add_f64 v[1:2], v[1:2], v[115:116]
	v_add_f64 v[3:4], v[3:4], v[117:118]
	s_andn2_b32 exec_lo, exec_lo, s8
	s_cbranch_execnz .LBB51_628
; %bb.629:
	s_or_b32 exec_lo, exec_lo, s8
.LBB51_630:
	s_or_b32 exec_lo, exec_lo, s6
	v_mov_b32_e32 v16, 0
	ds_read_b128 v[113:116], v16 offset:448
	s_waitcnt lgkmcnt(0)
	v_mul_f64 v[117:118], v[3:4], v[115:116]
	v_mul_f64 v[115:116], v[1:2], v[115:116]
	v_fma_f64 v[1:2], v[1:2], v[113:114], -v[117:118]
	v_fma_f64 v[3:4], v[3:4], v[113:114], v[115:116]
	buffer_store_dword v2, off, s[0:3], 0 offset:452
	buffer_store_dword v1, off, s[0:3], 0 offset:448
	buffer_store_dword v4, off, s[0:3], 0 offset:460
	buffer_store_dword v3, off, s[0:3], 0 offset:456
.LBB51_631:
	s_or_b32 exec_lo, exec_lo, s4
	v_mov_b32_e32 v4, s30
	s_mov_b32 s4, exec_lo
	s_clause 0x3
	buffer_load_dword v1, v4, s[0:3], 0 offen
	buffer_load_dword v2, v4, s[0:3], 0 offen offset:4
	buffer_load_dword v3, v4, s[0:3], 0 offen offset:8
	;; [unrolled: 1-line block ×3, first 2 shown]
	s_waitcnt vmcnt(0)
	ds_write_b128 v14, v[1:4]
	s_waitcnt lgkmcnt(0)
	s_waitcnt_vscnt null, 0x0
	s_barrier
	buffer_gl0_inv
	v_cmpx_gt_u32_e32 29, v0
	s_cbranch_execz .LBB51_639
; %bb.632:
	ds_read_b128 v[1:4], v14
	v_cmp_ne_u32_e32 vcc_lo, 1, v15
	s_cbranch_vccnz .LBB51_634
; %bb.633:
	s_clause 0x3
	buffer_load_dword v113, v13, s[0:3], 0 offen offset:8
	buffer_load_dword v114, v13, s[0:3], 0 offen offset:12
	buffer_load_dword v115, v13, s[0:3], 0 offen
	buffer_load_dword v116, v13, s[0:3], 0 offen offset:4
	s_waitcnt vmcnt(2) lgkmcnt(0)
	v_mul_f64 v[117:118], v[3:4], v[113:114]
	v_mul_f64 v[113:114], v[1:2], v[113:114]
	s_waitcnt vmcnt(0)
	v_fma_f64 v[1:2], v[1:2], v[115:116], -v[117:118]
	v_fma_f64 v[3:4], v[3:4], v[115:116], v[113:114]
.LBB51_634:
	s_mov_b32 s6, exec_lo
	v_cmpx_ne_u32_e32 28, v0
	s_cbranch_execz .LBB51_638
; %bb.635:
	v_add_nc_u32_e32 v16, 0x350, v147
	v_add3_u32 v113, 0, v147, 16
	v_mov_b32_e32 v114, v0
	s_mov_b32 s8, 0
	.p2align	6
.LBB51_636:                             ; =>This Inner Loop Header: Depth=1
	s_clause 0x3
	buffer_load_dword v119, v113, s[0:3], 0 offen offset:8
	buffer_load_dword v120, v113, s[0:3], 0 offen offset:12
	buffer_load_dword v121, v113, s[0:3], 0 offen
	buffer_load_dword v122, v113, s[0:3], 0 offen offset:4
	ds_read_b128 v[115:118], v16
	v_add_nc_u32_e32 v114, 1, v114
	v_add_nc_u32_e32 v16, 16, v16
	v_add_nc_u32_e32 v113, 16, v113
	v_cmp_lt_u32_e32 vcc_lo, 27, v114
	s_or_b32 s8, vcc_lo, s8
	s_waitcnt vmcnt(2) lgkmcnt(0)
	v_mul_f64 v[123:124], v[117:118], v[119:120]
	v_mul_f64 v[119:120], v[115:116], v[119:120]
	s_waitcnt vmcnt(0)
	v_fma_f64 v[115:116], v[115:116], v[121:122], -v[123:124]
	v_fma_f64 v[117:118], v[117:118], v[121:122], v[119:120]
	v_add_f64 v[1:2], v[1:2], v[115:116]
	v_add_f64 v[3:4], v[3:4], v[117:118]
	s_andn2_b32 exec_lo, exec_lo, s8
	s_cbranch_execnz .LBB51_636
; %bb.637:
	s_or_b32 exec_lo, exec_lo, s8
.LBB51_638:
	s_or_b32 exec_lo, exec_lo, s6
	v_mov_b32_e32 v16, 0
	ds_read_b128 v[113:116], v16 offset:464
	s_waitcnt lgkmcnt(0)
	v_mul_f64 v[117:118], v[3:4], v[115:116]
	v_mul_f64 v[115:116], v[1:2], v[115:116]
	v_fma_f64 v[1:2], v[1:2], v[113:114], -v[117:118]
	v_fma_f64 v[3:4], v[3:4], v[113:114], v[115:116]
	buffer_store_dword v2, off, s[0:3], 0 offset:468
	buffer_store_dword v1, off, s[0:3], 0 offset:464
	;; [unrolled: 1-line block ×4, first 2 shown]
.LBB51_639:
	s_or_b32 exec_lo, exec_lo, s4
	v_mov_b32_e32 v4, s29
	s_mov_b32 s4, exec_lo
	s_clause 0x3
	buffer_load_dword v1, v4, s[0:3], 0 offen
	buffer_load_dword v2, v4, s[0:3], 0 offen offset:4
	buffer_load_dword v3, v4, s[0:3], 0 offen offset:8
	;; [unrolled: 1-line block ×3, first 2 shown]
	s_waitcnt vmcnt(0)
	ds_write_b128 v14, v[1:4]
	s_waitcnt lgkmcnt(0)
	s_waitcnt_vscnt null, 0x0
	s_barrier
	buffer_gl0_inv
	v_cmpx_gt_u32_e32 30, v0
	s_cbranch_execz .LBB51_647
; %bb.640:
	ds_read_b128 v[1:4], v14
	v_cmp_ne_u32_e32 vcc_lo, 1, v15
	s_cbranch_vccnz .LBB51_642
; %bb.641:
	s_clause 0x3
	buffer_load_dword v113, v13, s[0:3], 0 offen offset:8
	buffer_load_dword v114, v13, s[0:3], 0 offen offset:12
	buffer_load_dword v115, v13, s[0:3], 0 offen
	buffer_load_dword v116, v13, s[0:3], 0 offen offset:4
	s_waitcnt vmcnt(2) lgkmcnt(0)
	v_mul_f64 v[117:118], v[3:4], v[113:114]
	v_mul_f64 v[113:114], v[1:2], v[113:114]
	s_waitcnt vmcnt(0)
	v_fma_f64 v[1:2], v[1:2], v[115:116], -v[117:118]
	v_fma_f64 v[3:4], v[3:4], v[115:116], v[113:114]
.LBB51_642:
	s_mov_b32 s6, exec_lo
	v_cmpx_ne_u32_e32 29, v0
	s_cbranch_execz .LBB51_646
; %bb.643:
	v_add_nc_u32_e32 v16, 0x350, v147
	v_add3_u32 v113, 0, v147, 16
	v_mov_b32_e32 v114, v0
	s_mov_b32 s8, 0
	.p2align	6
.LBB51_644:                             ; =>This Inner Loop Header: Depth=1
	s_clause 0x3
	buffer_load_dword v119, v113, s[0:3], 0 offen offset:8
	buffer_load_dword v120, v113, s[0:3], 0 offen offset:12
	buffer_load_dword v121, v113, s[0:3], 0 offen
	buffer_load_dword v122, v113, s[0:3], 0 offen offset:4
	ds_read_b128 v[115:118], v16
	v_add_nc_u32_e32 v114, 1, v114
	v_add_nc_u32_e32 v16, 16, v16
	;; [unrolled: 1-line block ×3, first 2 shown]
	v_cmp_lt_u32_e32 vcc_lo, 28, v114
	s_or_b32 s8, vcc_lo, s8
	s_waitcnt vmcnt(2) lgkmcnt(0)
	v_mul_f64 v[123:124], v[117:118], v[119:120]
	v_mul_f64 v[119:120], v[115:116], v[119:120]
	s_waitcnt vmcnt(0)
	v_fma_f64 v[115:116], v[115:116], v[121:122], -v[123:124]
	v_fma_f64 v[117:118], v[117:118], v[121:122], v[119:120]
	v_add_f64 v[1:2], v[1:2], v[115:116]
	v_add_f64 v[3:4], v[3:4], v[117:118]
	s_andn2_b32 exec_lo, exec_lo, s8
	s_cbranch_execnz .LBB51_644
; %bb.645:
	s_or_b32 exec_lo, exec_lo, s8
.LBB51_646:
	s_or_b32 exec_lo, exec_lo, s6
	v_mov_b32_e32 v16, 0
	ds_read_b128 v[113:116], v16 offset:480
	s_waitcnt lgkmcnt(0)
	v_mul_f64 v[117:118], v[3:4], v[115:116]
	v_mul_f64 v[115:116], v[1:2], v[115:116]
	v_fma_f64 v[1:2], v[1:2], v[113:114], -v[117:118]
	v_fma_f64 v[3:4], v[3:4], v[113:114], v[115:116]
	buffer_store_dword v2, off, s[0:3], 0 offset:484
	buffer_store_dword v1, off, s[0:3], 0 offset:480
	;; [unrolled: 1-line block ×4, first 2 shown]
.LBB51_647:
	s_or_b32 exec_lo, exec_lo, s4
	v_mov_b32_e32 v4, s28
	s_mov_b32 s4, exec_lo
	s_clause 0x3
	buffer_load_dword v1, v4, s[0:3], 0 offen
	buffer_load_dword v2, v4, s[0:3], 0 offen offset:4
	buffer_load_dword v3, v4, s[0:3], 0 offen offset:8
	buffer_load_dword v4, v4, s[0:3], 0 offen offset:12
	s_waitcnt vmcnt(0)
	ds_write_b128 v14, v[1:4]
	s_waitcnt lgkmcnt(0)
	s_waitcnt_vscnt null, 0x0
	s_barrier
	buffer_gl0_inv
	v_cmpx_gt_u32_e32 31, v0
	s_cbranch_execz .LBB51_655
; %bb.648:
	ds_read_b128 v[1:4], v14
	v_cmp_ne_u32_e32 vcc_lo, 1, v15
	s_cbranch_vccnz .LBB51_650
; %bb.649:
	s_clause 0x3
	buffer_load_dword v113, v13, s[0:3], 0 offen offset:8
	buffer_load_dword v114, v13, s[0:3], 0 offen offset:12
	buffer_load_dword v115, v13, s[0:3], 0 offen
	buffer_load_dword v116, v13, s[0:3], 0 offen offset:4
	s_waitcnt vmcnt(2) lgkmcnt(0)
	v_mul_f64 v[117:118], v[3:4], v[113:114]
	v_mul_f64 v[113:114], v[1:2], v[113:114]
	s_waitcnt vmcnt(0)
	v_fma_f64 v[1:2], v[1:2], v[115:116], -v[117:118]
	v_fma_f64 v[3:4], v[3:4], v[115:116], v[113:114]
.LBB51_650:
	s_mov_b32 s6, exec_lo
	v_cmpx_ne_u32_e32 30, v0
	s_cbranch_execz .LBB51_654
; %bb.651:
	v_add_nc_u32_e32 v16, 0x350, v147
	v_add3_u32 v113, 0, v147, 16
	v_mov_b32_e32 v114, v0
	s_mov_b32 s8, 0
	.p2align	6
.LBB51_652:                             ; =>This Inner Loop Header: Depth=1
	s_clause 0x3
	buffer_load_dword v119, v113, s[0:3], 0 offen offset:8
	buffer_load_dword v120, v113, s[0:3], 0 offen offset:12
	buffer_load_dword v121, v113, s[0:3], 0 offen
	buffer_load_dword v122, v113, s[0:3], 0 offen offset:4
	ds_read_b128 v[115:118], v16
	v_add_nc_u32_e32 v114, 1, v114
	v_add_nc_u32_e32 v16, 16, v16
	;; [unrolled: 1-line block ×3, first 2 shown]
	v_cmp_lt_u32_e32 vcc_lo, 29, v114
	s_or_b32 s8, vcc_lo, s8
	s_waitcnt vmcnt(2) lgkmcnt(0)
	v_mul_f64 v[123:124], v[117:118], v[119:120]
	v_mul_f64 v[119:120], v[115:116], v[119:120]
	s_waitcnt vmcnt(0)
	v_fma_f64 v[115:116], v[115:116], v[121:122], -v[123:124]
	v_fma_f64 v[117:118], v[117:118], v[121:122], v[119:120]
	v_add_f64 v[1:2], v[1:2], v[115:116]
	v_add_f64 v[3:4], v[3:4], v[117:118]
	s_andn2_b32 exec_lo, exec_lo, s8
	s_cbranch_execnz .LBB51_652
; %bb.653:
	s_or_b32 exec_lo, exec_lo, s8
.LBB51_654:
	s_or_b32 exec_lo, exec_lo, s6
	v_mov_b32_e32 v16, 0
	ds_read_b128 v[113:116], v16 offset:496
	s_waitcnt lgkmcnt(0)
	v_mul_f64 v[117:118], v[3:4], v[115:116]
	v_mul_f64 v[115:116], v[1:2], v[115:116]
	v_fma_f64 v[1:2], v[1:2], v[113:114], -v[117:118]
	v_fma_f64 v[3:4], v[3:4], v[113:114], v[115:116]
	buffer_store_dword v2, off, s[0:3], 0 offset:500
	buffer_store_dword v1, off, s[0:3], 0 offset:496
	;; [unrolled: 1-line block ×4, first 2 shown]
.LBB51_655:
	s_or_b32 exec_lo, exec_lo, s4
	v_mov_b32_e32 v4, s27
	s_mov_b32 s4, exec_lo
	s_clause 0x3
	buffer_load_dword v1, v4, s[0:3], 0 offen
	buffer_load_dword v2, v4, s[0:3], 0 offen offset:4
	buffer_load_dword v3, v4, s[0:3], 0 offen offset:8
	;; [unrolled: 1-line block ×3, first 2 shown]
	s_waitcnt vmcnt(0)
	ds_write_b128 v14, v[1:4]
	s_waitcnt lgkmcnt(0)
	s_waitcnt_vscnt null, 0x0
	s_barrier
	buffer_gl0_inv
	v_cmpx_gt_u32_e32 32, v0
	s_cbranch_execz .LBB51_663
; %bb.656:
	ds_read_b128 v[1:4], v14
	v_cmp_ne_u32_e32 vcc_lo, 1, v15
	s_cbranch_vccnz .LBB51_658
; %bb.657:
	s_clause 0x3
	buffer_load_dword v113, v13, s[0:3], 0 offen offset:8
	buffer_load_dword v114, v13, s[0:3], 0 offen offset:12
	buffer_load_dword v115, v13, s[0:3], 0 offen
	buffer_load_dword v116, v13, s[0:3], 0 offen offset:4
	s_waitcnt vmcnt(2) lgkmcnt(0)
	v_mul_f64 v[117:118], v[3:4], v[113:114]
	v_mul_f64 v[113:114], v[1:2], v[113:114]
	s_waitcnt vmcnt(0)
	v_fma_f64 v[1:2], v[1:2], v[115:116], -v[117:118]
	v_fma_f64 v[3:4], v[3:4], v[115:116], v[113:114]
.LBB51_658:
	s_mov_b32 s6, exec_lo
	v_cmpx_ne_u32_e32 31, v0
	s_cbranch_execz .LBB51_662
; %bb.659:
	v_add_nc_u32_e32 v16, 0x350, v147
	v_add3_u32 v113, 0, v147, 16
	v_mov_b32_e32 v114, v0
	s_mov_b32 s8, 0
	.p2align	6
.LBB51_660:                             ; =>This Inner Loop Header: Depth=1
	s_clause 0x3
	buffer_load_dword v119, v113, s[0:3], 0 offen offset:8
	buffer_load_dword v120, v113, s[0:3], 0 offen offset:12
	buffer_load_dword v121, v113, s[0:3], 0 offen
	buffer_load_dword v122, v113, s[0:3], 0 offen offset:4
	ds_read_b128 v[115:118], v16
	v_add_nc_u32_e32 v114, 1, v114
	v_add_nc_u32_e32 v16, 16, v16
	;; [unrolled: 1-line block ×3, first 2 shown]
	v_cmp_lt_u32_e32 vcc_lo, 30, v114
	s_or_b32 s8, vcc_lo, s8
	s_waitcnt vmcnt(2) lgkmcnt(0)
	v_mul_f64 v[123:124], v[117:118], v[119:120]
	v_mul_f64 v[119:120], v[115:116], v[119:120]
	s_waitcnt vmcnt(0)
	v_fma_f64 v[115:116], v[115:116], v[121:122], -v[123:124]
	v_fma_f64 v[117:118], v[117:118], v[121:122], v[119:120]
	v_add_f64 v[1:2], v[1:2], v[115:116]
	v_add_f64 v[3:4], v[3:4], v[117:118]
	s_andn2_b32 exec_lo, exec_lo, s8
	s_cbranch_execnz .LBB51_660
; %bb.661:
	s_or_b32 exec_lo, exec_lo, s8
.LBB51_662:
	s_or_b32 exec_lo, exec_lo, s6
	v_mov_b32_e32 v16, 0
	ds_read_b128 v[113:116], v16 offset:512
	s_waitcnt lgkmcnt(0)
	v_mul_f64 v[117:118], v[3:4], v[115:116]
	v_mul_f64 v[115:116], v[1:2], v[115:116]
	v_fma_f64 v[1:2], v[1:2], v[113:114], -v[117:118]
	v_fma_f64 v[3:4], v[3:4], v[113:114], v[115:116]
	buffer_store_dword v2, off, s[0:3], 0 offset:516
	buffer_store_dword v1, off, s[0:3], 0 offset:512
	;; [unrolled: 1-line block ×4, first 2 shown]
.LBB51_663:
	s_or_b32 exec_lo, exec_lo, s4
	v_mov_b32_e32 v4, s26
	s_mov_b32 s4, exec_lo
	s_clause 0x3
	buffer_load_dword v1, v4, s[0:3], 0 offen
	buffer_load_dword v2, v4, s[0:3], 0 offen offset:4
	buffer_load_dword v3, v4, s[0:3], 0 offen offset:8
	;; [unrolled: 1-line block ×3, first 2 shown]
	s_waitcnt vmcnt(0)
	ds_write_b128 v14, v[1:4]
	s_waitcnt lgkmcnt(0)
	s_waitcnt_vscnt null, 0x0
	s_barrier
	buffer_gl0_inv
	v_cmpx_gt_u32_e32 33, v0
	s_cbranch_execz .LBB51_671
; %bb.664:
	ds_read_b128 v[1:4], v14
	v_cmp_ne_u32_e32 vcc_lo, 1, v15
	s_cbranch_vccnz .LBB51_666
; %bb.665:
	s_clause 0x3
	buffer_load_dword v113, v13, s[0:3], 0 offen offset:8
	buffer_load_dword v114, v13, s[0:3], 0 offen offset:12
	buffer_load_dword v115, v13, s[0:3], 0 offen
	buffer_load_dword v116, v13, s[0:3], 0 offen offset:4
	s_waitcnt vmcnt(2) lgkmcnt(0)
	v_mul_f64 v[117:118], v[3:4], v[113:114]
	v_mul_f64 v[113:114], v[1:2], v[113:114]
	s_waitcnt vmcnt(0)
	v_fma_f64 v[1:2], v[1:2], v[115:116], -v[117:118]
	v_fma_f64 v[3:4], v[3:4], v[115:116], v[113:114]
.LBB51_666:
	s_mov_b32 s6, exec_lo
	v_cmpx_ne_u32_e32 32, v0
	s_cbranch_execz .LBB51_670
; %bb.667:
	v_add_nc_u32_e32 v16, 0x350, v147
	v_add3_u32 v113, 0, v147, 16
	v_mov_b32_e32 v114, v0
	s_mov_b32 s8, 0
	.p2align	6
.LBB51_668:                             ; =>This Inner Loop Header: Depth=1
	s_clause 0x3
	buffer_load_dword v119, v113, s[0:3], 0 offen offset:8
	buffer_load_dword v120, v113, s[0:3], 0 offen offset:12
	buffer_load_dword v121, v113, s[0:3], 0 offen
	buffer_load_dword v122, v113, s[0:3], 0 offen offset:4
	ds_read_b128 v[115:118], v16
	v_add_nc_u32_e32 v114, 1, v114
	v_add_nc_u32_e32 v16, 16, v16
	;; [unrolled: 1-line block ×3, first 2 shown]
	v_cmp_lt_u32_e32 vcc_lo, 31, v114
	s_or_b32 s8, vcc_lo, s8
	s_waitcnt vmcnt(2) lgkmcnt(0)
	v_mul_f64 v[123:124], v[117:118], v[119:120]
	v_mul_f64 v[119:120], v[115:116], v[119:120]
	s_waitcnt vmcnt(0)
	v_fma_f64 v[115:116], v[115:116], v[121:122], -v[123:124]
	v_fma_f64 v[117:118], v[117:118], v[121:122], v[119:120]
	v_add_f64 v[1:2], v[1:2], v[115:116]
	v_add_f64 v[3:4], v[3:4], v[117:118]
	s_andn2_b32 exec_lo, exec_lo, s8
	s_cbranch_execnz .LBB51_668
; %bb.669:
	s_or_b32 exec_lo, exec_lo, s8
.LBB51_670:
	s_or_b32 exec_lo, exec_lo, s6
	v_mov_b32_e32 v16, 0
	ds_read_b128 v[113:116], v16 offset:528
	s_waitcnt lgkmcnt(0)
	v_mul_f64 v[117:118], v[3:4], v[115:116]
	v_mul_f64 v[115:116], v[1:2], v[115:116]
	v_fma_f64 v[1:2], v[1:2], v[113:114], -v[117:118]
	v_fma_f64 v[3:4], v[3:4], v[113:114], v[115:116]
	buffer_store_dword v2, off, s[0:3], 0 offset:532
	buffer_store_dword v1, off, s[0:3], 0 offset:528
	;; [unrolled: 1-line block ×4, first 2 shown]
.LBB51_671:
	s_or_b32 exec_lo, exec_lo, s4
	v_mov_b32_e32 v4, s25
	s_mov_b32 s4, exec_lo
	s_clause 0x3
	buffer_load_dword v1, v4, s[0:3], 0 offen
	buffer_load_dword v2, v4, s[0:3], 0 offen offset:4
	buffer_load_dword v3, v4, s[0:3], 0 offen offset:8
	;; [unrolled: 1-line block ×3, first 2 shown]
	s_waitcnt vmcnt(0)
	ds_write_b128 v14, v[1:4]
	s_waitcnt lgkmcnt(0)
	s_waitcnt_vscnt null, 0x0
	s_barrier
	buffer_gl0_inv
	v_cmpx_gt_u32_e32 34, v0
	s_cbranch_execz .LBB51_679
; %bb.672:
	ds_read_b128 v[1:4], v14
	v_cmp_ne_u32_e32 vcc_lo, 1, v15
	s_cbranch_vccnz .LBB51_674
; %bb.673:
	s_clause 0x3
	buffer_load_dword v113, v13, s[0:3], 0 offen offset:8
	buffer_load_dword v114, v13, s[0:3], 0 offen offset:12
	buffer_load_dword v115, v13, s[0:3], 0 offen
	buffer_load_dword v116, v13, s[0:3], 0 offen offset:4
	s_waitcnt vmcnt(2) lgkmcnt(0)
	v_mul_f64 v[117:118], v[3:4], v[113:114]
	v_mul_f64 v[113:114], v[1:2], v[113:114]
	s_waitcnt vmcnt(0)
	v_fma_f64 v[1:2], v[1:2], v[115:116], -v[117:118]
	v_fma_f64 v[3:4], v[3:4], v[115:116], v[113:114]
.LBB51_674:
	s_mov_b32 s6, exec_lo
	v_cmpx_ne_u32_e32 33, v0
	s_cbranch_execz .LBB51_678
; %bb.675:
	v_add_nc_u32_e32 v16, 0x350, v147
	v_add3_u32 v113, 0, v147, 16
	v_mov_b32_e32 v114, v0
	s_mov_b32 s8, 0
	.p2align	6
.LBB51_676:                             ; =>This Inner Loop Header: Depth=1
	s_clause 0x3
	buffer_load_dword v119, v113, s[0:3], 0 offen offset:8
	buffer_load_dword v120, v113, s[0:3], 0 offen offset:12
	buffer_load_dword v121, v113, s[0:3], 0 offen
	buffer_load_dword v122, v113, s[0:3], 0 offen offset:4
	ds_read_b128 v[115:118], v16
	v_add_nc_u32_e32 v114, 1, v114
	v_add_nc_u32_e32 v16, 16, v16
	;; [unrolled: 1-line block ×3, first 2 shown]
	v_cmp_lt_u32_e32 vcc_lo, 32, v114
	s_or_b32 s8, vcc_lo, s8
	s_waitcnt vmcnt(2) lgkmcnt(0)
	v_mul_f64 v[123:124], v[117:118], v[119:120]
	v_mul_f64 v[119:120], v[115:116], v[119:120]
	s_waitcnt vmcnt(0)
	v_fma_f64 v[115:116], v[115:116], v[121:122], -v[123:124]
	v_fma_f64 v[117:118], v[117:118], v[121:122], v[119:120]
	v_add_f64 v[1:2], v[1:2], v[115:116]
	v_add_f64 v[3:4], v[3:4], v[117:118]
	s_andn2_b32 exec_lo, exec_lo, s8
	s_cbranch_execnz .LBB51_676
; %bb.677:
	s_or_b32 exec_lo, exec_lo, s8
.LBB51_678:
	s_or_b32 exec_lo, exec_lo, s6
	v_mov_b32_e32 v16, 0
	ds_read_b128 v[113:116], v16 offset:544
	s_waitcnt lgkmcnt(0)
	v_mul_f64 v[117:118], v[3:4], v[115:116]
	v_mul_f64 v[115:116], v[1:2], v[115:116]
	v_fma_f64 v[1:2], v[1:2], v[113:114], -v[117:118]
	v_fma_f64 v[3:4], v[3:4], v[113:114], v[115:116]
	buffer_store_dword v2, off, s[0:3], 0 offset:548
	buffer_store_dword v1, off, s[0:3], 0 offset:544
	;; [unrolled: 1-line block ×4, first 2 shown]
.LBB51_679:
	s_or_b32 exec_lo, exec_lo, s4
	v_mov_b32_e32 v4, s24
	s_mov_b32 s4, exec_lo
	s_clause 0x3
	buffer_load_dword v1, v4, s[0:3], 0 offen
	buffer_load_dword v2, v4, s[0:3], 0 offen offset:4
	buffer_load_dword v3, v4, s[0:3], 0 offen offset:8
	;; [unrolled: 1-line block ×3, first 2 shown]
	s_waitcnt vmcnt(0)
	ds_write_b128 v14, v[1:4]
	s_waitcnt lgkmcnt(0)
	s_waitcnt_vscnt null, 0x0
	s_barrier
	buffer_gl0_inv
	v_cmpx_gt_u32_e32 35, v0
	s_cbranch_execz .LBB51_687
; %bb.680:
	ds_read_b128 v[1:4], v14
	v_cmp_ne_u32_e32 vcc_lo, 1, v15
	s_cbranch_vccnz .LBB51_682
; %bb.681:
	s_clause 0x3
	buffer_load_dword v113, v13, s[0:3], 0 offen offset:8
	buffer_load_dword v114, v13, s[0:3], 0 offen offset:12
	buffer_load_dword v115, v13, s[0:3], 0 offen
	buffer_load_dword v116, v13, s[0:3], 0 offen offset:4
	s_waitcnt vmcnt(2) lgkmcnt(0)
	v_mul_f64 v[117:118], v[3:4], v[113:114]
	v_mul_f64 v[113:114], v[1:2], v[113:114]
	s_waitcnt vmcnt(0)
	v_fma_f64 v[1:2], v[1:2], v[115:116], -v[117:118]
	v_fma_f64 v[3:4], v[3:4], v[115:116], v[113:114]
.LBB51_682:
	s_mov_b32 s6, exec_lo
	v_cmpx_ne_u32_e32 34, v0
	s_cbranch_execz .LBB51_686
; %bb.683:
	v_add_nc_u32_e32 v16, 0x350, v147
	v_add3_u32 v113, 0, v147, 16
	v_mov_b32_e32 v114, v0
	s_mov_b32 s8, 0
	.p2align	6
.LBB51_684:                             ; =>This Inner Loop Header: Depth=1
	s_clause 0x3
	buffer_load_dword v119, v113, s[0:3], 0 offen offset:8
	buffer_load_dword v120, v113, s[0:3], 0 offen offset:12
	buffer_load_dword v121, v113, s[0:3], 0 offen
	buffer_load_dword v122, v113, s[0:3], 0 offen offset:4
	ds_read_b128 v[115:118], v16
	v_add_nc_u32_e32 v114, 1, v114
	v_add_nc_u32_e32 v16, 16, v16
	;; [unrolled: 1-line block ×3, first 2 shown]
	v_cmp_lt_u32_e32 vcc_lo, 33, v114
	s_or_b32 s8, vcc_lo, s8
	s_waitcnt vmcnt(2) lgkmcnt(0)
	v_mul_f64 v[123:124], v[117:118], v[119:120]
	v_mul_f64 v[119:120], v[115:116], v[119:120]
	s_waitcnt vmcnt(0)
	v_fma_f64 v[115:116], v[115:116], v[121:122], -v[123:124]
	v_fma_f64 v[117:118], v[117:118], v[121:122], v[119:120]
	v_add_f64 v[1:2], v[1:2], v[115:116]
	v_add_f64 v[3:4], v[3:4], v[117:118]
	s_andn2_b32 exec_lo, exec_lo, s8
	s_cbranch_execnz .LBB51_684
; %bb.685:
	s_or_b32 exec_lo, exec_lo, s8
.LBB51_686:
	s_or_b32 exec_lo, exec_lo, s6
	v_mov_b32_e32 v16, 0
	ds_read_b128 v[113:116], v16 offset:560
	s_waitcnt lgkmcnt(0)
	v_mul_f64 v[117:118], v[3:4], v[115:116]
	v_mul_f64 v[115:116], v[1:2], v[115:116]
	v_fma_f64 v[1:2], v[1:2], v[113:114], -v[117:118]
	v_fma_f64 v[3:4], v[3:4], v[113:114], v[115:116]
	buffer_store_dword v2, off, s[0:3], 0 offset:564
	buffer_store_dword v1, off, s[0:3], 0 offset:560
	;; [unrolled: 1-line block ×4, first 2 shown]
.LBB51_687:
	s_or_b32 exec_lo, exec_lo, s4
	v_mov_b32_e32 v4, s23
	s_mov_b32 s4, exec_lo
	s_clause 0x3
	buffer_load_dword v1, v4, s[0:3], 0 offen
	buffer_load_dword v2, v4, s[0:3], 0 offen offset:4
	buffer_load_dword v3, v4, s[0:3], 0 offen offset:8
	;; [unrolled: 1-line block ×3, first 2 shown]
	s_waitcnt vmcnt(0)
	ds_write_b128 v14, v[1:4]
	s_waitcnt lgkmcnt(0)
	s_waitcnt_vscnt null, 0x0
	s_barrier
	buffer_gl0_inv
	v_cmpx_gt_u32_e32 36, v0
	s_cbranch_execz .LBB51_695
; %bb.688:
	ds_read_b128 v[1:4], v14
	v_cmp_ne_u32_e32 vcc_lo, 1, v15
	s_cbranch_vccnz .LBB51_690
; %bb.689:
	s_clause 0x3
	buffer_load_dword v113, v13, s[0:3], 0 offen offset:8
	buffer_load_dword v114, v13, s[0:3], 0 offen offset:12
	buffer_load_dword v115, v13, s[0:3], 0 offen
	buffer_load_dword v116, v13, s[0:3], 0 offen offset:4
	s_waitcnt vmcnt(2) lgkmcnt(0)
	v_mul_f64 v[117:118], v[3:4], v[113:114]
	v_mul_f64 v[113:114], v[1:2], v[113:114]
	s_waitcnt vmcnt(0)
	v_fma_f64 v[1:2], v[1:2], v[115:116], -v[117:118]
	v_fma_f64 v[3:4], v[3:4], v[115:116], v[113:114]
.LBB51_690:
	s_mov_b32 s6, exec_lo
	v_cmpx_ne_u32_e32 35, v0
	s_cbranch_execz .LBB51_694
; %bb.691:
	v_add_nc_u32_e32 v16, 0x350, v147
	v_add3_u32 v113, 0, v147, 16
	v_mov_b32_e32 v114, v0
	s_mov_b32 s8, 0
	.p2align	6
.LBB51_692:                             ; =>This Inner Loop Header: Depth=1
	s_clause 0x3
	buffer_load_dword v119, v113, s[0:3], 0 offen offset:8
	buffer_load_dword v120, v113, s[0:3], 0 offen offset:12
	buffer_load_dword v121, v113, s[0:3], 0 offen
	buffer_load_dword v122, v113, s[0:3], 0 offen offset:4
	ds_read_b128 v[115:118], v16
	v_add_nc_u32_e32 v114, 1, v114
	v_add_nc_u32_e32 v16, 16, v16
	;; [unrolled: 1-line block ×3, first 2 shown]
	v_cmp_lt_u32_e32 vcc_lo, 34, v114
	s_or_b32 s8, vcc_lo, s8
	s_waitcnt vmcnt(2) lgkmcnt(0)
	v_mul_f64 v[123:124], v[117:118], v[119:120]
	v_mul_f64 v[119:120], v[115:116], v[119:120]
	s_waitcnt vmcnt(0)
	v_fma_f64 v[115:116], v[115:116], v[121:122], -v[123:124]
	v_fma_f64 v[117:118], v[117:118], v[121:122], v[119:120]
	v_add_f64 v[1:2], v[1:2], v[115:116]
	v_add_f64 v[3:4], v[3:4], v[117:118]
	s_andn2_b32 exec_lo, exec_lo, s8
	s_cbranch_execnz .LBB51_692
; %bb.693:
	s_or_b32 exec_lo, exec_lo, s8
.LBB51_694:
	s_or_b32 exec_lo, exec_lo, s6
	v_mov_b32_e32 v16, 0
	ds_read_b128 v[113:116], v16 offset:576
	s_waitcnt lgkmcnt(0)
	v_mul_f64 v[117:118], v[3:4], v[115:116]
	v_mul_f64 v[115:116], v[1:2], v[115:116]
	v_fma_f64 v[1:2], v[1:2], v[113:114], -v[117:118]
	v_fma_f64 v[3:4], v[3:4], v[113:114], v[115:116]
	buffer_store_dword v2, off, s[0:3], 0 offset:580
	buffer_store_dword v1, off, s[0:3], 0 offset:576
	;; [unrolled: 1-line block ×4, first 2 shown]
.LBB51_695:
	s_or_b32 exec_lo, exec_lo, s4
	v_mov_b32_e32 v4, s22
	s_mov_b32 s4, exec_lo
	s_clause 0x3
	buffer_load_dword v1, v4, s[0:3], 0 offen
	buffer_load_dword v2, v4, s[0:3], 0 offen offset:4
	buffer_load_dword v3, v4, s[0:3], 0 offen offset:8
	;; [unrolled: 1-line block ×3, first 2 shown]
	s_waitcnt vmcnt(0)
	ds_write_b128 v14, v[1:4]
	s_waitcnt lgkmcnt(0)
	s_waitcnt_vscnt null, 0x0
	s_barrier
	buffer_gl0_inv
	v_cmpx_gt_u32_e32 37, v0
	s_cbranch_execz .LBB51_703
; %bb.696:
	ds_read_b128 v[1:4], v14
	v_cmp_ne_u32_e32 vcc_lo, 1, v15
	s_cbranch_vccnz .LBB51_698
; %bb.697:
	s_clause 0x3
	buffer_load_dword v113, v13, s[0:3], 0 offen offset:8
	buffer_load_dword v114, v13, s[0:3], 0 offen offset:12
	buffer_load_dword v115, v13, s[0:3], 0 offen
	buffer_load_dword v116, v13, s[0:3], 0 offen offset:4
	s_waitcnt vmcnt(2) lgkmcnt(0)
	v_mul_f64 v[117:118], v[3:4], v[113:114]
	v_mul_f64 v[113:114], v[1:2], v[113:114]
	s_waitcnt vmcnt(0)
	v_fma_f64 v[1:2], v[1:2], v[115:116], -v[117:118]
	v_fma_f64 v[3:4], v[3:4], v[115:116], v[113:114]
.LBB51_698:
	s_mov_b32 s6, exec_lo
	v_cmpx_ne_u32_e32 36, v0
	s_cbranch_execz .LBB51_702
; %bb.699:
	v_add_nc_u32_e32 v16, 0x350, v147
	v_add3_u32 v113, 0, v147, 16
	v_mov_b32_e32 v114, v0
	s_mov_b32 s8, 0
	.p2align	6
.LBB51_700:                             ; =>This Inner Loop Header: Depth=1
	s_clause 0x3
	buffer_load_dword v119, v113, s[0:3], 0 offen offset:8
	buffer_load_dword v120, v113, s[0:3], 0 offen offset:12
	buffer_load_dword v121, v113, s[0:3], 0 offen
	buffer_load_dword v122, v113, s[0:3], 0 offen offset:4
	ds_read_b128 v[115:118], v16
	v_add_nc_u32_e32 v114, 1, v114
	v_add_nc_u32_e32 v16, 16, v16
	;; [unrolled: 1-line block ×3, first 2 shown]
	v_cmp_lt_u32_e32 vcc_lo, 35, v114
	s_or_b32 s8, vcc_lo, s8
	s_waitcnt vmcnt(2) lgkmcnt(0)
	v_mul_f64 v[123:124], v[117:118], v[119:120]
	v_mul_f64 v[119:120], v[115:116], v[119:120]
	s_waitcnt vmcnt(0)
	v_fma_f64 v[115:116], v[115:116], v[121:122], -v[123:124]
	v_fma_f64 v[117:118], v[117:118], v[121:122], v[119:120]
	v_add_f64 v[1:2], v[1:2], v[115:116]
	v_add_f64 v[3:4], v[3:4], v[117:118]
	s_andn2_b32 exec_lo, exec_lo, s8
	s_cbranch_execnz .LBB51_700
; %bb.701:
	s_or_b32 exec_lo, exec_lo, s8
.LBB51_702:
	s_or_b32 exec_lo, exec_lo, s6
	v_mov_b32_e32 v16, 0
	ds_read_b128 v[113:116], v16 offset:592
	s_waitcnt lgkmcnt(0)
	v_mul_f64 v[117:118], v[3:4], v[115:116]
	v_mul_f64 v[115:116], v[1:2], v[115:116]
	v_fma_f64 v[1:2], v[1:2], v[113:114], -v[117:118]
	v_fma_f64 v[3:4], v[3:4], v[113:114], v[115:116]
	buffer_store_dword v2, off, s[0:3], 0 offset:596
	buffer_store_dword v1, off, s[0:3], 0 offset:592
	;; [unrolled: 1-line block ×4, first 2 shown]
.LBB51_703:
	s_or_b32 exec_lo, exec_lo, s4
	v_mov_b32_e32 v4, s21
	s_mov_b32 s4, exec_lo
	s_clause 0x3
	buffer_load_dword v1, v4, s[0:3], 0 offen
	buffer_load_dword v2, v4, s[0:3], 0 offen offset:4
	buffer_load_dword v3, v4, s[0:3], 0 offen offset:8
	;; [unrolled: 1-line block ×3, first 2 shown]
	s_waitcnt vmcnt(0)
	ds_write_b128 v14, v[1:4]
	s_waitcnt lgkmcnt(0)
	s_waitcnt_vscnt null, 0x0
	s_barrier
	buffer_gl0_inv
	v_cmpx_gt_u32_e32 38, v0
	s_cbranch_execz .LBB51_711
; %bb.704:
	ds_read_b128 v[1:4], v14
	v_cmp_ne_u32_e32 vcc_lo, 1, v15
	s_cbranch_vccnz .LBB51_706
; %bb.705:
	s_clause 0x3
	buffer_load_dword v113, v13, s[0:3], 0 offen offset:8
	buffer_load_dword v114, v13, s[0:3], 0 offen offset:12
	buffer_load_dword v115, v13, s[0:3], 0 offen
	buffer_load_dword v116, v13, s[0:3], 0 offen offset:4
	s_waitcnt vmcnt(2) lgkmcnt(0)
	v_mul_f64 v[117:118], v[3:4], v[113:114]
	v_mul_f64 v[113:114], v[1:2], v[113:114]
	s_waitcnt vmcnt(0)
	v_fma_f64 v[1:2], v[1:2], v[115:116], -v[117:118]
	v_fma_f64 v[3:4], v[3:4], v[115:116], v[113:114]
.LBB51_706:
	s_mov_b32 s6, exec_lo
	v_cmpx_ne_u32_e32 37, v0
	s_cbranch_execz .LBB51_710
; %bb.707:
	v_add_nc_u32_e32 v16, 0x350, v147
	v_add3_u32 v113, 0, v147, 16
	v_mov_b32_e32 v114, v0
	s_mov_b32 s8, 0
	.p2align	6
.LBB51_708:                             ; =>This Inner Loop Header: Depth=1
	s_clause 0x3
	buffer_load_dword v119, v113, s[0:3], 0 offen offset:8
	buffer_load_dword v120, v113, s[0:3], 0 offen offset:12
	buffer_load_dword v121, v113, s[0:3], 0 offen
	buffer_load_dword v122, v113, s[0:3], 0 offen offset:4
	ds_read_b128 v[115:118], v16
	v_add_nc_u32_e32 v114, 1, v114
	v_add_nc_u32_e32 v16, 16, v16
	;; [unrolled: 1-line block ×3, first 2 shown]
	v_cmp_lt_u32_e32 vcc_lo, 36, v114
	s_or_b32 s8, vcc_lo, s8
	s_waitcnt vmcnt(2) lgkmcnt(0)
	v_mul_f64 v[123:124], v[117:118], v[119:120]
	v_mul_f64 v[119:120], v[115:116], v[119:120]
	s_waitcnt vmcnt(0)
	v_fma_f64 v[115:116], v[115:116], v[121:122], -v[123:124]
	v_fma_f64 v[117:118], v[117:118], v[121:122], v[119:120]
	v_add_f64 v[1:2], v[1:2], v[115:116]
	v_add_f64 v[3:4], v[3:4], v[117:118]
	s_andn2_b32 exec_lo, exec_lo, s8
	s_cbranch_execnz .LBB51_708
; %bb.709:
	s_or_b32 exec_lo, exec_lo, s8
.LBB51_710:
	s_or_b32 exec_lo, exec_lo, s6
	v_mov_b32_e32 v16, 0
	ds_read_b128 v[113:116], v16 offset:608
	s_waitcnt lgkmcnt(0)
	v_mul_f64 v[117:118], v[3:4], v[115:116]
	v_mul_f64 v[115:116], v[1:2], v[115:116]
	v_fma_f64 v[1:2], v[1:2], v[113:114], -v[117:118]
	v_fma_f64 v[3:4], v[3:4], v[113:114], v[115:116]
	buffer_store_dword v2, off, s[0:3], 0 offset:612
	buffer_store_dword v1, off, s[0:3], 0 offset:608
	buffer_store_dword v4, off, s[0:3], 0 offset:620
	buffer_store_dword v3, off, s[0:3], 0 offset:616
.LBB51_711:
	s_or_b32 exec_lo, exec_lo, s4
	v_mov_b32_e32 v4, s20
	s_mov_b32 s4, exec_lo
	s_clause 0x3
	buffer_load_dword v1, v4, s[0:3], 0 offen
	buffer_load_dword v2, v4, s[0:3], 0 offen offset:4
	buffer_load_dword v3, v4, s[0:3], 0 offen offset:8
	;; [unrolled: 1-line block ×3, first 2 shown]
	s_waitcnt vmcnt(0)
	ds_write_b128 v14, v[1:4]
	s_waitcnt lgkmcnt(0)
	s_waitcnt_vscnt null, 0x0
	s_barrier
	buffer_gl0_inv
	v_cmpx_gt_u32_e32 39, v0
	s_cbranch_execz .LBB51_719
; %bb.712:
	ds_read_b128 v[1:4], v14
	v_cmp_ne_u32_e32 vcc_lo, 1, v15
	s_cbranch_vccnz .LBB51_714
; %bb.713:
	s_clause 0x3
	buffer_load_dword v113, v13, s[0:3], 0 offen offset:8
	buffer_load_dword v114, v13, s[0:3], 0 offen offset:12
	buffer_load_dword v115, v13, s[0:3], 0 offen
	buffer_load_dword v116, v13, s[0:3], 0 offen offset:4
	s_waitcnt vmcnt(2) lgkmcnt(0)
	v_mul_f64 v[117:118], v[3:4], v[113:114]
	v_mul_f64 v[113:114], v[1:2], v[113:114]
	s_waitcnt vmcnt(0)
	v_fma_f64 v[1:2], v[1:2], v[115:116], -v[117:118]
	v_fma_f64 v[3:4], v[3:4], v[115:116], v[113:114]
.LBB51_714:
	s_mov_b32 s6, exec_lo
	v_cmpx_ne_u32_e32 38, v0
	s_cbranch_execz .LBB51_718
; %bb.715:
	v_add_nc_u32_e32 v16, 0x350, v147
	v_add3_u32 v113, 0, v147, 16
	v_mov_b32_e32 v114, v0
	s_mov_b32 s8, 0
	.p2align	6
.LBB51_716:                             ; =>This Inner Loop Header: Depth=1
	s_clause 0x3
	buffer_load_dword v119, v113, s[0:3], 0 offen offset:8
	buffer_load_dword v120, v113, s[0:3], 0 offen offset:12
	buffer_load_dword v121, v113, s[0:3], 0 offen
	buffer_load_dword v122, v113, s[0:3], 0 offen offset:4
	ds_read_b128 v[115:118], v16
	v_add_nc_u32_e32 v114, 1, v114
	v_add_nc_u32_e32 v16, 16, v16
	;; [unrolled: 1-line block ×3, first 2 shown]
	v_cmp_lt_u32_e32 vcc_lo, 37, v114
	s_or_b32 s8, vcc_lo, s8
	s_waitcnt vmcnt(2) lgkmcnt(0)
	v_mul_f64 v[123:124], v[117:118], v[119:120]
	v_mul_f64 v[119:120], v[115:116], v[119:120]
	s_waitcnt vmcnt(0)
	v_fma_f64 v[115:116], v[115:116], v[121:122], -v[123:124]
	v_fma_f64 v[117:118], v[117:118], v[121:122], v[119:120]
	v_add_f64 v[1:2], v[1:2], v[115:116]
	v_add_f64 v[3:4], v[3:4], v[117:118]
	s_andn2_b32 exec_lo, exec_lo, s8
	s_cbranch_execnz .LBB51_716
; %bb.717:
	s_or_b32 exec_lo, exec_lo, s8
.LBB51_718:
	s_or_b32 exec_lo, exec_lo, s6
	v_mov_b32_e32 v16, 0
	ds_read_b128 v[113:116], v16 offset:624
	s_waitcnt lgkmcnt(0)
	v_mul_f64 v[117:118], v[3:4], v[115:116]
	v_mul_f64 v[115:116], v[1:2], v[115:116]
	v_fma_f64 v[1:2], v[1:2], v[113:114], -v[117:118]
	v_fma_f64 v[3:4], v[3:4], v[113:114], v[115:116]
	buffer_store_dword v2, off, s[0:3], 0 offset:628
	buffer_store_dword v1, off, s[0:3], 0 offset:624
	;; [unrolled: 1-line block ×4, first 2 shown]
.LBB51_719:
	s_or_b32 exec_lo, exec_lo, s4
	v_mov_b32_e32 v4, s19
	s_mov_b32 s4, exec_lo
	s_clause 0x3
	buffer_load_dword v1, v4, s[0:3], 0 offen
	buffer_load_dword v2, v4, s[0:3], 0 offen offset:4
	buffer_load_dword v3, v4, s[0:3], 0 offen offset:8
	;; [unrolled: 1-line block ×3, first 2 shown]
	s_waitcnt vmcnt(0)
	ds_write_b128 v14, v[1:4]
	s_waitcnt lgkmcnt(0)
	s_waitcnt_vscnt null, 0x0
	s_barrier
	buffer_gl0_inv
	v_cmpx_gt_u32_e32 40, v0
	s_cbranch_execz .LBB51_727
; %bb.720:
	ds_read_b128 v[1:4], v14
	v_cmp_ne_u32_e32 vcc_lo, 1, v15
	s_cbranch_vccnz .LBB51_722
; %bb.721:
	s_clause 0x3
	buffer_load_dword v113, v13, s[0:3], 0 offen offset:8
	buffer_load_dword v114, v13, s[0:3], 0 offen offset:12
	buffer_load_dword v115, v13, s[0:3], 0 offen
	buffer_load_dword v116, v13, s[0:3], 0 offen offset:4
	s_waitcnt vmcnt(2) lgkmcnt(0)
	v_mul_f64 v[117:118], v[3:4], v[113:114]
	v_mul_f64 v[113:114], v[1:2], v[113:114]
	s_waitcnt vmcnt(0)
	v_fma_f64 v[1:2], v[1:2], v[115:116], -v[117:118]
	v_fma_f64 v[3:4], v[3:4], v[115:116], v[113:114]
.LBB51_722:
	s_mov_b32 s6, exec_lo
	v_cmpx_ne_u32_e32 39, v0
	s_cbranch_execz .LBB51_726
; %bb.723:
	v_add_nc_u32_e32 v16, 0x350, v147
	v_add3_u32 v113, 0, v147, 16
	v_mov_b32_e32 v114, v0
	s_mov_b32 s8, 0
	.p2align	6
.LBB51_724:                             ; =>This Inner Loop Header: Depth=1
	s_clause 0x3
	buffer_load_dword v119, v113, s[0:3], 0 offen offset:8
	buffer_load_dword v120, v113, s[0:3], 0 offen offset:12
	buffer_load_dword v121, v113, s[0:3], 0 offen
	buffer_load_dword v122, v113, s[0:3], 0 offen offset:4
	ds_read_b128 v[115:118], v16
	v_add_nc_u32_e32 v114, 1, v114
	v_add_nc_u32_e32 v16, 16, v16
	;; [unrolled: 1-line block ×3, first 2 shown]
	v_cmp_lt_u32_e32 vcc_lo, 38, v114
	s_or_b32 s8, vcc_lo, s8
	s_waitcnt vmcnt(2) lgkmcnt(0)
	v_mul_f64 v[123:124], v[117:118], v[119:120]
	v_mul_f64 v[119:120], v[115:116], v[119:120]
	s_waitcnt vmcnt(0)
	v_fma_f64 v[115:116], v[115:116], v[121:122], -v[123:124]
	v_fma_f64 v[117:118], v[117:118], v[121:122], v[119:120]
	v_add_f64 v[1:2], v[1:2], v[115:116]
	v_add_f64 v[3:4], v[3:4], v[117:118]
	s_andn2_b32 exec_lo, exec_lo, s8
	s_cbranch_execnz .LBB51_724
; %bb.725:
	s_or_b32 exec_lo, exec_lo, s8
.LBB51_726:
	s_or_b32 exec_lo, exec_lo, s6
	v_mov_b32_e32 v16, 0
	ds_read_b128 v[113:116], v16 offset:640
	s_waitcnt lgkmcnt(0)
	v_mul_f64 v[117:118], v[3:4], v[115:116]
	v_mul_f64 v[115:116], v[1:2], v[115:116]
	v_fma_f64 v[1:2], v[1:2], v[113:114], -v[117:118]
	v_fma_f64 v[3:4], v[3:4], v[113:114], v[115:116]
	buffer_store_dword v2, off, s[0:3], 0 offset:644
	buffer_store_dword v1, off, s[0:3], 0 offset:640
	buffer_store_dword v4, off, s[0:3], 0 offset:652
	buffer_store_dword v3, off, s[0:3], 0 offset:648
.LBB51_727:
	s_or_b32 exec_lo, exec_lo, s4
	v_mov_b32_e32 v4, s18
	s_mov_b32 s4, exec_lo
	s_clause 0x3
	buffer_load_dword v1, v4, s[0:3], 0 offen
	buffer_load_dword v2, v4, s[0:3], 0 offen offset:4
	buffer_load_dword v3, v4, s[0:3], 0 offen offset:8
	buffer_load_dword v4, v4, s[0:3], 0 offen offset:12
	s_waitcnt vmcnt(0)
	ds_write_b128 v14, v[1:4]
	s_waitcnt lgkmcnt(0)
	s_waitcnt_vscnt null, 0x0
	s_barrier
	buffer_gl0_inv
	v_cmpx_gt_u32_e32 41, v0
	s_cbranch_execz .LBB51_735
; %bb.728:
	ds_read_b128 v[1:4], v14
	v_cmp_ne_u32_e32 vcc_lo, 1, v15
	s_cbranch_vccnz .LBB51_730
; %bb.729:
	s_clause 0x3
	buffer_load_dword v113, v13, s[0:3], 0 offen offset:8
	buffer_load_dword v114, v13, s[0:3], 0 offen offset:12
	buffer_load_dword v115, v13, s[0:3], 0 offen
	buffer_load_dword v116, v13, s[0:3], 0 offen offset:4
	s_waitcnt vmcnt(2) lgkmcnt(0)
	v_mul_f64 v[117:118], v[3:4], v[113:114]
	v_mul_f64 v[113:114], v[1:2], v[113:114]
	s_waitcnt vmcnt(0)
	v_fma_f64 v[1:2], v[1:2], v[115:116], -v[117:118]
	v_fma_f64 v[3:4], v[3:4], v[115:116], v[113:114]
.LBB51_730:
	s_mov_b32 s6, exec_lo
	v_cmpx_ne_u32_e32 40, v0
	s_cbranch_execz .LBB51_734
; %bb.731:
	v_add_nc_u32_e32 v16, 0x350, v147
	v_add3_u32 v113, 0, v147, 16
	v_mov_b32_e32 v114, v0
	s_mov_b32 s8, 0
	.p2align	6
.LBB51_732:                             ; =>This Inner Loop Header: Depth=1
	s_clause 0x3
	buffer_load_dword v119, v113, s[0:3], 0 offen offset:8
	buffer_load_dword v120, v113, s[0:3], 0 offen offset:12
	buffer_load_dword v121, v113, s[0:3], 0 offen
	buffer_load_dword v122, v113, s[0:3], 0 offen offset:4
	ds_read_b128 v[115:118], v16
	v_add_nc_u32_e32 v114, 1, v114
	v_add_nc_u32_e32 v16, 16, v16
	;; [unrolled: 1-line block ×3, first 2 shown]
	v_cmp_lt_u32_e32 vcc_lo, 39, v114
	s_or_b32 s8, vcc_lo, s8
	s_waitcnt vmcnt(2) lgkmcnt(0)
	v_mul_f64 v[123:124], v[117:118], v[119:120]
	v_mul_f64 v[119:120], v[115:116], v[119:120]
	s_waitcnt vmcnt(0)
	v_fma_f64 v[115:116], v[115:116], v[121:122], -v[123:124]
	v_fma_f64 v[117:118], v[117:118], v[121:122], v[119:120]
	v_add_f64 v[1:2], v[1:2], v[115:116]
	v_add_f64 v[3:4], v[3:4], v[117:118]
	s_andn2_b32 exec_lo, exec_lo, s8
	s_cbranch_execnz .LBB51_732
; %bb.733:
	s_or_b32 exec_lo, exec_lo, s8
.LBB51_734:
	s_or_b32 exec_lo, exec_lo, s6
	v_mov_b32_e32 v16, 0
	ds_read_b128 v[113:116], v16 offset:656
	s_waitcnt lgkmcnt(0)
	v_mul_f64 v[117:118], v[3:4], v[115:116]
	v_mul_f64 v[115:116], v[1:2], v[115:116]
	v_fma_f64 v[1:2], v[1:2], v[113:114], -v[117:118]
	v_fma_f64 v[3:4], v[3:4], v[113:114], v[115:116]
	buffer_store_dword v2, off, s[0:3], 0 offset:660
	buffer_store_dword v1, off, s[0:3], 0 offset:656
	buffer_store_dword v4, off, s[0:3], 0 offset:668
	buffer_store_dword v3, off, s[0:3], 0 offset:664
.LBB51_735:
	s_or_b32 exec_lo, exec_lo, s4
	v_mov_b32_e32 v4, s17
	s_mov_b32 s4, exec_lo
	s_clause 0x3
	buffer_load_dword v1, v4, s[0:3], 0 offen
	buffer_load_dword v2, v4, s[0:3], 0 offen offset:4
	buffer_load_dword v3, v4, s[0:3], 0 offen offset:8
	buffer_load_dword v4, v4, s[0:3], 0 offen offset:12
	s_waitcnt vmcnt(0)
	ds_write_b128 v14, v[1:4]
	s_waitcnt lgkmcnt(0)
	s_waitcnt_vscnt null, 0x0
	s_barrier
	buffer_gl0_inv
	v_cmpx_gt_u32_e32 42, v0
	s_cbranch_execz .LBB51_743
; %bb.736:
	ds_read_b128 v[1:4], v14
	v_cmp_ne_u32_e32 vcc_lo, 1, v15
	s_cbranch_vccnz .LBB51_738
; %bb.737:
	s_clause 0x3
	buffer_load_dword v113, v13, s[0:3], 0 offen offset:8
	buffer_load_dword v114, v13, s[0:3], 0 offen offset:12
	buffer_load_dword v115, v13, s[0:3], 0 offen
	buffer_load_dword v116, v13, s[0:3], 0 offen offset:4
	s_waitcnt vmcnt(2) lgkmcnt(0)
	v_mul_f64 v[117:118], v[3:4], v[113:114]
	v_mul_f64 v[113:114], v[1:2], v[113:114]
	s_waitcnt vmcnt(0)
	v_fma_f64 v[1:2], v[1:2], v[115:116], -v[117:118]
	v_fma_f64 v[3:4], v[3:4], v[115:116], v[113:114]
.LBB51_738:
	s_mov_b32 s6, exec_lo
	v_cmpx_ne_u32_e32 41, v0
	s_cbranch_execz .LBB51_742
; %bb.739:
	v_add_nc_u32_e32 v16, 0x350, v147
	v_add3_u32 v113, 0, v147, 16
	v_mov_b32_e32 v114, v0
	s_mov_b32 s8, 0
	.p2align	6
.LBB51_740:                             ; =>This Inner Loop Header: Depth=1
	s_clause 0x3
	buffer_load_dword v119, v113, s[0:3], 0 offen offset:8
	buffer_load_dword v120, v113, s[0:3], 0 offen offset:12
	buffer_load_dword v121, v113, s[0:3], 0 offen
	buffer_load_dword v122, v113, s[0:3], 0 offen offset:4
	ds_read_b128 v[115:118], v16
	v_add_nc_u32_e32 v114, 1, v114
	v_add_nc_u32_e32 v16, 16, v16
	;; [unrolled: 1-line block ×3, first 2 shown]
	v_cmp_lt_u32_e32 vcc_lo, 40, v114
	s_or_b32 s8, vcc_lo, s8
	s_waitcnt vmcnt(2) lgkmcnt(0)
	v_mul_f64 v[123:124], v[117:118], v[119:120]
	v_mul_f64 v[119:120], v[115:116], v[119:120]
	s_waitcnt vmcnt(0)
	v_fma_f64 v[115:116], v[115:116], v[121:122], -v[123:124]
	v_fma_f64 v[117:118], v[117:118], v[121:122], v[119:120]
	v_add_f64 v[1:2], v[1:2], v[115:116]
	v_add_f64 v[3:4], v[3:4], v[117:118]
	s_andn2_b32 exec_lo, exec_lo, s8
	s_cbranch_execnz .LBB51_740
; %bb.741:
	s_or_b32 exec_lo, exec_lo, s8
.LBB51_742:
	s_or_b32 exec_lo, exec_lo, s6
	v_mov_b32_e32 v16, 0
	ds_read_b128 v[113:116], v16 offset:672
	s_waitcnt lgkmcnt(0)
	v_mul_f64 v[117:118], v[3:4], v[115:116]
	v_mul_f64 v[115:116], v[1:2], v[115:116]
	v_fma_f64 v[1:2], v[1:2], v[113:114], -v[117:118]
	v_fma_f64 v[3:4], v[3:4], v[113:114], v[115:116]
	buffer_store_dword v2, off, s[0:3], 0 offset:676
	buffer_store_dword v1, off, s[0:3], 0 offset:672
	;; [unrolled: 1-line block ×4, first 2 shown]
.LBB51_743:
	s_or_b32 exec_lo, exec_lo, s4
	v_mov_b32_e32 v4, s16
	s_mov_b32 s4, exec_lo
	s_clause 0x3
	buffer_load_dword v1, v4, s[0:3], 0 offen
	buffer_load_dword v2, v4, s[0:3], 0 offen offset:4
	buffer_load_dword v3, v4, s[0:3], 0 offen offset:8
	;; [unrolled: 1-line block ×3, first 2 shown]
	s_waitcnt vmcnt(0)
	ds_write_b128 v14, v[1:4]
	s_waitcnt lgkmcnt(0)
	s_waitcnt_vscnt null, 0x0
	s_barrier
	buffer_gl0_inv
	v_cmpx_gt_u32_e32 43, v0
	s_cbranch_execz .LBB51_751
; %bb.744:
	ds_read_b128 v[1:4], v14
	v_cmp_ne_u32_e32 vcc_lo, 1, v15
	s_cbranch_vccnz .LBB51_746
; %bb.745:
	s_clause 0x3
	buffer_load_dword v113, v13, s[0:3], 0 offen offset:8
	buffer_load_dword v114, v13, s[0:3], 0 offen offset:12
	buffer_load_dword v115, v13, s[0:3], 0 offen
	buffer_load_dword v116, v13, s[0:3], 0 offen offset:4
	s_waitcnt vmcnt(2) lgkmcnt(0)
	v_mul_f64 v[117:118], v[3:4], v[113:114]
	v_mul_f64 v[113:114], v[1:2], v[113:114]
	s_waitcnt vmcnt(0)
	v_fma_f64 v[1:2], v[1:2], v[115:116], -v[117:118]
	v_fma_f64 v[3:4], v[3:4], v[115:116], v[113:114]
.LBB51_746:
	s_mov_b32 s6, exec_lo
	v_cmpx_ne_u32_e32 42, v0
	s_cbranch_execz .LBB51_750
; %bb.747:
	v_add_nc_u32_e32 v16, 0x350, v147
	v_add3_u32 v113, 0, v147, 16
	v_mov_b32_e32 v114, v0
	s_mov_b32 s8, 0
	.p2align	6
.LBB51_748:                             ; =>This Inner Loop Header: Depth=1
	s_clause 0x3
	buffer_load_dword v119, v113, s[0:3], 0 offen offset:8
	buffer_load_dword v120, v113, s[0:3], 0 offen offset:12
	buffer_load_dword v121, v113, s[0:3], 0 offen
	buffer_load_dword v122, v113, s[0:3], 0 offen offset:4
	ds_read_b128 v[115:118], v16
	v_add_nc_u32_e32 v114, 1, v114
	v_add_nc_u32_e32 v16, 16, v16
	;; [unrolled: 1-line block ×3, first 2 shown]
	v_cmp_lt_u32_e32 vcc_lo, 41, v114
	s_or_b32 s8, vcc_lo, s8
	s_waitcnt vmcnt(2) lgkmcnt(0)
	v_mul_f64 v[123:124], v[117:118], v[119:120]
	v_mul_f64 v[119:120], v[115:116], v[119:120]
	s_waitcnt vmcnt(0)
	v_fma_f64 v[115:116], v[115:116], v[121:122], -v[123:124]
	v_fma_f64 v[117:118], v[117:118], v[121:122], v[119:120]
	v_add_f64 v[1:2], v[1:2], v[115:116]
	v_add_f64 v[3:4], v[3:4], v[117:118]
	s_andn2_b32 exec_lo, exec_lo, s8
	s_cbranch_execnz .LBB51_748
; %bb.749:
	s_or_b32 exec_lo, exec_lo, s8
.LBB51_750:
	s_or_b32 exec_lo, exec_lo, s6
	v_mov_b32_e32 v16, 0
	ds_read_b128 v[113:116], v16 offset:688
	s_waitcnt lgkmcnt(0)
	v_mul_f64 v[117:118], v[3:4], v[115:116]
	v_mul_f64 v[115:116], v[1:2], v[115:116]
	v_fma_f64 v[1:2], v[1:2], v[113:114], -v[117:118]
	v_fma_f64 v[3:4], v[3:4], v[113:114], v[115:116]
	buffer_store_dword v2, off, s[0:3], 0 offset:692
	buffer_store_dword v1, off, s[0:3], 0 offset:688
	;; [unrolled: 1-line block ×4, first 2 shown]
.LBB51_751:
	s_or_b32 exec_lo, exec_lo, s4
	v_mov_b32_e32 v4, s15
	s_mov_b32 s4, exec_lo
	s_clause 0x3
	buffer_load_dword v1, v4, s[0:3], 0 offen
	buffer_load_dword v2, v4, s[0:3], 0 offen offset:4
	buffer_load_dword v3, v4, s[0:3], 0 offen offset:8
	;; [unrolled: 1-line block ×3, first 2 shown]
	s_waitcnt vmcnt(0)
	ds_write_b128 v14, v[1:4]
	s_waitcnt lgkmcnt(0)
	s_waitcnt_vscnt null, 0x0
	s_barrier
	buffer_gl0_inv
	v_cmpx_gt_u32_e32 44, v0
	s_cbranch_execz .LBB51_759
; %bb.752:
	ds_read_b128 v[1:4], v14
	v_cmp_ne_u32_e32 vcc_lo, 1, v15
	s_cbranch_vccnz .LBB51_754
; %bb.753:
	s_clause 0x3
	buffer_load_dword v113, v13, s[0:3], 0 offen offset:8
	buffer_load_dword v114, v13, s[0:3], 0 offen offset:12
	buffer_load_dword v115, v13, s[0:3], 0 offen
	buffer_load_dword v116, v13, s[0:3], 0 offen offset:4
	s_waitcnt vmcnt(2) lgkmcnt(0)
	v_mul_f64 v[117:118], v[3:4], v[113:114]
	v_mul_f64 v[113:114], v[1:2], v[113:114]
	s_waitcnt vmcnt(0)
	v_fma_f64 v[1:2], v[1:2], v[115:116], -v[117:118]
	v_fma_f64 v[3:4], v[3:4], v[115:116], v[113:114]
.LBB51_754:
	s_mov_b32 s6, exec_lo
	v_cmpx_ne_u32_e32 43, v0
	s_cbranch_execz .LBB51_758
; %bb.755:
	v_add_nc_u32_e32 v16, 0x350, v147
	v_add3_u32 v113, 0, v147, 16
	v_mov_b32_e32 v114, v0
	s_mov_b32 s8, 0
	.p2align	6
.LBB51_756:                             ; =>This Inner Loop Header: Depth=1
	s_clause 0x3
	buffer_load_dword v119, v113, s[0:3], 0 offen offset:8
	buffer_load_dword v120, v113, s[0:3], 0 offen offset:12
	buffer_load_dword v121, v113, s[0:3], 0 offen
	buffer_load_dword v122, v113, s[0:3], 0 offen offset:4
	ds_read_b128 v[115:118], v16
	v_add_nc_u32_e32 v114, 1, v114
	v_add_nc_u32_e32 v16, 16, v16
	;; [unrolled: 1-line block ×3, first 2 shown]
	v_cmp_lt_u32_e32 vcc_lo, 42, v114
	s_or_b32 s8, vcc_lo, s8
	s_waitcnt vmcnt(2) lgkmcnt(0)
	v_mul_f64 v[123:124], v[117:118], v[119:120]
	v_mul_f64 v[119:120], v[115:116], v[119:120]
	s_waitcnt vmcnt(0)
	v_fma_f64 v[115:116], v[115:116], v[121:122], -v[123:124]
	v_fma_f64 v[117:118], v[117:118], v[121:122], v[119:120]
	v_add_f64 v[1:2], v[1:2], v[115:116]
	v_add_f64 v[3:4], v[3:4], v[117:118]
	s_andn2_b32 exec_lo, exec_lo, s8
	s_cbranch_execnz .LBB51_756
; %bb.757:
	s_or_b32 exec_lo, exec_lo, s8
.LBB51_758:
	s_or_b32 exec_lo, exec_lo, s6
	v_mov_b32_e32 v16, 0
	ds_read_b128 v[113:116], v16 offset:704
	s_waitcnt lgkmcnt(0)
	v_mul_f64 v[117:118], v[3:4], v[115:116]
	v_mul_f64 v[115:116], v[1:2], v[115:116]
	v_fma_f64 v[1:2], v[1:2], v[113:114], -v[117:118]
	v_fma_f64 v[3:4], v[3:4], v[113:114], v[115:116]
	buffer_store_dword v2, off, s[0:3], 0 offset:708
	buffer_store_dword v1, off, s[0:3], 0 offset:704
	;; [unrolled: 1-line block ×4, first 2 shown]
.LBB51_759:
	s_or_b32 exec_lo, exec_lo, s4
	v_mov_b32_e32 v4, s14
	s_mov_b32 s4, exec_lo
	s_clause 0x3
	buffer_load_dword v1, v4, s[0:3], 0 offen
	buffer_load_dword v2, v4, s[0:3], 0 offen offset:4
	buffer_load_dword v3, v4, s[0:3], 0 offen offset:8
	buffer_load_dword v4, v4, s[0:3], 0 offen offset:12
	s_waitcnt vmcnt(0)
	ds_write_b128 v14, v[1:4]
	s_waitcnt lgkmcnt(0)
	s_waitcnt_vscnt null, 0x0
	s_barrier
	buffer_gl0_inv
	v_cmpx_gt_u32_e32 45, v0
	s_cbranch_execz .LBB51_767
; %bb.760:
	ds_read_b128 v[1:4], v14
	v_cmp_ne_u32_e32 vcc_lo, 1, v15
	s_cbranch_vccnz .LBB51_762
; %bb.761:
	s_clause 0x3
	buffer_load_dword v113, v13, s[0:3], 0 offen offset:8
	buffer_load_dword v114, v13, s[0:3], 0 offen offset:12
	buffer_load_dword v115, v13, s[0:3], 0 offen
	buffer_load_dword v116, v13, s[0:3], 0 offen offset:4
	s_waitcnt vmcnt(2) lgkmcnt(0)
	v_mul_f64 v[117:118], v[3:4], v[113:114]
	v_mul_f64 v[113:114], v[1:2], v[113:114]
	s_waitcnt vmcnt(0)
	v_fma_f64 v[1:2], v[1:2], v[115:116], -v[117:118]
	v_fma_f64 v[3:4], v[3:4], v[115:116], v[113:114]
.LBB51_762:
	s_mov_b32 s6, exec_lo
	v_cmpx_ne_u32_e32 44, v0
	s_cbranch_execz .LBB51_766
; %bb.763:
	v_add_nc_u32_e32 v16, 0x350, v147
	v_add3_u32 v113, 0, v147, 16
	v_mov_b32_e32 v114, v0
	s_mov_b32 s8, 0
	.p2align	6
.LBB51_764:                             ; =>This Inner Loop Header: Depth=1
	s_clause 0x3
	buffer_load_dword v119, v113, s[0:3], 0 offen offset:8
	buffer_load_dword v120, v113, s[0:3], 0 offen offset:12
	buffer_load_dword v121, v113, s[0:3], 0 offen
	buffer_load_dword v122, v113, s[0:3], 0 offen offset:4
	ds_read_b128 v[115:118], v16
	v_add_nc_u32_e32 v114, 1, v114
	v_add_nc_u32_e32 v16, 16, v16
	;; [unrolled: 1-line block ×3, first 2 shown]
	v_cmp_lt_u32_e32 vcc_lo, 43, v114
	s_or_b32 s8, vcc_lo, s8
	s_waitcnt vmcnt(2) lgkmcnt(0)
	v_mul_f64 v[123:124], v[117:118], v[119:120]
	v_mul_f64 v[119:120], v[115:116], v[119:120]
	s_waitcnt vmcnt(0)
	v_fma_f64 v[115:116], v[115:116], v[121:122], -v[123:124]
	v_fma_f64 v[117:118], v[117:118], v[121:122], v[119:120]
	v_add_f64 v[1:2], v[1:2], v[115:116]
	v_add_f64 v[3:4], v[3:4], v[117:118]
	s_andn2_b32 exec_lo, exec_lo, s8
	s_cbranch_execnz .LBB51_764
; %bb.765:
	s_or_b32 exec_lo, exec_lo, s8
.LBB51_766:
	s_or_b32 exec_lo, exec_lo, s6
	v_mov_b32_e32 v16, 0
	ds_read_b128 v[113:116], v16 offset:720
	s_waitcnt lgkmcnt(0)
	v_mul_f64 v[117:118], v[3:4], v[115:116]
	v_mul_f64 v[115:116], v[1:2], v[115:116]
	v_fma_f64 v[1:2], v[1:2], v[113:114], -v[117:118]
	v_fma_f64 v[3:4], v[3:4], v[113:114], v[115:116]
	buffer_store_dword v2, off, s[0:3], 0 offset:724
	buffer_store_dword v1, off, s[0:3], 0 offset:720
	;; [unrolled: 1-line block ×4, first 2 shown]
.LBB51_767:
	s_or_b32 exec_lo, exec_lo, s4
	v_mov_b32_e32 v4, s13
	s_mov_b32 s4, exec_lo
	s_clause 0x3
	buffer_load_dword v1, v4, s[0:3], 0 offen
	buffer_load_dword v2, v4, s[0:3], 0 offen offset:4
	buffer_load_dword v3, v4, s[0:3], 0 offen offset:8
	;; [unrolled: 1-line block ×3, first 2 shown]
	s_waitcnt vmcnt(0)
	ds_write_b128 v14, v[1:4]
	s_waitcnt lgkmcnt(0)
	s_waitcnt_vscnt null, 0x0
	s_barrier
	buffer_gl0_inv
	v_cmpx_gt_u32_e32 46, v0
	s_cbranch_execz .LBB51_775
; %bb.768:
	ds_read_b128 v[1:4], v14
	v_cmp_ne_u32_e32 vcc_lo, 1, v15
	s_cbranch_vccnz .LBB51_770
; %bb.769:
	s_clause 0x3
	buffer_load_dword v113, v13, s[0:3], 0 offen offset:8
	buffer_load_dword v114, v13, s[0:3], 0 offen offset:12
	buffer_load_dword v115, v13, s[0:3], 0 offen
	buffer_load_dword v116, v13, s[0:3], 0 offen offset:4
	s_waitcnt vmcnt(2) lgkmcnt(0)
	v_mul_f64 v[117:118], v[3:4], v[113:114]
	v_mul_f64 v[113:114], v[1:2], v[113:114]
	s_waitcnt vmcnt(0)
	v_fma_f64 v[1:2], v[1:2], v[115:116], -v[117:118]
	v_fma_f64 v[3:4], v[3:4], v[115:116], v[113:114]
.LBB51_770:
	s_mov_b32 s6, exec_lo
	v_cmpx_ne_u32_e32 45, v0
	s_cbranch_execz .LBB51_774
; %bb.771:
	v_add_nc_u32_e32 v16, 0x350, v147
	v_add3_u32 v113, 0, v147, 16
	v_mov_b32_e32 v114, v0
	s_mov_b32 s8, 0
	.p2align	6
.LBB51_772:                             ; =>This Inner Loop Header: Depth=1
	s_clause 0x3
	buffer_load_dword v119, v113, s[0:3], 0 offen offset:8
	buffer_load_dword v120, v113, s[0:3], 0 offen offset:12
	buffer_load_dword v121, v113, s[0:3], 0 offen
	buffer_load_dword v122, v113, s[0:3], 0 offen offset:4
	ds_read_b128 v[115:118], v16
	v_add_nc_u32_e32 v114, 1, v114
	v_add_nc_u32_e32 v16, 16, v16
	;; [unrolled: 1-line block ×3, first 2 shown]
	v_cmp_lt_u32_e32 vcc_lo, 44, v114
	s_or_b32 s8, vcc_lo, s8
	s_waitcnt vmcnt(2) lgkmcnt(0)
	v_mul_f64 v[123:124], v[117:118], v[119:120]
	v_mul_f64 v[119:120], v[115:116], v[119:120]
	s_waitcnt vmcnt(0)
	v_fma_f64 v[115:116], v[115:116], v[121:122], -v[123:124]
	v_fma_f64 v[117:118], v[117:118], v[121:122], v[119:120]
	v_add_f64 v[1:2], v[1:2], v[115:116]
	v_add_f64 v[3:4], v[3:4], v[117:118]
	s_andn2_b32 exec_lo, exec_lo, s8
	s_cbranch_execnz .LBB51_772
; %bb.773:
	s_or_b32 exec_lo, exec_lo, s8
.LBB51_774:
	s_or_b32 exec_lo, exec_lo, s6
	v_mov_b32_e32 v16, 0
	ds_read_b128 v[113:116], v16 offset:736
	s_waitcnt lgkmcnt(0)
	v_mul_f64 v[117:118], v[3:4], v[115:116]
	v_mul_f64 v[115:116], v[1:2], v[115:116]
	v_fma_f64 v[1:2], v[1:2], v[113:114], -v[117:118]
	v_fma_f64 v[3:4], v[3:4], v[113:114], v[115:116]
	buffer_store_dword v2, off, s[0:3], 0 offset:740
	buffer_store_dword v1, off, s[0:3], 0 offset:736
	;; [unrolled: 1-line block ×4, first 2 shown]
.LBB51_775:
	s_or_b32 exec_lo, exec_lo, s4
	v_mov_b32_e32 v4, s12
	s_mov_b32 s4, exec_lo
	s_clause 0x3
	buffer_load_dword v1, v4, s[0:3], 0 offen
	buffer_load_dword v2, v4, s[0:3], 0 offen offset:4
	buffer_load_dword v3, v4, s[0:3], 0 offen offset:8
	;; [unrolled: 1-line block ×3, first 2 shown]
	s_waitcnt vmcnt(0)
	ds_write_b128 v14, v[1:4]
	s_waitcnt lgkmcnt(0)
	s_waitcnt_vscnt null, 0x0
	s_barrier
	buffer_gl0_inv
	v_cmpx_gt_u32_e32 47, v0
	s_cbranch_execz .LBB51_783
; %bb.776:
	ds_read_b128 v[1:4], v14
	v_cmp_ne_u32_e32 vcc_lo, 1, v15
	s_cbranch_vccnz .LBB51_778
; %bb.777:
	s_clause 0x3
	buffer_load_dword v113, v13, s[0:3], 0 offen offset:8
	buffer_load_dword v114, v13, s[0:3], 0 offen offset:12
	buffer_load_dword v115, v13, s[0:3], 0 offen
	buffer_load_dword v116, v13, s[0:3], 0 offen offset:4
	s_waitcnt vmcnt(2) lgkmcnt(0)
	v_mul_f64 v[117:118], v[3:4], v[113:114]
	v_mul_f64 v[113:114], v[1:2], v[113:114]
	s_waitcnt vmcnt(0)
	v_fma_f64 v[1:2], v[1:2], v[115:116], -v[117:118]
	v_fma_f64 v[3:4], v[3:4], v[115:116], v[113:114]
.LBB51_778:
	s_mov_b32 s6, exec_lo
	v_cmpx_ne_u32_e32 46, v0
	s_cbranch_execz .LBB51_782
; %bb.779:
	v_add_nc_u32_e32 v16, 0x350, v147
	v_add3_u32 v113, 0, v147, 16
	v_mov_b32_e32 v114, v0
	s_mov_b32 s8, 0
	.p2align	6
.LBB51_780:                             ; =>This Inner Loop Header: Depth=1
	s_clause 0x3
	buffer_load_dword v119, v113, s[0:3], 0 offen offset:8
	buffer_load_dword v120, v113, s[0:3], 0 offen offset:12
	buffer_load_dword v121, v113, s[0:3], 0 offen
	buffer_load_dword v122, v113, s[0:3], 0 offen offset:4
	ds_read_b128 v[115:118], v16
	v_add_nc_u32_e32 v114, 1, v114
	v_add_nc_u32_e32 v16, 16, v16
	;; [unrolled: 1-line block ×3, first 2 shown]
	v_cmp_lt_u32_e32 vcc_lo, 45, v114
	s_or_b32 s8, vcc_lo, s8
	s_waitcnt vmcnt(2) lgkmcnt(0)
	v_mul_f64 v[123:124], v[117:118], v[119:120]
	v_mul_f64 v[119:120], v[115:116], v[119:120]
	s_waitcnt vmcnt(0)
	v_fma_f64 v[115:116], v[115:116], v[121:122], -v[123:124]
	v_fma_f64 v[117:118], v[117:118], v[121:122], v[119:120]
	v_add_f64 v[1:2], v[1:2], v[115:116]
	v_add_f64 v[3:4], v[3:4], v[117:118]
	s_andn2_b32 exec_lo, exec_lo, s8
	s_cbranch_execnz .LBB51_780
; %bb.781:
	s_or_b32 exec_lo, exec_lo, s8
.LBB51_782:
	s_or_b32 exec_lo, exec_lo, s6
	v_mov_b32_e32 v16, 0
	ds_read_b128 v[113:116], v16 offset:752
	s_waitcnt lgkmcnt(0)
	v_mul_f64 v[117:118], v[3:4], v[115:116]
	v_mul_f64 v[115:116], v[1:2], v[115:116]
	v_fma_f64 v[1:2], v[1:2], v[113:114], -v[117:118]
	v_fma_f64 v[3:4], v[3:4], v[113:114], v[115:116]
	buffer_store_dword v2, off, s[0:3], 0 offset:756
	buffer_store_dword v1, off, s[0:3], 0 offset:752
	;; [unrolled: 1-line block ×4, first 2 shown]
.LBB51_783:
	s_or_b32 exec_lo, exec_lo, s4
	v_mov_b32_e32 v4, s11
	s_mov_b32 s4, exec_lo
	s_clause 0x3
	buffer_load_dword v1, v4, s[0:3], 0 offen
	buffer_load_dword v2, v4, s[0:3], 0 offen offset:4
	buffer_load_dword v3, v4, s[0:3], 0 offen offset:8
	;; [unrolled: 1-line block ×3, first 2 shown]
	s_waitcnt vmcnt(0)
	ds_write_b128 v14, v[1:4]
	s_waitcnt lgkmcnt(0)
	s_waitcnt_vscnt null, 0x0
	s_barrier
	buffer_gl0_inv
	v_cmpx_gt_u32_e32 48, v0
	s_cbranch_execz .LBB51_791
; %bb.784:
	ds_read_b128 v[1:4], v14
	v_cmp_ne_u32_e32 vcc_lo, 1, v15
	s_cbranch_vccnz .LBB51_786
; %bb.785:
	s_clause 0x3
	buffer_load_dword v113, v13, s[0:3], 0 offen offset:8
	buffer_load_dword v114, v13, s[0:3], 0 offen offset:12
	buffer_load_dword v115, v13, s[0:3], 0 offen
	buffer_load_dword v116, v13, s[0:3], 0 offen offset:4
	s_waitcnt vmcnt(2) lgkmcnt(0)
	v_mul_f64 v[117:118], v[3:4], v[113:114]
	v_mul_f64 v[113:114], v[1:2], v[113:114]
	s_waitcnt vmcnt(0)
	v_fma_f64 v[1:2], v[1:2], v[115:116], -v[117:118]
	v_fma_f64 v[3:4], v[3:4], v[115:116], v[113:114]
.LBB51_786:
	s_mov_b32 s6, exec_lo
	v_cmpx_ne_u32_e32 47, v0
	s_cbranch_execz .LBB51_790
; %bb.787:
	v_add_nc_u32_e32 v16, 0x350, v147
	v_add3_u32 v113, 0, v147, 16
	v_mov_b32_e32 v114, v0
	s_mov_b32 s8, 0
	.p2align	6
.LBB51_788:                             ; =>This Inner Loop Header: Depth=1
	s_clause 0x3
	buffer_load_dword v119, v113, s[0:3], 0 offen offset:8
	buffer_load_dword v120, v113, s[0:3], 0 offen offset:12
	buffer_load_dword v121, v113, s[0:3], 0 offen
	buffer_load_dword v122, v113, s[0:3], 0 offen offset:4
	ds_read_b128 v[115:118], v16
	v_add_nc_u32_e32 v114, 1, v114
	v_add_nc_u32_e32 v16, 16, v16
	v_add_nc_u32_e32 v113, 16, v113
	v_cmp_lt_u32_e32 vcc_lo, 46, v114
	s_or_b32 s8, vcc_lo, s8
	s_waitcnt vmcnt(2) lgkmcnt(0)
	v_mul_f64 v[123:124], v[117:118], v[119:120]
	v_mul_f64 v[119:120], v[115:116], v[119:120]
	s_waitcnt vmcnt(0)
	v_fma_f64 v[115:116], v[115:116], v[121:122], -v[123:124]
	v_fma_f64 v[117:118], v[117:118], v[121:122], v[119:120]
	v_add_f64 v[1:2], v[1:2], v[115:116]
	v_add_f64 v[3:4], v[3:4], v[117:118]
	s_andn2_b32 exec_lo, exec_lo, s8
	s_cbranch_execnz .LBB51_788
; %bb.789:
	s_or_b32 exec_lo, exec_lo, s8
.LBB51_790:
	s_or_b32 exec_lo, exec_lo, s6
	v_mov_b32_e32 v16, 0
	ds_read_b128 v[113:116], v16 offset:768
	s_waitcnt lgkmcnt(0)
	v_mul_f64 v[117:118], v[3:4], v[115:116]
	v_mul_f64 v[115:116], v[1:2], v[115:116]
	v_fma_f64 v[1:2], v[1:2], v[113:114], -v[117:118]
	v_fma_f64 v[3:4], v[3:4], v[113:114], v[115:116]
	buffer_store_dword v2, off, s[0:3], 0 offset:772
	buffer_store_dword v1, off, s[0:3], 0 offset:768
	;; [unrolled: 1-line block ×4, first 2 shown]
.LBB51_791:
	s_or_b32 exec_lo, exec_lo, s4
	v_mov_b32_e32 v4, s10
	s_mov_b32 s4, exec_lo
	s_clause 0x3
	buffer_load_dword v1, v4, s[0:3], 0 offen
	buffer_load_dword v2, v4, s[0:3], 0 offen offset:4
	buffer_load_dword v3, v4, s[0:3], 0 offen offset:8
	;; [unrolled: 1-line block ×3, first 2 shown]
	s_waitcnt vmcnt(0)
	ds_write_b128 v14, v[1:4]
	s_waitcnt lgkmcnt(0)
	s_waitcnt_vscnt null, 0x0
	s_barrier
	buffer_gl0_inv
	v_cmpx_gt_u32_e32 49, v0
	s_cbranch_execz .LBB51_799
; %bb.792:
	ds_read_b128 v[1:4], v14
	v_cmp_ne_u32_e32 vcc_lo, 1, v15
	s_cbranch_vccnz .LBB51_794
; %bb.793:
	s_clause 0x3
	buffer_load_dword v113, v13, s[0:3], 0 offen offset:8
	buffer_load_dword v114, v13, s[0:3], 0 offen offset:12
	buffer_load_dword v115, v13, s[0:3], 0 offen
	buffer_load_dword v116, v13, s[0:3], 0 offen offset:4
	s_waitcnt vmcnt(2) lgkmcnt(0)
	v_mul_f64 v[117:118], v[3:4], v[113:114]
	v_mul_f64 v[113:114], v[1:2], v[113:114]
	s_waitcnt vmcnt(0)
	v_fma_f64 v[1:2], v[1:2], v[115:116], -v[117:118]
	v_fma_f64 v[3:4], v[3:4], v[115:116], v[113:114]
.LBB51_794:
	s_mov_b32 s6, exec_lo
	v_cmpx_ne_u32_e32 48, v0
	s_cbranch_execz .LBB51_798
; %bb.795:
	v_add_nc_u32_e32 v16, 0x350, v147
	v_add3_u32 v113, 0, v147, 16
	v_mov_b32_e32 v114, v0
	s_mov_b32 s8, 0
	.p2align	6
.LBB51_796:                             ; =>This Inner Loop Header: Depth=1
	s_clause 0x3
	buffer_load_dword v119, v113, s[0:3], 0 offen offset:8
	buffer_load_dword v120, v113, s[0:3], 0 offen offset:12
	buffer_load_dword v121, v113, s[0:3], 0 offen
	buffer_load_dword v122, v113, s[0:3], 0 offen offset:4
	ds_read_b128 v[115:118], v16
	v_add_nc_u32_e32 v114, 1, v114
	v_add_nc_u32_e32 v16, 16, v16
	;; [unrolled: 1-line block ×3, first 2 shown]
	v_cmp_lt_u32_e32 vcc_lo, 47, v114
	s_or_b32 s8, vcc_lo, s8
	s_waitcnt vmcnt(2) lgkmcnt(0)
	v_mul_f64 v[123:124], v[117:118], v[119:120]
	v_mul_f64 v[119:120], v[115:116], v[119:120]
	s_waitcnt vmcnt(0)
	v_fma_f64 v[115:116], v[115:116], v[121:122], -v[123:124]
	v_fma_f64 v[117:118], v[117:118], v[121:122], v[119:120]
	v_add_f64 v[1:2], v[1:2], v[115:116]
	v_add_f64 v[3:4], v[3:4], v[117:118]
	s_andn2_b32 exec_lo, exec_lo, s8
	s_cbranch_execnz .LBB51_796
; %bb.797:
	s_or_b32 exec_lo, exec_lo, s8
.LBB51_798:
	s_or_b32 exec_lo, exec_lo, s6
	v_mov_b32_e32 v16, 0
	ds_read_b128 v[113:116], v16 offset:784
	s_waitcnt lgkmcnt(0)
	v_mul_f64 v[117:118], v[3:4], v[115:116]
	v_mul_f64 v[115:116], v[1:2], v[115:116]
	v_fma_f64 v[1:2], v[1:2], v[113:114], -v[117:118]
	v_fma_f64 v[3:4], v[3:4], v[113:114], v[115:116]
	buffer_store_dword v2, off, s[0:3], 0 offset:788
	buffer_store_dword v1, off, s[0:3], 0 offset:784
	;; [unrolled: 1-line block ×4, first 2 shown]
.LBB51_799:
	s_or_b32 exec_lo, exec_lo, s4
	v_mov_b32_e32 v4, s9
	v_cmp_gt_u32_e64 s4, 50, v0
	s_clause 0x3
	buffer_load_dword v1, v4, s[0:3], 0 offen
	buffer_load_dword v2, v4, s[0:3], 0 offen offset:4
	buffer_load_dword v3, v4, s[0:3], 0 offen offset:8
	;; [unrolled: 1-line block ×3, first 2 shown]
	s_waitcnt vmcnt(0)
	ds_write_b128 v14, v[1:4]
	s_waitcnt lgkmcnt(0)
	s_waitcnt_vscnt null, 0x0
	s_barrier
	buffer_gl0_inv
	s_and_saveexec_b32 s6, s4
	s_cbranch_execz .LBB51_807
; %bb.800:
	ds_read_b128 v[1:4], v14
	v_cmp_ne_u32_e32 vcc_lo, 1, v15
	s_cbranch_vccnz .LBB51_802
; %bb.801:
	s_clause 0x3
	buffer_load_dword v113, v13, s[0:3], 0 offen offset:8
	buffer_load_dword v114, v13, s[0:3], 0 offen offset:12
	buffer_load_dword v115, v13, s[0:3], 0 offen
	buffer_load_dword v116, v13, s[0:3], 0 offen offset:4
	s_waitcnt vmcnt(2) lgkmcnt(0)
	v_mul_f64 v[117:118], v[3:4], v[113:114]
	v_mul_f64 v[113:114], v[1:2], v[113:114]
	s_waitcnt vmcnt(0)
	v_fma_f64 v[1:2], v[1:2], v[115:116], -v[117:118]
	v_fma_f64 v[3:4], v[3:4], v[115:116], v[113:114]
.LBB51_802:
	s_mov_b32 s8, exec_lo
	v_cmpx_ne_u32_e32 49, v0
	s_cbranch_execz .LBB51_806
; %bb.803:
	v_add_nc_u32_e32 v16, 0x350, v147
	v_add3_u32 v113, 0, v147, 16
	v_mov_b32_e32 v114, v0
	s_mov_b32 s60, 0
	.p2align	6
.LBB51_804:                             ; =>This Inner Loop Header: Depth=1
	s_clause 0x3
	buffer_load_dword v119, v113, s[0:3], 0 offen offset:8
	buffer_load_dword v120, v113, s[0:3], 0 offen offset:12
	buffer_load_dword v121, v113, s[0:3], 0 offen
	buffer_load_dword v122, v113, s[0:3], 0 offen offset:4
	ds_read_b128 v[115:118], v16
	v_add_nc_u32_e32 v114, 1, v114
	v_add_nc_u32_e32 v16, 16, v16
	;; [unrolled: 1-line block ×3, first 2 shown]
	v_cmp_lt_u32_e32 vcc_lo, 48, v114
	s_or_b32 s60, vcc_lo, s60
	s_waitcnt vmcnt(2) lgkmcnt(0)
	v_mul_f64 v[123:124], v[117:118], v[119:120]
	v_mul_f64 v[119:120], v[115:116], v[119:120]
	s_waitcnt vmcnt(0)
	v_fma_f64 v[115:116], v[115:116], v[121:122], -v[123:124]
	v_fma_f64 v[117:118], v[117:118], v[121:122], v[119:120]
	v_add_f64 v[1:2], v[1:2], v[115:116]
	v_add_f64 v[3:4], v[3:4], v[117:118]
	s_andn2_b32 exec_lo, exec_lo, s60
	s_cbranch_execnz .LBB51_804
; %bb.805:
	s_or_b32 exec_lo, exec_lo, s60
.LBB51_806:
	s_or_b32 exec_lo, exec_lo, s8
	v_mov_b32_e32 v16, 0
	ds_read_b128 v[113:116], v16 offset:800
	s_waitcnt lgkmcnt(0)
	v_mul_f64 v[117:118], v[3:4], v[115:116]
	v_mul_f64 v[115:116], v[1:2], v[115:116]
	v_fma_f64 v[1:2], v[1:2], v[113:114], -v[117:118]
	v_fma_f64 v[3:4], v[3:4], v[113:114], v[115:116]
	buffer_store_dword v2, off, s[0:3], 0 offset:804
	buffer_store_dword v1, off, s[0:3], 0 offset:800
	;; [unrolled: 1-line block ×4, first 2 shown]
.LBB51_807:
	s_or_b32 exec_lo, exec_lo, s6
	v_mov_b32_e32 v4, s7
	s_mov_b32 s6, exec_lo
                                        ; implicit-def: $sgpr61
	s_clause 0x3
	buffer_load_dword v1, v4, s[0:3], 0 offen
	buffer_load_dword v2, v4, s[0:3], 0 offen offset:4
	buffer_load_dword v3, v4, s[0:3], 0 offen offset:8
	;; [unrolled: 1-line block ×3, first 2 shown]
	s_waitcnt vmcnt(0)
	ds_write_b128 v14, v[1:4]
	s_waitcnt lgkmcnt(0)
	s_waitcnt_vscnt null, 0x0
	s_barrier
	buffer_gl0_inv
                                        ; implicit-def: $vgpr1_vgpr2
	v_cmpx_ne_u32_e32 51, v0
	s_cbranch_execz .LBB51_815
; %bb.808:
	ds_read_b128 v[1:4], v14
	v_cmp_ne_u32_e32 vcc_lo, 1, v15
	s_cbranch_vccnz .LBB51_810
; %bb.809:
	s_clause 0x3
	buffer_load_dword v14, v13, s[0:3], 0 offen offset:8
	buffer_load_dword v15, v13, s[0:3], 0 offen offset:12
	buffer_load_dword v113, v13, s[0:3], 0 offen
	buffer_load_dword v114, v13, s[0:3], 0 offen offset:4
	s_waitcnt vmcnt(2) lgkmcnt(0)
	v_mul_f64 v[115:116], v[3:4], v[14:15]
	v_mul_f64 v[13:14], v[1:2], v[14:15]
	s_waitcnt vmcnt(0)
	v_fma_f64 v[1:2], v[1:2], v[113:114], -v[115:116]
	v_fma_f64 v[3:4], v[3:4], v[113:114], v[13:14]
.LBB51_810:
	s_and_saveexec_b32 s8, s4
	s_cbranch_execz .LBB51_814
; %bb.811:
	v_add_nc_u32_e32 v13, 0x350, v147
	v_add3_u32 v14, 0, v147, 16
	s_mov_b32 s4, 0
	.p2align	6
.LBB51_812:                             ; =>This Inner Loop Header: Depth=1
	s_clause 0x3
	buffer_load_dword v15, v14, s[0:3], 0 offen offset:8
	buffer_load_dword v16, v14, s[0:3], 0 offen offset:12
	buffer_load_dword v117, v14, s[0:3], 0 offen
	buffer_load_dword v118, v14, s[0:3], 0 offen offset:4
	ds_read_b128 v[113:116], v13
	v_add_nc_u32_e32 v0, 1, v0
	v_add_nc_u32_e32 v13, 16, v13
	;; [unrolled: 1-line block ×3, first 2 shown]
	v_cmp_lt_u32_e32 vcc_lo, 49, v0
	s_or_b32 s4, vcc_lo, s4
	s_waitcnt vmcnt(2) lgkmcnt(0)
	v_mul_f64 v[119:120], v[115:116], v[15:16]
	v_mul_f64 v[15:16], v[113:114], v[15:16]
	s_waitcnt vmcnt(0)
	v_fma_f64 v[113:114], v[113:114], v[117:118], -v[119:120]
	v_fma_f64 v[15:16], v[115:116], v[117:118], v[15:16]
	v_add_f64 v[1:2], v[1:2], v[113:114]
	v_add_f64 v[3:4], v[3:4], v[15:16]
	s_andn2_b32 exec_lo, exec_lo, s4
	s_cbranch_execnz .LBB51_812
; %bb.813:
	s_or_b32 exec_lo, exec_lo, s4
.LBB51_814:
	s_or_b32 exec_lo, exec_lo, s8
	v_mov_b32_e32 v0, 0
	s_movk_i32 s61, 0x338
	s_or_b32 s5, s5, exec_lo
	ds_read_b128 v[13:16], v0 offset:816
	s_waitcnt lgkmcnt(0)
	v_mul_f64 v[113:114], v[3:4], v[15:16]
	v_mul_f64 v[15:16], v[1:2], v[15:16]
	v_fma_f64 v[113:114], v[1:2], v[13:14], -v[113:114]
	v_fma_f64 v[1:2], v[3:4], v[13:14], v[15:16]
	buffer_store_dword v114, off, s[0:3], 0 offset:820
	buffer_store_dword v113, off, s[0:3], 0 offset:816
.LBB51_815:
	s_or_b32 exec_lo, exec_lo, s6
.LBB51_816:
	s_and_saveexec_b32 s4, s5
	s_cbranch_execz .LBB51_818
; %bb.817:
	v_mov_b32_e32 v0, s61
	buffer_store_dword v2, v0, s[0:3], 0 offen offset:4
	buffer_store_dword v1, v0, s[0:3], 0 offen
.LBB51_818:
	s_or_b32 exec_lo, exec_lo, s4
	v_mov_b32_e32 v3, s59
	v_mov_b32_e32 v16, s57
	v_mov_b32_e32 v116, s56
	v_mov_b32_e32 v4, s58
	v_mov_b32_e32 v133, s19
	s_clause 0x13
	buffer_load_dword v0, v3, s[0:3], 0 offen
	buffer_load_dword v1, v3, s[0:3], 0 offen offset:4
	buffer_load_dword v2, v3, s[0:3], 0 offen offset:8
	buffer_load_dword v3, v3, s[0:3], 0 offen offset:12
	buffer_load_dword v13, v16, s[0:3], 0 offen
	buffer_load_dword v14, v16, s[0:3], 0 offen offset:4
	buffer_load_dword v15, v16, s[0:3], 0 offen offset:8
	buffer_load_dword v16, v16, s[0:3], 0 offen offset:12
	;; [unrolled: 4-line block ×4, first 2 shown]
	buffer_load_dword v121, off, s[0:3], 0
	buffer_load_dword v122, off, s[0:3], 0 offset:4
	buffer_load_dword v123, off, s[0:3], 0 offset:8
	;; [unrolled: 1-line block ×3, first 2 shown]
	v_mov_b32_e32 v4, s55
	v_mov_b32_e32 v135, s17
	;; [unrolled: 1-line block ×8, first 2 shown]
	s_waitcnt vmcnt(0)
	global_store_dwordx4 v[19:20], v[121:124], off
	s_clause 0x3
	buffer_load_dword v121, v4, s[0:3], 0 offen
	buffer_load_dword v122, v4, s[0:3], 0 offen offset:4
	buffer_load_dword v123, v4, s[0:3], 0 offen offset:8
	;; [unrolled: 1-line block ×3, first 2 shown]
	v_mov_b32_e32 v4, s54
	global_store_dwordx4 v[17:18], v[117:120], off
	s_clause 0x3
	buffer_load_dword v17, v4, s[0:3], 0 offen
	buffer_load_dword v18, v4, s[0:3], 0 offen offset:4
	buffer_load_dword v19, v4, s[0:3], 0 offen offset:8
	;; [unrolled: 1-line block ×3, first 2 shown]
	v_mov_b32_e32 v4, s53
	s_clause 0x3
	buffer_load_dword v117, v4, s[0:3], 0 offen
	buffer_load_dword v118, v4, s[0:3], 0 offen offset:4
	buffer_load_dword v119, v4, s[0:3], 0 offen offset:8
	;; [unrolled: 1-line block ×3, first 2 shown]
	global_store_dwordx4 v[21:22], v[0:3], off
	v_mov_b32_e32 v3, s52
	s_clause 0x3
	buffer_load_dword v0, v3, s[0:3], 0 offen
	buffer_load_dword v1, v3, s[0:3], 0 offen offset:4
	buffer_load_dword v2, v3, s[0:3], 0 offen offset:8
	;; [unrolled: 1-line block ×3, first 2 shown]
	v_mov_b32_e32 v4, s51
	v_mov_b32_e32 v21, s50
	global_store_dwordx4 v[109:110], v[13:16], off
	s_clause 0x7
	buffer_load_dword v13, v4, s[0:3], 0 offen
	buffer_load_dword v14, v4, s[0:3], 0 offen offset:4
	buffer_load_dword v15, v4, s[0:3], 0 offen offset:8
	;; [unrolled: 1-line block ×3, first 2 shown]
	buffer_load_dword v125, v21, s[0:3], 0 offen
	buffer_load_dword v126, v21, s[0:3], 0 offen offset:4
	buffer_load_dword v127, v21, s[0:3], 0 offen offset:8
	;; [unrolled: 1-line block ×3, first 2 shown]
	v_mov_b32_e32 v4, s49
	global_store_dwordx4 v[111:112], v[113:116], off
	s_clause 0x3
	buffer_load_dword v109, v4, s[0:3], 0 offen
	buffer_load_dword v110, v4, s[0:3], 0 offen offset:4
	buffer_load_dword v111, v4, s[0:3], 0 offen offset:8
	;; [unrolled: 1-line block ×3, first 2 shown]
	v_mov_b32_e32 v4, s48
	v_mov_b32_e32 v21, s41
	v_mov_b32_e32 v22, s25
	s_waitcnt vmcnt(24)
	global_store_dwordx4 v[107:108], v[121:124], off
	s_clause 0x3
	buffer_load_dword v113, v4, s[0:3], 0 offen
	buffer_load_dword v114, v4, s[0:3], 0 offen offset:4
	buffer_load_dword v115, v4, s[0:3], 0 offen offset:8
	buffer_load_dword v116, v4, s[0:3], 0 offen offset:12
	v_mov_b32_e32 v4, s47
	s_clause 0x3
	buffer_load_dword v121, v4, s[0:3], 0 offen
	buffer_load_dword v122, v4, s[0:3], 0 offen offset:4
	buffer_load_dword v123, v4, s[0:3], 0 offen offset:8
	buffer_load_dword v124, v4, s[0:3], 0 offen offset:12
	v_mov_b32_e32 v4, s46
	s_waitcnt vmcnt(28)
	global_store_dwordx4 v[105:106], v[17:20], off
	s_clause 0x3
	buffer_load_dword v17, v4, s[0:3], 0 offen
	buffer_load_dword v18, v4, s[0:3], 0 offen offset:4
	buffer_load_dword v19, v4, s[0:3], 0 offen offset:8
	buffer_load_dword v20, v4, s[0:3], 0 offen offset:12
	v_mov_b32_e32 v4, s45
	s_waitcnt vmcnt(28)
	global_store_dwordx4 v[103:104], v[117:120], off
	s_clause 0x3
	buffer_load_dword v103, v4, s[0:3], 0 offen
	buffer_load_dword v104, v4, s[0:3], 0 offen offset:4
	buffer_load_dword v105, v4, s[0:3], 0 offen offset:8
	;; [unrolled: 1-line block ×3, first 2 shown]
	v_mov_b32_e32 v4, s44
	s_clause 0x3
	buffer_load_dword v117, v4, s[0:3], 0 offen
	buffer_load_dword v118, v4, s[0:3], 0 offen offset:4
	buffer_load_dword v119, v4, s[0:3], 0 offen offset:8
	;; [unrolled: 1-line block ×3, first 2 shown]
	s_waitcnt vmcnt(32)
	global_store_dwordx4 v[101:102], v[0:3], off
	v_mov_b32_e32 v3, s43
	s_clause 0x3
	buffer_load_dword v0, v3, s[0:3], 0 offen
	buffer_load_dword v1, v3, s[0:3], 0 offen offset:4
	buffer_load_dword v2, v3, s[0:3], 0 offen offset:8
	;; [unrolled: 1-line block ×3, first 2 shown]
	v_mov_b32_e32 v4, s42
	s_waitcnt vmcnt(32)
	global_store_dwordx4 v[99:100], v[13:16], off
	s_clause 0x3
	buffer_load_dword v13, v4, s[0:3], 0 offen
	buffer_load_dword v14, v4, s[0:3], 0 offen offset:4
	buffer_load_dword v15, v4, s[0:3], 0 offen offset:8
	;; [unrolled: 1-line block ×3, first 2 shown]
	v_mov_b32_e32 v4, s40
	s_waitcnt vmcnt(32)
	global_store_dwordx4 v[97:98], v[125:128], off
	s_clause 0x3
	buffer_load_dword v97, v21, s[0:3], 0 offen
	buffer_load_dword v98, v21, s[0:3], 0 offen offset:4
	buffer_load_dword v99, v21, s[0:3], 0 offen offset:8
	;; [unrolled: 1-line block ×3, first 2 shown]
	v_mov_b32_e32 v21, s39
	s_clause 0x3
	buffer_load_dword v125, v4, s[0:3], 0 offen
	buffer_load_dword v126, v4, s[0:3], 0 offen offset:4
	buffer_load_dword v127, v4, s[0:3], 0 offen offset:8
	buffer_load_dword v128, v4, s[0:3], 0 offen offset:12
	v_mov_b32_e32 v4, s38
	s_waitcnt vmcnt(36)
	global_store_dwordx4 v[93:94], v[109:112], off
	s_clause 0x7
	buffer_load_dword v107, v21, s[0:3], 0 offen
	buffer_load_dword v108, v21, s[0:3], 0 offen offset:4
	buffer_load_dword v109, v21, s[0:3], 0 offen offset:8
	buffer_load_dword v110, v21, s[0:3], 0 offen offset:12
	buffer_load_dword v129, v4, s[0:3], 0 offen
	buffer_load_dword v130, v4, s[0:3], 0 offen offset:4
	buffer_load_dword v131, v4, s[0:3], 0 offen offset:8
	buffer_load_dword v132, v4, s[0:3], 0 offen offset:12
	v_mov_b32_e32 v4, s37
	v_mov_b32_e32 v21, s35
	s_waitcnt vmcnt(40)
	global_store_dwordx4 v[95:96], v[113:116], off
	s_clause 0x3
	buffer_load_dword v93, v4, s[0:3], 0 offen
	buffer_load_dword v94, v4, s[0:3], 0 offen offset:4
	buffer_load_dword v95, v4, s[0:3], 0 offen offset:8
	buffer_load_dword v96, v4, s[0:3], 0 offen offset:12
	v_mov_b32_e32 v4, s36
	s_waitcnt vmcnt(40)
	global_store_dwordx4 v[89:90], v[121:124], off
	s_clause 0x7
	buffer_load_dword v111, v4, s[0:3], 0 offen
	buffer_load_dword v112, v4, s[0:3], 0 offen offset:4
	buffer_load_dword v113, v4, s[0:3], 0 offen offset:8
	buffer_load_dword v114, v4, s[0:3], 0 offen offset:12
	buffer_load_dword v121, v21, s[0:3], 0 offen
	buffer_load_dword v122, v21, s[0:3], 0 offen offset:4
	buffer_load_dword v123, v21, s[0:3], 0 offen offset:8
	buffer_load_dword v124, v21, s[0:3], 0 offen offset:12
	v_mov_b32_e32 v4, s34
	v_mov_b32_e32 v21, s31
	s_waitcnt vmcnt(44)
	global_store_dwordx4 v[91:92], v[17:20], off
	;; [unrolled: 21-line block ×3, first 2 shown]
	s_clause 0x3
	buffer_load_dword v115, v4, s[0:3], 0 offen
	buffer_load_dword v116, v4, s[0:3], 0 offen offset:4
	buffer_load_dword v117, v4, s[0:3], 0 offen offset:8
	;; [unrolled: 1-line block ×3, first 2 shown]
	v_mov_b32_e32 v4, s29
	v_mov_b32_e32 v119, s22
	s_waitcnt vmcnt(48)
	global_store_dwordx4 v[83:84], v[0:3], off
	s_clause 0x3
	buffer_load_dword v0, v4, s[0:3], 0 offen
	buffer_load_dword v1, v4, s[0:3], 0 offen offset:4
	buffer_load_dword v2, v4, s[0:3], 0 offen offset:8
	buffer_load_dword v3, v4, s[0:3], 0 offen offset:12
	v_mov_b32_e32 v4, s28
	s_clause 0x3
	buffer_load_dword v83, v4, s[0:3], 0 offen
	buffer_load_dword v84, v4, s[0:3], 0 offen offset:4
	buffer_load_dword v85, v4, s[0:3], 0 offen offset:8
	;; [unrolled: 1-line block ×3, first 2 shown]
	v_mov_b32_e32 v4, s27
	s_waitcnt vmcnt(52)
	global_store_dwordx4 v[81:82], v[13:16], off
	v_mov_b32_e32 v82, s23
	s_waitcnt vmcnt(48)
	global_store_dwordx4 v[71:72], v[97:100], off
	v_mov_b32_e32 v71, s21
	s_waitcnt vmcnt(44)
	global_store_dwordx4 v[55:56], v[125:128], off
	s_waitcnt vmcnt(40)
	global_store_dwordx4 v[41:42], v[107:110], off
	s_waitcnt vmcnt(36)
	global_store_dwordx4 v[5:6], v[129:132], off
	v_mov_b32_e32 v81, s24
	s_clause 0x7
	buffer_load_dword v13, v4, s[0:3], 0 offen
	buffer_load_dword v14, v4, s[0:3], 0 offen offset:4
	buffer_load_dword v15, v4, s[0:3], 0 offen offset:8
	;; [unrolled: 1-line block ×3, first 2 shown]
	buffer_load_dword v97, v21, s[0:3], 0 offen
	buffer_load_dword v98, v21, s[0:3], 0 offen offset:4
	buffer_load_dword v99, v21, s[0:3], 0 offen offset:8
	;; [unrolled: 1-line block ×3, first 2 shown]
	v_mov_b32_e32 v55, s15
	v_mov_b32_e32 v72, s20
	;; [unrolled: 1-line block ×5, first 2 shown]
	s_waitcnt vmcnt(40)
	global_store_dwordx4 v[7:8], v[93:96], off
	s_clause 0x7
	buffer_load_dword v4, v22, s[0:3], 0 offen
	buffer_load_dword v5, v22, s[0:3], 0 offen offset:4
	buffer_load_dword v6, v22, s[0:3], 0 offen offset:8
	buffer_load_dword v7, v22, s[0:3], 0 offen offset:12
	buffer_load_dword v91, v81, s[0:3], 0 offen
	buffer_load_dword v92, v81, s[0:3], 0 offen offset:4
	buffer_load_dword v93, v81, s[0:3], 0 offen offset:8
	buffer_load_dword v94, v81, s[0:3], 0 offen offset:12
	s_waitcnt vmcnt(44)
	global_store_dwordx4 v[33:34], v[111:114], off
	s_clause 0x7
	buffer_load_dword v105, v82, s[0:3], 0 offen
	buffer_load_dword v106, v82, s[0:3], 0 offen offset:4
	buffer_load_dword v107, v82, s[0:3], 0 offen offset:8
	buffer_load_dword v108, v82, s[0:3], 0 offen offset:12
	buffer_load_dword v109, v119, s[0:3], 0 offen
	buffer_load_dword v110, v119, s[0:3], 0 offen offset:4
	buffer_load_dword v111, v119, s[0:3], 0 offen offset:8
	buffer_load_dword v112, v119, s[0:3], 0 offen offset:12
	s_waitcnt vmcnt(48)
	global_store_dwordx4 v[9:10], v[121:124], off
	s_clause 0x7
	buffer_load_dword v119, v71, s[0:3], 0 offen
	buffer_load_dword v120, v71, s[0:3], 0 offen offset:4
	buffer_load_dword v121, v71, s[0:3], 0 offen offset:8
	buffer_load_dword v122, v71, s[0:3], 0 offen offset:12
	buffer_load_dword v123, v72, s[0:3], 0 offen
	buffer_load_dword v124, v72, s[0:3], 0 offen offset:4
	buffer_load_dword v125, v72, s[0:3], 0 offen offset:8
	buffer_load_dword v126, v72, s[0:3], 0 offen offset:12
	s_waitcnt vmcnt(52)
	global_store_dwordx4 v[11:12], v[17:20], off
	s_clause 0x7
	buffer_load_dword v8, v133, s[0:3], 0 offen
	buffer_load_dword v9, v133, s[0:3], 0 offen offset:4
	buffer_load_dword v10, v133, s[0:3], 0 offen offset:8
	buffer_load_dword v11, v133, s[0:3], 0 offen offset:12
	buffer_load_dword v17, v134, s[0:3], 0 offen
	buffer_load_dword v18, v134, s[0:3], 0 offen offset:4
	buffer_load_dword v19, v134, s[0:3], 0 offen offset:8
	buffer_load_dword v20, v134, s[0:3], 0 offen offset:12
	s_waitcnt vmcnt(56)
	global_store_dwordx4 v[35:36], v[87:90], off
	s_clause 0x7
	buffer_load_dword v33, v135, s[0:3], 0 offen
	buffer_load_dword v34, v135, s[0:3], 0 offen offset:4
	buffer_load_dword v35, v135, s[0:3], 0 offen offset:8
	buffer_load_dword v36, v135, s[0:3], 0 offen offset:12
	buffer_load_dword v87, v136, s[0:3], 0 offen
	buffer_load_dword v88, v136, s[0:3], 0 offen offset:4
	buffer_load_dword v89, v136, s[0:3], 0 offen offset:8
	buffer_load_dword v90, v136, s[0:3], 0 offen offset:12
	s_waitcnt vmcnt(60)
	global_store_dwordx4 v[25:26], v[101:104], off
	s_clause 0x7
	buffer_load_dword v101, v55, s[0:3], 0 offen
	buffer_load_dword v102, v55, s[0:3], 0 offen offset:4
	buffer_load_dword v103, v55, s[0:3], 0 offen offset:8
	buffer_load_dword v104, v55, s[0:3], 0 offen offset:12
	buffer_load_dword v127, v56, s[0:3], 0 offen
	buffer_load_dword v128, v56, s[0:3], 0 offen offset:4
	buffer_load_dword v129, v56, s[0:3], 0 offen offset:8
	buffer_load_dword v130, v56, s[0:3], 0 offen offset:12
	s_waitcnt vmcnt(62)
	global_store_dwordx4 v[27:28], v[115:118], off
	s_clause 0x7
	buffer_load_dword v25, v137, s[0:3], 0 offen
	buffer_load_dword v26, v137, s[0:3], 0 offen offset:4
	buffer_load_dword v27, v137, s[0:3], 0 offen offset:8
	buffer_load_dword v28, v137, s[0:3], 0 offen offset:12
	buffer_load_dword v113, v138, s[0:3], 0 offen
	buffer_load_dword v114, v138, s[0:3], 0 offen offset:4
	buffer_load_dword v115, v138, s[0:3], 0 offen offset:8
	buffer_load_dword v116, v138, s[0:3], 0 offen offset:12
	s_waitcnt vmcnt(62)
	global_store_dwordx4 v[37:38], v[0:3], off
	s_clause 0x7
	buffer_load_dword v0, v139, s[0:3], 0 offen
	buffer_load_dword v1, v139, s[0:3], 0 offen offset:4
	buffer_load_dword v2, v139, s[0:3], 0 offen offset:8
	buffer_load_dword v3, v139, s[0:3], 0 offen offset:12
	buffer_load_dword v131, v140, s[0:3], 0 offen
	buffer_load_dword v132, v140, s[0:3], 0 offen offset:4
	buffer_load_dword v133, v140, s[0:3], 0 offen offset:8
	buffer_load_dword v134, v140, s[0:3], 0 offen offset:12
	global_store_dwordx4 v[29:30], v[83:86], off
	s_clause 0x7
	buffer_load_dword v81, v41, s[0:3], 0 offen
	buffer_load_dword v82, v41, s[0:3], 0 offen offset:4
	buffer_load_dword v83, v41, s[0:3], 0 offen offset:8
	;; [unrolled: 1-line block ×3, first 2 shown]
	buffer_load_dword v135, v42, s[0:3], 0 offen
	buffer_load_dword v136, v42, s[0:3], 0 offen offset:4
	buffer_load_dword v137, v42, s[0:3], 0 offen offset:8
	;; [unrolled: 1-line block ×3, first 2 shown]
	s_waitcnt vmcnt(62)
	global_store_dwordx4 v[31:32], v[13:16], off
	global_store_dwordx4 v[39:40], v[97:100], off
	;; [unrolled: 1-line block ×4, first 2 shown]
	s_waitcnt vmcnt(60)
	global_store_dwordx4 v[47:48], v[105:108], off
	s_waitcnt vmcnt(56)
	global_store_dwordx4 v[49:50], v[109:112], off
	;; [unrolled: 2-line block ×16, first 2 shown]
.LBB51_819:
	s_endpgm
	.section	.rodata,"a",@progbits
	.p2align	6, 0x0
	.amdhsa_kernel _ZN9rocsolver6v33100L18trti2_kernel_smallILi52E19rocblas_complex_numIdEPS3_EEv13rocblas_fill_17rocblas_diagonal_T1_iil
		.amdhsa_group_segment_fixed_size 1664
		.amdhsa_private_segment_fixed_size 848
		.amdhsa_kernarg_size 32
		.amdhsa_user_sgpr_count 6
		.amdhsa_user_sgpr_private_segment_buffer 1
		.amdhsa_user_sgpr_dispatch_ptr 0
		.amdhsa_user_sgpr_queue_ptr 0
		.amdhsa_user_sgpr_kernarg_segment_ptr 1
		.amdhsa_user_sgpr_dispatch_id 0
		.amdhsa_user_sgpr_flat_scratch_init 0
		.amdhsa_user_sgpr_private_segment_size 0
		.amdhsa_wavefront_size32 1
		.amdhsa_uses_dynamic_stack 0
		.amdhsa_system_sgpr_private_segment_wavefront_offset 1
		.amdhsa_system_sgpr_workgroup_id_x 1
		.amdhsa_system_sgpr_workgroup_id_y 0
		.amdhsa_system_sgpr_workgroup_id_z 0
		.amdhsa_system_sgpr_workgroup_info 0
		.amdhsa_system_vgpr_workitem_id 0
		.amdhsa_next_free_vgpr 154
		.amdhsa_next_free_sgpr 83
		.amdhsa_reserve_vcc 1
		.amdhsa_reserve_flat_scratch 0
		.amdhsa_float_round_mode_32 0
		.amdhsa_float_round_mode_16_64 0
		.amdhsa_float_denorm_mode_32 3
		.amdhsa_float_denorm_mode_16_64 3
		.amdhsa_dx10_clamp 1
		.amdhsa_ieee_mode 1
		.amdhsa_fp16_overflow 0
		.amdhsa_workgroup_processor_mode 1
		.amdhsa_memory_ordered 1
		.amdhsa_forward_progress 1
		.amdhsa_shared_vgpr_count 0
		.amdhsa_exception_fp_ieee_invalid_op 0
		.amdhsa_exception_fp_denorm_src 0
		.amdhsa_exception_fp_ieee_div_zero 0
		.amdhsa_exception_fp_ieee_overflow 0
		.amdhsa_exception_fp_ieee_underflow 0
		.amdhsa_exception_fp_ieee_inexact 0
		.amdhsa_exception_int_div_zero 0
	.end_amdhsa_kernel
	.section	.text._ZN9rocsolver6v33100L18trti2_kernel_smallILi52E19rocblas_complex_numIdEPS3_EEv13rocblas_fill_17rocblas_diagonal_T1_iil,"axG",@progbits,_ZN9rocsolver6v33100L18trti2_kernel_smallILi52E19rocblas_complex_numIdEPS3_EEv13rocblas_fill_17rocblas_diagonal_T1_iil,comdat
.Lfunc_end51:
	.size	_ZN9rocsolver6v33100L18trti2_kernel_smallILi52E19rocblas_complex_numIdEPS3_EEv13rocblas_fill_17rocblas_diagonal_T1_iil, .Lfunc_end51-_ZN9rocsolver6v33100L18trti2_kernel_smallILi52E19rocblas_complex_numIdEPS3_EEv13rocblas_fill_17rocblas_diagonal_T1_iil
                                        ; -- End function
	.set _ZN9rocsolver6v33100L18trti2_kernel_smallILi52E19rocblas_complex_numIdEPS3_EEv13rocblas_fill_17rocblas_diagonal_T1_iil.num_vgpr, 154
	.set _ZN9rocsolver6v33100L18trti2_kernel_smallILi52E19rocblas_complex_numIdEPS3_EEv13rocblas_fill_17rocblas_diagonal_T1_iil.num_agpr, 0
	.set _ZN9rocsolver6v33100L18trti2_kernel_smallILi52E19rocblas_complex_numIdEPS3_EEv13rocblas_fill_17rocblas_diagonal_T1_iil.numbered_sgpr, 83
	.set _ZN9rocsolver6v33100L18trti2_kernel_smallILi52E19rocblas_complex_numIdEPS3_EEv13rocblas_fill_17rocblas_diagonal_T1_iil.num_named_barrier, 0
	.set _ZN9rocsolver6v33100L18trti2_kernel_smallILi52E19rocblas_complex_numIdEPS3_EEv13rocblas_fill_17rocblas_diagonal_T1_iil.private_seg_size, 848
	.set _ZN9rocsolver6v33100L18trti2_kernel_smallILi52E19rocblas_complex_numIdEPS3_EEv13rocblas_fill_17rocblas_diagonal_T1_iil.uses_vcc, 1
	.set _ZN9rocsolver6v33100L18trti2_kernel_smallILi52E19rocblas_complex_numIdEPS3_EEv13rocblas_fill_17rocblas_diagonal_T1_iil.uses_flat_scratch, 0
	.set _ZN9rocsolver6v33100L18trti2_kernel_smallILi52E19rocblas_complex_numIdEPS3_EEv13rocblas_fill_17rocblas_diagonal_T1_iil.has_dyn_sized_stack, 0
	.set _ZN9rocsolver6v33100L18trti2_kernel_smallILi52E19rocblas_complex_numIdEPS3_EEv13rocblas_fill_17rocblas_diagonal_T1_iil.has_recursion, 0
	.set _ZN9rocsolver6v33100L18trti2_kernel_smallILi52E19rocblas_complex_numIdEPS3_EEv13rocblas_fill_17rocblas_diagonal_T1_iil.has_indirect_call, 0
	.section	.AMDGPU.csdata,"",@progbits
; Kernel info:
; codeLenInByte = 52892
; TotalNumSgprs: 85
; NumVgprs: 154
; ScratchSize: 848
; MemoryBound: 0
; FloatMode: 240
; IeeeMode: 1
; LDSByteSize: 1664 bytes/workgroup (compile time only)
; SGPRBlocks: 0
; VGPRBlocks: 19
; NumSGPRsForWavesPerEU: 85
; NumVGPRsForWavesPerEU: 154
; Occupancy: 6
; WaveLimiterHint : 0
; COMPUTE_PGM_RSRC2:SCRATCH_EN: 1
; COMPUTE_PGM_RSRC2:USER_SGPR: 6
; COMPUTE_PGM_RSRC2:TRAP_HANDLER: 0
; COMPUTE_PGM_RSRC2:TGID_X_EN: 1
; COMPUTE_PGM_RSRC2:TGID_Y_EN: 0
; COMPUTE_PGM_RSRC2:TGID_Z_EN: 0
; COMPUTE_PGM_RSRC2:TIDIG_COMP_CNT: 0
	.section	.text._ZN9rocsolver6v33100L18trti2_kernel_smallILi53E19rocblas_complex_numIdEPS3_EEv13rocblas_fill_17rocblas_diagonal_T1_iil,"axG",@progbits,_ZN9rocsolver6v33100L18trti2_kernel_smallILi53E19rocblas_complex_numIdEPS3_EEv13rocblas_fill_17rocblas_diagonal_T1_iil,comdat
	.globl	_ZN9rocsolver6v33100L18trti2_kernel_smallILi53E19rocblas_complex_numIdEPS3_EEv13rocblas_fill_17rocblas_diagonal_T1_iil ; -- Begin function _ZN9rocsolver6v33100L18trti2_kernel_smallILi53E19rocblas_complex_numIdEPS3_EEv13rocblas_fill_17rocblas_diagonal_T1_iil
	.p2align	8
	.type	_ZN9rocsolver6v33100L18trti2_kernel_smallILi53E19rocblas_complex_numIdEPS3_EEv13rocblas_fill_17rocblas_diagonal_T1_iil,@function
_ZN9rocsolver6v33100L18trti2_kernel_smallILi53E19rocblas_complex_numIdEPS3_EEv13rocblas_fill_17rocblas_diagonal_T1_iil: ; @_ZN9rocsolver6v33100L18trti2_kernel_smallILi53E19rocblas_complex_numIdEPS3_EEv13rocblas_fill_17rocblas_diagonal_T1_iil
; %bb.0:
	s_add_u32 s0, s0, s7
	s_addc_u32 s1, s1, 0
	s_mov_b32 s7, exec_lo
	v_cmpx_gt_u32_e32 53, v0
	s_cbranch_execz .LBB52_835
; %bb.1:
	s_load_dwordx8 s[8:15], s[4:5], 0x0
	s_ashr_i32 s7, s6, 31
	v_lshlrev_b32_e32 v133, 4, v0
	s_movk_i32 s16, 0xf0
	s_movk_i32 s17, 0x100
	;; [unrolled: 1-line block ×17, first 2 shown]
	s_waitcnt lgkmcnt(0)
	v_add3_u32 v1, s13, s13, v0
	s_ashr_i32 s5, s12, 31
	s_mov_b32 s4, s12
	s_mul_hi_u32 s12, s14, s6
	s_mul_i32 s7, s14, s7
	s_mul_i32 s15, s15, s6
	s_add_i32 s7, s12, s7
	v_add_nc_u32_e32 v5, s13, v1
	s_mul_i32 s6, s14, s6
	s_add_i32 s7, s7, s15
	v_ashrrev_i32_e32 v2, 31, v1
	s_lshl_b64 s[6:7], s[6:7], 4
	v_add_nc_u32_e32 v9, s13, v5
	s_add_u32 s6, s10, s6
	s_addc_u32 s7, s11, s7
	s_lshl_b64 s[4:5], s[4:5], 4
	v_ashrrev_i32_e32 v6, 31, v5
	s_add_u32 s4, s6, s4
	s_addc_u32 s5, s7, s5
	v_add_co_u32 v51, s6, s4, v133
	v_ashrrev_i32_e32 v10, 31, v9
	s_mov_b32 s14, s13
	v_lshlrev_b64 v[7:8], 4, v[1:2]
	s_ashr_i32 s15, s13, 31
	v_add_co_ci_u32_e64 v52, null, s5, 0, s6
	s_lshl_b64 s[6:7], s[14:15], 4
	v_lshlrev_b64 v[11:12], 4, v[5:6]
	v_add_nc_u32_e32 v13, s13, v9
	v_add_co_u32 v57, vcc_lo, v51, s6
	v_lshlrev_b64 v[9:10], 4, v[9:10]
	v_add_co_ci_u32_e64 v58, null, s7, v52, vcc_lo
	v_add_co_u32 v53, vcc_lo, s4, v7
	v_add_co_ci_u32_e64 v54, null, s5, v8, vcc_lo
	v_add_co_u32 v47, vcc_lo, s4, v11
	v_add_nc_u32_e32 v21, s13, v13
	v_add_co_ci_u32_e64 v48, null, s5, v12, vcc_lo
	v_add_co_u32 v55, vcc_lo, s4, v9
	v_ashrrev_i32_e32 v14, 31, v13
	s_clause 0x1
	global_load_dwordx4 v[1:4], v133, s[4:5]
	global_load_dwordx4 v[17:20], v[53:54], off
	v_add_co_ci_u32_e64 v56, null, s5, v10, vcc_lo
	global_load_dwordx4 v[5:8], v[57:58], off
	v_add_nc_u32_e32 v33, s13, v21
	v_lshlrev_b64 v[23:24], 4, v[13:14]
	s_clause 0x1
	global_load_dwordx4 v[13:16], v[47:48], off
	global_load_dwordx4 v[9:12], v[55:56], off
	v_ashrrev_i32_e32 v22, 31, v21
	s_cmpk_lg_i32 s9, 0x84
	v_ashrrev_i32_e32 v34, 31, v33
	s_movk_i32 s6, 0x70
	v_add_co_u32 v59, vcc_lo, s4, v23
	v_lshlrev_b64 v[25:26], 4, v[21:22]
	v_lshlrev_b64 v[21:22], 4, v[33:34]
	v_add_nc_u32_e32 v33, s13, v33
	v_add_co_ci_u32_e64 v60, null, s5, v24, vcc_lo
	s_movk_i32 s7, 0x80
	v_add_co_u32 v49, vcc_lo, s4, v25
	v_add_nc_u32_e32 v35, s13, v33
	v_ashrrev_i32_e32 v34, 31, v33
	v_add_co_ci_u32_e64 v50, null, s5, v26, vcc_lo
	v_add_co_u32 v45, vcc_lo, s4, v21
	v_ashrrev_i32_e32 v36, 31, v35
	v_lshlrev_b64 v[33:34], 4, v[33:34]
	v_add_co_ci_u32_e64 v46, null, s5, v22, vcc_lo
	s_clause 0x1
	global_load_dwordx4 v[29:32], v[59:60], off
	global_load_dwordx4 v[25:28], v[49:50], off
	v_lshlrev_b64 v[39:40], 4, v[35:36]
	v_add_nc_u32_e32 v37, s13, v35
	v_add_co_u32 v61, vcc_lo, s4, v33
	global_load_dwordx4 v[21:24], v[45:46], off
	v_add_co_ci_u32_e64 v62, null, s5, v34, vcc_lo
	v_add_co_u32 v69, vcc_lo, s4, v39
	v_ashrrev_i32_e32 v38, 31, v37
	v_add_co_ci_u32_e64 v70, null, s5, v40, vcc_lo
	global_load_dwordx4 v[33:36], v[61:62], off
	v_add_nc_u32_e32 v41, s13, v37
	v_lshlrev_b64 v[63:64], 4, v[37:38]
	global_load_dwordx4 v[37:40], v[69:70], off
	s_movk_i32 s10, 0x90
	s_movk_i32 s11, 0xa0
	v_add_nc_u32_e32 v43, s13, v41
	v_ashrrev_i32_e32 v42, 31, v41
	v_add_co_u32 v73, vcc_lo, s4, v63
	v_add_co_ci_u32_e64 v74, null, s5, v64, vcc_lo
	v_add_nc_u32_e32 v65, s13, v43
	v_ashrrev_i32_e32 v44, 31, v43
	v_lshlrev_b64 v[63:64], 4, v[41:42]
	s_movk_i32 s12, 0xb0
	s_movk_i32 s14, 0xd0
	v_ashrrev_i32_e32 v66, 31, v65
	v_add_nc_u32_e32 v71, s13, v65
	v_lshlrev_b64 v[67:68], 4, v[43:44]
	v_add_co_u32 v77, vcc_lo, s4, v63
	v_add_co_ci_u32_e64 v78, null, s5, v64, vcc_lo
	v_lshlrev_b64 v[63:64], 4, v[65:66]
	v_ashrrev_i32_e32 v72, 31, v71
	v_add_nc_u32_e32 v65, s13, v71
	v_add_co_u32 v79, vcc_lo, s4, v67
	v_add_co_ci_u32_e64 v80, null, s5, v68, vcc_lo
	v_lshlrev_b64 v[67:68], 4, v[71:72]
	v_ashrrev_i32_e32 v66, 31, v65
	v_add_nc_u32_e32 v71, s13, v65
	;; [unrolled: 5-line block ×4, first 2 shown]
	v_add_co_u32 v83, vcc_lo, s4, v63
	v_add_co_ci_u32_e64 v84, null, s5, v64, vcc_lo
	v_lshlrev_b64 v[63:64], 4, v[65:66]
	v_add_nc_u32_e32 v65, s13, v71
	v_ashrrev_i32_e32 v72, 31, v71
	v_add_co_u32 v75, vcc_lo, s4, v67
	v_add_co_ci_u32_e64 v76, null, s5, v68, vcc_lo
	v_add_nc_u32_e32 v87, s13, v65
	v_lshlrev_b64 v[71:72], 4, v[71:72]
	v_add_co_u32 v67, vcc_lo, s4, v63
	v_add_co_ci_u32_e64 v68, null, s5, v64, vcc_lo
	v_ashrrev_i32_e32 v88, 31, v87
	v_add_nc_u32_e32 v89, s13, v87
	v_add_co_u32 v63, vcc_lo, s4, v71
	v_add_co_ci_u32_e64 v64, null, s5, v72, vcc_lo
	v_lshlrev_b64 v[71:72], 4, v[87:88]
	v_add_nc_u32_e32 v87, s13, v89
	v_ashrrev_i32_e32 v66, 31, v65
	v_ashrrev_i32_e32 v90, 31, v89
	global_load_dwordx4 v[41:44], v[73:74], off
	s_movk_i32 s15, 0xe0
	v_add_nc_u32_e32 v91, s13, v87
	v_lshlrev_b64 v[65:66], 4, v[65:66]
	v_ashrrev_i32_e32 v88, 31, v87
	v_lshlrev_b64 v[89:90], 4, v[89:90]
	s_movk_i32 s63, 0x200
	v_add_nc_u32_e32 v95, s13, v91
	v_ashrrev_i32_e32 v92, 31, v91
	v_add_co_u32 v65, vcc_lo, s4, v65
	v_lshlrev_b64 v[93:94], 4, v[87:88]
	v_add_co_ci_u32_e64 v66, null, s5, v66, vcc_lo
	v_add_co_u32 v71, vcc_lo, s4, v71
	v_ashrrev_i32_e32 v96, 31, v95
	v_add_nc_u32_e32 v97, s13, v95
	v_add_co_ci_u32_e64 v72, null, s5, v72, vcc_lo
	v_add_co_u32 v87, vcc_lo, s4, v89
	v_add_co_ci_u32_e64 v88, null, s5, v90, vcc_lo
	v_add_co_u32 v89, vcc_lo, s4, v93
	v_add_co_ci_u32_e64 v90, null, s5, v94, vcc_lo
	v_lshlrev_b64 v[93:94], 4, v[95:96]
	v_add_nc_u32_e32 v95, s13, v97
	v_ashrrev_i32_e32 v98, 31, v97
	v_lshlrev_b64 v[91:92], 4, v[91:92]
	s_movk_i32 s64, 0x210
	s_movk_i32 s65, 0x220
	v_add_nc_u32_e32 v99, s13, v95
	v_ashrrev_i32_e32 v96, 31, v95
	v_lshlrev_b64 v[97:98], 4, v[97:98]
	v_add_co_u32 v91, vcc_lo, s4, v91
	v_add_nc_u32_e32 v103, s13, v99
	v_lshlrev_b64 v[101:102], 4, v[95:96]
	v_add_co_ci_u32_e64 v92, null, s5, v92, vcc_lo
	v_add_co_u32 v93, vcc_lo, s4, v93
	v_ashrrev_i32_e32 v104, 31, v103
	v_add_nc_u32_e32 v105, s13, v103
	v_add_co_ci_u32_e64 v94, null, s5, v94, vcc_lo
	v_add_co_u32 v95, vcc_lo, s4, v97
	v_add_co_ci_u32_e64 v96, null, s5, v98, vcc_lo
	v_add_co_u32 v97, vcc_lo, s4, v101
	v_add_co_ci_u32_e64 v98, null, s5, v102, vcc_lo
	v_lshlrev_b64 v[101:102], 4, v[103:104]
	v_add_nc_u32_e32 v103, s13, v105
	v_ashrrev_i32_e32 v100, 31, v99
	v_ashrrev_i32_e32 v106, 31, v105
	s_movk_i32 s66, 0x230
	s_movk_i32 s67, 0x240
	v_add_nc_u32_e32 v107, s13, v103
	v_lshlrev_b64 v[99:100], 4, v[99:100]
	v_ashrrev_i32_e32 v104, 31, v103
	v_lshlrev_b64 v[105:106], 4, v[105:106]
	s_movk_i32 s68, 0x250
	v_add_nc_u32_e32 v111, s13, v107
	v_ashrrev_i32_e32 v108, 31, v107
	v_add_co_u32 v99, vcc_lo, s4, v99
	v_lshlrev_b64 v[109:110], 4, v[103:104]
	v_add_co_ci_u32_e64 v100, null, s5, v100, vcc_lo
	v_add_co_u32 v101, vcc_lo, s4, v101
	v_ashrrev_i32_e32 v112, 31, v111
	v_add_nc_u32_e32 v113, s13, v111
	v_add_co_ci_u32_e64 v102, null, s5, v102, vcc_lo
	v_add_co_u32 v103, vcc_lo, s4, v105
	v_add_co_ci_u32_e64 v104, null, s5, v106, vcc_lo
	v_add_co_u32 v105, vcc_lo, s4, v109
	v_add_co_ci_u32_e64 v106, null, s5, v110, vcc_lo
	v_lshlrev_b64 v[109:110], 4, v[111:112]
	v_add_nc_u32_e32 v111, s13, v113
	v_ashrrev_i32_e32 v114, 31, v113
	v_lshlrev_b64 v[107:108], 4, v[107:108]
	s_movk_i32 s69, 0x260
	s_movk_i32 s70, 0x270
	v_add_nc_u32_e32 v115, s13, v111
	v_ashrrev_i32_e32 v112, 31, v111
	v_lshlrev_b64 v[113:114], 4, v[113:114]
	v_add_co_u32 v107, vcc_lo, s4, v107
	v_add_nc_u32_e32 v119, s13, v115
	v_lshlrev_b64 v[117:118], 4, v[111:112]
	v_add_co_ci_u32_e64 v108, null, s5, v108, vcc_lo
	v_add_co_u32 v109, vcc_lo, s4, v109
	v_ashrrev_i32_e32 v120, 31, v119
	v_add_nc_u32_e32 v121, s13, v119
	v_add_co_ci_u32_e64 v110, null, s5, v110, vcc_lo
	v_add_co_u32 v111, vcc_lo, s4, v113
	v_add_co_ci_u32_e64 v112, null, s5, v114, vcc_lo
	v_add_co_u32 v113, vcc_lo, s4, v117
	v_add_co_ci_u32_e64 v114, null, s5, v118, vcc_lo
	v_lshlrev_b64 v[117:118], 4, v[119:120]
	v_add_nc_u32_e32 v119, s13, v121
	v_ashrrev_i32_e32 v116, 31, v115
	v_ashrrev_i32_e32 v122, 31, v121
	s_movk_i32 s71, 0x280
	s_movk_i32 s72, 0x290
	v_add_nc_u32_e32 v123, s13, v119
	v_lshlrev_b64 v[115:116], 4, v[115:116]
	v_ashrrev_i32_e32 v120, 31, v119
	v_lshlrev_b64 v[121:122], 4, v[121:122]
	s_movk_i32 s73, 0x2a0
	v_add_nc_u32_e32 v127, s13, v123
	v_ashrrev_i32_e32 v124, 31, v123
	v_add_co_u32 v115, vcc_lo, s4, v115
	v_lshlrev_b64 v[125:126], 4, v[119:120]
	v_add_co_ci_u32_e64 v116, null, s5, v116, vcc_lo
	v_add_co_u32 v117, vcc_lo, s4, v117
	v_ashrrev_i32_e32 v128, 31, v127
	v_add_nc_u32_e32 v129, s13, v127
	v_add_co_ci_u32_e64 v118, null, s5, v118, vcc_lo
	v_add_co_u32 v119, vcc_lo, s4, v121
	v_add_co_ci_u32_e64 v120, null, s5, v122, vcc_lo
	v_add_co_u32 v121, vcc_lo, s4, v125
	v_add_co_ci_u32_e64 v122, null, s5, v126, vcc_lo
	v_lshlrev_b64 v[125:126], 4, v[127:128]
	v_add_nc_u32_e32 v127, s13, v129
	v_ashrrev_i32_e32 v130, 31, v129
	v_lshlrev_b64 v[123:124], 4, v[123:124]
	s_movk_i32 s74, 0x2b0
	s_movk_i32 s75, 0x2c0
	v_add_nc_u32_e32 v142, s13, v127
	v_ashrrev_i32_e32 v128, 31, v127
	v_lshlrev_b64 v[129:130], 4, v[129:130]
	v_add_co_u32 v123, vcc_lo, s4, v123
	v_ashrrev_i32_e32 v143, 31, v142
	v_lshlrev_b64 v[131:132], 4, v[127:128]
	v_add_co_ci_u32_e64 v124, null, s5, v124, vcc_lo
	v_add_co_u32 v125, vcc_lo, s4, v125
	v_lshlrev_b64 v[134:135], 4, v[142:143]
	v_add_co_ci_u32_e64 v126, null, s5, v126, vcc_lo
	v_add_co_u32 v127, vcc_lo, s4, v129
	v_add_co_ci_u32_e64 v128, null, s5, v130, vcc_lo
	v_add_co_u32 v129, vcc_lo, s4, v131
	;; [unrolled: 2-line block ×3, first 2 shown]
	v_add_co_ci_u32_e64 v132, null, s5, v135, vcc_lo
	global_load_dwordx4 v[134:137], v[77:78], off
	s_waitcnt vmcnt(11)
	buffer_store_dword v4, off, s[0:3], 0 offset:12
	buffer_store_dword v3, off, s[0:3], 0 offset:8
	;; [unrolled: 1-line block ×3, first 2 shown]
	buffer_store_dword v1, off, s[0:3], 0
	global_load_dwordx4 v[1:4], v[79:80], off
	s_waitcnt vmcnt(10)
	buffer_store_dword v8, off, s[0:3], 0 offset:28
	buffer_store_dword v7, off, s[0:3], 0 offset:24
	;; [unrolled: 1-line block ×4, first 2 shown]
	global_load_dwordx4 v[5:8], v[81:82], off
	buffer_store_dword v20, off, s[0:3], 0 offset:44
	buffer_store_dword v19, off, s[0:3], 0 offset:40
	buffer_store_dword v18, off, s[0:3], 0 offset:36
	buffer_store_dword v17, off, s[0:3], 0 offset:32
	global_load_dwordx4 v[17:20], v[85:86], off
	s_waitcnt vmcnt(11)
	buffer_store_dword v16, off, s[0:3], 0 offset:60
	buffer_store_dword v15, off, s[0:3], 0 offset:56
	buffer_store_dword v14, off, s[0:3], 0 offset:52
	buffer_store_dword v13, off, s[0:3], 0 offset:48
	global_load_dwordx4 v[13:16], v[83:84], off
	s_waitcnt vmcnt(11)
	;; [unrolled: 6-line block ×8, first 2 shown]
	buffer_store_dword v41, off, s[0:3], 0 offset:160
	buffer_store_dword v42, off, s[0:3], 0 offset:164
	;; [unrolled: 1-line block ×4, first 2 shown]
	global_load_dwordx4 v[41:44], v[89:90], off
	s_movk_i32 s76, 0x2d0
	s_movk_i32 s77, 0x2e0
	;; [unrolled: 1-line block ×8, first 2 shown]
	s_cselect_b32 s60, -1, 0
	s_cmpk_eq_i32 s9, 0x84
	s_waitcnt vmcnt(11)
	buffer_store_dword v134, off, s[0:3], 0 offset:176
	buffer_store_dword v135, off, s[0:3], 0 offset:180
	buffer_store_dword v136, off, s[0:3], 0 offset:184
	buffer_store_dword v137, off, s[0:3], 0 offset:188
	global_load_dwordx4 v[134:137], v[91:92], off
	s_waitcnt vmcnt(11)
	buffer_store_dword v4, off, s[0:3], 0 offset:204
	buffer_store_dword v3, off, s[0:3], 0 offset:200
	buffer_store_dword v2, off, s[0:3], 0 offset:196
	buffer_store_dword v1, off, s[0:3], 0 offset:192
	global_load_dwordx4 v[1:4], v[93:94], off
	;; [unrolled: 6-line block ×12, first 2 shown]
	s_waitcnt vmcnt(11)
	buffer_store_dword v137, off, s[0:3], 0 offset:380
	buffer_store_dword v136, off, s[0:3], 0 offset:376
	buffer_store_dword v135, off, s[0:3], 0 offset:372
	buffer_store_dword v134, off, s[0:3], 0 offset:368
	s_waitcnt vmcnt(10)
	buffer_store_dword v4, off, s[0:3], 0 offset:396
	buffer_store_dword v3, off, s[0:3], 0 offset:392
	buffer_store_dword v2, off, s[0:3], 0 offset:388
	buffer_store_dword v1, off, s[0:3], 0 offset:384
	s_clause 0x1
	global_load_dwordx4 v[1:4], v[115:116], off
	global_load_dwordx4 v[134:137], v[117:118], off
	s_waitcnt vmcnt(11)
	buffer_store_dword v8, off, s[0:3], 0 offset:412
	buffer_store_dword v7, off, s[0:3], 0 offset:408
	buffer_store_dword v6, off, s[0:3], 0 offset:404
	buffer_store_dword v5, off, s[0:3], 0 offset:400
	s_waitcnt vmcnt(10)
	buffer_store_dword v20, off, s[0:3], 0 offset:428
	buffer_store_dword v19, off, s[0:3], 0 offset:424
	buffer_store_dword v18, off, s[0:3], 0 offset:420
	buffer_store_dword v17, off, s[0:3], 0 offset:416
	s_clause 0x1
	global_load_dwordx4 v[17:20], v[119:120], off
	global_load_dwordx4 v[138:141], v[121:122], off
	;; [unrolled: 13-line block ×3, first 2 shown]
	v_add_nc_u32_e32 v7, s13, v142
	s_waitcnt vmcnt(11)
	buffer_store_dword v32, off, s[0:3], 0 offset:476
	buffer_store_dword v31, off, s[0:3], 0 offset:472
	;; [unrolled: 1-line block ×4, first 2 shown]
	v_ashrrev_i32_e32 v8, 31, v7
	global_load_dwordx4 v[29:32], v[127:128], off
	s_waitcnt vmcnt(11)
	buffer_store_dword v28, off, s[0:3], 0 offset:492
	buffer_store_dword v27, off, s[0:3], 0 offset:488
	;; [unrolled: 1-line block ×4, first 2 shown]
	global_load_dwordx4 v[25:28], v[129:130], off
	s_waitcnt vmcnt(11)
	buffer_store_dword v24, off, s[0:3], 0 offset:508
	buffer_store_dword v23, off, s[0:3], 0 offset:504
	buffer_store_dword v22, off, s[0:3], 0 offset:500
	buffer_store_dword v21, off, s[0:3], 0 offset:496
	v_lshlrev_b64 v[5:6], 4, v[7:8]
	global_load_dwordx4 v[21:24], v[131:132], off
	s_waitcnt vmcnt(11)
	buffer_store_dword v36, off, s[0:3], 0 offset:524
	buffer_store_dword v35, off, s[0:3], 0 offset:520
	;; [unrolled: 1-line block ×4, first 2 shown]
	v_add_co_u32 v5, vcc_lo, s4, v5
	v_add_co_ci_u32_e64 v6, null, s5, v6, vcc_lo
	s_waitcnt vmcnt(10)
	buffer_store_dword v40, off, s[0:3], 0 offset:540
	buffer_store_dword v39, off, s[0:3], 0 offset:536
	;; [unrolled: 1-line block ×4, first 2 shown]
	v_add_nc_u32_e32 v7, s13, v7
	global_load_dwordx4 v[33:36], v[5:6], off
	s_waitcnt vmcnt(10)
	buffer_store_dword v44, off, s[0:3], 0 offset:556
	buffer_store_dword v43, off, s[0:3], 0 offset:552
	;; [unrolled: 1-line block ×4, first 2 shown]
	v_add_nc_u32_e32 v37, s13, v7
	v_ashrrev_i32_e32 v8, 31, v7
	s_waitcnt vmcnt(9)
	buffer_store_dword v4, off, s[0:3], 0 offset:572
	buffer_store_dword v3, off, s[0:3], 0 offset:568
	buffer_store_dword v2, off, s[0:3], 0 offset:564
	buffer_store_dword v1, off, s[0:3], 0 offset:560
	s_waitcnt vmcnt(8)
	buffer_store_dword v137, off, s[0:3], 0 offset:588
	buffer_store_dword v136, off, s[0:3], 0 offset:584
	buffer_store_dword v135, off, s[0:3], 0 offset:580
	buffer_store_dword v134, off, s[0:3], 0 offset:576
	;; [unrolled: 5-line block ×8, first 2 shown]
	s_waitcnt vmcnt(1)
	buffer_store_dword v24, off, s[0:3], 0 offset:700
	buffer_store_dword v23, off, s[0:3], 0 offset:696
	;; [unrolled: 1-line block ×3, first 2 shown]
	v_add_nc_u32_e32 v39, s13, v37
	v_ashrrev_i32_e32 v38, 31, v37
	v_lshlrev_b64 v[7:8], 4, v[7:8]
	v_add_nc_u32_e32 v41, s13, v39
	v_ashrrev_i32_e32 v40, 31, v39
	v_lshlrev_b64 v[37:38], 4, v[37:38]
	v_add_co_u32 v7, vcc_lo, s4, v7
	v_add_nc_u32_e32 v15, s13, v41
	v_ashrrev_i32_e32 v42, 31, v41
	v_lshlrev_b64 v[39:40], 4, v[39:40]
	v_add_co_ci_u32_e64 v8, null, s5, v8, vcc_lo
	v_add_nc_u32_e32 v17, s13, v15
	v_ashrrev_i32_e32 v16, 31, v15
	v_lshlrev_b64 v[1:2], 4, v[41:42]
	v_add_co_u32 v9, vcc_lo, s4, v37
	v_ashrrev_i32_e32 v18, 31, v17
	v_add_nc_u32_e32 v31, s13, v17
	v_lshlrev_b64 v[15:16], 4, v[15:16]
	v_add_co_ci_u32_e64 v10, null, s5, v38, vcc_lo
	v_add_co_u32 v11, vcc_lo, s4, v39
	v_lshlrev_b64 v[18:19], 4, v[17:18]
	v_add_nc_u32_e32 v138, s13, v31
	v_add_co_ci_u32_e64 v12, null, s5, v40, vcc_lo
	v_add_co_u32 v13, vcc_lo, s4, v1
	v_ashrrev_i32_e32 v32, 31, v31
	v_add_co_ci_u32_e64 v14, null, s5, v2, vcc_lo
	v_add_co_u32 v15, vcc_lo, s4, v15
	v_ashrrev_i32_e32 v139, 31, v138
	v_add_co_ci_u32_e64 v16, null, s5, v16, vcc_lo
	v_add_co_u32 v17, vcc_lo, s4, v18
	v_add_co_ci_u32_e64 v18, null, s5, v19, vcc_lo
	v_lshlrev_b64 v[19:20], 4, v[31:32]
	v_lshlrev_b64 v[31:32], 4, v[138:139]
	s_clause 0x3
	global_load_dwordx4 v[1:4], v[7:8], off
	global_load_dwordx4 v[23:26], v[9:10], off
	;; [unrolled: 1-line block ×4, first 2 shown]
	buffer_store_dword v21, off, s[0:3], 0 offset:688
	s_clause 0x1
	global_load_dwordx4 v[41:44], v[15:16], off
	global_load_dwordx4 v[134:137], v[17:18], off
	v_add_co_u32 v21, vcc_lo, s4, v19
	v_add_co_ci_u32_e64 v22, null, s5, v20, vcc_lo
	v_add_co_u32 v19, vcc_lo, s4, v31
	v_add_co_ci_u32_e64 v20, null, s5, v32, vcc_lo
	global_load_dwordx4 v[138:141], v[21:22], off
	s_waitcnt vmcnt(7)
	buffer_store_dword v36, off, s[0:3], 0 offset:716
	buffer_store_dword v35, off, s[0:3], 0 offset:712
	;; [unrolled: 1-line block ×4, first 2 shown]
	s_movk_i32 s4, 0x50
	global_load_dwordx4 v[31:34], v[19:20], off
	s_movk_i32 s5, 0x60
	s_movk_i32 s13, 0xc0
	s_waitcnt vmcnt(7)
	buffer_store_dword v4, off, s[0:3], 0 offset:732
	buffer_store_dword v3, off, s[0:3], 0 offset:728
	buffer_store_dword v2, off, s[0:3], 0 offset:724
	buffer_store_dword v1, off, s[0:3], 0 offset:720
	s_waitcnt vmcnt(6)
	buffer_store_dword v26, off, s[0:3], 0 offset:748
	buffer_store_dword v25, off, s[0:3], 0 offset:744
	buffer_store_dword v24, off, s[0:3], 0 offset:740
	buffer_store_dword v23, off, s[0:3], 0 offset:736
	;; [unrolled: 5-line block ×8, first 2 shown]
	s_cbranch_scc1 .LBB52_7
; %bb.2:
	v_lshl_add_u32 v29, v0, 4, 0
                                        ; implicit-def: $vgpr25_vgpr26
                                        ; implicit-def: $vgpr3_vgpr4
	s_clause 0x3
	buffer_load_dword v23, v29, s[0:3], 0 offen
	buffer_load_dword v24, v29, s[0:3], 0 offen offset:4
	buffer_load_dword v27, v29, s[0:3], 0 offen offset:8
	buffer_load_dword v28, v29, s[0:3], 0 offen offset:12
	s_waitcnt vmcnt(0)
	v_cmp_ngt_f64_e64 s9, |v[23:24]|, |v[27:28]|
	s_and_saveexec_b32 s31, s9
	s_xor_b32 s9, exec_lo, s31
	s_cbranch_execz .LBB52_4
; %bb.3:
	v_div_scale_f64 v[1:2], null, v[27:28], v[27:28], v[23:24]
	v_div_scale_f64 v[30:31], vcc_lo, v[23:24], v[27:28], v[23:24]
	v_rcp_f64_e32 v[3:4], v[1:2]
	v_fma_f64 v[25:26], -v[1:2], v[3:4], 1.0
	v_fma_f64 v[3:4], v[3:4], v[25:26], v[3:4]
	v_fma_f64 v[25:26], -v[1:2], v[3:4], 1.0
	v_fma_f64 v[3:4], v[3:4], v[25:26], v[3:4]
	v_mul_f64 v[25:26], v[30:31], v[3:4]
	v_fma_f64 v[1:2], -v[1:2], v[25:26], v[30:31]
	v_div_fmas_f64 v[1:2], v[1:2], v[3:4], v[25:26]
	v_div_fixup_f64 v[1:2], v[1:2], v[27:28], v[23:24]
	v_fma_f64 v[3:4], v[23:24], v[1:2], v[27:28]
	v_div_scale_f64 v[23:24], null, v[3:4], v[3:4], 1.0
	v_div_scale_f64 v[30:31], vcc_lo, 1.0, v[3:4], 1.0
	v_rcp_f64_e32 v[25:26], v[23:24]
	v_fma_f64 v[27:28], -v[23:24], v[25:26], 1.0
	v_fma_f64 v[25:26], v[25:26], v[27:28], v[25:26]
	v_fma_f64 v[27:28], -v[23:24], v[25:26], 1.0
	v_fma_f64 v[25:26], v[25:26], v[27:28], v[25:26]
	v_mul_f64 v[27:28], v[30:31], v[25:26]
	v_fma_f64 v[23:24], -v[23:24], v[27:28], v[30:31]
	v_div_fmas_f64 v[23:24], v[23:24], v[25:26], v[27:28]
                                        ; implicit-def: $vgpr27_vgpr28
	v_div_fixup_f64 v[3:4], v[23:24], v[3:4], 1.0
                                        ; implicit-def: $vgpr23_vgpr24
	v_mul_f64 v[25:26], v[1:2], v[3:4]
	v_xor_b32_e32 v4, 0x80000000, v4
	v_xor_b32_e32 v2, 0x80000000, v26
	v_mov_b32_e32 v1, v25
.LBB52_4:
	s_andn2_saveexec_b32 s9, s9
	s_cbranch_execz .LBB52_6
; %bb.5:
	v_div_scale_f64 v[1:2], null, v[23:24], v[23:24], v[27:28]
	v_div_scale_f64 v[30:31], vcc_lo, v[27:28], v[23:24], v[27:28]
	v_rcp_f64_e32 v[3:4], v[1:2]
	v_fma_f64 v[25:26], -v[1:2], v[3:4], 1.0
	v_fma_f64 v[3:4], v[3:4], v[25:26], v[3:4]
	v_fma_f64 v[25:26], -v[1:2], v[3:4], 1.0
	v_fma_f64 v[3:4], v[3:4], v[25:26], v[3:4]
	v_mul_f64 v[25:26], v[30:31], v[3:4]
	v_fma_f64 v[1:2], -v[1:2], v[25:26], v[30:31]
	v_div_fmas_f64 v[1:2], v[1:2], v[3:4], v[25:26]
	v_div_fixup_f64 v[1:2], v[1:2], v[23:24], v[27:28]
	v_fma_f64 v[3:4], v[27:28], v[1:2], v[23:24]
	v_div_scale_f64 v[23:24], null, v[3:4], v[3:4], 1.0
	v_rcp_f64_e32 v[25:26], v[23:24]
	v_fma_f64 v[27:28], -v[23:24], v[25:26], 1.0
	v_fma_f64 v[25:26], v[25:26], v[27:28], v[25:26]
	v_fma_f64 v[27:28], -v[23:24], v[25:26], 1.0
	v_fma_f64 v[25:26], v[25:26], v[27:28], v[25:26]
	v_div_scale_f64 v[27:28], vcc_lo, 1.0, v[3:4], 1.0
	v_mul_f64 v[30:31], v[27:28], v[25:26]
	v_fma_f64 v[23:24], -v[23:24], v[30:31], v[27:28]
	v_div_fmas_f64 v[23:24], v[23:24], v[25:26], v[30:31]
	v_div_fixup_f64 v[25:26], v[23:24], v[3:4], 1.0
	v_mul_f64 v[3:4], v[1:2], -v[25:26]
	v_xor_b32_e32 v2, 0x80000000, v26
	v_mov_b32_e32 v1, v25
.LBB52_6:
	s_or_b32 exec_lo, exec_lo, s9
	buffer_store_dword v4, v29, s[0:3], 0 offen offset:12
	v_xor_b32_e32 v4, 0x80000000, v4
	buffer_store_dword v26, v29, s[0:3], 0 offen offset:4
	buffer_store_dword v25, v29, s[0:3], 0 offen
	buffer_store_dword v3, v29, s[0:3], 0 offen offset:8
	s_branch .LBB52_8
.LBB52_7:
	v_mov_b32_e32 v1, 0
	v_mov_b32_e32 v3, 0
	;; [unrolled: 1-line block ×4, first 2 shown]
.LBB52_8:
	v_add_nc_u32_e32 v24, 0x350, v133
	v_mov_b32_e32 v23, v133
	s_mov_b32 s59, 16
	s_mov_b32 s58, 32
	;; [unrolled: 1-line block ×51, first 2 shown]
	s_cmpk_eq_i32 s8, 0x79
	ds_write_b128 v133, v[1:4]
	s_cbranch_scc1 .LBB52_420
; %bb.9:
	v_mov_b32_e32 v4, s7
	v_cmp_eq_u32_e64 s4, 52, v0
	s_clause 0x3
	buffer_load_dword v1, v4, s[0:3], 0 offen
	buffer_load_dword v2, v4, s[0:3], 0 offen offset:4
	buffer_load_dword v3, v4, s[0:3], 0 offen offset:8
	;; [unrolled: 1-line block ×3, first 2 shown]
	s_waitcnt vmcnt(0)
	ds_write_b128 v24, v[1:4]
	s_waitcnt lgkmcnt(0)
	s_waitcnt_vscnt null, 0x0
	s_barrier
	buffer_gl0_inv
	s_and_saveexec_b32 s5, s4
	s_cbranch_execz .LBB52_13
; %bb.10:
	ds_read_b128 v[1:4], v24
	s_andn2_b32 vcc_lo, exec_lo, s60
	s_cbranch_vccnz .LBB52_12
; %bb.11:
	s_clause 0x3
	buffer_load_dword v25, v23, s[0:3], 0 offen offset:8
	buffer_load_dword v26, v23, s[0:3], 0 offen offset:12
	buffer_load_dword v27, v23, s[0:3], 0 offen
	buffer_load_dword v28, v23, s[0:3], 0 offen offset:4
	s_waitcnt vmcnt(2) lgkmcnt(0)
	v_mul_f64 v[29:30], v[3:4], v[25:26]
	v_mul_f64 v[25:26], v[1:2], v[25:26]
	s_waitcnt vmcnt(0)
	v_fma_f64 v[1:2], v[1:2], v[27:28], -v[29:30]
	v_fma_f64 v[3:4], v[3:4], v[27:28], v[25:26]
.LBB52_12:
	v_mov_b32_e32 v25, 0
	ds_read_b128 v[25:28], v25 offset:816
	s_waitcnt lgkmcnt(0)
	v_mul_f64 v[29:30], v[3:4], v[27:28]
	v_mul_f64 v[27:28], v[1:2], v[27:28]
	v_fma_f64 v[1:2], v[1:2], v[25:26], -v[29:30]
	v_fma_f64 v[3:4], v[3:4], v[25:26], v[27:28]
	buffer_store_dword v2, off, s[0:3], 0 offset:820
	buffer_store_dword v1, off, s[0:3], 0 offset:816
	;; [unrolled: 1-line block ×4, first 2 shown]
.LBB52_13:
	s_or_b32 exec_lo, exec_lo, s5
	v_mov_b32_e32 v4, s9
	v_cmp_lt_u32_e64 s5, 50, v0
	s_clause 0x3
	buffer_load_dword v1, v4, s[0:3], 0 offen
	buffer_load_dword v2, v4, s[0:3], 0 offen offset:4
	buffer_load_dword v3, v4, s[0:3], 0 offen offset:8
	;; [unrolled: 1-line block ×3, first 2 shown]
	s_waitcnt vmcnt(0)
	ds_write_b128 v24, v[1:4]
	s_waitcnt lgkmcnt(0)
	s_waitcnt_vscnt null, 0x0
	s_barrier
	buffer_gl0_inv
	s_and_saveexec_b32 s8, s5
	s_cbranch_execz .LBB52_19
; %bb.14:
	ds_read_b128 v[1:4], v24
	s_andn2_b32 vcc_lo, exec_lo, s60
	s_cbranch_vccnz .LBB52_16
; %bb.15:
	s_clause 0x3
	buffer_load_dword v25, v23, s[0:3], 0 offen offset:8
	buffer_load_dword v26, v23, s[0:3], 0 offen offset:12
	buffer_load_dword v27, v23, s[0:3], 0 offen
	buffer_load_dword v28, v23, s[0:3], 0 offen offset:4
	s_waitcnt vmcnt(2) lgkmcnt(0)
	v_mul_f64 v[29:30], v[3:4], v[25:26]
	v_mul_f64 v[25:26], v[1:2], v[25:26]
	s_waitcnt vmcnt(0)
	v_fma_f64 v[1:2], v[1:2], v[27:28], -v[29:30]
	v_fma_f64 v[3:4], v[3:4], v[27:28], v[25:26]
.LBB52_16:
	s_and_saveexec_b32 s61, s4
	s_cbranch_execz .LBB52_18
; %bb.17:
	s_clause 0x3
	buffer_load_dword v29, off, s[0:3], 0 offset:824
	buffer_load_dword v30, off, s[0:3], 0 offset:828
	buffer_load_dword v31, off, s[0:3], 0 offset:816
	buffer_load_dword v32, off, s[0:3], 0 offset:820
	v_mov_b32_e32 v25, 0
	ds_read_b128 v[25:28], v25 offset:1664
	s_waitcnt vmcnt(2) lgkmcnt(0)
	v_mul_f64 v[33:34], v[25:26], v[29:30]
	v_mul_f64 v[29:30], v[27:28], v[29:30]
	s_waitcnt vmcnt(0)
	v_fma_f64 v[27:28], v[27:28], v[31:32], v[33:34]
	v_fma_f64 v[25:26], v[25:26], v[31:32], -v[29:30]
	v_add_f64 v[3:4], v[3:4], v[27:28]
	v_add_f64 v[1:2], v[1:2], v[25:26]
.LBB52_18:
	s_or_b32 exec_lo, exec_lo, s61
	v_mov_b32_e32 v25, 0
	ds_read_b128 v[25:28], v25 offset:800
	s_waitcnt lgkmcnt(0)
	v_mul_f64 v[29:30], v[3:4], v[27:28]
	v_mul_f64 v[27:28], v[1:2], v[27:28]
	v_fma_f64 v[1:2], v[1:2], v[25:26], -v[29:30]
	v_fma_f64 v[3:4], v[3:4], v[25:26], v[27:28]
	buffer_store_dword v2, off, s[0:3], 0 offset:804
	buffer_store_dword v1, off, s[0:3], 0 offset:800
	;; [unrolled: 1-line block ×4, first 2 shown]
.LBB52_19:
	s_or_b32 exec_lo, exec_lo, s8
	v_mov_b32_e32 v4, s10
	v_cmp_lt_u32_e64 s4, 49, v0
	s_clause 0x3
	buffer_load_dword v1, v4, s[0:3], 0 offen
	buffer_load_dword v2, v4, s[0:3], 0 offen offset:4
	buffer_load_dword v3, v4, s[0:3], 0 offen offset:8
	;; [unrolled: 1-line block ×3, first 2 shown]
	s_waitcnt vmcnt(0)
	ds_write_b128 v24, v[1:4]
	s_waitcnt lgkmcnt(0)
	s_waitcnt_vscnt null, 0x0
	s_barrier
	buffer_gl0_inv
	s_and_saveexec_b32 s8, s4
	s_cbranch_execz .LBB52_27
; %bb.20:
	ds_read_b128 v[1:4], v24
	s_andn2_b32 vcc_lo, exec_lo, s60
	s_cbranch_vccnz .LBB52_22
; %bb.21:
	s_clause 0x3
	buffer_load_dword v25, v23, s[0:3], 0 offen offset:8
	buffer_load_dword v26, v23, s[0:3], 0 offen offset:12
	buffer_load_dword v27, v23, s[0:3], 0 offen
	buffer_load_dword v28, v23, s[0:3], 0 offen offset:4
	s_waitcnt vmcnt(2) lgkmcnt(0)
	v_mul_f64 v[29:30], v[3:4], v[25:26]
	v_mul_f64 v[25:26], v[1:2], v[25:26]
	s_waitcnt vmcnt(0)
	v_fma_f64 v[1:2], v[1:2], v[27:28], -v[29:30]
	v_fma_f64 v[3:4], v[3:4], v[27:28], v[25:26]
.LBB52_22:
	s_and_saveexec_b32 s61, s5
	s_cbranch_execz .LBB52_26
; %bb.23:
	v_subrev_nc_u32_e32 v25, 50, v0
	s_movk_i32 s62, 0x670
	s_mov_b32 s5, 0
	s_mov_b32 s63, s9
	.p2align	6
.LBB52_24:                              ; =>This Inner Loop Header: Depth=1
	v_mov_b32_e32 v26, s63
	v_add_nc_u32_e32 v25, -1, v25
	s_add_i32 s63, s63, 16
	s_clause 0x3
	buffer_load_dword v30, v26, s[0:3], 0 offen offset:8
	buffer_load_dword v31, v26, s[0:3], 0 offen offset:12
	buffer_load_dword v32, v26, s[0:3], 0 offen
	buffer_load_dword v33, v26, s[0:3], 0 offen offset:4
	v_mov_b32_e32 v26, s62
	v_cmp_eq_u32_e32 vcc_lo, 0, v25
	s_add_i32 s62, s62, 16
	ds_read_b128 v[26:29], v26
	s_or_b32 s5, vcc_lo, s5
	s_waitcnt vmcnt(2) lgkmcnt(0)
	v_mul_f64 v[34:35], v[28:29], v[30:31]
	v_mul_f64 v[30:31], v[26:27], v[30:31]
	s_waitcnt vmcnt(0)
	v_fma_f64 v[26:27], v[26:27], v[32:33], -v[34:35]
	v_fma_f64 v[28:29], v[28:29], v[32:33], v[30:31]
	v_add_f64 v[1:2], v[1:2], v[26:27]
	v_add_f64 v[3:4], v[3:4], v[28:29]
	s_andn2_b32 exec_lo, exec_lo, s5
	s_cbranch_execnz .LBB52_24
; %bb.25:
	s_or_b32 exec_lo, exec_lo, s5
.LBB52_26:
	s_or_b32 exec_lo, exec_lo, s61
	v_mov_b32_e32 v25, 0
	ds_read_b128 v[25:28], v25 offset:784
	s_waitcnt lgkmcnt(0)
	v_mul_f64 v[29:30], v[3:4], v[27:28]
	v_mul_f64 v[27:28], v[1:2], v[27:28]
	v_fma_f64 v[1:2], v[1:2], v[25:26], -v[29:30]
	v_fma_f64 v[3:4], v[3:4], v[25:26], v[27:28]
	buffer_store_dword v2, off, s[0:3], 0 offset:788
	buffer_store_dword v1, off, s[0:3], 0 offset:784
	buffer_store_dword v4, off, s[0:3], 0 offset:796
	buffer_store_dword v3, off, s[0:3], 0 offset:792
.LBB52_27:
	s_or_b32 exec_lo, exec_lo, s8
	v_mov_b32_e32 v4, s11
	v_cmp_lt_u32_e64 s5, 48, v0
	s_clause 0x3
	buffer_load_dword v1, v4, s[0:3], 0 offen
	buffer_load_dword v2, v4, s[0:3], 0 offen offset:4
	buffer_load_dword v3, v4, s[0:3], 0 offen offset:8
	;; [unrolled: 1-line block ×3, first 2 shown]
	s_waitcnt vmcnt(0)
	ds_write_b128 v24, v[1:4]
	s_waitcnt lgkmcnt(0)
	s_waitcnt_vscnt null, 0x0
	s_barrier
	buffer_gl0_inv
	s_and_saveexec_b32 s8, s5
	s_cbranch_execz .LBB52_35
; %bb.28:
	ds_read_b128 v[1:4], v24
	s_andn2_b32 vcc_lo, exec_lo, s60
	s_cbranch_vccnz .LBB52_30
; %bb.29:
	s_clause 0x3
	buffer_load_dword v25, v23, s[0:3], 0 offen offset:8
	buffer_load_dword v26, v23, s[0:3], 0 offen offset:12
	buffer_load_dword v27, v23, s[0:3], 0 offen
	buffer_load_dword v28, v23, s[0:3], 0 offen offset:4
	s_waitcnt vmcnt(2) lgkmcnt(0)
	v_mul_f64 v[29:30], v[3:4], v[25:26]
	v_mul_f64 v[25:26], v[1:2], v[25:26]
	s_waitcnt vmcnt(0)
	v_fma_f64 v[1:2], v[1:2], v[27:28], -v[29:30]
	v_fma_f64 v[3:4], v[3:4], v[27:28], v[25:26]
.LBB52_30:
	s_and_saveexec_b32 s61, s4
	s_cbranch_execz .LBB52_34
; %bb.31:
	v_subrev_nc_u32_e32 v25, 49, v0
	s_movk_i32 s62, 0x660
	s_mov_b32 s4, 0
	s_mov_b32 s63, s10
	.p2align	6
.LBB52_32:                              ; =>This Inner Loop Header: Depth=1
	v_mov_b32_e32 v26, s63
	v_add_nc_u32_e32 v25, -1, v25
	s_add_i32 s63, s63, 16
	s_clause 0x3
	buffer_load_dword v30, v26, s[0:3], 0 offen offset:8
	buffer_load_dword v31, v26, s[0:3], 0 offen offset:12
	buffer_load_dword v32, v26, s[0:3], 0 offen
	buffer_load_dword v33, v26, s[0:3], 0 offen offset:4
	v_mov_b32_e32 v26, s62
	v_cmp_eq_u32_e32 vcc_lo, 0, v25
	s_add_i32 s62, s62, 16
	ds_read_b128 v[26:29], v26
	s_or_b32 s4, vcc_lo, s4
	s_waitcnt vmcnt(2) lgkmcnt(0)
	v_mul_f64 v[34:35], v[28:29], v[30:31]
	v_mul_f64 v[30:31], v[26:27], v[30:31]
	s_waitcnt vmcnt(0)
	v_fma_f64 v[26:27], v[26:27], v[32:33], -v[34:35]
	v_fma_f64 v[28:29], v[28:29], v[32:33], v[30:31]
	v_add_f64 v[1:2], v[1:2], v[26:27]
	v_add_f64 v[3:4], v[3:4], v[28:29]
	s_andn2_b32 exec_lo, exec_lo, s4
	s_cbranch_execnz .LBB52_32
; %bb.33:
	s_or_b32 exec_lo, exec_lo, s4
.LBB52_34:
	s_or_b32 exec_lo, exec_lo, s61
	v_mov_b32_e32 v25, 0
	ds_read_b128 v[25:28], v25 offset:768
	s_waitcnt lgkmcnt(0)
	v_mul_f64 v[29:30], v[3:4], v[27:28]
	v_mul_f64 v[27:28], v[1:2], v[27:28]
	v_fma_f64 v[1:2], v[1:2], v[25:26], -v[29:30]
	v_fma_f64 v[3:4], v[3:4], v[25:26], v[27:28]
	buffer_store_dword v2, off, s[0:3], 0 offset:772
	buffer_store_dword v1, off, s[0:3], 0 offset:768
	;; [unrolled: 1-line block ×4, first 2 shown]
.LBB52_35:
	s_or_b32 exec_lo, exec_lo, s8
	v_mov_b32_e32 v4, s12
	v_cmp_lt_u32_e64 s4, 47, v0
	s_clause 0x3
	buffer_load_dword v1, v4, s[0:3], 0 offen
	buffer_load_dword v2, v4, s[0:3], 0 offen offset:4
	buffer_load_dword v3, v4, s[0:3], 0 offen offset:8
	;; [unrolled: 1-line block ×3, first 2 shown]
	s_waitcnt vmcnt(0)
	ds_write_b128 v24, v[1:4]
	s_waitcnt lgkmcnt(0)
	s_waitcnt_vscnt null, 0x0
	s_barrier
	buffer_gl0_inv
	s_and_saveexec_b32 s8, s4
	s_cbranch_execz .LBB52_43
; %bb.36:
	ds_read_b128 v[1:4], v24
	s_andn2_b32 vcc_lo, exec_lo, s60
	s_cbranch_vccnz .LBB52_38
; %bb.37:
	s_clause 0x3
	buffer_load_dword v25, v23, s[0:3], 0 offen offset:8
	buffer_load_dword v26, v23, s[0:3], 0 offen offset:12
	buffer_load_dword v27, v23, s[0:3], 0 offen
	buffer_load_dword v28, v23, s[0:3], 0 offen offset:4
	s_waitcnt vmcnt(2) lgkmcnt(0)
	v_mul_f64 v[29:30], v[3:4], v[25:26]
	v_mul_f64 v[25:26], v[1:2], v[25:26]
	s_waitcnt vmcnt(0)
	v_fma_f64 v[1:2], v[1:2], v[27:28], -v[29:30]
	v_fma_f64 v[3:4], v[3:4], v[27:28], v[25:26]
.LBB52_38:
	s_and_saveexec_b32 s61, s5
	s_cbranch_execz .LBB52_42
; %bb.39:
	v_subrev_nc_u32_e32 v25, 48, v0
	s_movk_i32 s62, 0x650
	s_mov_b32 s5, 0
	s_mov_b32 s63, s11
	.p2align	6
.LBB52_40:                              ; =>This Inner Loop Header: Depth=1
	v_mov_b32_e32 v26, s63
	v_add_nc_u32_e32 v25, -1, v25
	s_add_i32 s63, s63, 16
	s_clause 0x3
	buffer_load_dword v30, v26, s[0:3], 0 offen offset:8
	buffer_load_dword v31, v26, s[0:3], 0 offen offset:12
	buffer_load_dword v32, v26, s[0:3], 0 offen
	buffer_load_dword v33, v26, s[0:3], 0 offen offset:4
	v_mov_b32_e32 v26, s62
	v_cmp_eq_u32_e32 vcc_lo, 0, v25
	s_add_i32 s62, s62, 16
	ds_read_b128 v[26:29], v26
	s_or_b32 s5, vcc_lo, s5
	s_waitcnt vmcnt(2) lgkmcnt(0)
	v_mul_f64 v[34:35], v[28:29], v[30:31]
	v_mul_f64 v[30:31], v[26:27], v[30:31]
	s_waitcnt vmcnt(0)
	v_fma_f64 v[26:27], v[26:27], v[32:33], -v[34:35]
	v_fma_f64 v[28:29], v[28:29], v[32:33], v[30:31]
	v_add_f64 v[1:2], v[1:2], v[26:27]
	v_add_f64 v[3:4], v[3:4], v[28:29]
	s_andn2_b32 exec_lo, exec_lo, s5
	s_cbranch_execnz .LBB52_40
; %bb.41:
	s_or_b32 exec_lo, exec_lo, s5
.LBB52_42:
	s_or_b32 exec_lo, exec_lo, s61
	v_mov_b32_e32 v25, 0
	ds_read_b128 v[25:28], v25 offset:752
	s_waitcnt lgkmcnt(0)
	v_mul_f64 v[29:30], v[3:4], v[27:28]
	v_mul_f64 v[27:28], v[1:2], v[27:28]
	v_fma_f64 v[1:2], v[1:2], v[25:26], -v[29:30]
	v_fma_f64 v[3:4], v[3:4], v[25:26], v[27:28]
	buffer_store_dword v2, off, s[0:3], 0 offset:756
	buffer_store_dword v1, off, s[0:3], 0 offset:752
	;; [unrolled: 1-line block ×4, first 2 shown]
.LBB52_43:
	s_or_b32 exec_lo, exec_lo, s8
	v_mov_b32_e32 v4, s13
	v_cmp_lt_u32_e64 s5, 46, v0
	s_clause 0x3
	buffer_load_dword v1, v4, s[0:3], 0 offen
	buffer_load_dword v2, v4, s[0:3], 0 offen offset:4
	buffer_load_dword v3, v4, s[0:3], 0 offen offset:8
	;; [unrolled: 1-line block ×3, first 2 shown]
	s_waitcnt vmcnt(0)
	ds_write_b128 v24, v[1:4]
	s_waitcnt lgkmcnt(0)
	s_waitcnt_vscnt null, 0x0
	s_barrier
	buffer_gl0_inv
	s_and_saveexec_b32 s8, s5
	s_cbranch_execz .LBB52_51
; %bb.44:
	ds_read_b128 v[1:4], v24
	s_andn2_b32 vcc_lo, exec_lo, s60
	s_cbranch_vccnz .LBB52_46
; %bb.45:
	s_clause 0x3
	buffer_load_dword v25, v23, s[0:3], 0 offen offset:8
	buffer_load_dword v26, v23, s[0:3], 0 offen offset:12
	buffer_load_dword v27, v23, s[0:3], 0 offen
	buffer_load_dword v28, v23, s[0:3], 0 offen offset:4
	s_waitcnt vmcnt(2) lgkmcnt(0)
	v_mul_f64 v[29:30], v[3:4], v[25:26]
	v_mul_f64 v[25:26], v[1:2], v[25:26]
	s_waitcnt vmcnt(0)
	v_fma_f64 v[1:2], v[1:2], v[27:28], -v[29:30]
	v_fma_f64 v[3:4], v[3:4], v[27:28], v[25:26]
.LBB52_46:
	s_and_saveexec_b32 s61, s4
	s_cbranch_execz .LBB52_50
; %bb.47:
	v_subrev_nc_u32_e32 v25, 47, v0
	s_movk_i32 s62, 0x640
	s_mov_b32 s4, 0
	s_mov_b32 s63, s12
	.p2align	6
.LBB52_48:                              ; =>This Inner Loop Header: Depth=1
	v_mov_b32_e32 v26, s63
	v_add_nc_u32_e32 v25, -1, v25
	s_add_i32 s63, s63, 16
	s_clause 0x3
	buffer_load_dword v30, v26, s[0:3], 0 offen offset:8
	buffer_load_dword v31, v26, s[0:3], 0 offen offset:12
	buffer_load_dword v32, v26, s[0:3], 0 offen
	buffer_load_dword v33, v26, s[0:3], 0 offen offset:4
	v_mov_b32_e32 v26, s62
	v_cmp_eq_u32_e32 vcc_lo, 0, v25
	s_add_i32 s62, s62, 16
	ds_read_b128 v[26:29], v26
	s_or_b32 s4, vcc_lo, s4
	s_waitcnt vmcnt(2) lgkmcnt(0)
	v_mul_f64 v[34:35], v[28:29], v[30:31]
	v_mul_f64 v[30:31], v[26:27], v[30:31]
	s_waitcnt vmcnt(0)
	v_fma_f64 v[26:27], v[26:27], v[32:33], -v[34:35]
	v_fma_f64 v[28:29], v[28:29], v[32:33], v[30:31]
	v_add_f64 v[1:2], v[1:2], v[26:27]
	v_add_f64 v[3:4], v[3:4], v[28:29]
	s_andn2_b32 exec_lo, exec_lo, s4
	s_cbranch_execnz .LBB52_48
; %bb.49:
	s_or_b32 exec_lo, exec_lo, s4
.LBB52_50:
	s_or_b32 exec_lo, exec_lo, s61
	v_mov_b32_e32 v25, 0
	ds_read_b128 v[25:28], v25 offset:736
	s_waitcnt lgkmcnt(0)
	v_mul_f64 v[29:30], v[3:4], v[27:28]
	v_mul_f64 v[27:28], v[1:2], v[27:28]
	v_fma_f64 v[1:2], v[1:2], v[25:26], -v[29:30]
	v_fma_f64 v[3:4], v[3:4], v[25:26], v[27:28]
	buffer_store_dword v2, off, s[0:3], 0 offset:740
	buffer_store_dword v1, off, s[0:3], 0 offset:736
	;; [unrolled: 1-line block ×4, first 2 shown]
.LBB52_51:
	s_or_b32 exec_lo, exec_lo, s8
	v_mov_b32_e32 v4, s14
	v_cmp_lt_u32_e64 s4, 45, v0
	s_clause 0x3
	buffer_load_dword v1, v4, s[0:3], 0 offen
	buffer_load_dword v2, v4, s[0:3], 0 offen offset:4
	buffer_load_dword v3, v4, s[0:3], 0 offen offset:8
	;; [unrolled: 1-line block ×3, first 2 shown]
	s_waitcnt vmcnt(0)
	ds_write_b128 v24, v[1:4]
	s_waitcnt lgkmcnt(0)
	s_waitcnt_vscnt null, 0x0
	s_barrier
	buffer_gl0_inv
	s_and_saveexec_b32 s8, s4
	s_cbranch_execz .LBB52_59
; %bb.52:
	ds_read_b128 v[1:4], v24
	s_andn2_b32 vcc_lo, exec_lo, s60
	s_cbranch_vccnz .LBB52_54
; %bb.53:
	s_clause 0x3
	buffer_load_dword v25, v23, s[0:3], 0 offen offset:8
	buffer_load_dword v26, v23, s[0:3], 0 offen offset:12
	buffer_load_dword v27, v23, s[0:3], 0 offen
	buffer_load_dword v28, v23, s[0:3], 0 offen offset:4
	s_waitcnt vmcnt(2) lgkmcnt(0)
	v_mul_f64 v[29:30], v[3:4], v[25:26]
	v_mul_f64 v[25:26], v[1:2], v[25:26]
	s_waitcnt vmcnt(0)
	v_fma_f64 v[1:2], v[1:2], v[27:28], -v[29:30]
	v_fma_f64 v[3:4], v[3:4], v[27:28], v[25:26]
.LBB52_54:
	s_and_saveexec_b32 s61, s5
	s_cbranch_execz .LBB52_58
; %bb.55:
	v_subrev_nc_u32_e32 v25, 46, v0
	s_movk_i32 s62, 0x630
	s_mov_b32 s5, 0
	s_mov_b32 s63, s13
	.p2align	6
.LBB52_56:                              ; =>This Inner Loop Header: Depth=1
	v_mov_b32_e32 v26, s63
	v_add_nc_u32_e32 v25, -1, v25
	s_add_i32 s63, s63, 16
	s_clause 0x3
	buffer_load_dword v30, v26, s[0:3], 0 offen offset:8
	buffer_load_dword v31, v26, s[0:3], 0 offen offset:12
	buffer_load_dword v32, v26, s[0:3], 0 offen
	buffer_load_dword v33, v26, s[0:3], 0 offen offset:4
	v_mov_b32_e32 v26, s62
	v_cmp_eq_u32_e32 vcc_lo, 0, v25
	s_add_i32 s62, s62, 16
	ds_read_b128 v[26:29], v26
	s_or_b32 s5, vcc_lo, s5
	s_waitcnt vmcnt(2) lgkmcnt(0)
	v_mul_f64 v[34:35], v[28:29], v[30:31]
	v_mul_f64 v[30:31], v[26:27], v[30:31]
	s_waitcnt vmcnt(0)
	v_fma_f64 v[26:27], v[26:27], v[32:33], -v[34:35]
	v_fma_f64 v[28:29], v[28:29], v[32:33], v[30:31]
	v_add_f64 v[1:2], v[1:2], v[26:27]
	v_add_f64 v[3:4], v[3:4], v[28:29]
	s_andn2_b32 exec_lo, exec_lo, s5
	s_cbranch_execnz .LBB52_56
; %bb.57:
	s_or_b32 exec_lo, exec_lo, s5
.LBB52_58:
	s_or_b32 exec_lo, exec_lo, s61
	v_mov_b32_e32 v25, 0
	ds_read_b128 v[25:28], v25 offset:720
	s_waitcnt lgkmcnt(0)
	v_mul_f64 v[29:30], v[3:4], v[27:28]
	v_mul_f64 v[27:28], v[1:2], v[27:28]
	v_fma_f64 v[1:2], v[1:2], v[25:26], -v[29:30]
	v_fma_f64 v[3:4], v[3:4], v[25:26], v[27:28]
	buffer_store_dword v2, off, s[0:3], 0 offset:724
	buffer_store_dword v1, off, s[0:3], 0 offset:720
	;; [unrolled: 1-line block ×4, first 2 shown]
.LBB52_59:
	s_or_b32 exec_lo, exec_lo, s8
	v_mov_b32_e32 v4, s15
	v_cmp_lt_u32_e64 s5, 44, v0
	s_clause 0x3
	buffer_load_dword v1, v4, s[0:3], 0 offen
	buffer_load_dword v2, v4, s[0:3], 0 offen offset:4
	buffer_load_dword v3, v4, s[0:3], 0 offen offset:8
	;; [unrolled: 1-line block ×3, first 2 shown]
	s_waitcnt vmcnt(0)
	ds_write_b128 v24, v[1:4]
	s_waitcnt lgkmcnt(0)
	s_waitcnt_vscnt null, 0x0
	s_barrier
	buffer_gl0_inv
	s_and_saveexec_b32 s8, s5
	s_cbranch_execz .LBB52_67
; %bb.60:
	ds_read_b128 v[1:4], v24
	s_andn2_b32 vcc_lo, exec_lo, s60
	s_cbranch_vccnz .LBB52_62
; %bb.61:
	s_clause 0x3
	buffer_load_dword v25, v23, s[0:3], 0 offen offset:8
	buffer_load_dword v26, v23, s[0:3], 0 offen offset:12
	buffer_load_dword v27, v23, s[0:3], 0 offen
	buffer_load_dword v28, v23, s[0:3], 0 offen offset:4
	s_waitcnt vmcnt(2) lgkmcnt(0)
	v_mul_f64 v[29:30], v[3:4], v[25:26]
	v_mul_f64 v[25:26], v[1:2], v[25:26]
	s_waitcnt vmcnt(0)
	v_fma_f64 v[1:2], v[1:2], v[27:28], -v[29:30]
	v_fma_f64 v[3:4], v[3:4], v[27:28], v[25:26]
.LBB52_62:
	s_and_saveexec_b32 s61, s4
	s_cbranch_execz .LBB52_66
; %bb.63:
	v_subrev_nc_u32_e32 v25, 45, v0
	s_movk_i32 s62, 0x620
	s_mov_b32 s4, 0
	s_mov_b32 s63, s14
	.p2align	6
.LBB52_64:                              ; =>This Inner Loop Header: Depth=1
	v_mov_b32_e32 v26, s63
	v_add_nc_u32_e32 v25, -1, v25
	s_add_i32 s63, s63, 16
	s_clause 0x3
	buffer_load_dword v30, v26, s[0:3], 0 offen offset:8
	buffer_load_dword v31, v26, s[0:3], 0 offen offset:12
	buffer_load_dword v32, v26, s[0:3], 0 offen
	buffer_load_dword v33, v26, s[0:3], 0 offen offset:4
	v_mov_b32_e32 v26, s62
	v_cmp_eq_u32_e32 vcc_lo, 0, v25
	s_add_i32 s62, s62, 16
	ds_read_b128 v[26:29], v26
	s_or_b32 s4, vcc_lo, s4
	s_waitcnt vmcnt(2) lgkmcnt(0)
	v_mul_f64 v[34:35], v[28:29], v[30:31]
	v_mul_f64 v[30:31], v[26:27], v[30:31]
	s_waitcnt vmcnt(0)
	v_fma_f64 v[26:27], v[26:27], v[32:33], -v[34:35]
	v_fma_f64 v[28:29], v[28:29], v[32:33], v[30:31]
	v_add_f64 v[1:2], v[1:2], v[26:27]
	v_add_f64 v[3:4], v[3:4], v[28:29]
	s_andn2_b32 exec_lo, exec_lo, s4
	s_cbranch_execnz .LBB52_64
; %bb.65:
	s_or_b32 exec_lo, exec_lo, s4
.LBB52_66:
	s_or_b32 exec_lo, exec_lo, s61
	v_mov_b32_e32 v25, 0
	ds_read_b128 v[25:28], v25 offset:704
	s_waitcnt lgkmcnt(0)
	v_mul_f64 v[29:30], v[3:4], v[27:28]
	v_mul_f64 v[27:28], v[1:2], v[27:28]
	v_fma_f64 v[1:2], v[1:2], v[25:26], -v[29:30]
	v_fma_f64 v[3:4], v[3:4], v[25:26], v[27:28]
	buffer_store_dword v2, off, s[0:3], 0 offset:708
	buffer_store_dword v1, off, s[0:3], 0 offset:704
	;; [unrolled: 1-line block ×4, first 2 shown]
.LBB52_67:
	s_or_b32 exec_lo, exec_lo, s8
	v_mov_b32_e32 v4, s16
	v_cmp_lt_u32_e64 s4, 43, v0
	s_clause 0x3
	buffer_load_dword v1, v4, s[0:3], 0 offen
	buffer_load_dword v2, v4, s[0:3], 0 offen offset:4
	buffer_load_dword v3, v4, s[0:3], 0 offen offset:8
	;; [unrolled: 1-line block ×3, first 2 shown]
	s_waitcnt vmcnt(0)
	ds_write_b128 v24, v[1:4]
	s_waitcnt lgkmcnt(0)
	s_waitcnt_vscnt null, 0x0
	s_barrier
	buffer_gl0_inv
	s_and_saveexec_b32 s8, s4
	s_cbranch_execz .LBB52_75
; %bb.68:
	ds_read_b128 v[1:4], v24
	s_andn2_b32 vcc_lo, exec_lo, s60
	s_cbranch_vccnz .LBB52_70
; %bb.69:
	s_clause 0x3
	buffer_load_dword v25, v23, s[0:3], 0 offen offset:8
	buffer_load_dword v26, v23, s[0:3], 0 offen offset:12
	buffer_load_dword v27, v23, s[0:3], 0 offen
	buffer_load_dword v28, v23, s[0:3], 0 offen offset:4
	s_waitcnt vmcnt(2) lgkmcnt(0)
	v_mul_f64 v[29:30], v[3:4], v[25:26]
	v_mul_f64 v[25:26], v[1:2], v[25:26]
	s_waitcnt vmcnt(0)
	v_fma_f64 v[1:2], v[1:2], v[27:28], -v[29:30]
	v_fma_f64 v[3:4], v[3:4], v[27:28], v[25:26]
.LBB52_70:
	s_and_saveexec_b32 s61, s5
	s_cbranch_execz .LBB52_74
; %bb.71:
	v_subrev_nc_u32_e32 v25, 44, v0
	s_movk_i32 s62, 0x610
	s_mov_b32 s5, 0
	s_mov_b32 s63, s15
	.p2align	6
.LBB52_72:                              ; =>This Inner Loop Header: Depth=1
	v_mov_b32_e32 v26, s63
	v_add_nc_u32_e32 v25, -1, v25
	s_add_i32 s63, s63, 16
	s_clause 0x3
	buffer_load_dword v30, v26, s[0:3], 0 offen offset:8
	buffer_load_dword v31, v26, s[0:3], 0 offen offset:12
	buffer_load_dword v32, v26, s[0:3], 0 offen
	buffer_load_dword v33, v26, s[0:3], 0 offen offset:4
	v_mov_b32_e32 v26, s62
	v_cmp_eq_u32_e32 vcc_lo, 0, v25
	s_add_i32 s62, s62, 16
	ds_read_b128 v[26:29], v26
	s_or_b32 s5, vcc_lo, s5
	s_waitcnt vmcnt(2) lgkmcnt(0)
	v_mul_f64 v[34:35], v[28:29], v[30:31]
	v_mul_f64 v[30:31], v[26:27], v[30:31]
	s_waitcnt vmcnt(0)
	v_fma_f64 v[26:27], v[26:27], v[32:33], -v[34:35]
	v_fma_f64 v[28:29], v[28:29], v[32:33], v[30:31]
	v_add_f64 v[1:2], v[1:2], v[26:27]
	v_add_f64 v[3:4], v[3:4], v[28:29]
	s_andn2_b32 exec_lo, exec_lo, s5
	s_cbranch_execnz .LBB52_72
; %bb.73:
	s_or_b32 exec_lo, exec_lo, s5
.LBB52_74:
	s_or_b32 exec_lo, exec_lo, s61
	v_mov_b32_e32 v25, 0
	ds_read_b128 v[25:28], v25 offset:688
	s_waitcnt lgkmcnt(0)
	v_mul_f64 v[29:30], v[3:4], v[27:28]
	v_mul_f64 v[27:28], v[1:2], v[27:28]
	v_fma_f64 v[1:2], v[1:2], v[25:26], -v[29:30]
	v_fma_f64 v[3:4], v[3:4], v[25:26], v[27:28]
	buffer_store_dword v2, off, s[0:3], 0 offset:692
	buffer_store_dword v1, off, s[0:3], 0 offset:688
	;; [unrolled: 1-line block ×4, first 2 shown]
.LBB52_75:
	s_or_b32 exec_lo, exec_lo, s8
	v_mov_b32_e32 v4, s17
	v_cmp_lt_u32_e64 s5, 42, v0
	s_clause 0x3
	buffer_load_dword v1, v4, s[0:3], 0 offen
	buffer_load_dword v2, v4, s[0:3], 0 offen offset:4
	buffer_load_dword v3, v4, s[0:3], 0 offen offset:8
	;; [unrolled: 1-line block ×3, first 2 shown]
	s_waitcnt vmcnt(0)
	ds_write_b128 v24, v[1:4]
	s_waitcnt lgkmcnt(0)
	s_waitcnt_vscnt null, 0x0
	s_barrier
	buffer_gl0_inv
	s_and_saveexec_b32 s8, s5
	s_cbranch_execz .LBB52_83
; %bb.76:
	ds_read_b128 v[1:4], v24
	s_andn2_b32 vcc_lo, exec_lo, s60
	s_cbranch_vccnz .LBB52_78
; %bb.77:
	s_clause 0x3
	buffer_load_dword v25, v23, s[0:3], 0 offen offset:8
	buffer_load_dword v26, v23, s[0:3], 0 offen offset:12
	buffer_load_dword v27, v23, s[0:3], 0 offen
	buffer_load_dword v28, v23, s[0:3], 0 offen offset:4
	s_waitcnt vmcnt(2) lgkmcnt(0)
	v_mul_f64 v[29:30], v[3:4], v[25:26]
	v_mul_f64 v[25:26], v[1:2], v[25:26]
	s_waitcnt vmcnt(0)
	v_fma_f64 v[1:2], v[1:2], v[27:28], -v[29:30]
	v_fma_f64 v[3:4], v[3:4], v[27:28], v[25:26]
.LBB52_78:
	s_and_saveexec_b32 s61, s4
	s_cbranch_execz .LBB52_82
; %bb.79:
	v_subrev_nc_u32_e32 v25, 43, v0
	s_movk_i32 s62, 0x600
	s_mov_b32 s4, 0
	s_mov_b32 s63, s16
	.p2align	6
.LBB52_80:                              ; =>This Inner Loop Header: Depth=1
	v_mov_b32_e32 v26, s63
	v_add_nc_u32_e32 v25, -1, v25
	s_add_i32 s63, s63, 16
	s_clause 0x3
	buffer_load_dword v30, v26, s[0:3], 0 offen offset:8
	buffer_load_dword v31, v26, s[0:3], 0 offen offset:12
	buffer_load_dword v32, v26, s[0:3], 0 offen
	buffer_load_dword v33, v26, s[0:3], 0 offen offset:4
	v_mov_b32_e32 v26, s62
	v_cmp_eq_u32_e32 vcc_lo, 0, v25
	s_add_i32 s62, s62, 16
	ds_read_b128 v[26:29], v26
	s_or_b32 s4, vcc_lo, s4
	s_waitcnt vmcnt(2) lgkmcnt(0)
	v_mul_f64 v[34:35], v[28:29], v[30:31]
	v_mul_f64 v[30:31], v[26:27], v[30:31]
	s_waitcnt vmcnt(0)
	v_fma_f64 v[26:27], v[26:27], v[32:33], -v[34:35]
	v_fma_f64 v[28:29], v[28:29], v[32:33], v[30:31]
	v_add_f64 v[1:2], v[1:2], v[26:27]
	v_add_f64 v[3:4], v[3:4], v[28:29]
	s_andn2_b32 exec_lo, exec_lo, s4
	s_cbranch_execnz .LBB52_80
; %bb.81:
	s_or_b32 exec_lo, exec_lo, s4
.LBB52_82:
	s_or_b32 exec_lo, exec_lo, s61
	v_mov_b32_e32 v25, 0
	ds_read_b128 v[25:28], v25 offset:672
	s_waitcnt lgkmcnt(0)
	v_mul_f64 v[29:30], v[3:4], v[27:28]
	v_mul_f64 v[27:28], v[1:2], v[27:28]
	v_fma_f64 v[1:2], v[1:2], v[25:26], -v[29:30]
	v_fma_f64 v[3:4], v[3:4], v[25:26], v[27:28]
	buffer_store_dword v2, off, s[0:3], 0 offset:676
	buffer_store_dword v1, off, s[0:3], 0 offset:672
	;; [unrolled: 1-line block ×4, first 2 shown]
.LBB52_83:
	s_or_b32 exec_lo, exec_lo, s8
	v_mov_b32_e32 v4, s18
	v_cmp_lt_u32_e64 s4, 41, v0
	s_clause 0x3
	buffer_load_dword v1, v4, s[0:3], 0 offen
	buffer_load_dword v2, v4, s[0:3], 0 offen offset:4
	buffer_load_dword v3, v4, s[0:3], 0 offen offset:8
	;; [unrolled: 1-line block ×3, first 2 shown]
	s_waitcnt vmcnt(0)
	ds_write_b128 v24, v[1:4]
	s_waitcnt lgkmcnt(0)
	s_waitcnt_vscnt null, 0x0
	s_barrier
	buffer_gl0_inv
	s_and_saveexec_b32 s8, s4
	s_cbranch_execz .LBB52_91
; %bb.84:
	ds_read_b128 v[1:4], v24
	s_andn2_b32 vcc_lo, exec_lo, s60
	s_cbranch_vccnz .LBB52_86
; %bb.85:
	s_clause 0x3
	buffer_load_dword v25, v23, s[0:3], 0 offen offset:8
	buffer_load_dword v26, v23, s[0:3], 0 offen offset:12
	buffer_load_dword v27, v23, s[0:3], 0 offen
	buffer_load_dword v28, v23, s[0:3], 0 offen offset:4
	s_waitcnt vmcnt(2) lgkmcnt(0)
	v_mul_f64 v[29:30], v[3:4], v[25:26]
	v_mul_f64 v[25:26], v[1:2], v[25:26]
	s_waitcnt vmcnt(0)
	v_fma_f64 v[1:2], v[1:2], v[27:28], -v[29:30]
	v_fma_f64 v[3:4], v[3:4], v[27:28], v[25:26]
.LBB52_86:
	s_and_saveexec_b32 s61, s5
	s_cbranch_execz .LBB52_90
; %bb.87:
	v_subrev_nc_u32_e32 v25, 42, v0
	s_movk_i32 s62, 0x5f0
	s_mov_b32 s5, 0
	s_mov_b32 s63, s17
	.p2align	6
.LBB52_88:                              ; =>This Inner Loop Header: Depth=1
	v_mov_b32_e32 v26, s63
	v_add_nc_u32_e32 v25, -1, v25
	s_add_i32 s63, s63, 16
	s_clause 0x3
	buffer_load_dword v30, v26, s[0:3], 0 offen offset:8
	buffer_load_dword v31, v26, s[0:3], 0 offen offset:12
	buffer_load_dword v32, v26, s[0:3], 0 offen
	buffer_load_dword v33, v26, s[0:3], 0 offen offset:4
	v_mov_b32_e32 v26, s62
	v_cmp_eq_u32_e32 vcc_lo, 0, v25
	s_add_i32 s62, s62, 16
	ds_read_b128 v[26:29], v26
	s_or_b32 s5, vcc_lo, s5
	s_waitcnt vmcnt(2) lgkmcnt(0)
	v_mul_f64 v[34:35], v[28:29], v[30:31]
	v_mul_f64 v[30:31], v[26:27], v[30:31]
	s_waitcnt vmcnt(0)
	v_fma_f64 v[26:27], v[26:27], v[32:33], -v[34:35]
	v_fma_f64 v[28:29], v[28:29], v[32:33], v[30:31]
	v_add_f64 v[1:2], v[1:2], v[26:27]
	v_add_f64 v[3:4], v[3:4], v[28:29]
	s_andn2_b32 exec_lo, exec_lo, s5
	s_cbranch_execnz .LBB52_88
; %bb.89:
	s_or_b32 exec_lo, exec_lo, s5
.LBB52_90:
	s_or_b32 exec_lo, exec_lo, s61
	v_mov_b32_e32 v25, 0
	ds_read_b128 v[25:28], v25 offset:656
	s_waitcnt lgkmcnt(0)
	v_mul_f64 v[29:30], v[3:4], v[27:28]
	v_mul_f64 v[27:28], v[1:2], v[27:28]
	v_fma_f64 v[1:2], v[1:2], v[25:26], -v[29:30]
	v_fma_f64 v[3:4], v[3:4], v[25:26], v[27:28]
	buffer_store_dword v2, off, s[0:3], 0 offset:660
	buffer_store_dword v1, off, s[0:3], 0 offset:656
	;; [unrolled: 1-line block ×4, first 2 shown]
.LBB52_91:
	s_or_b32 exec_lo, exec_lo, s8
	v_mov_b32_e32 v4, s19
	v_cmp_lt_u32_e64 s5, 40, v0
	s_clause 0x3
	buffer_load_dword v1, v4, s[0:3], 0 offen
	buffer_load_dword v2, v4, s[0:3], 0 offen offset:4
	buffer_load_dword v3, v4, s[0:3], 0 offen offset:8
	;; [unrolled: 1-line block ×3, first 2 shown]
	s_waitcnt vmcnt(0)
	ds_write_b128 v24, v[1:4]
	s_waitcnt lgkmcnt(0)
	s_waitcnt_vscnt null, 0x0
	s_barrier
	buffer_gl0_inv
	s_and_saveexec_b32 s8, s5
	s_cbranch_execz .LBB52_99
; %bb.92:
	ds_read_b128 v[1:4], v24
	s_andn2_b32 vcc_lo, exec_lo, s60
	s_cbranch_vccnz .LBB52_94
; %bb.93:
	s_clause 0x3
	buffer_load_dword v25, v23, s[0:3], 0 offen offset:8
	buffer_load_dword v26, v23, s[0:3], 0 offen offset:12
	buffer_load_dword v27, v23, s[0:3], 0 offen
	buffer_load_dword v28, v23, s[0:3], 0 offen offset:4
	s_waitcnt vmcnt(2) lgkmcnt(0)
	v_mul_f64 v[29:30], v[3:4], v[25:26]
	v_mul_f64 v[25:26], v[1:2], v[25:26]
	s_waitcnt vmcnt(0)
	v_fma_f64 v[1:2], v[1:2], v[27:28], -v[29:30]
	v_fma_f64 v[3:4], v[3:4], v[27:28], v[25:26]
.LBB52_94:
	s_and_saveexec_b32 s61, s4
	s_cbranch_execz .LBB52_98
; %bb.95:
	v_subrev_nc_u32_e32 v25, 41, v0
	s_movk_i32 s62, 0x5e0
	s_mov_b32 s4, 0
	s_mov_b32 s63, s18
	.p2align	6
.LBB52_96:                              ; =>This Inner Loop Header: Depth=1
	v_mov_b32_e32 v26, s63
	v_add_nc_u32_e32 v25, -1, v25
	s_add_i32 s63, s63, 16
	s_clause 0x3
	buffer_load_dword v30, v26, s[0:3], 0 offen offset:8
	buffer_load_dword v31, v26, s[0:3], 0 offen offset:12
	buffer_load_dword v32, v26, s[0:3], 0 offen
	buffer_load_dword v33, v26, s[0:3], 0 offen offset:4
	v_mov_b32_e32 v26, s62
	v_cmp_eq_u32_e32 vcc_lo, 0, v25
	s_add_i32 s62, s62, 16
	ds_read_b128 v[26:29], v26
	s_or_b32 s4, vcc_lo, s4
	s_waitcnt vmcnt(2) lgkmcnt(0)
	v_mul_f64 v[34:35], v[28:29], v[30:31]
	v_mul_f64 v[30:31], v[26:27], v[30:31]
	s_waitcnt vmcnt(0)
	v_fma_f64 v[26:27], v[26:27], v[32:33], -v[34:35]
	v_fma_f64 v[28:29], v[28:29], v[32:33], v[30:31]
	v_add_f64 v[1:2], v[1:2], v[26:27]
	v_add_f64 v[3:4], v[3:4], v[28:29]
	s_andn2_b32 exec_lo, exec_lo, s4
	s_cbranch_execnz .LBB52_96
; %bb.97:
	s_or_b32 exec_lo, exec_lo, s4
.LBB52_98:
	s_or_b32 exec_lo, exec_lo, s61
	v_mov_b32_e32 v25, 0
	ds_read_b128 v[25:28], v25 offset:640
	s_waitcnt lgkmcnt(0)
	v_mul_f64 v[29:30], v[3:4], v[27:28]
	v_mul_f64 v[27:28], v[1:2], v[27:28]
	v_fma_f64 v[1:2], v[1:2], v[25:26], -v[29:30]
	v_fma_f64 v[3:4], v[3:4], v[25:26], v[27:28]
	buffer_store_dword v2, off, s[0:3], 0 offset:644
	buffer_store_dword v1, off, s[0:3], 0 offset:640
	;; [unrolled: 1-line block ×4, first 2 shown]
.LBB52_99:
	s_or_b32 exec_lo, exec_lo, s8
	v_mov_b32_e32 v4, s20
	v_cmp_lt_u32_e64 s4, 39, v0
	s_clause 0x3
	buffer_load_dword v1, v4, s[0:3], 0 offen
	buffer_load_dword v2, v4, s[0:3], 0 offen offset:4
	buffer_load_dword v3, v4, s[0:3], 0 offen offset:8
	;; [unrolled: 1-line block ×3, first 2 shown]
	s_waitcnt vmcnt(0)
	ds_write_b128 v24, v[1:4]
	s_waitcnt lgkmcnt(0)
	s_waitcnt_vscnt null, 0x0
	s_barrier
	buffer_gl0_inv
	s_and_saveexec_b32 s8, s4
	s_cbranch_execz .LBB52_107
; %bb.100:
	ds_read_b128 v[1:4], v24
	s_andn2_b32 vcc_lo, exec_lo, s60
	s_cbranch_vccnz .LBB52_102
; %bb.101:
	s_clause 0x3
	buffer_load_dword v25, v23, s[0:3], 0 offen offset:8
	buffer_load_dword v26, v23, s[0:3], 0 offen offset:12
	buffer_load_dword v27, v23, s[0:3], 0 offen
	buffer_load_dword v28, v23, s[0:3], 0 offen offset:4
	s_waitcnt vmcnt(2) lgkmcnt(0)
	v_mul_f64 v[29:30], v[3:4], v[25:26]
	v_mul_f64 v[25:26], v[1:2], v[25:26]
	s_waitcnt vmcnt(0)
	v_fma_f64 v[1:2], v[1:2], v[27:28], -v[29:30]
	v_fma_f64 v[3:4], v[3:4], v[27:28], v[25:26]
.LBB52_102:
	s_and_saveexec_b32 s61, s5
	s_cbranch_execz .LBB52_106
; %bb.103:
	v_subrev_nc_u32_e32 v25, 40, v0
	s_movk_i32 s62, 0x5d0
	s_mov_b32 s5, 0
	s_mov_b32 s63, s19
	.p2align	6
.LBB52_104:                             ; =>This Inner Loop Header: Depth=1
	v_mov_b32_e32 v26, s63
	v_add_nc_u32_e32 v25, -1, v25
	s_add_i32 s63, s63, 16
	s_clause 0x3
	buffer_load_dword v30, v26, s[0:3], 0 offen offset:8
	buffer_load_dword v31, v26, s[0:3], 0 offen offset:12
	buffer_load_dword v32, v26, s[0:3], 0 offen
	buffer_load_dword v33, v26, s[0:3], 0 offen offset:4
	v_mov_b32_e32 v26, s62
	v_cmp_eq_u32_e32 vcc_lo, 0, v25
	s_add_i32 s62, s62, 16
	ds_read_b128 v[26:29], v26
	s_or_b32 s5, vcc_lo, s5
	s_waitcnt vmcnt(2) lgkmcnt(0)
	v_mul_f64 v[34:35], v[28:29], v[30:31]
	v_mul_f64 v[30:31], v[26:27], v[30:31]
	s_waitcnt vmcnt(0)
	v_fma_f64 v[26:27], v[26:27], v[32:33], -v[34:35]
	v_fma_f64 v[28:29], v[28:29], v[32:33], v[30:31]
	v_add_f64 v[1:2], v[1:2], v[26:27]
	v_add_f64 v[3:4], v[3:4], v[28:29]
	s_andn2_b32 exec_lo, exec_lo, s5
	s_cbranch_execnz .LBB52_104
; %bb.105:
	s_or_b32 exec_lo, exec_lo, s5
.LBB52_106:
	s_or_b32 exec_lo, exec_lo, s61
	v_mov_b32_e32 v25, 0
	ds_read_b128 v[25:28], v25 offset:624
	s_waitcnt lgkmcnt(0)
	v_mul_f64 v[29:30], v[3:4], v[27:28]
	v_mul_f64 v[27:28], v[1:2], v[27:28]
	v_fma_f64 v[1:2], v[1:2], v[25:26], -v[29:30]
	v_fma_f64 v[3:4], v[3:4], v[25:26], v[27:28]
	buffer_store_dword v2, off, s[0:3], 0 offset:628
	buffer_store_dword v1, off, s[0:3], 0 offset:624
	;; [unrolled: 1-line block ×4, first 2 shown]
.LBB52_107:
	s_or_b32 exec_lo, exec_lo, s8
	v_mov_b32_e32 v4, s21
	v_cmp_lt_u32_e64 s5, 38, v0
	s_clause 0x3
	buffer_load_dword v1, v4, s[0:3], 0 offen
	buffer_load_dword v2, v4, s[0:3], 0 offen offset:4
	buffer_load_dword v3, v4, s[0:3], 0 offen offset:8
	;; [unrolled: 1-line block ×3, first 2 shown]
	s_waitcnt vmcnt(0)
	ds_write_b128 v24, v[1:4]
	s_waitcnt lgkmcnt(0)
	s_waitcnt_vscnt null, 0x0
	s_barrier
	buffer_gl0_inv
	s_and_saveexec_b32 s8, s5
	s_cbranch_execz .LBB52_115
; %bb.108:
	ds_read_b128 v[1:4], v24
	s_andn2_b32 vcc_lo, exec_lo, s60
	s_cbranch_vccnz .LBB52_110
; %bb.109:
	s_clause 0x3
	buffer_load_dword v25, v23, s[0:3], 0 offen offset:8
	buffer_load_dword v26, v23, s[0:3], 0 offen offset:12
	buffer_load_dword v27, v23, s[0:3], 0 offen
	buffer_load_dword v28, v23, s[0:3], 0 offen offset:4
	s_waitcnt vmcnt(2) lgkmcnt(0)
	v_mul_f64 v[29:30], v[3:4], v[25:26]
	v_mul_f64 v[25:26], v[1:2], v[25:26]
	s_waitcnt vmcnt(0)
	v_fma_f64 v[1:2], v[1:2], v[27:28], -v[29:30]
	v_fma_f64 v[3:4], v[3:4], v[27:28], v[25:26]
.LBB52_110:
	s_and_saveexec_b32 s61, s4
	s_cbranch_execz .LBB52_114
; %bb.111:
	v_subrev_nc_u32_e32 v25, 39, v0
	s_movk_i32 s62, 0x5c0
	s_mov_b32 s4, 0
	s_mov_b32 s63, s20
	.p2align	6
.LBB52_112:                             ; =>This Inner Loop Header: Depth=1
	v_mov_b32_e32 v26, s63
	v_add_nc_u32_e32 v25, -1, v25
	s_add_i32 s63, s63, 16
	s_clause 0x3
	buffer_load_dword v30, v26, s[0:3], 0 offen offset:8
	buffer_load_dword v31, v26, s[0:3], 0 offen offset:12
	buffer_load_dword v32, v26, s[0:3], 0 offen
	buffer_load_dword v33, v26, s[0:3], 0 offen offset:4
	v_mov_b32_e32 v26, s62
	v_cmp_eq_u32_e32 vcc_lo, 0, v25
	s_add_i32 s62, s62, 16
	ds_read_b128 v[26:29], v26
	s_or_b32 s4, vcc_lo, s4
	s_waitcnt vmcnt(2) lgkmcnt(0)
	v_mul_f64 v[34:35], v[28:29], v[30:31]
	v_mul_f64 v[30:31], v[26:27], v[30:31]
	s_waitcnt vmcnt(0)
	v_fma_f64 v[26:27], v[26:27], v[32:33], -v[34:35]
	v_fma_f64 v[28:29], v[28:29], v[32:33], v[30:31]
	v_add_f64 v[1:2], v[1:2], v[26:27]
	v_add_f64 v[3:4], v[3:4], v[28:29]
	s_andn2_b32 exec_lo, exec_lo, s4
	s_cbranch_execnz .LBB52_112
; %bb.113:
	s_or_b32 exec_lo, exec_lo, s4
.LBB52_114:
	s_or_b32 exec_lo, exec_lo, s61
	v_mov_b32_e32 v25, 0
	ds_read_b128 v[25:28], v25 offset:608
	s_waitcnt lgkmcnt(0)
	v_mul_f64 v[29:30], v[3:4], v[27:28]
	v_mul_f64 v[27:28], v[1:2], v[27:28]
	v_fma_f64 v[1:2], v[1:2], v[25:26], -v[29:30]
	v_fma_f64 v[3:4], v[3:4], v[25:26], v[27:28]
	buffer_store_dword v2, off, s[0:3], 0 offset:612
	buffer_store_dword v1, off, s[0:3], 0 offset:608
	;; [unrolled: 1-line block ×4, first 2 shown]
.LBB52_115:
	s_or_b32 exec_lo, exec_lo, s8
	v_mov_b32_e32 v4, s22
	v_cmp_lt_u32_e64 s4, 37, v0
	s_clause 0x3
	buffer_load_dword v1, v4, s[0:3], 0 offen
	buffer_load_dword v2, v4, s[0:3], 0 offen offset:4
	buffer_load_dword v3, v4, s[0:3], 0 offen offset:8
	;; [unrolled: 1-line block ×3, first 2 shown]
	s_waitcnt vmcnt(0)
	ds_write_b128 v24, v[1:4]
	s_waitcnt lgkmcnt(0)
	s_waitcnt_vscnt null, 0x0
	s_barrier
	buffer_gl0_inv
	s_and_saveexec_b32 s8, s4
	s_cbranch_execz .LBB52_123
; %bb.116:
	ds_read_b128 v[1:4], v24
	s_andn2_b32 vcc_lo, exec_lo, s60
	s_cbranch_vccnz .LBB52_118
; %bb.117:
	s_clause 0x3
	buffer_load_dword v25, v23, s[0:3], 0 offen offset:8
	buffer_load_dword v26, v23, s[0:3], 0 offen offset:12
	buffer_load_dword v27, v23, s[0:3], 0 offen
	buffer_load_dword v28, v23, s[0:3], 0 offen offset:4
	s_waitcnt vmcnt(2) lgkmcnt(0)
	v_mul_f64 v[29:30], v[3:4], v[25:26]
	v_mul_f64 v[25:26], v[1:2], v[25:26]
	s_waitcnt vmcnt(0)
	v_fma_f64 v[1:2], v[1:2], v[27:28], -v[29:30]
	v_fma_f64 v[3:4], v[3:4], v[27:28], v[25:26]
.LBB52_118:
	s_and_saveexec_b32 s61, s5
	s_cbranch_execz .LBB52_122
; %bb.119:
	v_subrev_nc_u32_e32 v25, 38, v0
	s_movk_i32 s62, 0x5b0
	s_mov_b32 s5, 0
	s_mov_b32 s63, s21
	.p2align	6
.LBB52_120:                             ; =>This Inner Loop Header: Depth=1
	v_mov_b32_e32 v26, s63
	v_add_nc_u32_e32 v25, -1, v25
	s_add_i32 s63, s63, 16
	s_clause 0x3
	buffer_load_dword v30, v26, s[0:3], 0 offen offset:8
	buffer_load_dword v31, v26, s[0:3], 0 offen offset:12
	buffer_load_dword v32, v26, s[0:3], 0 offen
	buffer_load_dword v33, v26, s[0:3], 0 offen offset:4
	v_mov_b32_e32 v26, s62
	v_cmp_eq_u32_e32 vcc_lo, 0, v25
	s_add_i32 s62, s62, 16
	ds_read_b128 v[26:29], v26
	s_or_b32 s5, vcc_lo, s5
	s_waitcnt vmcnt(2) lgkmcnt(0)
	v_mul_f64 v[34:35], v[28:29], v[30:31]
	v_mul_f64 v[30:31], v[26:27], v[30:31]
	s_waitcnt vmcnt(0)
	v_fma_f64 v[26:27], v[26:27], v[32:33], -v[34:35]
	v_fma_f64 v[28:29], v[28:29], v[32:33], v[30:31]
	v_add_f64 v[1:2], v[1:2], v[26:27]
	v_add_f64 v[3:4], v[3:4], v[28:29]
	s_andn2_b32 exec_lo, exec_lo, s5
	s_cbranch_execnz .LBB52_120
; %bb.121:
	s_or_b32 exec_lo, exec_lo, s5
.LBB52_122:
	s_or_b32 exec_lo, exec_lo, s61
	v_mov_b32_e32 v25, 0
	ds_read_b128 v[25:28], v25 offset:592
	s_waitcnt lgkmcnt(0)
	v_mul_f64 v[29:30], v[3:4], v[27:28]
	v_mul_f64 v[27:28], v[1:2], v[27:28]
	v_fma_f64 v[1:2], v[1:2], v[25:26], -v[29:30]
	v_fma_f64 v[3:4], v[3:4], v[25:26], v[27:28]
	buffer_store_dword v2, off, s[0:3], 0 offset:596
	buffer_store_dword v1, off, s[0:3], 0 offset:592
	;; [unrolled: 1-line block ×4, first 2 shown]
.LBB52_123:
	s_or_b32 exec_lo, exec_lo, s8
	v_mov_b32_e32 v4, s23
	v_cmp_lt_u32_e64 s5, 36, v0
	s_clause 0x3
	buffer_load_dword v1, v4, s[0:3], 0 offen
	buffer_load_dword v2, v4, s[0:3], 0 offen offset:4
	buffer_load_dword v3, v4, s[0:3], 0 offen offset:8
	;; [unrolled: 1-line block ×3, first 2 shown]
	s_waitcnt vmcnt(0)
	ds_write_b128 v24, v[1:4]
	s_waitcnt lgkmcnt(0)
	s_waitcnt_vscnt null, 0x0
	s_barrier
	buffer_gl0_inv
	s_and_saveexec_b32 s8, s5
	s_cbranch_execz .LBB52_131
; %bb.124:
	ds_read_b128 v[1:4], v24
	s_andn2_b32 vcc_lo, exec_lo, s60
	s_cbranch_vccnz .LBB52_126
; %bb.125:
	s_clause 0x3
	buffer_load_dword v25, v23, s[0:3], 0 offen offset:8
	buffer_load_dword v26, v23, s[0:3], 0 offen offset:12
	buffer_load_dword v27, v23, s[0:3], 0 offen
	buffer_load_dword v28, v23, s[0:3], 0 offen offset:4
	s_waitcnt vmcnt(2) lgkmcnt(0)
	v_mul_f64 v[29:30], v[3:4], v[25:26]
	v_mul_f64 v[25:26], v[1:2], v[25:26]
	s_waitcnt vmcnt(0)
	v_fma_f64 v[1:2], v[1:2], v[27:28], -v[29:30]
	v_fma_f64 v[3:4], v[3:4], v[27:28], v[25:26]
.LBB52_126:
	s_and_saveexec_b32 s61, s4
	s_cbranch_execz .LBB52_130
; %bb.127:
	v_subrev_nc_u32_e32 v25, 37, v0
	s_movk_i32 s62, 0x5a0
	s_mov_b32 s4, 0
	s_mov_b32 s63, s22
	.p2align	6
.LBB52_128:                             ; =>This Inner Loop Header: Depth=1
	v_mov_b32_e32 v26, s63
	v_add_nc_u32_e32 v25, -1, v25
	s_add_i32 s63, s63, 16
	s_clause 0x3
	buffer_load_dword v30, v26, s[0:3], 0 offen offset:8
	buffer_load_dword v31, v26, s[0:3], 0 offen offset:12
	buffer_load_dword v32, v26, s[0:3], 0 offen
	buffer_load_dword v33, v26, s[0:3], 0 offen offset:4
	v_mov_b32_e32 v26, s62
	v_cmp_eq_u32_e32 vcc_lo, 0, v25
	s_add_i32 s62, s62, 16
	ds_read_b128 v[26:29], v26
	s_or_b32 s4, vcc_lo, s4
	s_waitcnt vmcnt(2) lgkmcnt(0)
	v_mul_f64 v[34:35], v[28:29], v[30:31]
	v_mul_f64 v[30:31], v[26:27], v[30:31]
	s_waitcnt vmcnt(0)
	v_fma_f64 v[26:27], v[26:27], v[32:33], -v[34:35]
	v_fma_f64 v[28:29], v[28:29], v[32:33], v[30:31]
	v_add_f64 v[1:2], v[1:2], v[26:27]
	v_add_f64 v[3:4], v[3:4], v[28:29]
	s_andn2_b32 exec_lo, exec_lo, s4
	s_cbranch_execnz .LBB52_128
; %bb.129:
	s_or_b32 exec_lo, exec_lo, s4
.LBB52_130:
	s_or_b32 exec_lo, exec_lo, s61
	v_mov_b32_e32 v25, 0
	ds_read_b128 v[25:28], v25 offset:576
	s_waitcnt lgkmcnt(0)
	v_mul_f64 v[29:30], v[3:4], v[27:28]
	v_mul_f64 v[27:28], v[1:2], v[27:28]
	v_fma_f64 v[1:2], v[1:2], v[25:26], -v[29:30]
	v_fma_f64 v[3:4], v[3:4], v[25:26], v[27:28]
	buffer_store_dword v2, off, s[0:3], 0 offset:580
	buffer_store_dword v1, off, s[0:3], 0 offset:576
	;; [unrolled: 1-line block ×4, first 2 shown]
.LBB52_131:
	s_or_b32 exec_lo, exec_lo, s8
	v_mov_b32_e32 v4, s24
	v_cmp_lt_u32_e64 s4, 35, v0
	s_clause 0x3
	buffer_load_dword v1, v4, s[0:3], 0 offen
	buffer_load_dword v2, v4, s[0:3], 0 offen offset:4
	buffer_load_dword v3, v4, s[0:3], 0 offen offset:8
	;; [unrolled: 1-line block ×3, first 2 shown]
	s_waitcnt vmcnt(0)
	ds_write_b128 v24, v[1:4]
	s_waitcnt lgkmcnt(0)
	s_waitcnt_vscnt null, 0x0
	s_barrier
	buffer_gl0_inv
	s_and_saveexec_b32 s8, s4
	s_cbranch_execz .LBB52_139
; %bb.132:
	ds_read_b128 v[1:4], v24
	s_andn2_b32 vcc_lo, exec_lo, s60
	s_cbranch_vccnz .LBB52_134
; %bb.133:
	s_clause 0x3
	buffer_load_dword v25, v23, s[0:3], 0 offen offset:8
	buffer_load_dword v26, v23, s[0:3], 0 offen offset:12
	buffer_load_dword v27, v23, s[0:3], 0 offen
	buffer_load_dword v28, v23, s[0:3], 0 offen offset:4
	s_waitcnt vmcnt(2) lgkmcnt(0)
	v_mul_f64 v[29:30], v[3:4], v[25:26]
	v_mul_f64 v[25:26], v[1:2], v[25:26]
	s_waitcnt vmcnt(0)
	v_fma_f64 v[1:2], v[1:2], v[27:28], -v[29:30]
	v_fma_f64 v[3:4], v[3:4], v[27:28], v[25:26]
.LBB52_134:
	s_and_saveexec_b32 s61, s5
	s_cbranch_execz .LBB52_138
; %bb.135:
	v_subrev_nc_u32_e32 v25, 36, v0
	s_movk_i32 s62, 0x590
	s_mov_b32 s5, 0
	s_mov_b32 s63, s23
	.p2align	6
.LBB52_136:                             ; =>This Inner Loop Header: Depth=1
	v_mov_b32_e32 v26, s63
	v_add_nc_u32_e32 v25, -1, v25
	s_add_i32 s63, s63, 16
	s_clause 0x3
	buffer_load_dword v30, v26, s[0:3], 0 offen offset:8
	buffer_load_dword v31, v26, s[0:3], 0 offen offset:12
	buffer_load_dword v32, v26, s[0:3], 0 offen
	buffer_load_dword v33, v26, s[0:3], 0 offen offset:4
	v_mov_b32_e32 v26, s62
	v_cmp_eq_u32_e32 vcc_lo, 0, v25
	s_add_i32 s62, s62, 16
	ds_read_b128 v[26:29], v26
	s_or_b32 s5, vcc_lo, s5
	s_waitcnt vmcnt(2) lgkmcnt(0)
	v_mul_f64 v[34:35], v[28:29], v[30:31]
	v_mul_f64 v[30:31], v[26:27], v[30:31]
	s_waitcnt vmcnt(0)
	v_fma_f64 v[26:27], v[26:27], v[32:33], -v[34:35]
	v_fma_f64 v[28:29], v[28:29], v[32:33], v[30:31]
	v_add_f64 v[1:2], v[1:2], v[26:27]
	v_add_f64 v[3:4], v[3:4], v[28:29]
	s_andn2_b32 exec_lo, exec_lo, s5
	s_cbranch_execnz .LBB52_136
; %bb.137:
	s_or_b32 exec_lo, exec_lo, s5
.LBB52_138:
	s_or_b32 exec_lo, exec_lo, s61
	v_mov_b32_e32 v25, 0
	ds_read_b128 v[25:28], v25 offset:560
	s_waitcnt lgkmcnt(0)
	v_mul_f64 v[29:30], v[3:4], v[27:28]
	v_mul_f64 v[27:28], v[1:2], v[27:28]
	v_fma_f64 v[1:2], v[1:2], v[25:26], -v[29:30]
	v_fma_f64 v[3:4], v[3:4], v[25:26], v[27:28]
	buffer_store_dword v2, off, s[0:3], 0 offset:564
	buffer_store_dword v1, off, s[0:3], 0 offset:560
	;; [unrolled: 1-line block ×4, first 2 shown]
.LBB52_139:
	s_or_b32 exec_lo, exec_lo, s8
	v_mov_b32_e32 v4, s25
	v_cmp_lt_u32_e64 s5, 34, v0
	s_clause 0x3
	buffer_load_dword v1, v4, s[0:3], 0 offen
	buffer_load_dword v2, v4, s[0:3], 0 offen offset:4
	buffer_load_dword v3, v4, s[0:3], 0 offen offset:8
	;; [unrolled: 1-line block ×3, first 2 shown]
	s_waitcnt vmcnt(0)
	ds_write_b128 v24, v[1:4]
	s_waitcnt lgkmcnt(0)
	s_waitcnt_vscnt null, 0x0
	s_barrier
	buffer_gl0_inv
	s_and_saveexec_b32 s8, s5
	s_cbranch_execz .LBB52_147
; %bb.140:
	ds_read_b128 v[1:4], v24
	s_andn2_b32 vcc_lo, exec_lo, s60
	s_cbranch_vccnz .LBB52_142
; %bb.141:
	s_clause 0x3
	buffer_load_dword v25, v23, s[0:3], 0 offen offset:8
	buffer_load_dword v26, v23, s[0:3], 0 offen offset:12
	buffer_load_dword v27, v23, s[0:3], 0 offen
	buffer_load_dword v28, v23, s[0:3], 0 offen offset:4
	s_waitcnt vmcnt(2) lgkmcnt(0)
	v_mul_f64 v[29:30], v[3:4], v[25:26]
	v_mul_f64 v[25:26], v[1:2], v[25:26]
	s_waitcnt vmcnt(0)
	v_fma_f64 v[1:2], v[1:2], v[27:28], -v[29:30]
	v_fma_f64 v[3:4], v[3:4], v[27:28], v[25:26]
.LBB52_142:
	s_and_saveexec_b32 s61, s4
	s_cbranch_execz .LBB52_146
; %bb.143:
	v_subrev_nc_u32_e32 v25, 35, v0
	s_movk_i32 s62, 0x580
	s_mov_b32 s4, 0
	s_mov_b32 s63, s24
	.p2align	6
.LBB52_144:                             ; =>This Inner Loop Header: Depth=1
	v_mov_b32_e32 v26, s63
	v_add_nc_u32_e32 v25, -1, v25
	s_add_i32 s63, s63, 16
	s_clause 0x3
	buffer_load_dword v30, v26, s[0:3], 0 offen offset:8
	buffer_load_dword v31, v26, s[0:3], 0 offen offset:12
	buffer_load_dword v32, v26, s[0:3], 0 offen
	buffer_load_dword v33, v26, s[0:3], 0 offen offset:4
	v_mov_b32_e32 v26, s62
	v_cmp_eq_u32_e32 vcc_lo, 0, v25
	s_add_i32 s62, s62, 16
	ds_read_b128 v[26:29], v26
	s_or_b32 s4, vcc_lo, s4
	s_waitcnt vmcnt(2) lgkmcnt(0)
	v_mul_f64 v[34:35], v[28:29], v[30:31]
	v_mul_f64 v[30:31], v[26:27], v[30:31]
	s_waitcnt vmcnt(0)
	v_fma_f64 v[26:27], v[26:27], v[32:33], -v[34:35]
	v_fma_f64 v[28:29], v[28:29], v[32:33], v[30:31]
	v_add_f64 v[1:2], v[1:2], v[26:27]
	v_add_f64 v[3:4], v[3:4], v[28:29]
	s_andn2_b32 exec_lo, exec_lo, s4
	s_cbranch_execnz .LBB52_144
; %bb.145:
	s_or_b32 exec_lo, exec_lo, s4
.LBB52_146:
	s_or_b32 exec_lo, exec_lo, s61
	v_mov_b32_e32 v25, 0
	ds_read_b128 v[25:28], v25 offset:544
	s_waitcnt lgkmcnt(0)
	v_mul_f64 v[29:30], v[3:4], v[27:28]
	v_mul_f64 v[27:28], v[1:2], v[27:28]
	v_fma_f64 v[1:2], v[1:2], v[25:26], -v[29:30]
	v_fma_f64 v[3:4], v[3:4], v[25:26], v[27:28]
	buffer_store_dword v2, off, s[0:3], 0 offset:548
	buffer_store_dword v1, off, s[0:3], 0 offset:544
	;; [unrolled: 1-line block ×4, first 2 shown]
.LBB52_147:
	s_or_b32 exec_lo, exec_lo, s8
	v_mov_b32_e32 v4, s26
	v_cmp_lt_u32_e64 s4, 33, v0
	s_clause 0x3
	buffer_load_dword v1, v4, s[0:3], 0 offen
	buffer_load_dword v2, v4, s[0:3], 0 offen offset:4
	buffer_load_dword v3, v4, s[0:3], 0 offen offset:8
	;; [unrolled: 1-line block ×3, first 2 shown]
	s_waitcnt vmcnt(0)
	ds_write_b128 v24, v[1:4]
	s_waitcnt lgkmcnt(0)
	s_waitcnt_vscnt null, 0x0
	s_barrier
	buffer_gl0_inv
	s_and_saveexec_b32 s8, s4
	s_cbranch_execz .LBB52_155
; %bb.148:
	ds_read_b128 v[1:4], v24
	s_andn2_b32 vcc_lo, exec_lo, s60
	s_cbranch_vccnz .LBB52_150
; %bb.149:
	s_clause 0x3
	buffer_load_dword v25, v23, s[0:3], 0 offen offset:8
	buffer_load_dword v26, v23, s[0:3], 0 offen offset:12
	buffer_load_dword v27, v23, s[0:3], 0 offen
	buffer_load_dword v28, v23, s[0:3], 0 offen offset:4
	s_waitcnt vmcnt(2) lgkmcnt(0)
	v_mul_f64 v[29:30], v[3:4], v[25:26]
	v_mul_f64 v[25:26], v[1:2], v[25:26]
	s_waitcnt vmcnt(0)
	v_fma_f64 v[1:2], v[1:2], v[27:28], -v[29:30]
	v_fma_f64 v[3:4], v[3:4], v[27:28], v[25:26]
.LBB52_150:
	s_and_saveexec_b32 s61, s5
	s_cbranch_execz .LBB52_154
; %bb.151:
	v_subrev_nc_u32_e32 v25, 34, v0
	s_movk_i32 s62, 0x570
	s_mov_b32 s5, 0
	s_mov_b32 s63, s25
	.p2align	6
.LBB52_152:                             ; =>This Inner Loop Header: Depth=1
	v_mov_b32_e32 v26, s63
	v_add_nc_u32_e32 v25, -1, v25
	s_add_i32 s63, s63, 16
	s_clause 0x3
	buffer_load_dword v30, v26, s[0:3], 0 offen offset:8
	buffer_load_dword v31, v26, s[0:3], 0 offen offset:12
	buffer_load_dword v32, v26, s[0:3], 0 offen
	buffer_load_dword v33, v26, s[0:3], 0 offen offset:4
	v_mov_b32_e32 v26, s62
	v_cmp_eq_u32_e32 vcc_lo, 0, v25
	s_add_i32 s62, s62, 16
	ds_read_b128 v[26:29], v26
	s_or_b32 s5, vcc_lo, s5
	s_waitcnt vmcnt(2) lgkmcnt(0)
	v_mul_f64 v[34:35], v[28:29], v[30:31]
	v_mul_f64 v[30:31], v[26:27], v[30:31]
	s_waitcnt vmcnt(0)
	v_fma_f64 v[26:27], v[26:27], v[32:33], -v[34:35]
	v_fma_f64 v[28:29], v[28:29], v[32:33], v[30:31]
	v_add_f64 v[1:2], v[1:2], v[26:27]
	v_add_f64 v[3:4], v[3:4], v[28:29]
	s_andn2_b32 exec_lo, exec_lo, s5
	s_cbranch_execnz .LBB52_152
; %bb.153:
	s_or_b32 exec_lo, exec_lo, s5
.LBB52_154:
	s_or_b32 exec_lo, exec_lo, s61
	v_mov_b32_e32 v25, 0
	ds_read_b128 v[25:28], v25 offset:528
	s_waitcnt lgkmcnt(0)
	v_mul_f64 v[29:30], v[3:4], v[27:28]
	v_mul_f64 v[27:28], v[1:2], v[27:28]
	v_fma_f64 v[1:2], v[1:2], v[25:26], -v[29:30]
	v_fma_f64 v[3:4], v[3:4], v[25:26], v[27:28]
	buffer_store_dword v2, off, s[0:3], 0 offset:532
	buffer_store_dword v1, off, s[0:3], 0 offset:528
	;; [unrolled: 1-line block ×4, first 2 shown]
.LBB52_155:
	s_or_b32 exec_lo, exec_lo, s8
	v_mov_b32_e32 v4, s27
	v_cmp_lt_u32_e64 s5, 32, v0
	s_clause 0x3
	buffer_load_dword v1, v4, s[0:3], 0 offen
	buffer_load_dword v2, v4, s[0:3], 0 offen offset:4
	buffer_load_dword v3, v4, s[0:3], 0 offen offset:8
	;; [unrolled: 1-line block ×3, first 2 shown]
	s_waitcnt vmcnt(0)
	ds_write_b128 v24, v[1:4]
	s_waitcnt lgkmcnt(0)
	s_waitcnt_vscnt null, 0x0
	s_barrier
	buffer_gl0_inv
	s_and_saveexec_b32 s8, s5
	s_cbranch_execz .LBB52_163
; %bb.156:
	ds_read_b128 v[1:4], v24
	s_andn2_b32 vcc_lo, exec_lo, s60
	s_cbranch_vccnz .LBB52_158
; %bb.157:
	s_clause 0x3
	buffer_load_dword v25, v23, s[0:3], 0 offen offset:8
	buffer_load_dword v26, v23, s[0:3], 0 offen offset:12
	buffer_load_dword v27, v23, s[0:3], 0 offen
	buffer_load_dword v28, v23, s[0:3], 0 offen offset:4
	s_waitcnt vmcnt(2) lgkmcnt(0)
	v_mul_f64 v[29:30], v[3:4], v[25:26]
	v_mul_f64 v[25:26], v[1:2], v[25:26]
	s_waitcnt vmcnt(0)
	v_fma_f64 v[1:2], v[1:2], v[27:28], -v[29:30]
	v_fma_f64 v[3:4], v[3:4], v[27:28], v[25:26]
.LBB52_158:
	s_and_saveexec_b32 s61, s4
	s_cbranch_execz .LBB52_162
; %bb.159:
	v_subrev_nc_u32_e32 v25, 33, v0
	s_movk_i32 s62, 0x560
	s_mov_b32 s4, 0
	s_mov_b32 s63, s26
	.p2align	6
.LBB52_160:                             ; =>This Inner Loop Header: Depth=1
	v_mov_b32_e32 v26, s63
	v_add_nc_u32_e32 v25, -1, v25
	s_add_i32 s63, s63, 16
	s_clause 0x3
	buffer_load_dword v30, v26, s[0:3], 0 offen offset:8
	buffer_load_dword v31, v26, s[0:3], 0 offen offset:12
	buffer_load_dword v32, v26, s[0:3], 0 offen
	buffer_load_dword v33, v26, s[0:3], 0 offen offset:4
	v_mov_b32_e32 v26, s62
	v_cmp_eq_u32_e32 vcc_lo, 0, v25
	s_add_i32 s62, s62, 16
	ds_read_b128 v[26:29], v26
	s_or_b32 s4, vcc_lo, s4
	s_waitcnt vmcnt(2) lgkmcnt(0)
	v_mul_f64 v[34:35], v[28:29], v[30:31]
	v_mul_f64 v[30:31], v[26:27], v[30:31]
	s_waitcnt vmcnt(0)
	v_fma_f64 v[26:27], v[26:27], v[32:33], -v[34:35]
	v_fma_f64 v[28:29], v[28:29], v[32:33], v[30:31]
	v_add_f64 v[1:2], v[1:2], v[26:27]
	v_add_f64 v[3:4], v[3:4], v[28:29]
	s_andn2_b32 exec_lo, exec_lo, s4
	s_cbranch_execnz .LBB52_160
; %bb.161:
	s_or_b32 exec_lo, exec_lo, s4
.LBB52_162:
	s_or_b32 exec_lo, exec_lo, s61
	v_mov_b32_e32 v25, 0
	ds_read_b128 v[25:28], v25 offset:512
	s_waitcnt lgkmcnt(0)
	v_mul_f64 v[29:30], v[3:4], v[27:28]
	v_mul_f64 v[27:28], v[1:2], v[27:28]
	v_fma_f64 v[1:2], v[1:2], v[25:26], -v[29:30]
	v_fma_f64 v[3:4], v[3:4], v[25:26], v[27:28]
	buffer_store_dword v2, off, s[0:3], 0 offset:516
	buffer_store_dword v1, off, s[0:3], 0 offset:512
	;; [unrolled: 1-line block ×4, first 2 shown]
.LBB52_163:
	s_or_b32 exec_lo, exec_lo, s8
	v_mov_b32_e32 v4, s28
	v_cmp_lt_u32_e64 s4, 31, v0
	s_clause 0x3
	buffer_load_dword v1, v4, s[0:3], 0 offen
	buffer_load_dword v2, v4, s[0:3], 0 offen offset:4
	buffer_load_dword v3, v4, s[0:3], 0 offen offset:8
	;; [unrolled: 1-line block ×3, first 2 shown]
	s_waitcnt vmcnt(0)
	ds_write_b128 v24, v[1:4]
	s_waitcnt lgkmcnt(0)
	s_waitcnt_vscnt null, 0x0
	s_barrier
	buffer_gl0_inv
	s_and_saveexec_b32 s8, s4
	s_cbranch_execz .LBB52_171
; %bb.164:
	ds_read_b128 v[1:4], v24
	s_andn2_b32 vcc_lo, exec_lo, s60
	s_cbranch_vccnz .LBB52_166
; %bb.165:
	s_clause 0x3
	buffer_load_dword v25, v23, s[0:3], 0 offen offset:8
	buffer_load_dword v26, v23, s[0:3], 0 offen offset:12
	buffer_load_dword v27, v23, s[0:3], 0 offen
	buffer_load_dword v28, v23, s[0:3], 0 offen offset:4
	s_waitcnt vmcnt(2) lgkmcnt(0)
	v_mul_f64 v[29:30], v[3:4], v[25:26]
	v_mul_f64 v[25:26], v[1:2], v[25:26]
	s_waitcnt vmcnt(0)
	v_fma_f64 v[1:2], v[1:2], v[27:28], -v[29:30]
	v_fma_f64 v[3:4], v[3:4], v[27:28], v[25:26]
.LBB52_166:
	s_and_saveexec_b32 s61, s5
	s_cbranch_execz .LBB52_170
; %bb.167:
	v_subrev_nc_u32_e32 v25, 32, v0
	s_movk_i32 s62, 0x550
	s_mov_b32 s5, 0
	s_mov_b32 s63, s27
	.p2align	6
.LBB52_168:                             ; =>This Inner Loop Header: Depth=1
	v_mov_b32_e32 v26, s63
	v_add_nc_u32_e32 v25, -1, v25
	s_add_i32 s63, s63, 16
	s_clause 0x3
	buffer_load_dword v30, v26, s[0:3], 0 offen offset:8
	buffer_load_dword v31, v26, s[0:3], 0 offen offset:12
	buffer_load_dword v32, v26, s[0:3], 0 offen
	buffer_load_dword v33, v26, s[0:3], 0 offen offset:4
	v_mov_b32_e32 v26, s62
	v_cmp_eq_u32_e32 vcc_lo, 0, v25
	s_add_i32 s62, s62, 16
	ds_read_b128 v[26:29], v26
	s_or_b32 s5, vcc_lo, s5
	s_waitcnt vmcnt(2) lgkmcnt(0)
	v_mul_f64 v[34:35], v[28:29], v[30:31]
	v_mul_f64 v[30:31], v[26:27], v[30:31]
	s_waitcnt vmcnt(0)
	v_fma_f64 v[26:27], v[26:27], v[32:33], -v[34:35]
	v_fma_f64 v[28:29], v[28:29], v[32:33], v[30:31]
	v_add_f64 v[1:2], v[1:2], v[26:27]
	v_add_f64 v[3:4], v[3:4], v[28:29]
	s_andn2_b32 exec_lo, exec_lo, s5
	s_cbranch_execnz .LBB52_168
; %bb.169:
	s_or_b32 exec_lo, exec_lo, s5
.LBB52_170:
	s_or_b32 exec_lo, exec_lo, s61
	v_mov_b32_e32 v25, 0
	ds_read_b128 v[25:28], v25 offset:496
	s_waitcnt lgkmcnt(0)
	v_mul_f64 v[29:30], v[3:4], v[27:28]
	v_mul_f64 v[27:28], v[1:2], v[27:28]
	v_fma_f64 v[1:2], v[1:2], v[25:26], -v[29:30]
	v_fma_f64 v[3:4], v[3:4], v[25:26], v[27:28]
	buffer_store_dword v2, off, s[0:3], 0 offset:500
	buffer_store_dword v1, off, s[0:3], 0 offset:496
	;; [unrolled: 1-line block ×4, first 2 shown]
.LBB52_171:
	s_or_b32 exec_lo, exec_lo, s8
	v_mov_b32_e32 v4, s29
	v_cmp_lt_u32_e64 s5, 30, v0
	s_clause 0x3
	buffer_load_dword v1, v4, s[0:3], 0 offen
	buffer_load_dword v2, v4, s[0:3], 0 offen offset:4
	buffer_load_dword v3, v4, s[0:3], 0 offen offset:8
	;; [unrolled: 1-line block ×3, first 2 shown]
	s_waitcnt vmcnt(0)
	ds_write_b128 v24, v[1:4]
	s_waitcnt lgkmcnt(0)
	s_waitcnt_vscnt null, 0x0
	s_barrier
	buffer_gl0_inv
	s_and_saveexec_b32 s8, s5
	s_cbranch_execz .LBB52_179
; %bb.172:
	ds_read_b128 v[1:4], v24
	s_andn2_b32 vcc_lo, exec_lo, s60
	s_cbranch_vccnz .LBB52_174
; %bb.173:
	s_clause 0x3
	buffer_load_dword v25, v23, s[0:3], 0 offen offset:8
	buffer_load_dword v26, v23, s[0:3], 0 offen offset:12
	buffer_load_dword v27, v23, s[0:3], 0 offen
	buffer_load_dword v28, v23, s[0:3], 0 offen offset:4
	s_waitcnt vmcnt(2) lgkmcnt(0)
	v_mul_f64 v[29:30], v[3:4], v[25:26]
	v_mul_f64 v[25:26], v[1:2], v[25:26]
	s_waitcnt vmcnt(0)
	v_fma_f64 v[1:2], v[1:2], v[27:28], -v[29:30]
	v_fma_f64 v[3:4], v[3:4], v[27:28], v[25:26]
.LBB52_174:
	s_and_saveexec_b32 s61, s4
	s_cbranch_execz .LBB52_178
; %bb.175:
	v_subrev_nc_u32_e32 v25, 31, v0
	s_movk_i32 s62, 0x540
	s_mov_b32 s4, 0
	s_mov_b32 s63, s28
	.p2align	6
.LBB52_176:                             ; =>This Inner Loop Header: Depth=1
	v_mov_b32_e32 v26, s63
	v_add_nc_u32_e32 v25, -1, v25
	s_add_i32 s63, s63, 16
	s_clause 0x3
	buffer_load_dword v30, v26, s[0:3], 0 offen offset:8
	buffer_load_dword v31, v26, s[0:3], 0 offen offset:12
	buffer_load_dword v32, v26, s[0:3], 0 offen
	buffer_load_dword v33, v26, s[0:3], 0 offen offset:4
	v_mov_b32_e32 v26, s62
	v_cmp_eq_u32_e32 vcc_lo, 0, v25
	s_add_i32 s62, s62, 16
	ds_read_b128 v[26:29], v26
	s_or_b32 s4, vcc_lo, s4
	s_waitcnt vmcnt(2) lgkmcnt(0)
	v_mul_f64 v[34:35], v[28:29], v[30:31]
	v_mul_f64 v[30:31], v[26:27], v[30:31]
	s_waitcnt vmcnt(0)
	v_fma_f64 v[26:27], v[26:27], v[32:33], -v[34:35]
	v_fma_f64 v[28:29], v[28:29], v[32:33], v[30:31]
	v_add_f64 v[1:2], v[1:2], v[26:27]
	v_add_f64 v[3:4], v[3:4], v[28:29]
	s_andn2_b32 exec_lo, exec_lo, s4
	s_cbranch_execnz .LBB52_176
; %bb.177:
	s_or_b32 exec_lo, exec_lo, s4
.LBB52_178:
	s_or_b32 exec_lo, exec_lo, s61
	v_mov_b32_e32 v25, 0
	ds_read_b128 v[25:28], v25 offset:480
	s_waitcnt lgkmcnt(0)
	v_mul_f64 v[29:30], v[3:4], v[27:28]
	v_mul_f64 v[27:28], v[1:2], v[27:28]
	v_fma_f64 v[1:2], v[1:2], v[25:26], -v[29:30]
	v_fma_f64 v[3:4], v[3:4], v[25:26], v[27:28]
	buffer_store_dword v2, off, s[0:3], 0 offset:484
	buffer_store_dword v1, off, s[0:3], 0 offset:480
	;; [unrolled: 1-line block ×4, first 2 shown]
.LBB52_179:
	s_or_b32 exec_lo, exec_lo, s8
	v_mov_b32_e32 v4, s30
	v_cmp_lt_u32_e64 s4, 29, v0
	s_clause 0x3
	buffer_load_dword v1, v4, s[0:3], 0 offen
	buffer_load_dword v2, v4, s[0:3], 0 offen offset:4
	buffer_load_dword v3, v4, s[0:3], 0 offen offset:8
	;; [unrolled: 1-line block ×3, first 2 shown]
	s_waitcnt vmcnt(0)
	ds_write_b128 v24, v[1:4]
	s_waitcnt lgkmcnt(0)
	s_waitcnt_vscnt null, 0x0
	s_barrier
	buffer_gl0_inv
	s_and_saveexec_b32 s8, s4
	s_cbranch_execz .LBB52_187
; %bb.180:
	ds_read_b128 v[1:4], v24
	s_andn2_b32 vcc_lo, exec_lo, s60
	s_cbranch_vccnz .LBB52_182
; %bb.181:
	s_clause 0x3
	buffer_load_dword v25, v23, s[0:3], 0 offen offset:8
	buffer_load_dword v26, v23, s[0:3], 0 offen offset:12
	buffer_load_dword v27, v23, s[0:3], 0 offen
	buffer_load_dword v28, v23, s[0:3], 0 offen offset:4
	s_waitcnt vmcnt(2) lgkmcnt(0)
	v_mul_f64 v[29:30], v[3:4], v[25:26]
	v_mul_f64 v[25:26], v[1:2], v[25:26]
	s_waitcnt vmcnt(0)
	v_fma_f64 v[1:2], v[1:2], v[27:28], -v[29:30]
	v_fma_f64 v[3:4], v[3:4], v[27:28], v[25:26]
.LBB52_182:
	s_and_saveexec_b32 s61, s5
	s_cbranch_execz .LBB52_186
; %bb.183:
	v_subrev_nc_u32_e32 v25, 30, v0
	s_movk_i32 s62, 0x530
	s_mov_b32 s5, 0
	s_mov_b32 s63, s29
	.p2align	6
.LBB52_184:                             ; =>This Inner Loop Header: Depth=1
	v_mov_b32_e32 v26, s63
	v_add_nc_u32_e32 v25, -1, v25
	s_add_i32 s63, s63, 16
	s_clause 0x3
	buffer_load_dword v30, v26, s[0:3], 0 offen offset:8
	buffer_load_dword v31, v26, s[0:3], 0 offen offset:12
	buffer_load_dword v32, v26, s[0:3], 0 offen
	buffer_load_dword v33, v26, s[0:3], 0 offen offset:4
	v_mov_b32_e32 v26, s62
	v_cmp_eq_u32_e32 vcc_lo, 0, v25
	s_add_i32 s62, s62, 16
	ds_read_b128 v[26:29], v26
	s_or_b32 s5, vcc_lo, s5
	s_waitcnt vmcnt(2) lgkmcnt(0)
	v_mul_f64 v[34:35], v[28:29], v[30:31]
	v_mul_f64 v[30:31], v[26:27], v[30:31]
	s_waitcnt vmcnt(0)
	v_fma_f64 v[26:27], v[26:27], v[32:33], -v[34:35]
	v_fma_f64 v[28:29], v[28:29], v[32:33], v[30:31]
	v_add_f64 v[1:2], v[1:2], v[26:27]
	v_add_f64 v[3:4], v[3:4], v[28:29]
	s_andn2_b32 exec_lo, exec_lo, s5
	s_cbranch_execnz .LBB52_184
; %bb.185:
	s_or_b32 exec_lo, exec_lo, s5
.LBB52_186:
	s_or_b32 exec_lo, exec_lo, s61
	v_mov_b32_e32 v25, 0
	ds_read_b128 v[25:28], v25 offset:464
	s_waitcnt lgkmcnt(0)
	v_mul_f64 v[29:30], v[3:4], v[27:28]
	v_mul_f64 v[27:28], v[1:2], v[27:28]
	v_fma_f64 v[1:2], v[1:2], v[25:26], -v[29:30]
	v_fma_f64 v[3:4], v[3:4], v[25:26], v[27:28]
	buffer_store_dword v2, off, s[0:3], 0 offset:468
	buffer_store_dword v1, off, s[0:3], 0 offset:464
	;; [unrolled: 1-line block ×4, first 2 shown]
.LBB52_187:
	s_or_b32 exec_lo, exec_lo, s8
	v_mov_b32_e32 v4, s31
	v_cmp_lt_u32_e64 s5, 28, v0
	s_clause 0x3
	buffer_load_dword v1, v4, s[0:3], 0 offen
	buffer_load_dword v2, v4, s[0:3], 0 offen offset:4
	buffer_load_dword v3, v4, s[0:3], 0 offen offset:8
	;; [unrolled: 1-line block ×3, first 2 shown]
	s_waitcnt vmcnt(0)
	ds_write_b128 v24, v[1:4]
	s_waitcnt lgkmcnt(0)
	s_waitcnt_vscnt null, 0x0
	s_barrier
	buffer_gl0_inv
	s_and_saveexec_b32 s8, s5
	s_cbranch_execz .LBB52_195
; %bb.188:
	ds_read_b128 v[1:4], v24
	s_andn2_b32 vcc_lo, exec_lo, s60
	s_cbranch_vccnz .LBB52_190
; %bb.189:
	s_clause 0x3
	buffer_load_dword v25, v23, s[0:3], 0 offen offset:8
	buffer_load_dword v26, v23, s[0:3], 0 offen offset:12
	buffer_load_dword v27, v23, s[0:3], 0 offen
	buffer_load_dword v28, v23, s[0:3], 0 offen offset:4
	s_waitcnt vmcnt(2) lgkmcnt(0)
	v_mul_f64 v[29:30], v[3:4], v[25:26]
	v_mul_f64 v[25:26], v[1:2], v[25:26]
	s_waitcnt vmcnt(0)
	v_fma_f64 v[1:2], v[1:2], v[27:28], -v[29:30]
	v_fma_f64 v[3:4], v[3:4], v[27:28], v[25:26]
.LBB52_190:
	s_and_saveexec_b32 s61, s4
	s_cbranch_execz .LBB52_194
; %bb.191:
	v_subrev_nc_u32_e32 v25, 29, v0
	s_movk_i32 s62, 0x520
	s_mov_b32 s4, 0
	s_mov_b32 s63, s30
	.p2align	6
.LBB52_192:                             ; =>This Inner Loop Header: Depth=1
	v_mov_b32_e32 v26, s63
	v_add_nc_u32_e32 v25, -1, v25
	s_add_i32 s63, s63, 16
	s_clause 0x3
	buffer_load_dword v30, v26, s[0:3], 0 offen offset:8
	buffer_load_dword v31, v26, s[0:3], 0 offen offset:12
	buffer_load_dword v32, v26, s[0:3], 0 offen
	buffer_load_dword v33, v26, s[0:3], 0 offen offset:4
	v_mov_b32_e32 v26, s62
	v_cmp_eq_u32_e32 vcc_lo, 0, v25
	s_add_i32 s62, s62, 16
	ds_read_b128 v[26:29], v26
	s_or_b32 s4, vcc_lo, s4
	s_waitcnt vmcnt(2) lgkmcnt(0)
	v_mul_f64 v[34:35], v[28:29], v[30:31]
	v_mul_f64 v[30:31], v[26:27], v[30:31]
	s_waitcnt vmcnt(0)
	v_fma_f64 v[26:27], v[26:27], v[32:33], -v[34:35]
	v_fma_f64 v[28:29], v[28:29], v[32:33], v[30:31]
	v_add_f64 v[1:2], v[1:2], v[26:27]
	v_add_f64 v[3:4], v[3:4], v[28:29]
	s_andn2_b32 exec_lo, exec_lo, s4
	s_cbranch_execnz .LBB52_192
; %bb.193:
	s_or_b32 exec_lo, exec_lo, s4
.LBB52_194:
	s_or_b32 exec_lo, exec_lo, s61
	v_mov_b32_e32 v25, 0
	ds_read_b128 v[25:28], v25 offset:448
	s_waitcnt lgkmcnt(0)
	v_mul_f64 v[29:30], v[3:4], v[27:28]
	v_mul_f64 v[27:28], v[1:2], v[27:28]
	v_fma_f64 v[1:2], v[1:2], v[25:26], -v[29:30]
	v_fma_f64 v[3:4], v[3:4], v[25:26], v[27:28]
	buffer_store_dword v2, off, s[0:3], 0 offset:452
	buffer_store_dword v1, off, s[0:3], 0 offset:448
	;; [unrolled: 1-line block ×4, first 2 shown]
.LBB52_195:
	s_or_b32 exec_lo, exec_lo, s8
	v_mov_b32_e32 v4, s33
	v_cmp_lt_u32_e64 s4, 27, v0
	s_clause 0x3
	buffer_load_dword v1, v4, s[0:3], 0 offen
	buffer_load_dword v2, v4, s[0:3], 0 offen offset:4
	buffer_load_dword v3, v4, s[0:3], 0 offen offset:8
	;; [unrolled: 1-line block ×3, first 2 shown]
	s_waitcnt vmcnt(0)
	ds_write_b128 v24, v[1:4]
	s_waitcnt lgkmcnt(0)
	s_waitcnt_vscnt null, 0x0
	s_barrier
	buffer_gl0_inv
	s_and_saveexec_b32 s8, s4
	s_cbranch_execz .LBB52_203
; %bb.196:
	ds_read_b128 v[1:4], v24
	s_andn2_b32 vcc_lo, exec_lo, s60
	s_cbranch_vccnz .LBB52_198
; %bb.197:
	s_clause 0x3
	buffer_load_dword v25, v23, s[0:3], 0 offen offset:8
	buffer_load_dword v26, v23, s[0:3], 0 offen offset:12
	buffer_load_dword v27, v23, s[0:3], 0 offen
	buffer_load_dword v28, v23, s[0:3], 0 offen offset:4
	s_waitcnt vmcnt(2) lgkmcnt(0)
	v_mul_f64 v[29:30], v[3:4], v[25:26]
	v_mul_f64 v[25:26], v[1:2], v[25:26]
	s_waitcnt vmcnt(0)
	v_fma_f64 v[1:2], v[1:2], v[27:28], -v[29:30]
	v_fma_f64 v[3:4], v[3:4], v[27:28], v[25:26]
.LBB52_198:
	s_and_saveexec_b32 s61, s5
	s_cbranch_execz .LBB52_202
; %bb.199:
	v_subrev_nc_u32_e32 v25, 28, v0
	s_movk_i32 s62, 0x510
	s_mov_b32 s5, 0
	s_mov_b32 s63, s31
	.p2align	6
.LBB52_200:                             ; =>This Inner Loop Header: Depth=1
	v_mov_b32_e32 v26, s63
	v_add_nc_u32_e32 v25, -1, v25
	s_add_i32 s63, s63, 16
	s_clause 0x3
	buffer_load_dword v30, v26, s[0:3], 0 offen offset:8
	buffer_load_dword v31, v26, s[0:3], 0 offen offset:12
	buffer_load_dword v32, v26, s[0:3], 0 offen
	buffer_load_dword v33, v26, s[0:3], 0 offen offset:4
	v_mov_b32_e32 v26, s62
	v_cmp_eq_u32_e32 vcc_lo, 0, v25
	s_add_i32 s62, s62, 16
	ds_read_b128 v[26:29], v26
	s_or_b32 s5, vcc_lo, s5
	s_waitcnt vmcnt(2) lgkmcnt(0)
	v_mul_f64 v[34:35], v[28:29], v[30:31]
	v_mul_f64 v[30:31], v[26:27], v[30:31]
	s_waitcnt vmcnt(0)
	v_fma_f64 v[26:27], v[26:27], v[32:33], -v[34:35]
	v_fma_f64 v[28:29], v[28:29], v[32:33], v[30:31]
	v_add_f64 v[1:2], v[1:2], v[26:27]
	v_add_f64 v[3:4], v[3:4], v[28:29]
	s_andn2_b32 exec_lo, exec_lo, s5
	s_cbranch_execnz .LBB52_200
; %bb.201:
	s_or_b32 exec_lo, exec_lo, s5
.LBB52_202:
	s_or_b32 exec_lo, exec_lo, s61
	v_mov_b32_e32 v25, 0
	ds_read_b128 v[25:28], v25 offset:432
	s_waitcnt lgkmcnt(0)
	v_mul_f64 v[29:30], v[3:4], v[27:28]
	v_mul_f64 v[27:28], v[1:2], v[27:28]
	v_fma_f64 v[1:2], v[1:2], v[25:26], -v[29:30]
	v_fma_f64 v[3:4], v[3:4], v[25:26], v[27:28]
	buffer_store_dword v2, off, s[0:3], 0 offset:436
	buffer_store_dword v1, off, s[0:3], 0 offset:432
	;; [unrolled: 1-line block ×4, first 2 shown]
.LBB52_203:
	s_or_b32 exec_lo, exec_lo, s8
	v_mov_b32_e32 v4, s34
	v_cmp_lt_u32_e64 s5, 26, v0
	s_clause 0x3
	buffer_load_dword v1, v4, s[0:3], 0 offen
	buffer_load_dword v2, v4, s[0:3], 0 offen offset:4
	buffer_load_dword v3, v4, s[0:3], 0 offen offset:8
	;; [unrolled: 1-line block ×3, first 2 shown]
	s_waitcnt vmcnt(0)
	ds_write_b128 v24, v[1:4]
	s_waitcnt lgkmcnt(0)
	s_waitcnt_vscnt null, 0x0
	s_barrier
	buffer_gl0_inv
	s_and_saveexec_b32 s8, s5
	s_cbranch_execz .LBB52_211
; %bb.204:
	ds_read_b128 v[1:4], v24
	s_andn2_b32 vcc_lo, exec_lo, s60
	s_cbranch_vccnz .LBB52_206
; %bb.205:
	s_clause 0x3
	buffer_load_dword v25, v23, s[0:3], 0 offen offset:8
	buffer_load_dword v26, v23, s[0:3], 0 offen offset:12
	buffer_load_dword v27, v23, s[0:3], 0 offen
	buffer_load_dword v28, v23, s[0:3], 0 offen offset:4
	s_waitcnt vmcnt(2) lgkmcnt(0)
	v_mul_f64 v[29:30], v[3:4], v[25:26]
	v_mul_f64 v[25:26], v[1:2], v[25:26]
	s_waitcnt vmcnt(0)
	v_fma_f64 v[1:2], v[1:2], v[27:28], -v[29:30]
	v_fma_f64 v[3:4], v[3:4], v[27:28], v[25:26]
.LBB52_206:
	s_and_saveexec_b32 s61, s4
	s_cbranch_execz .LBB52_210
; %bb.207:
	v_subrev_nc_u32_e32 v25, 27, v0
	s_movk_i32 s62, 0x500
	s_mov_b32 s4, 0
	s_mov_b32 s63, s33
	.p2align	6
.LBB52_208:                             ; =>This Inner Loop Header: Depth=1
	v_mov_b32_e32 v26, s63
	v_add_nc_u32_e32 v25, -1, v25
	s_add_i32 s63, s63, 16
	s_clause 0x3
	buffer_load_dword v30, v26, s[0:3], 0 offen offset:8
	buffer_load_dword v31, v26, s[0:3], 0 offen offset:12
	buffer_load_dword v32, v26, s[0:3], 0 offen
	buffer_load_dword v33, v26, s[0:3], 0 offen offset:4
	v_mov_b32_e32 v26, s62
	v_cmp_eq_u32_e32 vcc_lo, 0, v25
	s_add_i32 s62, s62, 16
	ds_read_b128 v[26:29], v26
	s_or_b32 s4, vcc_lo, s4
	s_waitcnt vmcnt(2) lgkmcnt(0)
	v_mul_f64 v[34:35], v[28:29], v[30:31]
	v_mul_f64 v[30:31], v[26:27], v[30:31]
	s_waitcnt vmcnt(0)
	v_fma_f64 v[26:27], v[26:27], v[32:33], -v[34:35]
	v_fma_f64 v[28:29], v[28:29], v[32:33], v[30:31]
	v_add_f64 v[1:2], v[1:2], v[26:27]
	v_add_f64 v[3:4], v[3:4], v[28:29]
	s_andn2_b32 exec_lo, exec_lo, s4
	s_cbranch_execnz .LBB52_208
; %bb.209:
	s_or_b32 exec_lo, exec_lo, s4
.LBB52_210:
	s_or_b32 exec_lo, exec_lo, s61
	v_mov_b32_e32 v25, 0
	ds_read_b128 v[25:28], v25 offset:416
	s_waitcnt lgkmcnt(0)
	v_mul_f64 v[29:30], v[3:4], v[27:28]
	v_mul_f64 v[27:28], v[1:2], v[27:28]
	v_fma_f64 v[1:2], v[1:2], v[25:26], -v[29:30]
	v_fma_f64 v[3:4], v[3:4], v[25:26], v[27:28]
	buffer_store_dword v2, off, s[0:3], 0 offset:420
	buffer_store_dword v1, off, s[0:3], 0 offset:416
	;; [unrolled: 1-line block ×4, first 2 shown]
.LBB52_211:
	s_or_b32 exec_lo, exec_lo, s8
	v_mov_b32_e32 v4, s35
	v_cmp_lt_u32_e64 s4, 25, v0
	s_clause 0x3
	buffer_load_dword v1, v4, s[0:3], 0 offen
	buffer_load_dword v2, v4, s[0:3], 0 offen offset:4
	buffer_load_dword v3, v4, s[0:3], 0 offen offset:8
	;; [unrolled: 1-line block ×3, first 2 shown]
	s_waitcnt vmcnt(0)
	ds_write_b128 v24, v[1:4]
	s_waitcnt lgkmcnt(0)
	s_waitcnt_vscnt null, 0x0
	s_barrier
	buffer_gl0_inv
	s_and_saveexec_b32 s8, s4
	s_cbranch_execz .LBB52_219
; %bb.212:
	ds_read_b128 v[1:4], v24
	s_andn2_b32 vcc_lo, exec_lo, s60
	s_cbranch_vccnz .LBB52_214
; %bb.213:
	s_clause 0x3
	buffer_load_dword v25, v23, s[0:3], 0 offen offset:8
	buffer_load_dword v26, v23, s[0:3], 0 offen offset:12
	buffer_load_dword v27, v23, s[0:3], 0 offen
	buffer_load_dword v28, v23, s[0:3], 0 offen offset:4
	s_waitcnt vmcnt(2) lgkmcnt(0)
	v_mul_f64 v[29:30], v[3:4], v[25:26]
	v_mul_f64 v[25:26], v[1:2], v[25:26]
	s_waitcnt vmcnt(0)
	v_fma_f64 v[1:2], v[1:2], v[27:28], -v[29:30]
	v_fma_f64 v[3:4], v[3:4], v[27:28], v[25:26]
.LBB52_214:
	s_and_saveexec_b32 s61, s5
	s_cbranch_execz .LBB52_218
; %bb.215:
	v_subrev_nc_u32_e32 v25, 26, v0
	s_movk_i32 s62, 0x4f0
	s_mov_b32 s5, 0
	s_mov_b32 s63, s34
	.p2align	6
.LBB52_216:                             ; =>This Inner Loop Header: Depth=1
	v_mov_b32_e32 v26, s63
	v_add_nc_u32_e32 v25, -1, v25
	s_add_i32 s63, s63, 16
	s_clause 0x3
	buffer_load_dword v30, v26, s[0:3], 0 offen offset:8
	buffer_load_dword v31, v26, s[0:3], 0 offen offset:12
	buffer_load_dword v32, v26, s[0:3], 0 offen
	buffer_load_dword v33, v26, s[0:3], 0 offen offset:4
	v_mov_b32_e32 v26, s62
	v_cmp_eq_u32_e32 vcc_lo, 0, v25
	s_add_i32 s62, s62, 16
	ds_read_b128 v[26:29], v26
	s_or_b32 s5, vcc_lo, s5
	s_waitcnt vmcnt(2) lgkmcnt(0)
	v_mul_f64 v[34:35], v[28:29], v[30:31]
	v_mul_f64 v[30:31], v[26:27], v[30:31]
	s_waitcnt vmcnt(0)
	v_fma_f64 v[26:27], v[26:27], v[32:33], -v[34:35]
	v_fma_f64 v[28:29], v[28:29], v[32:33], v[30:31]
	v_add_f64 v[1:2], v[1:2], v[26:27]
	v_add_f64 v[3:4], v[3:4], v[28:29]
	s_andn2_b32 exec_lo, exec_lo, s5
	s_cbranch_execnz .LBB52_216
; %bb.217:
	s_or_b32 exec_lo, exec_lo, s5
.LBB52_218:
	s_or_b32 exec_lo, exec_lo, s61
	v_mov_b32_e32 v25, 0
	ds_read_b128 v[25:28], v25 offset:400
	s_waitcnt lgkmcnt(0)
	v_mul_f64 v[29:30], v[3:4], v[27:28]
	v_mul_f64 v[27:28], v[1:2], v[27:28]
	v_fma_f64 v[1:2], v[1:2], v[25:26], -v[29:30]
	v_fma_f64 v[3:4], v[3:4], v[25:26], v[27:28]
	buffer_store_dword v2, off, s[0:3], 0 offset:404
	buffer_store_dword v1, off, s[0:3], 0 offset:400
	;; [unrolled: 1-line block ×4, first 2 shown]
.LBB52_219:
	s_or_b32 exec_lo, exec_lo, s8
	v_mov_b32_e32 v4, s36
	v_cmp_lt_u32_e64 s5, 24, v0
	s_clause 0x3
	buffer_load_dword v1, v4, s[0:3], 0 offen
	buffer_load_dword v2, v4, s[0:3], 0 offen offset:4
	buffer_load_dword v3, v4, s[0:3], 0 offen offset:8
	;; [unrolled: 1-line block ×3, first 2 shown]
	s_waitcnt vmcnt(0)
	ds_write_b128 v24, v[1:4]
	s_waitcnt lgkmcnt(0)
	s_waitcnt_vscnt null, 0x0
	s_barrier
	buffer_gl0_inv
	s_and_saveexec_b32 s8, s5
	s_cbranch_execz .LBB52_227
; %bb.220:
	ds_read_b128 v[1:4], v24
	s_andn2_b32 vcc_lo, exec_lo, s60
	s_cbranch_vccnz .LBB52_222
; %bb.221:
	s_clause 0x3
	buffer_load_dword v25, v23, s[0:3], 0 offen offset:8
	buffer_load_dword v26, v23, s[0:3], 0 offen offset:12
	buffer_load_dword v27, v23, s[0:3], 0 offen
	buffer_load_dword v28, v23, s[0:3], 0 offen offset:4
	s_waitcnt vmcnt(2) lgkmcnt(0)
	v_mul_f64 v[29:30], v[3:4], v[25:26]
	v_mul_f64 v[25:26], v[1:2], v[25:26]
	s_waitcnt vmcnt(0)
	v_fma_f64 v[1:2], v[1:2], v[27:28], -v[29:30]
	v_fma_f64 v[3:4], v[3:4], v[27:28], v[25:26]
.LBB52_222:
	s_and_saveexec_b32 s61, s4
	s_cbranch_execz .LBB52_226
; %bb.223:
	v_subrev_nc_u32_e32 v25, 25, v0
	s_movk_i32 s62, 0x4e0
	s_mov_b32 s4, 0
	s_mov_b32 s63, s35
	.p2align	6
.LBB52_224:                             ; =>This Inner Loop Header: Depth=1
	v_mov_b32_e32 v26, s63
	v_add_nc_u32_e32 v25, -1, v25
	s_add_i32 s63, s63, 16
	s_clause 0x3
	buffer_load_dword v30, v26, s[0:3], 0 offen offset:8
	buffer_load_dword v31, v26, s[0:3], 0 offen offset:12
	buffer_load_dword v32, v26, s[0:3], 0 offen
	buffer_load_dword v33, v26, s[0:3], 0 offen offset:4
	v_mov_b32_e32 v26, s62
	v_cmp_eq_u32_e32 vcc_lo, 0, v25
	s_add_i32 s62, s62, 16
	ds_read_b128 v[26:29], v26
	s_or_b32 s4, vcc_lo, s4
	s_waitcnt vmcnt(2) lgkmcnt(0)
	v_mul_f64 v[34:35], v[28:29], v[30:31]
	v_mul_f64 v[30:31], v[26:27], v[30:31]
	s_waitcnt vmcnt(0)
	v_fma_f64 v[26:27], v[26:27], v[32:33], -v[34:35]
	v_fma_f64 v[28:29], v[28:29], v[32:33], v[30:31]
	v_add_f64 v[1:2], v[1:2], v[26:27]
	v_add_f64 v[3:4], v[3:4], v[28:29]
	s_andn2_b32 exec_lo, exec_lo, s4
	s_cbranch_execnz .LBB52_224
; %bb.225:
	s_or_b32 exec_lo, exec_lo, s4
.LBB52_226:
	s_or_b32 exec_lo, exec_lo, s61
	v_mov_b32_e32 v25, 0
	ds_read_b128 v[25:28], v25 offset:384
	s_waitcnt lgkmcnt(0)
	v_mul_f64 v[29:30], v[3:4], v[27:28]
	v_mul_f64 v[27:28], v[1:2], v[27:28]
	v_fma_f64 v[1:2], v[1:2], v[25:26], -v[29:30]
	v_fma_f64 v[3:4], v[3:4], v[25:26], v[27:28]
	buffer_store_dword v2, off, s[0:3], 0 offset:388
	buffer_store_dword v1, off, s[0:3], 0 offset:384
	;; [unrolled: 1-line block ×4, first 2 shown]
.LBB52_227:
	s_or_b32 exec_lo, exec_lo, s8
	v_mov_b32_e32 v4, s37
	v_cmp_lt_u32_e64 s4, 23, v0
	s_clause 0x3
	buffer_load_dword v1, v4, s[0:3], 0 offen
	buffer_load_dword v2, v4, s[0:3], 0 offen offset:4
	buffer_load_dword v3, v4, s[0:3], 0 offen offset:8
	;; [unrolled: 1-line block ×3, first 2 shown]
	s_waitcnt vmcnt(0)
	ds_write_b128 v24, v[1:4]
	s_waitcnt lgkmcnt(0)
	s_waitcnt_vscnt null, 0x0
	s_barrier
	buffer_gl0_inv
	s_and_saveexec_b32 s8, s4
	s_cbranch_execz .LBB52_235
; %bb.228:
	ds_read_b128 v[1:4], v24
	s_andn2_b32 vcc_lo, exec_lo, s60
	s_cbranch_vccnz .LBB52_230
; %bb.229:
	s_clause 0x3
	buffer_load_dword v25, v23, s[0:3], 0 offen offset:8
	buffer_load_dword v26, v23, s[0:3], 0 offen offset:12
	buffer_load_dword v27, v23, s[0:3], 0 offen
	buffer_load_dword v28, v23, s[0:3], 0 offen offset:4
	s_waitcnt vmcnt(2) lgkmcnt(0)
	v_mul_f64 v[29:30], v[3:4], v[25:26]
	v_mul_f64 v[25:26], v[1:2], v[25:26]
	s_waitcnt vmcnt(0)
	v_fma_f64 v[1:2], v[1:2], v[27:28], -v[29:30]
	v_fma_f64 v[3:4], v[3:4], v[27:28], v[25:26]
.LBB52_230:
	s_and_saveexec_b32 s61, s5
	s_cbranch_execz .LBB52_234
; %bb.231:
	v_subrev_nc_u32_e32 v25, 24, v0
	s_movk_i32 s62, 0x4d0
	s_mov_b32 s5, 0
	s_mov_b32 s63, s36
	.p2align	6
.LBB52_232:                             ; =>This Inner Loop Header: Depth=1
	v_mov_b32_e32 v26, s63
	v_add_nc_u32_e32 v25, -1, v25
	s_add_i32 s63, s63, 16
	s_clause 0x3
	buffer_load_dword v30, v26, s[0:3], 0 offen offset:8
	buffer_load_dword v31, v26, s[0:3], 0 offen offset:12
	buffer_load_dword v32, v26, s[0:3], 0 offen
	buffer_load_dword v33, v26, s[0:3], 0 offen offset:4
	v_mov_b32_e32 v26, s62
	v_cmp_eq_u32_e32 vcc_lo, 0, v25
	s_add_i32 s62, s62, 16
	ds_read_b128 v[26:29], v26
	s_or_b32 s5, vcc_lo, s5
	s_waitcnt vmcnt(2) lgkmcnt(0)
	v_mul_f64 v[34:35], v[28:29], v[30:31]
	v_mul_f64 v[30:31], v[26:27], v[30:31]
	s_waitcnt vmcnt(0)
	v_fma_f64 v[26:27], v[26:27], v[32:33], -v[34:35]
	v_fma_f64 v[28:29], v[28:29], v[32:33], v[30:31]
	v_add_f64 v[1:2], v[1:2], v[26:27]
	v_add_f64 v[3:4], v[3:4], v[28:29]
	s_andn2_b32 exec_lo, exec_lo, s5
	s_cbranch_execnz .LBB52_232
; %bb.233:
	s_or_b32 exec_lo, exec_lo, s5
.LBB52_234:
	s_or_b32 exec_lo, exec_lo, s61
	v_mov_b32_e32 v25, 0
	ds_read_b128 v[25:28], v25 offset:368
	s_waitcnt lgkmcnt(0)
	v_mul_f64 v[29:30], v[3:4], v[27:28]
	v_mul_f64 v[27:28], v[1:2], v[27:28]
	v_fma_f64 v[1:2], v[1:2], v[25:26], -v[29:30]
	v_fma_f64 v[3:4], v[3:4], v[25:26], v[27:28]
	buffer_store_dword v2, off, s[0:3], 0 offset:372
	buffer_store_dword v1, off, s[0:3], 0 offset:368
	;; [unrolled: 1-line block ×4, first 2 shown]
.LBB52_235:
	s_or_b32 exec_lo, exec_lo, s8
	v_mov_b32_e32 v4, s38
	v_cmp_lt_u32_e64 s5, 22, v0
	s_clause 0x3
	buffer_load_dword v1, v4, s[0:3], 0 offen
	buffer_load_dword v2, v4, s[0:3], 0 offen offset:4
	buffer_load_dword v3, v4, s[0:3], 0 offen offset:8
	;; [unrolled: 1-line block ×3, first 2 shown]
	s_waitcnt vmcnt(0)
	ds_write_b128 v24, v[1:4]
	s_waitcnt lgkmcnt(0)
	s_waitcnt_vscnt null, 0x0
	s_barrier
	buffer_gl0_inv
	s_and_saveexec_b32 s8, s5
	s_cbranch_execz .LBB52_243
; %bb.236:
	ds_read_b128 v[1:4], v24
	s_andn2_b32 vcc_lo, exec_lo, s60
	s_cbranch_vccnz .LBB52_238
; %bb.237:
	s_clause 0x3
	buffer_load_dword v25, v23, s[0:3], 0 offen offset:8
	buffer_load_dword v26, v23, s[0:3], 0 offen offset:12
	buffer_load_dword v27, v23, s[0:3], 0 offen
	buffer_load_dword v28, v23, s[0:3], 0 offen offset:4
	s_waitcnt vmcnt(2) lgkmcnt(0)
	v_mul_f64 v[29:30], v[3:4], v[25:26]
	v_mul_f64 v[25:26], v[1:2], v[25:26]
	s_waitcnt vmcnt(0)
	v_fma_f64 v[1:2], v[1:2], v[27:28], -v[29:30]
	v_fma_f64 v[3:4], v[3:4], v[27:28], v[25:26]
.LBB52_238:
	s_and_saveexec_b32 s61, s4
	s_cbranch_execz .LBB52_242
; %bb.239:
	v_subrev_nc_u32_e32 v25, 23, v0
	s_movk_i32 s62, 0x4c0
	s_mov_b32 s4, 0
	s_mov_b32 s63, s37
	.p2align	6
.LBB52_240:                             ; =>This Inner Loop Header: Depth=1
	v_mov_b32_e32 v26, s63
	v_add_nc_u32_e32 v25, -1, v25
	s_add_i32 s63, s63, 16
	s_clause 0x3
	buffer_load_dword v30, v26, s[0:3], 0 offen offset:8
	buffer_load_dword v31, v26, s[0:3], 0 offen offset:12
	buffer_load_dword v32, v26, s[0:3], 0 offen
	buffer_load_dword v33, v26, s[0:3], 0 offen offset:4
	v_mov_b32_e32 v26, s62
	v_cmp_eq_u32_e32 vcc_lo, 0, v25
	s_add_i32 s62, s62, 16
	ds_read_b128 v[26:29], v26
	s_or_b32 s4, vcc_lo, s4
	s_waitcnt vmcnt(2) lgkmcnt(0)
	v_mul_f64 v[34:35], v[28:29], v[30:31]
	v_mul_f64 v[30:31], v[26:27], v[30:31]
	s_waitcnt vmcnt(0)
	v_fma_f64 v[26:27], v[26:27], v[32:33], -v[34:35]
	v_fma_f64 v[28:29], v[28:29], v[32:33], v[30:31]
	v_add_f64 v[1:2], v[1:2], v[26:27]
	v_add_f64 v[3:4], v[3:4], v[28:29]
	s_andn2_b32 exec_lo, exec_lo, s4
	s_cbranch_execnz .LBB52_240
; %bb.241:
	s_or_b32 exec_lo, exec_lo, s4
.LBB52_242:
	s_or_b32 exec_lo, exec_lo, s61
	v_mov_b32_e32 v25, 0
	ds_read_b128 v[25:28], v25 offset:352
	s_waitcnt lgkmcnt(0)
	v_mul_f64 v[29:30], v[3:4], v[27:28]
	v_mul_f64 v[27:28], v[1:2], v[27:28]
	v_fma_f64 v[1:2], v[1:2], v[25:26], -v[29:30]
	v_fma_f64 v[3:4], v[3:4], v[25:26], v[27:28]
	buffer_store_dword v2, off, s[0:3], 0 offset:356
	buffer_store_dword v1, off, s[0:3], 0 offset:352
	;; [unrolled: 1-line block ×4, first 2 shown]
.LBB52_243:
	s_or_b32 exec_lo, exec_lo, s8
	v_mov_b32_e32 v4, s39
	v_cmp_lt_u32_e64 s4, 21, v0
	s_clause 0x3
	buffer_load_dword v1, v4, s[0:3], 0 offen
	buffer_load_dword v2, v4, s[0:3], 0 offen offset:4
	buffer_load_dword v3, v4, s[0:3], 0 offen offset:8
	;; [unrolled: 1-line block ×3, first 2 shown]
	s_waitcnt vmcnt(0)
	ds_write_b128 v24, v[1:4]
	s_waitcnt lgkmcnt(0)
	s_waitcnt_vscnt null, 0x0
	s_barrier
	buffer_gl0_inv
	s_and_saveexec_b32 s8, s4
	s_cbranch_execz .LBB52_251
; %bb.244:
	ds_read_b128 v[1:4], v24
	s_andn2_b32 vcc_lo, exec_lo, s60
	s_cbranch_vccnz .LBB52_246
; %bb.245:
	s_clause 0x3
	buffer_load_dword v25, v23, s[0:3], 0 offen offset:8
	buffer_load_dword v26, v23, s[0:3], 0 offen offset:12
	buffer_load_dword v27, v23, s[0:3], 0 offen
	buffer_load_dword v28, v23, s[0:3], 0 offen offset:4
	s_waitcnt vmcnt(2) lgkmcnt(0)
	v_mul_f64 v[29:30], v[3:4], v[25:26]
	v_mul_f64 v[25:26], v[1:2], v[25:26]
	s_waitcnt vmcnt(0)
	v_fma_f64 v[1:2], v[1:2], v[27:28], -v[29:30]
	v_fma_f64 v[3:4], v[3:4], v[27:28], v[25:26]
.LBB52_246:
	s_and_saveexec_b32 s61, s5
	s_cbranch_execz .LBB52_250
; %bb.247:
	v_subrev_nc_u32_e32 v25, 22, v0
	s_movk_i32 s62, 0x4b0
	s_mov_b32 s5, 0
	s_mov_b32 s63, s38
	.p2align	6
.LBB52_248:                             ; =>This Inner Loop Header: Depth=1
	v_mov_b32_e32 v26, s63
	v_add_nc_u32_e32 v25, -1, v25
	s_add_i32 s63, s63, 16
	s_clause 0x3
	buffer_load_dword v30, v26, s[0:3], 0 offen offset:8
	buffer_load_dword v31, v26, s[0:3], 0 offen offset:12
	buffer_load_dword v32, v26, s[0:3], 0 offen
	buffer_load_dword v33, v26, s[0:3], 0 offen offset:4
	v_mov_b32_e32 v26, s62
	v_cmp_eq_u32_e32 vcc_lo, 0, v25
	s_add_i32 s62, s62, 16
	ds_read_b128 v[26:29], v26
	s_or_b32 s5, vcc_lo, s5
	s_waitcnt vmcnt(2) lgkmcnt(0)
	v_mul_f64 v[34:35], v[28:29], v[30:31]
	v_mul_f64 v[30:31], v[26:27], v[30:31]
	s_waitcnt vmcnt(0)
	v_fma_f64 v[26:27], v[26:27], v[32:33], -v[34:35]
	v_fma_f64 v[28:29], v[28:29], v[32:33], v[30:31]
	v_add_f64 v[1:2], v[1:2], v[26:27]
	v_add_f64 v[3:4], v[3:4], v[28:29]
	s_andn2_b32 exec_lo, exec_lo, s5
	s_cbranch_execnz .LBB52_248
; %bb.249:
	s_or_b32 exec_lo, exec_lo, s5
.LBB52_250:
	s_or_b32 exec_lo, exec_lo, s61
	v_mov_b32_e32 v25, 0
	ds_read_b128 v[25:28], v25 offset:336
	s_waitcnt lgkmcnt(0)
	v_mul_f64 v[29:30], v[3:4], v[27:28]
	v_mul_f64 v[27:28], v[1:2], v[27:28]
	v_fma_f64 v[1:2], v[1:2], v[25:26], -v[29:30]
	v_fma_f64 v[3:4], v[3:4], v[25:26], v[27:28]
	buffer_store_dword v2, off, s[0:3], 0 offset:340
	buffer_store_dword v1, off, s[0:3], 0 offset:336
	;; [unrolled: 1-line block ×4, first 2 shown]
.LBB52_251:
	s_or_b32 exec_lo, exec_lo, s8
	v_mov_b32_e32 v4, s40
	v_cmp_lt_u32_e64 s5, 20, v0
	s_clause 0x3
	buffer_load_dword v1, v4, s[0:3], 0 offen
	buffer_load_dword v2, v4, s[0:3], 0 offen offset:4
	buffer_load_dword v3, v4, s[0:3], 0 offen offset:8
	;; [unrolled: 1-line block ×3, first 2 shown]
	s_waitcnt vmcnt(0)
	ds_write_b128 v24, v[1:4]
	s_waitcnt lgkmcnt(0)
	s_waitcnt_vscnt null, 0x0
	s_barrier
	buffer_gl0_inv
	s_and_saveexec_b32 s8, s5
	s_cbranch_execz .LBB52_259
; %bb.252:
	ds_read_b128 v[1:4], v24
	s_andn2_b32 vcc_lo, exec_lo, s60
	s_cbranch_vccnz .LBB52_254
; %bb.253:
	s_clause 0x3
	buffer_load_dword v25, v23, s[0:3], 0 offen offset:8
	buffer_load_dword v26, v23, s[0:3], 0 offen offset:12
	buffer_load_dword v27, v23, s[0:3], 0 offen
	buffer_load_dword v28, v23, s[0:3], 0 offen offset:4
	s_waitcnt vmcnt(2) lgkmcnt(0)
	v_mul_f64 v[29:30], v[3:4], v[25:26]
	v_mul_f64 v[25:26], v[1:2], v[25:26]
	s_waitcnt vmcnt(0)
	v_fma_f64 v[1:2], v[1:2], v[27:28], -v[29:30]
	v_fma_f64 v[3:4], v[3:4], v[27:28], v[25:26]
.LBB52_254:
	s_and_saveexec_b32 s61, s4
	s_cbranch_execz .LBB52_258
; %bb.255:
	v_subrev_nc_u32_e32 v25, 21, v0
	s_movk_i32 s62, 0x4a0
	s_mov_b32 s4, 0
	s_mov_b32 s63, s39
	.p2align	6
.LBB52_256:                             ; =>This Inner Loop Header: Depth=1
	v_mov_b32_e32 v26, s63
	v_add_nc_u32_e32 v25, -1, v25
	s_add_i32 s63, s63, 16
	s_clause 0x3
	buffer_load_dword v30, v26, s[0:3], 0 offen offset:8
	buffer_load_dword v31, v26, s[0:3], 0 offen offset:12
	buffer_load_dword v32, v26, s[0:3], 0 offen
	buffer_load_dword v33, v26, s[0:3], 0 offen offset:4
	v_mov_b32_e32 v26, s62
	v_cmp_eq_u32_e32 vcc_lo, 0, v25
	s_add_i32 s62, s62, 16
	ds_read_b128 v[26:29], v26
	s_or_b32 s4, vcc_lo, s4
	s_waitcnt vmcnt(2) lgkmcnt(0)
	v_mul_f64 v[34:35], v[28:29], v[30:31]
	v_mul_f64 v[30:31], v[26:27], v[30:31]
	s_waitcnt vmcnt(0)
	v_fma_f64 v[26:27], v[26:27], v[32:33], -v[34:35]
	v_fma_f64 v[28:29], v[28:29], v[32:33], v[30:31]
	v_add_f64 v[1:2], v[1:2], v[26:27]
	v_add_f64 v[3:4], v[3:4], v[28:29]
	s_andn2_b32 exec_lo, exec_lo, s4
	s_cbranch_execnz .LBB52_256
; %bb.257:
	s_or_b32 exec_lo, exec_lo, s4
.LBB52_258:
	s_or_b32 exec_lo, exec_lo, s61
	v_mov_b32_e32 v25, 0
	ds_read_b128 v[25:28], v25 offset:320
	s_waitcnt lgkmcnt(0)
	v_mul_f64 v[29:30], v[3:4], v[27:28]
	v_mul_f64 v[27:28], v[1:2], v[27:28]
	v_fma_f64 v[1:2], v[1:2], v[25:26], -v[29:30]
	v_fma_f64 v[3:4], v[3:4], v[25:26], v[27:28]
	buffer_store_dword v2, off, s[0:3], 0 offset:324
	buffer_store_dword v1, off, s[0:3], 0 offset:320
	;; [unrolled: 1-line block ×4, first 2 shown]
.LBB52_259:
	s_or_b32 exec_lo, exec_lo, s8
	v_mov_b32_e32 v4, s41
	v_cmp_lt_u32_e64 s4, 19, v0
	s_clause 0x3
	buffer_load_dword v1, v4, s[0:3], 0 offen
	buffer_load_dword v2, v4, s[0:3], 0 offen offset:4
	buffer_load_dword v3, v4, s[0:3], 0 offen offset:8
	;; [unrolled: 1-line block ×3, first 2 shown]
	s_waitcnt vmcnt(0)
	ds_write_b128 v24, v[1:4]
	s_waitcnt lgkmcnt(0)
	s_waitcnt_vscnt null, 0x0
	s_barrier
	buffer_gl0_inv
	s_and_saveexec_b32 s8, s4
	s_cbranch_execz .LBB52_267
; %bb.260:
	ds_read_b128 v[1:4], v24
	s_andn2_b32 vcc_lo, exec_lo, s60
	s_cbranch_vccnz .LBB52_262
; %bb.261:
	s_clause 0x3
	buffer_load_dword v25, v23, s[0:3], 0 offen offset:8
	buffer_load_dword v26, v23, s[0:3], 0 offen offset:12
	buffer_load_dword v27, v23, s[0:3], 0 offen
	buffer_load_dword v28, v23, s[0:3], 0 offen offset:4
	s_waitcnt vmcnt(2) lgkmcnt(0)
	v_mul_f64 v[29:30], v[3:4], v[25:26]
	v_mul_f64 v[25:26], v[1:2], v[25:26]
	s_waitcnt vmcnt(0)
	v_fma_f64 v[1:2], v[1:2], v[27:28], -v[29:30]
	v_fma_f64 v[3:4], v[3:4], v[27:28], v[25:26]
.LBB52_262:
	s_and_saveexec_b32 s61, s5
	s_cbranch_execz .LBB52_266
; %bb.263:
	v_subrev_nc_u32_e32 v25, 20, v0
	s_movk_i32 s62, 0x490
	s_mov_b32 s5, 0
	s_mov_b32 s63, s40
	.p2align	6
.LBB52_264:                             ; =>This Inner Loop Header: Depth=1
	v_mov_b32_e32 v26, s63
	v_add_nc_u32_e32 v25, -1, v25
	s_add_i32 s63, s63, 16
	s_clause 0x3
	buffer_load_dword v30, v26, s[0:3], 0 offen offset:8
	buffer_load_dword v31, v26, s[0:3], 0 offen offset:12
	buffer_load_dword v32, v26, s[0:3], 0 offen
	buffer_load_dword v33, v26, s[0:3], 0 offen offset:4
	v_mov_b32_e32 v26, s62
	v_cmp_eq_u32_e32 vcc_lo, 0, v25
	s_add_i32 s62, s62, 16
	ds_read_b128 v[26:29], v26
	s_or_b32 s5, vcc_lo, s5
	s_waitcnt vmcnt(2) lgkmcnt(0)
	v_mul_f64 v[34:35], v[28:29], v[30:31]
	v_mul_f64 v[30:31], v[26:27], v[30:31]
	s_waitcnt vmcnt(0)
	v_fma_f64 v[26:27], v[26:27], v[32:33], -v[34:35]
	v_fma_f64 v[28:29], v[28:29], v[32:33], v[30:31]
	v_add_f64 v[1:2], v[1:2], v[26:27]
	v_add_f64 v[3:4], v[3:4], v[28:29]
	s_andn2_b32 exec_lo, exec_lo, s5
	s_cbranch_execnz .LBB52_264
; %bb.265:
	s_or_b32 exec_lo, exec_lo, s5
.LBB52_266:
	s_or_b32 exec_lo, exec_lo, s61
	v_mov_b32_e32 v25, 0
	ds_read_b128 v[25:28], v25 offset:304
	s_waitcnt lgkmcnt(0)
	v_mul_f64 v[29:30], v[3:4], v[27:28]
	v_mul_f64 v[27:28], v[1:2], v[27:28]
	v_fma_f64 v[1:2], v[1:2], v[25:26], -v[29:30]
	v_fma_f64 v[3:4], v[3:4], v[25:26], v[27:28]
	buffer_store_dword v2, off, s[0:3], 0 offset:308
	buffer_store_dword v1, off, s[0:3], 0 offset:304
	;; [unrolled: 1-line block ×4, first 2 shown]
.LBB52_267:
	s_or_b32 exec_lo, exec_lo, s8
	v_mov_b32_e32 v4, s42
	v_cmp_lt_u32_e64 s5, 18, v0
	s_clause 0x3
	buffer_load_dword v1, v4, s[0:3], 0 offen
	buffer_load_dword v2, v4, s[0:3], 0 offen offset:4
	buffer_load_dword v3, v4, s[0:3], 0 offen offset:8
	;; [unrolled: 1-line block ×3, first 2 shown]
	s_waitcnt vmcnt(0)
	ds_write_b128 v24, v[1:4]
	s_waitcnt lgkmcnt(0)
	s_waitcnt_vscnt null, 0x0
	s_barrier
	buffer_gl0_inv
	s_and_saveexec_b32 s8, s5
	s_cbranch_execz .LBB52_275
; %bb.268:
	ds_read_b128 v[1:4], v24
	s_andn2_b32 vcc_lo, exec_lo, s60
	s_cbranch_vccnz .LBB52_270
; %bb.269:
	s_clause 0x3
	buffer_load_dword v25, v23, s[0:3], 0 offen offset:8
	buffer_load_dword v26, v23, s[0:3], 0 offen offset:12
	buffer_load_dword v27, v23, s[0:3], 0 offen
	buffer_load_dword v28, v23, s[0:3], 0 offen offset:4
	s_waitcnt vmcnt(2) lgkmcnt(0)
	v_mul_f64 v[29:30], v[3:4], v[25:26]
	v_mul_f64 v[25:26], v[1:2], v[25:26]
	s_waitcnt vmcnt(0)
	v_fma_f64 v[1:2], v[1:2], v[27:28], -v[29:30]
	v_fma_f64 v[3:4], v[3:4], v[27:28], v[25:26]
.LBB52_270:
	s_and_saveexec_b32 s61, s4
	s_cbranch_execz .LBB52_274
; %bb.271:
	v_subrev_nc_u32_e32 v25, 19, v0
	s_movk_i32 s62, 0x480
	s_mov_b32 s4, 0
	s_mov_b32 s63, s41
	.p2align	6
.LBB52_272:                             ; =>This Inner Loop Header: Depth=1
	v_mov_b32_e32 v26, s63
	v_add_nc_u32_e32 v25, -1, v25
	s_add_i32 s63, s63, 16
	s_clause 0x3
	buffer_load_dword v30, v26, s[0:3], 0 offen offset:8
	buffer_load_dword v31, v26, s[0:3], 0 offen offset:12
	buffer_load_dword v32, v26, s[0:3], 0 offen
	buffer_load_dword v33, v26, s[0:3], 0 offen offset:4
	v_mov_b32_e32 v26, s62
	v_cmp_eq_u32_e32 vcc_lo, 0, v25
	s_add_i32 s62, s62, 16
	ds_read_b128 v[26:29], v26
	s_or_b32 s4, vcc_lo, s4
	s_waitcnt vmcnt(2) lgkmcnt(0)
	v_mul_f64 v[34:35], v[28:29], v[30:31]
	v_mul_f64 v[30:31], v[26:27], v[30:31]
	s_waitcnt vmcnt(0)
	v_fma_f64 v[26:27], v[26:27], v[32:33], -v[34:35]
	v_fma_f64 v[28:29], v[28:29], v[32:33], v[30:31]
	v_add_f64 v[1:2], v[1:2], v[26:27]
	v_add_f64 v[3:4], v[3:4], v[28:29]
	s_andn2_b32 exec_lo, exec_lo, s4
	s_cbranch_execnz .LBB52_272
; %bb.273:
	s_or_b32 exec_lo, exec_lo, s4
.LBB52_274:
	s_or_b32 exec_lo, exec_lo, s61
	v_mov_b32_e32 v25, 0
	ds_read_b128 v[25:28], v25 offset:288
	s_waitcnt lgkmcnt(0)
	v_mul_f64 v[29:30], v[3:4], v[27:28]
	v_mul_f64 v[27:28], v[1:2], v[27:28]
	v_fma_f64 v[1:2], v[1:2], v[25:26], -v[29:30]
	v_fma_f64 v[3:4], v[3:4], v[25:26], v[27:28]
	buffer_store_dword v2, off, s[0:3], 0 offset:292
	buffer_store_dword v1, off, s[0:3], 0 offset:288
	;; [unrolled: 1-line block ×4, first 2 shown]
.LBB52_275:
	s_or_b32 exec_lo, exec_lo, s8
	v_mov_b32_e32 v4, s43
	v_cmp_lt_u32_e64 s4, 17, v0
	s_clause 0x3
	buffer_load_dword v1, v4, s[0:3], 0 offen
	buffer_load_dword v2, v4, s[0:3], 0 offen offset:4
	buffer_load_dword v3, v4, s[0:3], 0 offen offset:8
	buffer_load_dword v4, v4, s[0:3], 0 offen offset:12
	s_waitcnt vmcnt(0)
	ds_write_b128 v24, v[1:4]
	s_waitcnt lgkmcnt(0)
	s_waitcnt_vscnt null, 0x0
	s_barrier
	buffer_gl0_inv
	s_and_saveexec_b32 s8, s4
	s_cbranch_execz .LBB52_283
; %bb.276:
	ds_read_b128 v[1:4], v24
	s_andn2_b32 vcc_lo, exec_lo, s60
	s_cbranch_vccnz .LBB52_278
; %bb.277:
	s_clause 0x3
	buffer_load_dword v25, v23, s[0:3], 0 offen offset:8
	buffer_load_dword v26, v23, s[0:3], 0 offen offset:12
	buffer_load_dword v27, v23, s[0:3], 0 offen
	buffer_load_dword v28, v23, s[0:3], 0 offen offset:4
	s_waitcnt vmcnt(2) lgkmcnt(0)
	v_mul_f64 v[29:30], v[3:4], v[25:26]
	v_mul_f64 v[25:26], v[1:2], v[25:26]
	s_waitcnt vmcnt(0)
	v_fma_f64 v[1:2], v[1:2], v[27:28], -v[29:30]
	v_fma_f64 v[3:4], v[3:4], v[27:28], v[25:26]
.LBB52_278:
	s_and_saveexec_b32 s61, s5
	s_cbranch_execz .LBB52_282
; %bb.279:
	v_subrev_nc_u32_e32 v25, 18, v0
	s_movk_i32 s62, 0x470
	s_mov_b32 s5, 0
	s_mov_b32 s63, s42
	.p2align	6
.LBB52_280:                             ; =>This Inner Loop Header: Depth=1
	v_mov_b32_e32 v26, s63
	v_add_nc_u32_e32 v25, -1, v25
	s_add_i32 s63, s63, 16
	s_clause 0x3
	buffer_load_dword v30, v26, s[0:3], 0 offen offset:8
	buffer_load_dword v31, v26, s[0:3], 0 offen offset:12
	buffer_load_dword v32, v26, s[0:3], 0 offen
	buffer_load_dword v33, v26, s[0:3], 0 offen offset:4
	v_mov_b32_e32 v26, s62
	v_cmp_eq_u32_e32 vcc_lo, 0, v25
	s_add_i32 s62, s62, 16
	ds_read_b128 v[26:29], v26
	s_or_b32 s5, vcc_lo, s5
	s_waitcnt vmcnt(2) lgkmcnt(0)
	v_mul_f64 v[34:35], v[28:29], v[30:31]
	v_mul_f64 v[30:31], v[26:27], v[30:31]
	s_waitcnt vmcnt(0)
	v_fma_f64 v[26:27], v[26:27], v[32:33], -v[34:35]
	v_fma_f64 v[28:29], v[28:29], v[32:33], v[30:31]
	v_add_f64 v[1:2], v[1:2], v[26:27]
	v_add_f64 v[3:4], v[3:4], v[28:29]
	s_andn2_b32 exec_lo, exec_lo, s5
	s_cbranch_execnz .LBB52_280
; %bb.281:
	s_or_b32 exec_lo, exec_lo, s5
.LBB52_282:
	s_or_b32 exec_lo, exec_lo, s61
	v_mov_b32_e32 v25, 0
	ds_read_b128 v[25:28], v25 offset:272
	s_waitcnt lgkmcnt(0)
	v_mul_f64 v[29:30], v[3:4], v[27:28]
	v_mul_f64 v[27:28], v[1:2], v[27:28]
	v_fma_f64 v[1:2], v[1:2], v[25:26], -v[29:30]
	v_fma_f64 v[3:4], v[3:4], v[25:26], v[27:28]
	buffer_store_dword v2, off, s[0:3], 0 offset:276
	buffer_store_dword v1, off, s[0:3], 0 offset:272
	;; [unrolled: 1-line block ×4, first 2 shown]
.LBB52_283:
	s_or_b32 exec_lo, exec_lo, s8
	v_mov_b32_e32 v4, s44
	v_cmp_lt_u32_e64 s5, 16, v0
	s_clause 0x3
	buffer_load_dword v1, v4, s[0:3], 0 offen
	buffer_load_dword v2, v4, s[0:3], 0 offen offset:4
	buffer_load_dword v3, v4, s[0:3], 0 offen offset:8
	;; [unrolled: 1-line block ×3, first 2 shown]
	s_waitcnt vmcnt(0)
	ds_write_b128 v24, v[1:4]
	s_waitcnt lgkmcnt(0)
	s_waitcnt_vscnt null, 0x0
	s_barrier
	buffer_gl0_inv
	s_and_saveexec_b32 s8, s5
	s_cbranch_execz .LBB52_291
; %bb.284:
	ds_read_b128 v[1:4], v24
	s_andn2_b32 vcc_lo, exec_lo, s60
	s_cbranch_vccnz .LBB52_286
; %bb.285:
	s_clause 0x3
	buffer_load_dword v25, v23, s[0:3], 0 offen offset:8
	buffer_load_dword v26, v23, s[0:3], 0 offen offset:12
	buffer_load_dword v27, v23, s[0:3], 0 offen
	buffer_load_dword v28, v23, s[0:3], 0 offen offset:4
	s_waitcnt vmcnt(2) lgkmcnt(0)
	v_mul_f64 v[29:30], v[3:4], v[25:26]
	v_mul_f64 v[25:26], v[1:2], v[25:26]
	s_waitcnt vmcnt(0)
	v_fma_f64 v[1:2], v[1:2], v[27:28], -v[29:30]
	v_fma_f64 v[3:4], v[3:4], v[27:28], v[25:26]
.LBB52_286:
	s_and_saveexec_b32 s61, s4
	s_cbranch_execz .LBB52_290
; %bb.287:
	v_subrev_nc_u32_e32 v25, 17, v0
	s_movk_i32 s62, 0x460
	s_mov_b32 s4, 0
	s_mov_b32 s63, s43
	.p2align	6
.LBB52_288:                             ; =>This Inner Loop Header: Depth=1
	v_mov_b32_e32 v26, s63
	v_add_nc_u32_e32 v25, -1, v25
	s_add_i32 s63, s63, 16
	s_clause 0x3
	buffer_load_dword v30, v26, s[0:3], 0 offen offset:8
	buffer_load_dword v31, v26, s[0:3], 0 offen offset:12
	buffer_load_dword v32, v26, s[0:3], 0 offen
	buffer_load_dword v33, v26, s[0:3], 0 offen offset:4
	v_mov_b32_e32 v26, s62
	v_cmp_eq_u32_e32 vcc_lo, 0, v25
	s_add_i32 s62, s62, 16
	ds_read_b128 v[26:29], v26
	s_or_b32 s4, vcc_lo, s4
	s_waitcnt vmcnt(2) lgkmcnt(0)
	v_mul_f64 v[34:35], v[28:29], v[30:31]
	v_mul_f64 v[30:31], v[26:27], v[30:31]
	s_waitcnt vmcnt(0)
	v_fma_f64 v[26:27], v[26:27], v[32:33], -v[34:35]
	v_fma_f64 v[28:29], v[28:29], v[32:33], v[30:31]
	v_add_f64 v[1:2], v[1:2], v[26:27]
	v_add_f64 v[3:4], v[3:4], v[28:29]
	s_andn2_b32 exec_lo, exec_lo, s4
	s_cbranch_execnz .LBB52_288
; %bb.289:
	s_or_b32 exec_lo, exec_lo, s4
.LBB52_290:
	s_or_b32 exec_lo, exec_lo, s61
	v_mov_b32_e32 v25, 0
	ds_read_b128 v[25:28], v25 offset:256
	s_waitcnt lgkmcnt(0)
	v_mul_f64 v[29:30], v[3:4], v[27:28]
	v_mul_f64 v[27:28], v[1:2], v[27:28]
	v_fma_f64 v[1:2], v[1:2], v[25:26], -v[29:30]
	v_fma_f64 v[3:4], v[3:4], v[25:26], v[27:28]
	buffer_store_dword v2, off, s[0:3], 0 offset:260
	buffer_store_dword v1, off, s[0:3], 0 offset:256
	;; [unrolled: 1-line block ×4, first 2 shown]
.LBB52_291:
	s_or_b32 exec_lo, exec_lo, s8
	v_mov_b32_e32 v4, s45
	v_cmp_lt_u32_e64 s4, 15, v0
	s_clause 0x3
	buffer_load_dword v1, v4, s[0:3], 0 offen
	buffer_load_dword v2, v4, s[0:3], 0 offen offset:4
	buffer_load_dword v3, v4, s[0:3], 0 offen offset:8
	;; [unrolled: 1-line block ×3, first 2 shown]
	s_waitcnt vmcnt(0)
	ds_write_b128 v24, v[1:4]
	s_waitcnt lgkmcnt(0)
	s_waitcnt_vscnt null, 0x0
	s_barrier
	buffer_gl0_inv
	s_and_saveexec_b32 s8, s4
	s_cbranch_execz .LBB52_299
; %bb.292:
	ds_read_b128 v[1:4], v24
	s_andn2_b32 vcc_lo, exec_lo, s60
	s_cbranch_vccnz .LBB52_294
; %bb.293:
	s_clause 0x3
	buffer_load_dword v25, v23, s[0:3], 0 offen offset:8
	buffer_load_dword v26, v23, s[0:3], 0 offen offset:12
	buffer_load_dword v27, v23, s[0:3], 0 offen
	buffer_load_dword v28, v23, s[0:3], 0 offen offset:4
	s_waitcnt vmcnt(2) lgkmcnt(0)
	v_mul_f64 v[29:30], v[3:4], v[25:26]
	v_mul_f64 v[25:26], v[1:2], v[25:26]
	s_waitcnt vmcnt(0)
	v_fma_f64 v[1:2], v[1:2], v[27:28], -v[29:30]
	v_fma_f64 v[3:4], v[3:4], v[27:28], v[25:26]
.LBB52_294:
	s_and_saveexec_b32 s61, s5
	s_cbranch_execz .LBB52_298
; %bb.295:
	v_add_nc_u32_e32 v25, -16, v0
	s_movk_i32 s62, 0x450
	s_mov_b32 s5, 0
	s_mov_b32 s63, s44
	.p2align	6
.LBB52_296:                             ; =>This Inner Loop Header: Depth=1
	v_mov_b32_e32 v26, s63
	v_add_nc_u32_e32 v25, -1, v25
	s_add_i32 s63, s63, 16
	s_clause 0x3
	buffer_load_dword v30, v26, s[0:3], 0 offen offset:8
	buffer_load_dword v31, v26, s[0:3], 0 offen offset:12
	buffer_load_dword v32, v26, s[0:3], 0 offen
	buffer_load_dword v33, v26, s[0:3], 0 offen offset:4
	v_mov_b32_e32 v26, s62
	v_cmp_eq_u32_e32 vcc_lo, 0, v25
	s_add_i32 s62, s62, 16
	ds_read_b128 v[26:29], v26
	s_or_b32 s5, vcc_lo, s5
	s_waitcnt vmcnt(2) lgkmcnt(0)
	v_mul_f64 v[34:35], v[28:29], v[30:31]
	v_mul_f64 v[30:31], v[26:27], v[30:31]
	s_waitcnt vmcnt(0)
	v_fma_f64 v[26:27], v[26:27], v[32:33], -v[34:35]
	v_fma_f64 v[28:29], v[28:29], v[32:33], v[30:31]
	v_add_f64 v[1:2], v[1:2], v[26:27]
	v_add_f64 v[3:4], v[3:4], v[28:29]
	s_andn2_b32 exec_lo, exec_lo, s5
	s_cbranch_execnz .LBB52_296
; %bb.297:
	s_or_b32 exec_lo, exec_lo, s5
.LBB52_298:
	s_or_b32 exec_lo, exec_lo, s61
	v_mov_b32_e32 v25, 0
	ds_read_b128 v[25:28], v25 offset:240
	s_waitcnt lgkmcnt(0)
	v_mul_f64 v[29:30], v[3:4], v[27:28]
	v_mul_f64 v[27:28], v[1:2], v[27:28]
	v_fma_f64 v[1:2], v[1:2], v[25:26], -v[29:30]
	v_fma_f64 v[3:4], v[3:4], v[25:26], v[27:28]
	buffer_store_dword v2, off, s[0:3], 0 offset:244
	buffer_store_dword v1, off, s[0:3], 0 offset:240
	;; [unrolled: 1-line block ×4, first 2 shown]
.LBB52_299:
	s_or_b32 exec_lo, exec_lo, s8
	v_mov_b32_e32 v4, s46
	v_cmp_lt_u32_e64 s5, 14, v0
	s_clause 0x3
	buffer_load_dword v1, v4, s[0:3], 0 offen
	buffer_load_dword v2, v4, s[0:3], 0 offen offset:4
	buffer_load_dword v3, v4, s[0:3], 0 offen offset:8
	;; [unrolled: 1-line block ×3, first 2 shown]
	s_waitcnt vmcnt(0)
	ds_write_b128 v24, v[1:4]
	s_waitcnt lgkmcnt(0)
	s_waitcnt_vscnt null, 0x0
	s_barrier
	buffer_gl0_inv
	s_and_saveexec_b32 s8, s5
	s_cbranch_execz .LBB52_307
; %bb.300:
	ds_read_b128 v[1:4], v24
	s_andn2_b32 vcc_lo, exec_lo, s60
	s_cbranch_vccnz .LBB52_302
; %bb.301:
	s_clause 0x3
	buffer_load_dword v25, v23, s[0:3], 0 offen offset:8
	buffer_load_dword v26, v23, s[0:3], 0 offen offset:12
	buffer_load_dword v27, v23, s[0:3], 0 offen
	buffer_load_dword v28, v23, s[0:3], 0 offen offset:4
	s_waitcnt vmcnt(2) lgkmcnt(0)
	v_mul_f64 v[29:30], v[3:4], v[25:26]
	v_mul_f64 v[25:26], v[1:2], v[25:26]
	s_waitcnt vmcnt(0)
	v_fma_f64 v[1:2], v[1:2], v[27:28], -v[29:30]
	v_fma_f64 v[3:4], v[3:4], v[27:28], v[25:26]
.LBB52_302:
	s_and_saveexec_b32 s61, s4
	s_cbranch_execz .LBB52_306
; %bb.303:
	v_add_nc_u32_e32 v25, -15, v0
	s_movk_i32 s62, 0x440
	s_mov_b32 s4, 0
	s_mov_b32 s63, s45
	.p2align	6
.LBB52_304:                             ; =>This Inner Loop Header: Depth=1
	v_mov_b32_e32 v26, s63
	v_add_nc_u32_e32 v25, -1, v25
	s_add_i32 s63, s63, 16
	s_clause 0x3
	buffer_load_dword v30, v26, s[0:3], 0 offen offset:8
	buffer_load_dword v31, v26, s[0:3], 0 offen offset:12
	buffer_load_dword v32, v26, s[0:3], 0 offen
	buffer_load_dword v33, v26, s[0:3], 0 offen offset:4
	v_mov_b32_e32 v26, s62
	v_cmp_eq_u32_e32 vcc_lo, 0, v25
	s_add_i32 s62, s62, 16
	ds_read_b128 v[26:29], v26
	s_or_b32 s4, vcc_lo, s4
	s_waitcnt vmcnt(2) lgkmcnt(0)
	v_mul_f64 v[34:35], v[28:29], v[30:31]
	v_mul_f64 v[30:31], v[26:27], v[30:31]
	s_waitcnt vmcnt(0)
	v_fma_f64 v[26:27], v[26:27], v[32:33], -v[34:35]
	v_fma_f64 v[28:29], v[28:29], v[32:33], v[30:31]
	v_add_f64 v[1:2], v[1:2], v[26:27]
	v_add_f64 v[3:4], v[3:4], v[28:29]
	s_andn2_b32 exec_lo, exec_lo, s4
	s_cbranch_execnz .LBB52_304
; %bb.305:
	s_or_b32 exec_lo, exec_lo, s4
.LBB52_306:
	s_or_b32 exec_lo, exec_lo, s61
	v_mov_b32_e32 v25, 0
	ds_read_b128 v[25:28], v25 offset:224
	s_waitcnt lgkmcnt(0)
	v_mul_f64 v[29:30], v[3:4], v[27:28]
	v_mul_f64 v[27:28], v[1:2], v[27:28]
	v_fma_f64 v[1:2], v[1:2], v[25:26], -v[29:30]
	v_fma_f64 v[3:4], v[3:4], v[25:26], v[27:28]
	buffer_store_dword v2, off, s[0:3], 0 offset:228
	buffer_store_dword v1, off, s[0:3], 0 offset:224
	;; [unrolled: 1-line block ×4, first 2 shown]
.LBB52_307:
	s_or_b32 exec_lo, exec_lo, s8
	v_mov_b32_e32 v4, s47
	v_cmp_lt_u32_e64 s4, 13, v0
	s_clause 0x3
	buffer_load_dword v1, v4, s[0:3], 0 offen
	buffer_load_dword v2, v4, s[0:3], 0 offen offset:4
	buffer_load_dword v3, v4, s[0:3], 0 offen offset:8
	;; [unrolled: 1-line block ×3, first 2 shown]
	s_waitcnt vmcnt(0)
	ds_write_b128 v24, v[1:4]
	s_waitcnt lgkmcnt(0)
	s_waitcnt_vscnt null, 0x0
	s_barrier
	buffer_gl0_inv
	s_and_saveexec_b32 s8, s4
	s_cbranch_execz .LBB52_315
; %bb.308:
	ds_read_b128 v[1:4], v24
	s_andn2_b32 vcc_lo, exec_lo, s60
	s_cbranch_vccnz .LBB52_310
; %bb.309:
	s_clause 0x3
	buffer_load_dword v25, v23, s[0:3], 0 offen offset:8
	buffer_load_dword v26, v23, s[0:3], 0 offen offset:12
	buffer_load_dword v27, v23, s[0:3], 0 offen
	buffer_load_dword v28, v23, s[0:3], 0 offen offset:4
	s_waitcnt vmcnt(2) lgkmcnt(0)
	v_mul_f64 v[29:30], v[3:4], v[25:26]
	v_mul_f64 v[25:26], v[1:2], v[25:26]
	s_waitcnt vmcnt(0)
	v_fma_f64 v[1:2], v[1:2], v[27:28], -v[29:30]
	v_fma_f64 v[3:4], v[3:4], v[27:28], v[25:26]
.LBB52_310:
	s_and_saveexec_b32 s61, s5
	s_cbranch_execz .LBB52_314
; %bb.311:
	v_add_nc_u32_e32 v25, -14, v0
	s_movk_i32 s62, 0x430
	s_mov_b32 s5, 0
	s_mov_b32 s63, s46
	.p2align	6
.LBB52_312:                             ; =>This Inner Loop Header: Depth=1
	v_mov_b32_e32 v26, s63
	v_add_nc_u32_e32 v25, -1, v25
	s_add_i32 s63, s63, 16
	s_clause 0x3
	buffer_load_dword v30, v26, s[0:3], 0 offen offset:8
	buffer_load_dword v31, v26, s[0:3], 0 offen offset:12
	buffer_load_dword v32, v26, s[0:3], 0 offen
	buffer_load_dword v33, v26, s[0:3], 0 offen offset:4
	v_mov_b32_e32 v26, s62
	v_cmp_eq_u32_e32 vcc_lo, 0, v25
	s_add_i32 s62, s62, 16
	ds_read_b128 v[26:29], v26
	s_or_b32 s5, vcc_lo, s5
	s_waitcnt vmcnt(2) lgkmcnt(0)
	v_mul_f64 v[34:35], v[28:29], v[30:31]
	v_mul_f64 v[30:31], v[26:27], v[30:31]
	s_waitcnt vmcnt(0)
	v_fma_f64 v[26:27], v[26:27], v[32:33], -v[34:35]
	v_fma_f64 v[28:29], v[28:29], v[32:33], v[30:31]
	v_add_f64 v[1:2], v[1:2], v[26:27]
	v_add_f64 v[3:4], v[3:4], v[28:29]
	s_andn2_b32 exec_lo, exec_lo, s5
	s_cbranch_execnz .LBB52_312
; %bb.313:
	s_or_b32 exec_lo, exec_lo, s5
.LBB52_314:
	s_or_b32 exec_lo, exec_lo, s61
	v_mov_b32_e32 v25, 0
	ds_read_b128 v[25:28], v25 offset:208
	s_waitcnt lgkmcnt(0)
	v_mul_f64 v[29:30], v[3:4], v[27:28]
	v_mul_f64 v[27:28], v[1:2], v[27:28]
	v_fma_f64 v[1:2], v[1:2], v[25:26], -v[29:30]
	v_fma_f64 v[3:4], v[3:4], v[25:26], v[27:28]
	buffer_store_dword v2, off, s[0:3], 0 offset:212
	buffer_store_dword v1, off, s[0:3], 0 offset:208
	;; [unrolled: 1-line block ×4, first 2 shown]
.LBB52_315:
	s_or_b32 exec_lo, exec_lo, s8
	v_mov_b32_e32 v4, s48
	v_cmp_lt_u32_e64 s5, 12, v0
	s_clause 0x3
	buffer_load_dword v1, v4, s[0:3], 0 offen
	buffer_load_dword v2, v4, s[0:3], 0 offen offset:4
	buffer_load_dword v3, v4, s[0:3], 0 offen offset:8
	;; [unrolled: 1-line block ×3, first 2 shown]
	s_waitcnt vmcnt(0)
	ds_write_b128 v24, v[1:4]
	s_waitcnt lgkmcnt(0)
	s_waitcnt_vscnt null, 0x0
	s_barrier
	buffer_gl0_inv
	s_and_saveexec_b32 s8, s5
	s_cbranch_execz .LBB52_323
; %bb.316:
	ds_read_b128 v[1:4], v24
	s_andn2_b32 vcc_lo, exec_lo, s60
	s_cbranch_vccnz .LBB52_318
; %bb.317:
	s_clause 0x3
	buffer_load_dword v25, v23, s[0:3], 0 offen offset:8
	buffer_load_dword v26, v23, s[0:3], 0 offen offset:12
	buffer_load_dword v27, v23, s[0:3], 0 offen
	buffer_load_dword v28, v23, s[0:3], 0 offen offset:4
	s_waitcnt vmcnt(2) lgkmcnt(0)
	v_mul_f64 v[29:30], v[3:4], v[25:26]
	v_mul_f64 v[25:26], v[1:2], v[25:26]
	s_waitcnt vmcnt(0)
	v_fma_f64 v[1:2], v[1:2], v[27:28], -v[29:30]
	v_fma_f64 v[3:4], v[3:4], v[27:28], v[25:26]
.LBB52_318:
	s_and_saveexec_b32 s61, s4
	s_cbranch_execz .LBB52_322
; %bb.319:
	v_add_nc_u32_e32 v25, -13, v0
	s_movk_i32 s62, 0x420
	s_mov_b32 s4, 0
	s_mov_b32 s63, s47
	.p2align	6
.LBB52_320:                             ; =>This Inner Loop Header: Depth=1
	v_mov_b32_e32 v26, s63
	v_add_nc_u32_e32 v25, -1, v25
	s_add_i32 s63, s63, 16
	s_clause 0x3
	buffer_load_dword v30, v26, s[0:3], 0 offen offset:8
	buffer_load_dword v31, v26, s[0:3], 0 offen offset:12
	buffer_load_dword v32, v26, s[0:3], 0 offen
	buffer_load_dword v33, v26, s[0:3], 0 offen offset:4
	v_mov_b32_e32 v26, s62
	v_cmp_eq_u32_e32 vcc_lo, 0, v25
	s_add_i32 s62, s62, 16
	ds_read_b128 v[26:29], v26
	s_or_b32 s4, vcc_lo, s4
	s_waitcnt vmcnt(2) lgkmcnt(0)
	v_mul_f64 v[34:35], v[28:29], v[30:31]
	v_mul_f64 v[30:31], v[26:27], v[30:31]
	s_waitcnt vmcnt(0)
	v_fma_f64 v[26:27], v[26:27], v[32:33], -v[34:35]
	v_fma_f64 v[28:29], v[28:29], v[32:33], v[30:31]
	v_add_f64 v[1:2], v[1:2], v[26:27]
	v_add_f64 v[3:4], v[3:4], v[28:29]
	s_andn2_b32 exec_lo, exec_lo, s4
	s_cbranch_execnz .LBB52_320
; %bb.321:
	s_or_b32 exec_lo, exec_lo, s4
.LBB52_322:
	s_or_b32 exec_lo, exec_lo, s61
	v_mov_b32_e32 v25, 0
	ds_read_b128 v[25:28], v25 offset:192
	s_waitcnt lgkmcnt(0)
	v_mul_f64 v[29:30], v[3:4], v[27:28]
	v_mul_f64 v[27:28], v[1:2], v[27:28]
	v_fma_f64 v[1:2], v[1:2], v[25:26], -v[29:30]
	v_fma_f64 v[3:4], v[3:4], v[25:26], v[27:28]
	buffer_store_dword v2, off, s[0:3], 0 offset:196
	buffer_store_dword v1, off, s[0:3], 0 offset:192
	;; [unrolled: 1-line block ×4, first 2 shown]
.LBB52_323:
	s_or_b32 exec_lo, exec_lo, s8
	v_mov_b32_e32 v4, s49
	v_cmp_lt_u32_e64 s4, 11, v0
	s_clause 0x3
	buffer_load_dword v1, v4, s[0:3], 0 offen
	buffer_load_dword v2, v4, s[0:3], 0 offen offset:4
	buffer_load_dword v3, v4, s[0:3], 0 offen offset:8
	;; [unrolled: 1-line block ×3, first 2 shown]
	s_waitcnt vmcnt(0)
	ds_write_b128 v24, v[1:4]
	s_waitcnt lgkmcnt(0)
	s_waitcnt_vscnt null, 0x0
	s_barrier
	buffer_gl0_inv
	s_and_saveexec_b32 s8, s4
	s_cbranch_execz .LBB52_331
; %bb.324:
	ds_read_b128 v[1:4], v24
	s_andn2_b32 vcc_lo, exec_lo, s60
	s_cbranch_vccnz .LBB52_326
; %bb.325:
	s_clause 0x3
	buffer_load_dword v25, v23, s[0:3], 0 offen offset:8
	buffer_load_dword v26, v23, s[0:3], 0 offen offset:12
	buffer_load_dword v27, v23, s[0:3], 0 offen
	buffer_load_dword v28, v23, s[0:3], 0 offen offset:4
	s_waitcnt vmcnt(2) lgkmcnt(0)
	v_mul_f64 v[29:30], v[3:4], v[25:26]
	v_mul_f64 v[25:26], v[1:2], v[25:26]
	s_waitcnt vmcnt(0)
	v_fma_f64 v[1:2], v[1:2], v[27:28], -v[29:30]
	v_fma_f64 v[3:4], v[3:4], v[27:28], v[25:26]
.LBB52_326:
	s_and_saveexec_b32 s61, s5
	s_cbranch_execz .LBB52_330
; %bb.327:
	v_add_nc_u32_e32 v25, -12, v0
	s_movk_i32 s62, 0x410
	s_mov_b32 s5, 0
	s_mov_b32 s63, s48
	.p2align	6
.LBB52_328:                             ; =>This Inner Loop Header: Depth=1
	v_mov_b32_e32 v26, s63
	v_add_nc_u32_e32 v25, -1, v25
	s_add_i32 s63, s63, 16
	s_clause 0x3
	buffer_load_dword v30, v26, s[0:3], 0 offen offset:8
	buffer_load_dword v31, v26, s[0:3], 0 offen offset:12
	buffer_load_dword v32, v26, s[0:3], 0 offen
	buffer_load_dword v33, v26, s[0:3], 0 offen offset:4
	v_mov_b32_e32 v26, s62
	v_cmp_eq_u32_e32 vcc_lo, 0, v25
	s_add_i32 s62, s62, 16
	ds_read_b128 v[26:29], v26
	s_or_b32 s5, vcc_lo, s5
	s_waitcnt vmcnt(2) lgkmcnt(0)
	v_mul_f64 v[34:35], v[28:29], v[30:31]
	v_mul_f64 v[30:31], v[26:27], v[30:31]
	s_waitcnt vmcnt(0)
	v_fma_f64 v[26:27], v[26:27], v[32:33], -v[34:35]
	v_fma_f64 v[28:29], v[28:29], v[32:33], v[30:31]
	v_add_f64 v[1:2], v[1:2], v[26:27]
	v_add_f64 v[3:4], v[3:4], v[28:29]
	s_andn2_b32 exec_lo, exec_lo, s5
	s_cbranch_execnz .LBB52_328
; %bb.329:
	s_or_b32 exec_lo, exec_lo, s5
.LBB52_330:
	s_or_b32 exec_lo, exec_lo, s61
	v_mov_b32_e32 v25, 0
	ds_read_b128 v[25:28], v25 offset:176
	s_waitcnt lgkmcnt(0)
	v_mul_f64 v[29:30], v[3:4], v[27:28]
	v_mul_f64 v[27:28], v[1:2], v[27:28]
	v_fma_f64 v[1:2], v[1:2], v[25:26], -v[29:30]
	v_fma_f64 v[3:4], v[3:4], v[25:26], v[27:28]
	buffer_store_dword v2, off, s[0:3], 0 offset:180
	buffer_store_dword v1, off, s[0:3], 0 offset:176
	;; [unrolled: 1-line block ×4, first 2 shown]
.LBB52_331:
	s_or_b32 exec_lo, exec_lo, s8
	v_mov_b32_e32 v4, s50
	v_cmp_lt_u32_e64 s5, 10, v0
	s_clause 0x3
	buffer_load_dword v1, v4, s[0:3], 0 offen
	buffer_load_dword v2, v4, s[0:3], 0 offen offset:4
	buffer_load_dword v3, v4, s[0:3], 0 offen offset:8
	;; [unrolled: 1-line block ×3, first 2 shown]
	s_waitcnt vmcnt(0)
	ds_write_b128 v24, v[1:4]
	s_waitcnt lgkmcnt(0)
	s_waitcnt_vscnt null, 0x0
	s_barrier
	buffer_gl0_inv
	s_and_saveexec_b32 s8, s5
	s_cbranch_execz .LBB52_339
; %bb.332:
	ds_read_b128 v[1:4], v24
	s_andn2_b32 vcc_lo, exec_lo, s60
	s_cbranch_vccnz .LBB52_334
; %bb.333:
	s_clause 0x3
	buffer_load_dword v25, v23, s[0:3], 0 offen offset:8
	buffer_load_dword v26, v23, s[0:3], 0 offen offset:12
	buffer_load_dword v27, v23, s[0:3], 0 offen
	buffer_load_dword v28, v23, s[0:3], 0 offen offset:4
	s_waitcnt vmcnt(2) lgkmcnt(0)
	v_mul_f64 v[29:30], v[3:4], v[25:26]
	v_mul_f64 v[25:26], v[1:2], v[25:26]
	s_waitcnt vmcnt(0)
	v_fma_f64 v[1:2], v[1:2], v[27:28], -v[29:30]
	v_fma_f64 v[3:4], v[3:4], v[27:28], v[25:26]
.LBB52_334:
	s_and_saveexec_b32 s61, s4
	s_cbranch_execz .LBB52_338
; %bb.335:
	v_add_nc_u32_e32 v25, -11, v0
	s_movk_i32 s62, 0x400
	s_mov_b32 s4, 0
	s_mov_b32 s63, s49
	.p2align	6
.LBB52_336:                             ; =>This Inner Loop Header: Depth=1
	v_mov_b32_e32 v26, s63
	v_add_nc_u32_e32 v25, -1, v25
	s_add_i32 s63, s63, 16
	s_clause 0x3
	buffer_load_dword v30, v26, s[0:3], 0 offen offset:8
	buffer_load_dword v31, v26, s[0:3], 0 offen offset:12
	buffer_load_dword v32, v26, s[0:3], 0 offen
	buffer_load_dword v33, v26, s[0:3], 0 offen offset:4
	v_mov_b32_e32 v26, s62
	v_cmp_eq_u32_e32 vcc_lo, 0, v25
	s_add_i32 s62, s62, 16
	ds_read_b128 v[26:29], v26
	s_or_b32 s4, vcc_lo, s4
	s_waitcnt vmcnt(2) lgkmcnt(0)
	v_mul_f64 v[34:35], v[28:29], v[30:31]
	v_mul_f64 v[30:31], v[26:27], v[30:31]
	s_waitcnt vmcnt(0)
	v_fma_f64 v[26:27], v[26:27], v[32:33], -v[34:35]
	v_fma_f64 v[28:29], v[28:29], v[32:33], v[30:31]
	v_add_f64 v[1:2], v[1:2], v[26:27]
	v_add_f64 v[3:4], v[3:4], v[28:29]
	s_andn2_b32 exec_lo, exec_lo, s4
	s_cbranch_execnz .LBB52_336
; %bb.337:
	s_or_b32 exec_lo, exec_lo, s4
.LBB52_338:
	s_or_b32 exec_lo, exec_lo, s61
	v_mov_b32_e32 v25, 0
	ds_read_b128 v[25:28], v25 offset:160
	s_waitcnt lgkmcnt(0)
	v_mul_f64 v[29:30], v[3:4], v[27:28]
	v_mul_f64 v[27:28], v[1:2], v[27:28]
	v_fma_f64 v[1:2], v[1:2], v[25:26], -v[29:30]
	v_fma_f64 v[3:4], v[3:4], v[25:26], v[27:28]
	buffer_store_dword v2, off, s[0:3], 0 offset:164
	buffer_store_dword v1, off, s[0:3], 0 offset:160
	;; [unrolled: 1-line block ×4, first 2 shown]
.LBB52_339:
	s_or_b32 exec_lo, exec_lo, s8
	v_mov_b32_e32 v4, s51
	v_cmp_lt_u32_e64 s4, 9, v0
	s_clause 0x3
	buffer_load_dword v1, v4, s[0:3], 0 offen
	buffer_load_dword v2, v4, s[0:3], 0 offen offset:4
	buffer_load_dword v3, v4, s[0:3], 0 offen offset:8
	;; [unrolled: 1-line block ×3, first 2 shown]
	s_waitcnt vmcnt(0)
	ds_write_b128 v24, v[1:4]
	s_waitcnt lgkmcnt(0)
	s_waitcnt_vscnt null, 0x0
	s_barrier
	buffer_gl0_inv
	s_and_saveexec_b32 s8, s4
	s_cbranch_execz .LBB52_347
; %bb.340:
	ds_read_b128 v[1:4], v24
	s_andn2_b32 vcc_lo, exec_lo, s60
	s_cbranch_vccnz .LBB52_342
; %bb.341:
	s_clause 0x3
	buffer_load_dword v25, v23, s[0:3], 0 offen offset:8
	buffer_load_dword v26, v23, s[0:3], 0 offen offset:12
	buffer_load_dword v27, v23, s[0:3], 0 offen
	buffer_load_dword v28, v23, s[0:3], 0 offen offset:4
	s_waitcnt vmcnt(2) lgkmcnt(0)
	v_mul_f64 v[29:30], v[3:4], v[25:26]
	v_mul_f64 v[25:26], v[1:2], v[25:26]
	s_waitcnt vmcnt(0)
	v_fma_f64 v[1:2], v[1:2], v[27:28], -v[29:30]
	v_fma_f64 v[3:4], v[3:4], v[27:28], v[25:26]
.LBB52_342:
	s_and_saveexec_b32 s61, s5
	s_cbranch_execz .LBB52_346
; %bb.343:
	v_add_nc_u32_e32 v25, -10, v0
	s_movk_i32 s62, 0x3f0
	s_mov_b32 s5, 0
	s_mov_b32 s63, s50
	.p2align	6
.LBB52_344:                             ; =>This Inner Loop Header: Depth=1
	v_mov_b32_e32 v26, s63
	v_add_nc_u32_e32 v25, -1, v25
	s_add_i32 s63, s63, 16
	s_clause 0x3
	buffer_load_dword v30, v26, s[0:3], 0 offen offset:8
	buffer_load_dword v31, v26, s[0:3], 0 offen offset:12
	buffer_load_dword v32, v26, s[0:3], 0 offen
	buffer_load_dword v33, v26, s[0:3], 0 offen offset:4
	v_mov_b32_e32 v26, s62
	v_cmp_eq_u32_e32 vcc_lo, 0, v25
	s_add_i32 s62, s62, 16
	ds_read_b128 v[26:29], v26
	s_or_b32 s5, vcc_lo, s5
	s_waitcnt vmcnt(2) lgkmcnt(0)
	v_mul_f64 v[34:35], v[28:29], v[30:31]
	v_mul_f64 v[30:31], v[26:27], v[30:31]
	s_waitcnt vmcnt(0)
	v_fma_f64 v[26:27], v[26:27], v[32:33], -v[34:35]
	v_fma_f64 v[28:29], v[28:29], v[32:33], v[30:31]
	v_add_f64 v[1:2], v[1:2], v[26:27]
	v_add_f64 v[3:4], v[3:4], v[28:29]
	s_andn2_b32 exec_lo, exec_lo, s5
	s_cbranch_execnz .LBB52_344
; %bb.345:
	s_or_b32 exec_lo, exec_lo, s5
.LBB52_346:
	s_or_b32 exec_lo, exec_lo, s61
	v_mov_b32_e32 v25, 0
	ds_read_b128 v[25:28], v25 offset:144
	s_waitcnt lgkmcnt(0)
	v_mul_f64 v[29:30], v[3:4], v[27:28]
	v_mul_f64 v[27:28], v[1:2], v[27:28]
	v_fma_f64 v[1:2], v[1:2], v[25:26], -v[29:30]
	v_fma_f64 v[3:4], v[3:4], v[25:26], v[27:28]
	buffer_store_dword v2, off, s[0:3], 0 offset:148
	buffer_store_dword v1, off, s[0:3], 0 offset:144
	;; [unrolled: 1-line block ×4, first 2 shown]
.LBB52_347:
	s_or_b32 exec_lo, exec_lo, s8
	v_mov_b32_e32 v4, s52
	v_cmp_lt_u32_e64 s5, 8, v0
	s_clause 0x3
	buffer_load_dword v1, v4, s[0:3], 0 offen
	buffer_load_dword v2, v4, s[0:3], 0 offen offset:4
	buffer_load_dword v3, v4, s[0:3], 0 offen offset:8
	;; [unrolled: 1-line block ×3, first 2 shown]
	s_waitcnt vmcnt(0)
	ds_write_b128 v24, v[1:4]
	s_waitcnt lgkmcnt(0)
	s_waitcnt_vscnt null, 0x0
	s_barrier
	buffer_gl0_inv
	s_and_saveexec_b32 s8, s5
	s_cbranch_execz .LBB52_355
; %bb.348:
	ds_read_b128 v[1:4], v24
	s_andn2_b32 vcc_lo, exec_lo, s60
	s_cbranch_vccnz .LBB52_350
; %bb.349:
	s_clause 0x3
	buffer_load_dword v25, v23, s[0:3], 0 offen offset:8
	buffer_load_dword v26, v23, s[0:3], 0 offen offset:12
	buffer_load_dword v27, v23, s[0:3], 0 offen
	buffer_load_dword v28, v23, s[0:3], 0 offen offset:4
	s_waitcnt vmcnt(2) lgkmcnt(0)
	v_mul_f64 v[29:30], v[3:4], v[25:26]
	v_mul_f64 v[25:26], v[1:2], v[25:26]
	s_waitcnt vmcnt(0)
	v_fma_f64 v[1:2], v[1:2], v[27:28], -v[29:30]
	v_fma_f64 v[3:4], v[3:4], v[27:28], v[25:26]
.LBB52_350:
	s_and_saveexec_b32 s61, s4
	s_cbranch_execz .LBB52_354
; %bb.351:
	v_add_nc_u32_e32 v25, -9, v0
	s_movk_i32 s62, 0x3e0
	s_mov_b32 s4, 0
	s_mov_b32 s63, s51
	.p2align	6
.LBB52_352:                             ; =>This Inner Loop Header: Depth=1
	v_mov_b32_e32 v26, s63
	v_add_nc_u32_e32 v25, -1, v25
	s_add_i32 s63, s63, 16
	s_clause 0x3
	buffer_load_dword v30, v26, s[0:3], 0 offen offset:8
	buffer_load_dword v31, v26, s[0:3], 0 offen offset:12
	buffer_load_dword v32, v26, s[0:3], 0 offen
	buffer_load_dword v33, v26, s[0:3], 0 offen offset:4
	v_mov_b32_e32 v26, s62
	v_cmp_eq_u32_e32 vcc_lo, 0, v25
	s_add_i32 s62, s62, 16
	ds_read_b128 v[26:29], v26
	s_or_b32 s4, vcc_lo, s4
	s_waitcnt vmcnt(2) lgkmcnt(0)
	v_mul_f64 v[34:35], v[28:29], v[30:31]
	v_mul_f64 v[30:31], v[26:27], v[30:31]
	s_waitcnt vmcnt(0)
	v_fma_f64 v[26:27], v[26:27], v[32:33], -v[34:35]
	v_fma_f64 v[28:29], v[28:29], v[32:33], v[30:31]
	v_add_f64 v[1:2], v[1:2], v[26:27]
	v_add_f64 v[3:4], v[3:4], v[28:29]
	s_andn2_b32 exec_lo, exec_lo, s4
	s_cbranch_execnz .LBB52_352
; %bb.353:
	s_or_b32 exec_lo, exec_lo, s4
.LBB52_354:
	s_or_b32 exec_lo, exec_lo, s61
	v_mov_b32_e32 v25, 0
	ds_read_b128 v[25:28], v25 offset:128
	s_waitcnt lgkmcnt(0)
	v_mul_f64 v[29:30], v[3:4], v[27:28]
	v_mul_f64 v[27:28], v[1:2], v[27:28]
	v_fma_f64 v[1:2], v[1:2], v[25:26], -v[29:30]
	v_fma_f64 v[3:4], v[3:4], v[25:26], v[27:28]
	buffer_store_dword v2, off, s[0:3], 0 offset:132
	buffer_store_dword v1, off, s[0:3], 0 offset:128
	;; [unrolled: 1-line block ×4, first 2 shown]
.LBB52_355:
	s_or_b32 exec_lo, exec_lo, s8
	v_mov_b32_e32 v4, s53
	v_cmp_lt_u32_e64 s4, 7, v0
	s_clause 0x3
	buffer_load_dword v1, v4, s[0:3], 0 offen
	buffer_load_dword v2, v4, s[0:3], 0 offen offset:4
	buffer_load_dword v3, v4, s[0:3], 0 offen offset:8
	;; [unrolled: 1-line block ×3, first 2 shown]
	s_waitcnt vmcnt(0)
	ds_write_b128 v24, v[1:4]
	s_waitcnt lgkmcnt(0)
	s_waitcnt_vscnt null, 0x0
	s_barrier
	buffer_gl0_inv
	s_and_saveexec_b32 s8, s4
	s_cbranch_execz .LBB52_363
; %bb.356:
	ds_read_b128 v[1:4], v24
	s_andn2_b32 vcc_lo, exec_lo, s60
	s_cbranch_vccnz .LBB52_358
; %bb.357:
	s_clause 0x3
	buffer_load_dword v25, v23, s[0:3], 0 offen offset:8
	buffer_load_dword v26, v23, s[0:3], 0 offen offset:12
	buffer_load_dword v27, v23, s[0:3], 0 offen
	buffer_load_dword v28, v23, s[0:3], 0 offen offset:4
	s_waitcnt vmcnt(2) lgkmcnt(0)
	v_mul_f64 v[29:30], v[3:4], v[25:26]
	v_mul_f64 v[25:26], v[1:2], v[25:26]
	s_waitcnt vmcnt(0)
	v_fma_f64 v[1:2], v[1:2], v[27:28], -v[29:30]
	v_fma_f64 v[3:4], v[3:4], v[27:28], v[25:26]
.LBB52_358:
	s_and_saveexec_b32 s61, s5
	s_cbranch_execz .LBB52_362
; %bb.359:
	v_add_nc_u32_e32 v25, -8, v0
	s_movk_i32 s62, 0x3d0
	s_mov_b32 s5, 0
	s_mov_b32 s63, s52
	.p2align	6
.LBB52_360:                             ; =>This Inner Loop Header: Depth=1
	v_mov_b32_e32 v26, s63
	v_add_nc_u32_e32 v25, -1, v25
	s_add_i32 s63, s63, 16
	s_clause 0x3
	buffer_load_dword v30, v26, s[0:3], 0 offen offset:8
	buffer_load_dword v31, v26, s[0:3], 0 offen offset:12
	buffer_load_dword v32, v26, s[0:3], 0 offen
	buffer_load_dword v33, v26, s[0:3], 0 offen offset:4
	v_mov_b32_e32 v26, s62
	v_cmp_eq_u32_e32 vcc_lo, 0, v25
	s_add_i32 s62, s62, 16
	ds_read_b128 v[26:29], v26
	s_or_b32 s5, vcc_lo, s5
	s_waitcnt vmcnt(2) lgkmcnt(0)
	v_mul_f64 v[34:35], v[28:29], v[30:31]
	v_mul_f64 v[30:31], v[26:27], v[30:31]
	s_waitcnt vmcnt(0)
	v_fma_f64 v[26:27], v[26:27], v[32:33], -v[34:35]
	v_fma_f64 v[28:29], v[28:29], v[32:33], v[30:31]
	v_add_f64 v[1:2], v[1:2], v[26:27]
	v_add_f64 v[3:4], v[3:4], v[28:29]
	s_andn2_b32 exec_lo, exec_lo, s5
	s_cbranch_execnz .LBB52_360
; %bb.361:
	s_or_b32 exec_lo, exec_lo, s5
.LBB52_362:
	s_or_b32 exec_lo, exec_lo, s61
	v_mov_b32_e32 v25, 0
	ds_read_b128 v[25:28], v25 offset:112
	s_waitcnt lgkmcnt(0)
	v_mul_f64 v[29:30], v[3:4], v[27:28]
	v_mul_f64 v[27:28], v[1:2], v[27:28]
	v_fma_f64 v[1:2], v[1:2], v[25:26], -v[29:30]
	v_fma_f64 v[3:4], v[3:4], v[25:26], v[27:28]
	buffer_store_dword v2, off, s[0:3], 0 offset:116
	buffer_store_dword v1, off, s[0:3], 0 offset:112
	buffer_store_dword v4, off, s[0:3], 0 offset:124
	buffer_store_dword v3, off, s[0:3], 0 offset:120
.LBB52_363:
	s_or_b32 exec_lo, exec_lo, s8
	v_mov_b32_e32 v4, s54
	v_cmp_lt_u32_e64 s5, 6, v0
	s_clause 0x3
	buffer_load_dword v1, v4, s[0:3], 0 offen
	buffer_load_dword v2, v4, s[0:3], 0 offen offset:4
	buffer_load_dword v3, v4, s[0:3], 0 offen offset:8
	;; [unrolled: 1-line block ×3, first 2 shown]
	s_waitcnt vmcnt(0)
	ds_write_b128 v24, v[1:4]
	s_waitcnt lgkmcnt(0)
	s_waitcnt_vscnt null, 0x0
	s_barrier
	buffer_gl0_inv
	s_and_saveexec_b32 s8, s5
	s_cbranch_execz .LBB52_371
; %bb.364:
	ds_read_b128 v[1:4], v24
	s_andn2_b32 vcc_lo, exec_lo, s60
	s_cbranch_vccnz .LBB52_366
; %bb.365:
	s_clause 0x3
	buffer_load_dword v25, v23, s[0:3], 0 offen offset:8
	buffer_load_dword v26, v23, s[0:3], 0 offen offset:12
	buffer_load_dword v27, v23, s[0:3], 0 offen
	buffer_load_dword v28, v23, s[0:3], 0 offen offset:4
	s_waitcnt vmcnt(2) lgkmcnt(0)
	v_mul_f64 v[29:30], v[3:4], v[25:26]
	v_mul_f64 v[25:26], v[1:2], v[25:26]
	s_waitcnt vmcnt(0)
	v_fma_f64 v[1:2], v[1:2], v[27:28], -v[29:30]
	v_fma_f64 v[3:4], v[3:4], v[27:28], v[25:26]
.LBB52_366:
	s_and_saveexec_b32 s61, s4
	s_cbranch_execz .LBB52_370
; %bb.367:
	v_add_nc_u32_e32 v25, -7, v0
	s_movk_i32 s62, 0x3c0
	s_mov_b32 s4, 0
	s_mov_b32 s63, s53
	.p2align	6
.LBB52_368:                             ; =>This Inner Loop Header: Depth=1
	v_mov_b32_e32 v26, s63
	v_add_nc_u32_e32 v25, -1, v25
	s_add_i32 s63, s63, 16
	s_clause 0x3
	buffer_load_dword v30, v26, s[0:3], 0 offen offset:8
	buffer_load_dword v31, v26, s[0:3], 0 offen offset:12
	buffer_load_dword v32, v26, s[0:3], 0 offen
	buffer_load_dword v33, v26, s[0:3], 0 offen offset:4
	v_mov_b32_e32 v26, s62
	v_cmp_eq_u32_e32 vcc_lo, 0, v25
	s_add_i32 s62, s62, 16
	ds_read_b128 v[26:29], v26
	s_or_b32 s4, vcc_lo, s4
	s_waitcnt vmcnt(2) lgkmcnt(0)
	v_mul_f64 v[34:35], v[28:29], v[30:31]
	v_mul_f64 v[30:31], v[26:27], v[30:31]
	s_waitcnt vmcnt(0)
	v_fma_f64 v[26:27], v[26:27], v[32:33], -v[34:35]
	v_fma_f64 v[28:29], v[28:29], v[32:33], v[30:31]
	v_add_f64 v[1:2], v[1:2], v[26:27]
	v_add_f64 v[3:4], v[3:4], v[28:29]
	s_andn2_b32 exec_lo, exec_lo, s4
	s_cbranch_execnz .LBB52_368
; %bb.369:
	s_or_b32 exec_lo, exec_lo, s4
.LBB52_370:
	s_or_b32 exec_lo, exec_lo, s61
	v_mov_b32_e32 v25, 0
	ds_read_b128 v[25:28], v25 offset:96
	s_waitcnt lgkmcnt(0)
	v_mul_f64 v[29:30], v[3:4], v[27:28]
	v_mul_f64 v[27:28], v[1:2], v[27:28]
	v_fma_f64 v[1:2], v[1:2], v[25:26], -v[29:30]
	v_fma_f64 v[3:4], v[3:4], v[25:26], v[27:28]
	buffer_store_dword v2, off, s[0:3], 0 offset:100
	buffer_store_dword v1, off, s[0:3], 0 offset:96
	;; [unrolled: 1-line block ×4, first 2 shown]
.LBB52_371:
	s_or_b32 exec_lo, exec_lo, s8
	v_mov_b32_e32 v4, s55
	v_cmp_lt_u32_e64 s4, 5, v0
	s_clause 0x3
	buffer_load_dword v1, v4, s[0:3], 0 offen
	buffer_load_dword v2, v4, s[0:3], 0 offen offset:4
	buffer_load_dword v3, v4, s[0:3], 0 offen offset:8
	;; [unrolled: 1-line block ×3, first 2 shown]
	s_waitcnt vmcnt(0)
	ds_write_b128 v24, v[1:4]
	s_waitcnt lgkmcnt(0)
	s_waitcnt_vscnt null, 0x0
	s_barrier
	buffer_gl0_inv
	s_and_saveexec_b32 s8, s4
	s_cbranch_execz .LBB52_379
; %bb.372:
	ds_read_b128 v[1:4], v24
	s_andn2_b32 vcc_lo, exec_lo, s60
	s_cbranch_vccnz .LBB52_374
; %bb.373:
	s_clause 0x3
	buffer_load_dword v25, v23, s[0:3], 0 offen offset:8
	buffer_load_dword v26, v23, s[0:3], 0 offen offset:12
	buffer_load_dword v27, v23, s[0:3], 0 offen
	buffer_load_dword v28, v23, s[0:3], 0 offen offset:4
	s_waitcnt vmcnt(2) lgkmcnt(0)
	v_mul_f64 v[29:30], v[3:4], v[25:26]
	v_mul_f64 v[25:26], v[1:2], v[25:26]
	s_waitcnt vmcnt(0)
	v_fma_f64 v[1:2], v[1:2], v[27:28], -v[29:30]
	v_fma_f64 v[3:4], v[3:4], v[27:28], v[25:26]
.LBB52_374:
	s_and_saveexec_b32 s61, s5
	s_cbranch_execz .LBB52_378
; %bb.375:
	v_add_nc_u32_e32 v25, -6, v0
	s_movk_i32 s62, 0x3b0
	s_mov_b32 s5, 0
	s_mov_b32 s63, s54
	.p2align	6
.LBB52_376:                             ; =>This Inner Loop Header: Depth=1
	v_mov_b32_e32 v26, s63
	v_add_nc_u32_e32 v25, -1, v25
	s_add_i32 s63, s63, 16
	s_clause 0x3
	buffer_load_dword v30, v26, s[0:3], 0 offen offset:8
	buffer_load_dword v31, v26, s[0:3], 0 offen offset:12
	buffer_load_dword v32, v26, s[0:3], 0 offen
	buffer_load_dword v33, v26, s[0:3], 0 offen offset:4
	v_mov_b32_e32 v26, s62
	v_cmp_eq_u32_e32 vcc_lo, 0, v25
	s_add_i32 s62, s62, 16
	ds_read_b128 v[26:29], v26
	s_or_b32 s5, vcc_lo, s5
	s_waitcnt vmcnt(2) lgkmcnt(0)
	v_mul_f64 v[34:35], v[28:29], v[30:31]
	v_mul_f64 v[30:31], v[26:27], v[30:31]
	s_waitcnt vmcnt(0)
	v_fma_f64 v[26:27], v[26:27], v[32:33], -v[34:35]
	v_fma_f64 v[28:29], v[28:29], v[32:33], v[30:31]
	v_add_f64 v[1:2], v[1:2], v[26:27]
	v_add_f64 v[3:4], v[3:4], v[28:29]
	s_andn2_b32 exec_lo, exec_lo, s5
	s_cbranch_execnz .LBB52_376
; %bb.377:
	s_or_b32 exec_lo, exec_lo, s5
.LBB52_378:
	s_or_b32 exec_lo, exec_lo, s61
	v_mov_b32_e32 v25, 0
	ds_read_b128 v[25:28], v25 offset:80
	s_waitcnt lgkmcnt(0)
	v_mul_f64 v[29:30], v[3:4], v[27:28]
	v_mul_f64 v[27:28], v[1:2], v[27:28]
	v_fma_f64 v[1:2], v[1:2], v[25:26], -v[29:30]
	v_fma_f64 v[3:4], v[3:4], v[25:26], v[27:28]
	buffer_store_dword v2, off, s[0:3], 0 offset:84
	buffer_store_dword v1, off, s[0:3], 0 offset:80
	;; [unrolled: 1-line block ×4, first 2 shown]
.LBB52_379:
	s_or_b32 exec_lo, exec_lo, s8
	v_mov_b32_e32 v4, s56
	v_cmp_lt_u32_e64 s5, 4, v0
	s_clause 0x3
	buffer_load_dword v1, v4, s[0:3], 0 offen
	buffer_load_dword v2, v4, s[0:3], 0 offen offset:4
	buffer_load_dword v3, v4, s[0:3], 0 offen offset:8
	;; [unrolled: 1-line block ×3, first 2 shown]
	s_waitcnt vmcnt(0)
	ds_write_b128 v24, v[1:4]
	s_waitcnt lgkmcnt(0)
	s_waitcnt_vscnt null, 0x0
	s_barrier
	buffer_gl0_inv
	s_and_saveexec_b32 s8, s5
	s_cbranch_execz .LBB52_387
; %bb.380:
	ds_read_b128 v[1:4], v24
	s_andn2_b32 vcc_lo, exec_lo, s60
	s_cbranch_vccnz .LBB52_382
; %bb.381:
	s_clause 0x3
	buffer_load_dword v25, v23, s[0:3], 0 offen offset:8
	buffer_load_dword v26, v23, s[0:3], 0 offen offset:12
	buffer_load_dword v27, v23, s[0:3], 0 offen
	buffer_load_dword v28, v23, s[0:3], 0 offen offset:4
	s_waitcnt vmcnt(2) lgkmcnt(0)
	v_mul_f64 v[29:30], v[3:4], v[25:26]
	v_mul_f64 v[25:26], v[1:2], v[25:26]
	s_waitcnt vmcnt(0)
	v_fma_f64 v[1:2], v[1:2], v[27:28], -v[29:30]
	v_fma_f64 v[3:4], v[3:4], v[27:28], v[25:26]
.LBB52_382:
	s_and_saveexec_b32 s61, s4
	s_cbranch_execz .LBB52_386
; %bb.383:
	v_add_nc_u32_e32 v25, -5, v0
	s_movk_i32 s62, 0x3a0
	s_mov_b32 s4, 0
	s_mov_b32 s63, s55
	.p2align	6
.LBB52_384:                             ; =>This Inner Loop Header: Depth=1
	v_mov_b32_e32 v26, s63
	v_add_nc_u32_e32 v25, -1, v25
	s_add_i32 s63, s63, 16
	s_clause 0x3
	buffer_load_dword v30, v26, s[0:3], 0 offen offset:8
	buffer_load_dword v31, v26, s[0:3], 0 offen offset:12
	buffer_load_dword v32, v26, s[0:3], 0 offen
	buffer_load_dword v33, v26, s[0:3], 0 offen offset:4
	v_mov_b32_e32 v26, s62
	v_cmp_eq_u32_e32 vcc_lo, 0, v25
	s_add_i32 s62, s62, 16
	ds_read_b128 v[26:29], v26
	s_or_b32 s4, vcc_lo, s4
	s_waitcnt vmcnt(2) lgkmcnt(0)
	v_mul_f64 v[34:35], v[28:29], v[30:31]
	v_mul_f64 v[30:31], v[26:27], v[30:31]
	s_waitcnt vmcnt(0)
	v_fma_f64 v[26:27], v[26:27], v[32:33], -v[34:35]
	v_fma_f64 v[28:29], v[28:29], v[32:33], v[30:31]
	v_add_f64 v[1:2], v[1:2], v[26:27]
	v_add_f64 v[3:4], v[3:4], v[28:29]
	s_andn2_b32 exec_lo, exec_lo, s4
	s_cbranch_execnz .LBB52_384
; %bb.385:
	s_or_b32 exec_lo, exec_lo, s4
.LBB52_386:
	s_or_b32 exec_lo, exec_lo, s61
	v_mov_b32_e32 v25, 0
	ds_read_b128 v[25:28], v25 offset:64
	s_waitcnt lgkmcnt(0)
	v_mul_f64 v[29:30], v[3:4], v[27:28]
	v_mul_f64 v[27:28], v[1:2], v[27:28]
	v_fma_f64 v[1:2], v[1:2], v[25:26], -v[29:30]
	v_fma_f64 v[3:4], v[3:4], v[25:26], v[27:28]
	buffer_store_dword v2, off, s[0:3], 0 offset:68
	buffer_store_dword v1, off, s[0:3], 0 offset:64
	;; [unrolled: 1-line block ×4, first 2 shown]
.LBB52_387:
	s_or_b32 exec_lo, exec_lo, s8
	v_mov_b32_e32 v4, s57
	v_cmp_lt_u32_e64 s4, 3, v0
	s_clause 0x3
	buffer_load_dword v1, v4, s[0:3], 0 offen
	buffer_load_dword v2, v4, s[0:3], 0 offen offset:4
	buffer_load_dword v3, v4, s[0:3], 0 offen offset:8
	;; [unrolled: 1-line block ×3, first 2 shown]
	s_waitcnt vmcnt(0)
	ds_write_b128 v24, v[1:4]
	s_waitcnt lgkmcnt(0)
	s_waitcnt_vscnt null, 0x0
	s_barrier
	buffer_gl0_inv
	s_and_saveexec_b32 s8, s4
	s_cbranch_execz .LBB52_395
; %bb.388:
	ds_read_b128 v[1:4], v24
	s_andn2_b32 vcc_lo, exec_lo, s60
	s_cbranch_vccnz .LBB52_390
; %bb.389:
	s_clause 0x3
	buffer_load_dword v25, v23, s[0:3], 0 offen offset:8
	buffer_load_dword v26, v23, s[0:3], 0 offen offset:12
	buffer_load_dword v27, v23, s[0:3], 0 offen
	buffer_load_dword v28, v23, s[0:3], 0 offen offset:4
	s_waitcnt vmcnt(2) lgkmcnt(0)
	v_mul_f64 v[29:30], v[3:4], v[25:26]
	v_mul_f64 v[25:26], v[1:2], v[25:26]
	s_waitcnt vmcnt(0)
	v_fma_f64 v[1:2], v[1:2], v[27:28], -v[29:30]
	v_fma_f64 v[3:4], v[3:4], v[27:28], v[25:26]
.LBB52_390:
	s_and_saveexec_b32 s61, s5
	s_cbranch_execz .LBB52_394
; %bb.391:
	v_add_nc_u32_e32 v25, -4, v0
	s_movk_i32 s62, 0x390
	s_mov_b32 s5, 0
	s_mov_b32 s63, s56
	.p2align	6
.LBB52_392:                             ; =>This Inner Loop Header: Depth=1
	v_mov_b32_e32 v26, s63
	v_add_nc_u32_e32 v25, -1, v25
	s_add_i32 s63, s63, 16
	s_clause 0x3
	buffer_load_dword v30, v26, s[0:3], 0 offen offset:8
	buffer_load_dword v31, v26, s[0:3], 0 offen offset:12
	buffer_load_dword v32, v26, s[0:3], 0 offen
	buffer_load_dword v33, v26, s[0:3], 0 offen offset:4
	v_mov_b32_e32 v26, s62
	v_cmp_eq_u32_e32 vcc_lo, 0, v25
	s_add_i32 s62, s62, 16
	ds_read_b128 v[26:29], v26
	s_or_b32 s5, vcc_lo, s5
	s_waitcnt vmcnt(2) lgkmcnt(0)
	v_mul_f64 v[34:35], v[28:29], v[30:31]
	v_mul_f64 v[30:31], v[26:27], v[30:31]
	s_waitcnt vmcnt(0)
	v_fma_f64 v[26:27], v[26:27], v[32:33], -v[34:35]
	v_fma_f64 v[28:29], v[28:29], v[32:33], v[30:31]
	v_add_f64 v[1:2], v[1:2], v[26:27]
	v_add_f64 v[3:4], v[3:4], v[28:29]
	s_andn2_b32 exec_lo, exec_lo, s5
	s_cbranch_execnz .LBB52_392
; %bb.393:
	s_or_b32 exec_lo, exec_lo, s5
.LBB52_394:
	s_or_b32 exec_lo, exec_lo, s61
	v_mov_b32_e32 v25, 0
	ds_read_b128 v[25:28], v25 offset:48
	s_waitcnt lgkmcnt(0)
	v_mul_f64 v[29:30], v[3:4], v[27:28]
	v_mul_f64 v[27:28], v[1:2], v[27:28]
	v_fma_f64 v[1:2], v[1:2], v[25:26], -v[29:30]
	v_fma_f64 v[3:4], v[3:4], v[25:26], v[27:28]
	buffer_store_dword v2, off, s[0:3], 0 offset:52
	buffer_store_dword v1, off, s[0:3], 0 offset:48
	;; [unrolled: 1-line block ×4, first 2 shown]
.LBB52_395:
	s_or_b32 exec_lo, exec_lo, s8
	v_mov_b32_e32 v4, s58
	v_cmp_lt_u32_e64 s5, 2, v0
	s_clause 0x3
	buffer_load_dword v1, v4, s[0:3], 0 offen
	buffer_load_dword v2, v4, s[0:3], 0 offen offset:4
	buffer_load_dword v3, v4, s[0:3], 0 offen offset:8
	;; [unrolled: 1-line block ×3, first 2 shown]
	s_waitcnt vmcnt(0)
	ds_write_b128 v24, v[1:4]
	s_waitcnt lgkmcnt(0)
	s_waitcnt_vscnt null, 0x0
	s_barrier
	buffer_gl0_inv
	s_and_saveexec_b32 s8, s5
	s_cbranch_execz .LBB52_403
; %bb.396:
	ds_read_b128 v[1:4], v24
	s_andn2_b32 vcc_lo, exec_lo, s60
	s_cbranch_vccnz .LBB52_398
; %bb.397:
	s_clause 0x3
	buffer_load_dword v25, v23, s[0:3], 0 offen offset:8
	buffer_load_dword v26, v23, s[0:3], 0 offen offset:12
	buffer_load_dword v27, v23, s[0:3], 0 offen
	buffer_load_dword v28, v23, s[0:3], 0 offen offset:4
	s_waitcnt vmcnt(2) lgkmcnt(0)
	v_mul_f64 v[29:30], v[3:4], v[25:26]
	v_mul_f64 v[25:26], v[1:2], v[25:26]
	s_waitcnt vmcnt(0)
	v_fma_f64 v[1:2], v[1:2], v[27:28], -v[29:30]
	v_fma_f64 v[3:4], v[3:4], v[27:28], v[25:26]
.LBB52_398:
	s_and_saveexec_b32 s61, s4
	s_cbranch_execz .LBB52_402
; %bb.399:
	v_add_nc_u32_e32 v25, -3, v0
	s_movk_i32 s62, 0x380
	s_mov_b32 s4, 0
	s_mov_b32 s63, s57
	.p2align	6
.LBB52_400:                             ; =>This Inner Loop Header: Depth=1
	v_mov_b32_e32 v26, s63
	v_add_nc_u32_e32 v25, -1, v25
	s_add_i32 s63, s63, 16
	s_clause 0x3
	buffer_load_dword v30, v26, s[0:3], 0 offen offset:8
	buffer_load_dword v31, v26, s[0:3], 0 offen offset:12
	buffer_load_dword v32, v26, s[0:3], 0 offen
	buffer_load_dword v33, v26, s[0:3], 0 offen offset:4
	v_mov_b32_e32 v26, s62
	v_cmp_eq_u32_e32 vcc_lo, 0, v25
	s_add_i32 s62, s62, 16
	ds_read_b128 v[26:29], v26
	s_or_b32 s4, vcc_lo, s4
	s_waitcnt vmcnt(2) lgkmcnt(0)
	v_mul_f64 v[34:35], v[28:29], v[30:31]
	v_mul_f64 v[30:31], v[26:27], v[30:31]
	s_waitcnt vmcnt(0)
	v_fma_f64 v[26:27], v[26:27], v[32:33], -v[34:35]
	v_fma_f64 v[28:29], v[28:29], v[32:33], v[30:31]
	v_add_f64 v[1:2], v[1:2], v[26:27]
	v_add_f64 v[3:4], v[3:4], v[28:29]
	s_andn2_b32 exec_lo, exec_lo, s4
	s_cbranch_execnz .LBB52_400
; %bb.401:
	s_or_b32 exec_lo, exec_lo, s4
.LBB52_402:
	s_or_b32 exec_lo, exec_lo, s61
	v_mov_b32_e32 v25, 0
	ds_read_b128 v[25:28], v25 offset:32
	s_waitcnt lgkmcnt(0)
	v_mul_f64 v[29:30], v[3:4], v[27:28]
	v_mul_f64 v[27:28], v[1:2], v[27:28]
	v_fma_f64 v[1:2], v[1:2], v[25:26], -v[29:30]
	v_fma_f64 v[3:4], v[3:4], v[25:26], v[27:28]
	buffer_store_dword v2, off, s[0:3], 0 offset:36
	buffer_store_dword v1, off, s[0:3], 0 offset:32
	;; [unrolled: 1-line block ×4, first 2 shown]
.LBB52_403:
	s_or_b32 exec_lo, exec_lo, s8
	v_mov_b32_e32 v4, s59
	v_cmp_lt_u32_e64 s4, 1, v0
	s_clause 0x3
	buffer_load_dword v1, v4, s[0:3], 0 offen
	buffer_load_dword v2, v4, s[0:3], 0 offen offset:4
	buffer_load_dword v3, v4, s[0:3], 0 offen offset:8
	;; [unrolled: 1-line block ×3, first 2 shown]
	s_waitcnt vmcnt(0)
	ds_write_b128 v24, v[1:4]
	s_waitcnt lgkmcnt(0)
	s_waitcnt_vscnt null, 0x0
	s_barrier
	buffer_gl0_inv
	s_and_saveexec_b32 s8, s4
	s_cbranch_execz .LBB52_411
; %bb.404:
	ds_read_b128 v[1:4], v24
	s_andn2_b32 vcc_lo, exec_lo, s60
	s_cbranch_vccnz .LBB52_406
; %bb.405:
	s_clause 0x3
	buffer_load_dword v25, v23, s[0:3], 0 offen offset:8
	buffer_load_dword v26, v23, s[0:3], 0 offen offset:12
	buffer_load_dword v27, v23, s[0:3], 0 offen
	buffer_load_dword v28, v23, s[0:3], 0 offen offset:4
	s_waitcnt vmcnt(2) lgkmcnt(0)
	v_mul_f64 v[29:30], v[3:4], v[25:26]
	v_mul_f64 v[25:26], v[1:2], v[25:26]
	s_waitcnt vmcnt(0)
	v_fma_f64 v[1:2], v[1:2], v[27:28], -v[29:30]
	v_fma_f64 v[3:4], v[3:4], v[27:28], v[25:26]
.LBB52_406:
	s_and_saveexec_b32 s61, s5
	s_cbranch_execz .LBB52_410
; %bb.407:
	v_add_nc_u32_e32 v25, -2, v0
	s_movk_i32 s62, 0x370
	s_mov_b32 s5, 0
	s_mov_b32 s63, s58
	.p2align	6
.LBB52_408:                             ; =>This Inner Loop Header: Depth=1
	v_mov_b32_e32 v26, s63
	v_add_nc_u32_e32 v25, -1, v25
	s_add_i32 s63, s63, 16
	s_clause 0x3
	buffer_load_dword v30, v26, s[0:3], 0 offen offset:8
	buffer_load_dword v31, v26, s[0:3], 0 offen offset:12
	buffer_load_dword v32, v26, s[0:3], 0 offen
	buffer_load_dword v33, v26, s[0:3], 0 offen offset:4
	v_mov_b32_e32 v26, s62
	v_cmp_eq_u32_e32 vcc_lo, 0, v25
	s_add_i32 s62, s62, 16
	ds_read_b128 v[26:29], v26
	s_or_b32 s5, vcc_lo, s5
	s_waitcnt vmcnt(2) lgkmcnt(0)
	v_mul_f64 v[34:35], v[28:29], v[30:31]
	v_mul_f64 v[30:31], v[26:27], v[30:31]
	s_waitcnt vmcnt(0)
	v_fma_f64 v[26:27], v[26:27], v[32:33], -v[34:35]
	v_fma_f64 v[28:29], v[28:29], v[32:33], v[30:31]
	v_add_f64 v[1:2], v[1:2], v[26:27]
	v_add_f64 v[3:4], v[3:4], v[28:29]
	s_andn2_b32 exec_lo, exec_lo, s5
	s_cbranch_execnz .LBB52_408
; %bb.409:
	s_or_b32 exec_lo, exec_lo, s5
.LBB52_410:
	s_or_b32 exec_lo, exec_lo, s61
	v_mov_b32_e32 v25, 0
	ds_read_b128 v[25:28], v25 offset:16
	s_waitcnt lgkmcnt(0)
	v_mul_f64 v[29:30], v[3:4], v[27:28]
	v_mul_f64 v[27:28], v[1:2], v[27:28]
	v_fma_f64 v[1:2], v[1:2], v[25:26], -v[29:30]
	v_fma_f64 v[3:4], v[3:4], v[25:26], v[27:28]
	buffer_store_dword v2, off, s[0:3], 0 offset:20
	buffer_store_dword v1, off, s[0:3], 0 offset:16
	;; [unrolled: 1-line block ×4, first 2 shown]
.LBB52_411:
	s_or_b32 exec_lo, exec_lo, s8
	s_clause 0x3
	buffer_load_dword v1, off, s[0:3], 0
	buffer_load_dword v2, off, s[0:3], 0 offset:4
	buffer_load_dword v3, off, s[0:3], 0 offset:8
	;; [unrolled: 1-line block ×3, first 2 shown]
	s_mov_b32 s8, 0
	s_mov_b32 s5, 0
	s_mov_b32 s61, exec_lo
                                        ; implicit-def: $sgpr62
	s_waitcnt vmcnt(0)
	ds_write_b128 v24, v[1:4]
	s_waitcnt lgkmcnt(0)
	s_waitcnt_vscnt null, 0x0
	s_barrier
	buffer_gl0_inv
                                        ; implicit-def: $vgpr1_vgpr2
	v_cmpx_ne_u32_e32 0, v0
	s_cbranch_execz .LBB52_419
; %bb.412:
	ds_read_b128 v[1:4], v24
	s_andn2_b32 vcc_lo, exec_lo, s60
	s_cbranch_vccnz .LBB52_414
; %bb.413:
	s_clause 0x3
	buffer_load_dword v25, v23, s[0:3], 0 offen offset:8
	buffer_load_dword v26, v23, s[0:3], 0 offen offset:12
	buffer_load_dword v27, v23, s[0:3], 0 offen
	buffer_load_dword v28, v23, s[0:3], 0 offen offset:4
	s_waitcnt vmcnt(2) lgkmcnt(0)
	v_mul_f64 v[29:30], v[3:4], v[25:26]
	v_mul_f64 v[25:26], v[1:2], v[25:26]
	s_waitcnt vmcnt(0)
	v_fma_f64 v[1:2], v[1:2], v[27:28], -v[29:30]
	v_fma_f64 v[3:4], v[3:4], v[27:28], v[25:26]
.LBB52_414:
	s_and_saveexec_b32 s5, s4
	s_cbranch_execz .LBB52_418
; %bb.415:
	v_add_nc_u32_e32 v25, -1, v0
	s_movk_i32 s62, 0x360
	s_mov_b32 s4, 0
	s_mov_b32 s63, s59
	.p2align	6
.LBB52_416:                             ; =>This Inner Loop Header: Depth=1
	v_mov_b32_e32 v26, s63
	v_add_nc_u32_e32 v25, -1, v25
	s_add_i32 s63, s63, 16
	s_clause 0x3
	buffer_load_dword v30, v26, s[0:3], 0 offen offset:8
	buffer_load_dword v31, v26, s[0:3], 0 offen offset:12
	buffer_load_dword v32, v26, s[0:3], 0 offen
	buffer_load_dword v33, v26, s[0:3], 0 offen offset:4
	v_mov_b32_e32 v26, s62
	v_cmp_eq_u32_e32 vcc_lo, 0, v25
	s_add_i32 s62, s62, 16
	ds_read_b128 v[26:29], v26
	s_or_b32 s4, vcc_lo, s4
	s_waitcnt vmcnt(2) lgkmcnt(0)
	v_mul_f64 v[34:35], v[28:29], v[30:31]
	v_mul_f64 v[30:31], v[26:27], v[30:31]
	s_waitcnt vmcnt(0)
	v_fma_f64 v[26:27], v[26:27], v[32:33], -v[34:35]
	v_fma_f64 v[28:29], v[28:29], v[32:33], v[30:31]
	v_add_f64 v[1:2], v[1:2], v[26:27]
	v_add_f64 v[3:4], v[3:4], v[28:29]
	s_andn2_b32 exec_lo, exec_lo, s4
	s_cbranch_execnz .LBB52_416
; %bb.417:
	s_or_b32 exec_lo, exec_lo, s4
.LBB52_418:
	s_or_b32 exec_lo, exec_lo, s5
	v_mov_b32_e32 v25, 0
	s_mov_b32 s5, exec_lo
	s_or_b32 s62, 0, 8
	ds_read_b128 v[25:28], v25
	s_waitcnt lgkmcnt(0)
	v_mul_f64 v[29:30], v[3:4], v[27:28]
	v_mul_f64 v[27:28], v[1:2], v[27:28]
	v_fma_f64 v[29:30], v[1:2], v[25:26], -v[29:30]
	v_fma_f64 v[1:2], v[3:4], v[25:26], v[27:28]
	buffer_store_dword v30, off, s[0:3], 0 offset:4
	buffer_store_dword v29, off, s[0:3], 0
.LBB52_419:
	s_or_b32 exec_lo, exec_lo, s61
	s_and_b32 vcc_lo, exec_lo, s8
	s_cbranch_vccnz .LBB52_421
	s_branch .LBB52_832
.LBB52_420:
	s_mov_b32 s5, 0
                                        ; implicit-def: $vgpr1_vgpr2
                                        ; implicit-def: $sgpr62
	s_cbranch_execz .LBB52_832
.LBB52_421:
	v_mov_b32_e32 v4, s59
	v_cmp_eq_u32_e64 s4, 0, v0
	v_cndmask_b32_e64 v25, 0, 1, s60
	s_clause 0x3
	buffer_load_dword v1, v4, s[0:3], 0 offen
	buffer_load_dword v2, v4, s[0:3], 0 offen offset:4
	buffer_load_dword v3, v4, s[0:3], 0 offen offset:8
	;; [unrolled: 1-line block ×3, first 2 shown]
	s_waitcnt vmcnt(0)
	ds_write_b128 v24, v[1:4]
	s_waitcnt lgkmcnt(0)
	s_waitcnt_vscnt null, 0x0
	s_barrier
	buffer_gl0_inv
	s_and_saveexec_b32 s8, s4
	s_cbranch_execz .LBB52_425
; %bb.422:
	ds_read_b128 v[1:4], v24
	s_andn2_b32 vcc_lo, exec_lo, s60
	s_cbranch_vccnz .LBB52_424
; %bb.423:
	s_clause 0x3
	buffer_load_dword v26, v23, s[0:3], 0 offen offset:8
	buffer_load_dword v27, v23, s[0:3], 0 offen offset:12
	buffer_load_dword v28, v23, s[0:3], 0 offen
	buffer_load_dword v29, v23, s[0:3], 0 offen offset:4
	s_waitcnt vmcnt(2) lgkmcnt(0)
	v_mul_f64 v[30:31], v[3:4], v[26:27]
	v_mul_f64 v[26:27], v[1:2], v[26:27]
	s_waitcnt vmcnt(0)
	v_fma_f64 v[1:2], v[1:2], v[28:29], -v[30:31]
	v_fma_f64 v[3:4], v[3:4], v[28:29], v[26:27]
.LBB52_424:
	v_mov_b32_e32 v26, 0
	ds_read_b128 v[26:29], v26 offset:16
	s_waitcnt lgkmcnt(0)
	v_mul_f64 v[30:31], v[3:4], v[28:29]
	v_mul_f64 v[28:29], v[1:2], v[28:29]
	v_fma_f64 v[1:2], v[1:2], v[26:27], -v[30:31]
	v_fma_f64 v[3:4], v[3:4], v[26:27], v[28:29]
	buffer_store_dword v2, off, s[0:3], 0 offset:20
	buffer_store_dword v1, off, s[0:3], 0 offset:16
	;; [unrolled: 1-line block ×4, first 2 shown]
.LBB52_425:
	s_or_b32 exec_lo, exec_lo, s8
	v_mov_b32_e32 v4, s58
	s_mov_b32 s8, exec_lo
	s_clause 0x3
	buffer_load_dword v1, v4, s[0:3], 0 offen
	buffer_load_dword v2, v4, s[0:3], 0 offen offset:4
	buffer_load_dword v3, v4, s[0:3], 0 offen offset:8
	buffer_load_dword v4, v4, s[0:3], 0 offen offset:12
	s_waitcnt vmcnt(0)
	ds_write_b128 v24, v[1:4]
	s_waitcnt lgkmcnt(0)
	s_waitcnt_vscnt null, 0x0
	s_barrier
	buffer_gl0_inv
	v_cmpx_gt_u32_e32 2, v0
	s_cbranch_execz .LBB52_431
; %bb.426:
	ds_read_b128 v[1:4], v24
	v_cmp_ne_u32_e32 vcc_lo, 1, v25
	s_cbranch_vccnz .LBB52_428
; %bb.427:
	s_clause 0x3
	buffer_load_dword v26, v23, s[0:3], 0 offen offset:8
	buffer_load_dword v27, v23, s[0:3], 0 offen offset:12
	buffer_load_dword v28, v23, s[0:3], 0 offen
	buffer_load_dword v29, v23, s[0:3], 0 offen offset:4
	s_waitcnt vmcnt(2) lgkmcnt(0)
	v_mul_f64 v[30:31], v[3:4], v[26:27]
	v_mul_f64 v[26:27], v[1:2], v[26:27]
	s_waitcnt vmcnt(0)
	v_fma_f64 v[1:2], v[1:2], v[28:29], -v[30:31]
	v_fma_f64 v[3:4], v[3:4], v[28:29], v[26:27]
.LBB52_428:
	s_and_saveexec_b32 s60, s4
	s_cbranch_execz .LBB52_430
; %bb.429:
	s_clause 0x3
	buffer_load_dword v30, off, s[0:3], 0 offset:24
	buffer_load_dword v31, off, s[0:3], 0 offset:28
	;; [unrolled: 1-line block ×4, first 2 shown]
	v_mov_b32_e32 v26, 0
	ds_read_b128 v[26:29], v26 offset:864
	s_waitcnt vmcnt(2) lgkmcnt(0)
	v_mul_f64 v[34:35], v[28:29], v[30:31]
	v_mul_f64 v[30:31], v[26:27], v[30:31]
	s_waitcnt vmcnt(0)
	v_fma_f64 v[26:27], v[26:27], v[32:33], -v[34:35]
	v_fma_f64 v[28:29], v[28:29], v[32:33], v[30:31]
	v_add_f64 v[1:2], v[1:2], v[26:27]
	v_add_f64 v[3:4], v[3:4], v[28:29]
.LBB52_430:
	s_or_b32 exec_lo, exec_lo, s60
	v_mov_b32_e32 v26, 0
	ds_read_b128 v[26:29], v26 offset:32
	s_waitcnt lgkmcnt(0)
	v_mul_f64 v[30:31], v[3:4], v[28:29]
	v_mul_f64 v[28:29], v[1:2], v[28:29]
	v_fma_f64 v[1:2], v[1:2], v[26:27], -v[30:31]
	v_fma_f64 v[3:4], v[3:4], v[26:27], v[28:29]
	buffer_store_dword v2, off, s[0:3], 0 offset:36
	buffer_store_dword v1, off, s[0:3], 0 offset:32
	;; [unrolled: 1-line block ×4, first 2 shown]
.LBB52_431:
	s_or_b32 exec_lo, exec_lo, s8
	v_mov_b32_e32 v4, s57
	s_mov_b32 s8, exec_lo
	s_clause 0x3
	buffer_load_dword v1, v4, s[0:3], 0 offen
	buffer_load_dword v2, v4, s[0:3], 0 offen offset:4
	buffer_load_dword v3, v4, s[0:3], 0 offen offset:8
	buffer_load_dword v4, v4, s[0:3], 0 offen offset:12
	s_waitcnt vmcnt(0)
	ds_write_b128 v24, v[1:4]
	s_waitcnt lgkmcnt(0)
	s_waitcnt_vscnt null, 0x0
	s_barrier
	buffer_gl0_inv
	v_cmpx_gt_u32_e32 3, v0
	s_cbranch_execz .LBB52_439
; %bb.432:
	ds_read_b128 v[1:4], v24
	v_cmp_ne_u32_e32 vcc_lo, 1, v25
	s_cbranch_vccnz .LBB52_434
; %bb.433:
	s_clause 0x3
	buffer_load_dword v26, v23, s[0:3], 0 offen offset:8
	buffer_load_dword v27, v23, s[0:3], 0 offen offset:12
	buffer_load_dword v28, v23, s[0:3], 0 offen
	buffer_load_dword v29, v23, s[0:3], 0 offen offset:4
	s_waitcnt vmcnt(2) lgkmcnt(0)
	v_mul_f64 v[30:31], v[3:4], v[26:27]
	v_mul_f64 v[26:27], v[1:2], v[26:27]
	s_waitcnt vmcnt(0)
	v_fma_f64 v[1:2], v[1:2], v[28:29], -v[30:31]
	v_fma_f64 v[3:4], v[3:4], v[28:29], v[26:27]
.LBB52_434:
	s_mov_b32 s60, exec_lo
	v_cmpx_ne_u32_e32 2, v0
	s_cbranch_execz .LBB52_438
; %bb.435:
	s_clause 0x3
	buffer_load_dword v30, v23, s[0:3], 0 offen offset:24
	buffer_load_dword v31, v23, s[0:3], 0 offen offset:28
	;; [unrolled: 1-line block ×4, first 2 shown]
	ds_read_b128 v[26:29], v24 offset:16
	s_waitcnt vmcnt(2) lgkmcnt(0)
	v_mul_f64 v[34:35], v[28:29], v[30:31]
	v_mul_f64 v[30:31], v[26:27], v[30:31]
	s_waitcnt vmcnt(0)
	v_fma_f64 v[26:27], v[26:27], v[32:33], -v[34:35]
	v_fma_f64 v[28:29], v[28:29], v[32:33], v[30:31]
	v_add_f64 v[1:2], v[1:2], v[26:27]
	v_add_f64 v[3:4], v[3:4], v[28:29]
	s_and_saveexec_b32 s61, s4
	s_cbranch_execz .LBB52_437
; %bb.436:
	s_clause 0x3
	buffer_load_dword v30, off, s[0:3], 0 offset:40
	buffer_load_dword v31, off, s[0:3], 0 offset:44
	;; [unrolled: 1-line block ×4, first 2 shown]
	v_mov_b32_e32 v26, 0
	ds_read_b128 v[26:29], v26 offset:880
	s_waitcnt vmcnt(2) lgkmcnt(0)
	v_mul_f64 v[34:35], v[26:27], v[30:31]
	v_mul_f64 v[30:31], v[28:29], v[30:31]
	s_waitcnt vmcnt(0)
	v_fma_f64 v[28:29], v[28:29], v[32:33], v[34:35]
	v_fma_f64 v[26:27], v[26:27], v[32:33], -v[30:31]
	v_add_f64 v[3:4], v[3:4], v[28:29]
	v_add_f64 v[1:2], v[1:2], v[26:27]
.LBB52_437:
	s_or_b32 exec_lo, exec_lo, s61
.LBB52_438:
	s_or_b32 exec_lo, exec_lo, s60
	v_mov_b32_e32 v26, 0
	ds_read_b128 v[26:29], v26 offset:48
	s_waitcnt lgkmcnt(0)
	v_mul_f64 v[30:31], v[3:4], v[28:29]
	v_mul_f64 v[28:29], v[1:2], v[28:29]
	v_fma_f64 v[1:2], v[1:2], v[26:27], -v[30:31]
	v_fma_f64 v[3:4], v[3:4], v[26:27], v[28:29]
	buffer_store_dword v2, off, s[0:3], 0 offset:52
	buffer_store_dword v1, off, s[0:3], 0 offset:48
	;; [unrolled: 1-line block ×4, first 2 shown]
.LBB52_439:
	s_or_b32 exec_lo, exec_lo, s8
	v_mov_b32_e32 v4, s56
	s_mov_b32 s4, exec_lo
	s_clause 0x3
	buffer_load_dword v1, v4, s[0:3], 0 offen
	buffer_load_dword v2, v4, s[0:3], 0 offen offset:4
	buffer_load_dword v3, v4, s[0:3], 0 offen offset:8
	;; [unrolled: 1-line block ×3, first 2 shown]
	s_waitcnt vmcnt(0)
	ds_write_b128 v24, v[1:4]
	s_waitcnt lgkmcnt(0)
	s_waitcnt_vscnt null, 0x0
	s_barrier
	buffer_gl0_inv
	v_cmpx_gt_u32_e32 4, v0
	s_cbranch_execz .LBB52_447
; %bb.440:
	ds_read_b128 v[1:4], v24
	v_cmp_ne_u32_e32 vcc_lo, 1, v25
	s_cbranch_vccnz .LBB52_442
; %bb.441:
	s_clause 0x3
	buffer_load_dword v26, v23, s[0:3], 0 offen offset:8
	buffer_load_dword v27, v23, s[0:3], 0 offen offset:12
	buffer_load_dword v28, v23, s[0:3], 0 offen
	buffer_load_dword v29, v23, s[0:3], 0 offen offset:4
	s_waitcnt vmcnt(2) lgkmcnt(0)
	v_mul_f64 v[30:31], v[3:4], v[26:27]
	v_mul_f64 v[26:27], v[1:2], v[26:27]
	s_waitcnt vmcnt(0)
	v_fma_f64 v[1:2], v[1:2], v[28:29], -v[30:31]
	v_fma_f64 v[3:4], v[3:4], v[28:29], v[26:27]
.LBB52_442:
	s_mov_b32 s8, exec_lo
	v_cmpx_ne_u32_e32 3, v0
	s_cbranch_execz .LBB52_446
; %bb.443:
	v_add_nc_u32_e32 v26, 0x360, v133
	v_add3_u32 v27, 0, v133, 16
	v_mov_b32_e32 v28, v0
	s_mov_b32 s60, 0
	.p2align	6
.LBB52_444:                             ; =>This Inner Loop Header: Depth=1
	s_clause 0x3
	buffer_load_dword v33, v27, s[0:3], 0 offen offset:8
	buffer_load_dword v34, v27, s[0:3], 0 offen offset:12
	buffer_load_dword v35, v27, s[0:3], 0 offen
	buffer_load_dword v36, v27, s[0:3], 0 offen offset:4
	ds_read_b128 v[29:32], v26
	v_add_nc_u32_e32 v28, 1, v28
	v_add_nc_u32_e32 v26, 16, v26
	;; [unrolled: 1-line block ×3, first 2 shown]
	v_cmp_lt_u32_e32 vcc_lo, 2, v28
	s_or_b32 s60, vcc_lo, s60
	s_waitcnt vmcnt(2) lgkmcnt(0)
	v_mul_f64 v[37:38], v[31:32], v[33:34]
	v_mul_f64 v[33:34], v[29:30], v[33:34]
	s_waitcnt vmcnt(0)
	v_fma_f64 v[29:30], v[29:30], v[35:36], -v[37:38]
	v_fma_f64 v[31:32], v[31:32], v[35:36], v[33:34]
	v_add_f64 v[1:2], v[1:2], v[29:30]
	v_add_f64 v[3:4], v[3:4], v[31:32]
	s_andn2_b32 exec_lo, exec_lo, s60
	s_cbranch_execnz .LBB52_444
; %bb.445:
	s_or_b32 exec_lo, exec_lo, s60
.LBB52_446:
	s_or_b32 exec_lo, exec_lo, s8
	v_mov_b32_e32 v26, 0
	ds_read_b128 v[26:29], v26 offset:64
	s_waitcnt lgkmcnt(0)
	v_mul_f64 v[30:31], v[3:4], v[28:29]
	v_mul_f64 v[28:29], v[1:2], v[28:29]
	v_fma_f64 v[1:2], v[1:2], v[26:27], -v[30:31]
	v_fma_f64 v[3:4], v[3:4], v[26:27], v[28:29]
	buffer_store_dword v2, off, s[0:3], 0 offset:68
	buffer_store_dword v1, off, s[0:3], 0 offset:64
	;; [unrolled: 1-line block ×4, first 2 shown]
.LBB52_447:
	s_or_b32 exec_lo, exec_lo, s4
	v_mov_b32_e32 v4, s55
	s_mov_b32 s4, exec_lo
	s_clause 0x3
	buffer_load_dword v1, v4, s[0:3], 0 offen
	buffer_load_dword v2, v4, s[0:3], 0 offen offset:4
	buffer_load_dword v3, v4, s[0:3], 0 offen offset:8
	;; [unrolled: 1-line block ×3, first 2 shown]
	s_waitcnt vmcnt(0)
	ds_write_b128 v24, v[1:4]
	s_waitcnt lgkmcnt(0)
	s_waitcnt_vscnt null, 0x0
	s_barrier
	buffer_gl0_inv
	v_cmpx_gt_u32_e32 5, v0
	s_cbranch_execz .LBB52_455
; %bb.448:
	ds_read_b128 v[1:4], v24
	v_cmp_ne_u32_e32 vcc_lo, 1, v25
	s_cbranch_vccnz .LBB52_450
; %bb.449:
	s_clause 0x3
	buffer_load_dword v26, v23, s[0:3], 0 offen offset:8
	buffer_load_dword v27, v23, s[0:3], 0 offen offset:12
	buffer_load_dword v28, v23, s[0:3], 0 offen
	buffer_load_dword v29, v23, s[0:3], 0 offen offset:4
	s_waitcnt vmcnt(2) lgkmcnt(0)
	v_mul_f64 v[30:31], v[3:4], v[26:27]
	v_mul_f64 v[26:27], v[1:2], v[26:27]
	s_waitcnt vmcnt(0)
	v_fma_f64 v[1:2], v[1:2], v[28:29], -v[30:31]
	v_fma_f64 v[3:4], v[3:4], v[28:29], v[26:27]
.LBB52_450:
	s_mov_b32 s8, exec_lo
	v_cmpx_ne_u32_e32 4, v0
	s_cbranch_execz .LBB52_454
; %bb.451:
	v_add_nc_u32_e32 v26, 0x360, v133
	v_add3_u32 v27, 0, v133, 16
	v_mov_b32_e32 v28, v0
	s_mov_b32 s60, 0
	.p2align	6
.LBB52_452:                             ; =>This Inner Loop Header: Depth=1
	s_clause 0x3
	buffer_load_dword v33, v27, s[0:3], 0 offen offset:8
	buffer_load_dword v34, v27, s[0:3], 0 offen offset:12
	buffer_load_dword v35, v27, s[0:3], 0 offen
	buffer_load_dword v36, v27, s[0:3], 0 offen offset:4
	ds_read_b128 v[29:32], v26
	v_add_nc_u32_e32 v28, 1, v28
	v_add_nc_u32_e32 v26, 16, v26
	;; [unrolled: 1-line block ×3, first 2 shown]
	v_cmp_lt_u32_e32 vcc_lo, 3, v28
	s_or_b32 s60, vcc_lo, s60
	s_waitcnt vmcnt(2) lgkmcnt(0)
	v_mul_f64 v[37:38], v[31:32], v[33:34]
	v_mul_f64 v[33:34], v[29:30], v[33:34]
	s_waitcnt vmcnt(0)
	v_fma_f64 v[29:30], v[29:30], v[35:36], -v[37:38]
	v_fma_f64 v[31:32], v[31:32], v[35:36], v[33:34]
	v_add_f64 v[1:2], v[1:2], v[29:30]
	v_add_f64 v[3:4], v[3:4], v[31:32]
	s_andn2_b32 exec_lo, exec_lo, s60
	s_cbranch_execnz .LBB52_452
; %bb.453:
	s_or_b32 exec_lo, exec_lo, s60
.LBB52_454:
	s_or_b32 exec_lo, exec_lo, s8
	v_mov_b32_e32 v26, 0
	ds_read_b128 v[26:29], v26 offset:80
	s_waitcnt lgkmcnt(0)
	v_mul_f64 v[30:31], v[3:4], v[28:29]
	v_mul_f64 v[28:29], v[1:2], v[28:29]
	v_fma_f64 v[1:2], v[1:2], v[26:27], -v[30:31]
	v_fma_f64 v[3:4], v[3:4], v[26:27], v[28:29]
	buffer_store_dword v2, off, s[0:3], 0 offset:84
	buffer_store_dword v1, off, s[0:3], 0 offset:80
	;; [unrolled: 1-line block ×4, first 2 shown]
.LBB52_455:
	s_or_b32 exec_lo, exec_lo, s4
	v_mov_b32_e32 v4, s54
	s_mov_b32 s4, exec_lo
	s_clause 0x3
	buffer_load_dword v1, v4, s[0:3], 0 offen
	buffer_load_dword v2, v4, s[0:3], 0 offen offset:4
	buffer_load_dword v3, v4, s[0:3], 0 offen offset:8
	;; [unrolled: 1-line block ×3, first 2 shown]
	s_waitcnt vmcnt(0)
	ds_write_b128 v24, v[1:4]
	s_waitcnt lgkmcnt(0)
	s_waitcnt_vscnt null, 0x0
	s_barrier
	buffer_gl0_inv
	v_cmpx_gt_u32_e32 6, v0
	s_cbranch_execz .LBB52_463
; %bb.456:
	ds_read_b128 v[1:4], v24
	v_cmp_ne_u32_e32 vcc_lo, 1, v25
	s_cbranch_vccnz .LBB52_458
; %bb.457:
	s_clause 0x3
	buffer_load_dword v26, v23, s[0:3], 0 offen offset:8
	buffer_load_dword v27, v23, s[0:3], 0 offen offset:12
	buffer_load_dword v28, v23, s[0:3], 0 offen
	buffer_load_dword v29, v23, s[0:3], 0 offen offset:4
	s_waitcnt vmcnt(2) lgkmcnt(0)
	v_mul_f64 v[30:31], v[3:4], v[26:27]
	v_mul_f64 v[26:27], v[1:2], v[26:27]
	s_waitcnt vmcnt(0)
	v_fma_f64 v[1:2], v[1:2], v[28:29], -v[30:31]
	v_fma_f64 v[3:4], v[3:4], v[28:29], v[26:27]
.LBB52_458:
	s_mov_b32 s8, exec_lo
	v_cmpx_ne_u32_e32 5, v0
	s_cbranch_execz .LBB52_462
; %bb.459:
	v_add_nc_u32_e32 v26, 0x360, v133
	v_add3_u32 v27, 0, v133, 16
	v_mov_b32_e32 v28, v0
	s_mov_b32 s60, 0
	.p2align	6
.LBB52_460:                             ; =>This Inner Loop Header: Depth=1
	s_clause 0x3
	buffer_load_dword v33, v27, s[0:3], 0 offen offset:8
	buffer_load_dword v34, v27, s[0:3], 0 offen offset:12
	buffer_load_dword v35, v27, s[0:3], 0 offen
	buffer_load_dword v36, v27, s[0:3], 0 offen offset:4
	ds_read_b128 v[29:32], v26
	v_add_nc_u32_e32 v28, 1, v28
	v_add_nc_u32_e32 v26, 16, v26
	;; [unrolled: 1-line block ×3, first 2 shown]
	v_cmp_lt_u32_e32 vcc_lo, 4, v28
	s_or_b32 s60, vcc_lo, s60
	s_waitcnt vmcnt(2) lgkmcnt(0)
	v_mul_f64 v[37:38], v[31:32], v[33:34]
	v_mul_f64 v[33:34], v[29:30], v[33:34]
	s_waitcnt vmcnt(0)
	v_fma_f64 v[29:30], v[29:30], v[35:36], -v[37:38]
	v_fma_f64 v[31:32], v[31:32], v[35:36], v[33:34]
	v_add_f64 v[1:2], v[1:2], v[29:30]
	v_add_f64 v[3:4], v[3:4], v[31:32]
	s_andn2_b32 exec_lo, exec_lo, s60
	s_cbranch_execnz .LBB52_460
; %bb.461:
	s_or_b32 exec_lo, exec_lo, s60
.LBB52_462:
	s_or_b32 exec_lo, exec_lo, s8
	v_mov_b32_e32 v26, 0
	ds_read_b128 v[26:29], v26 offset:96
	s_waitcnt lgkmcnt(0)
	v_mul_f64 v[30:31], v[3:4], v[28:29]
	v_mul_f64 v[28:29], v[1:2], v[28:29]
	v_fma_f64 v[1:2], v[1:2], v[26:27], -v[30:31]
	v_fma_f64 v[3:4], v[3:4], v[26:27], v[28:29]
	buffer_store_dword v2, off, s[0:3], 0 offset:100
	buffer_store_dword v1, off, s[0:3], 0 offset:96
	buffer_store_dword v4, off, s[0:3], 0 offset:108
	buffer_store_dword v3, off, s[0:3], 0 offset:104
.LBB52_463:
	s_or_b32 exec_lo, exec_lo, s4
	v_mov_b32_e32 v4, s53
	s_mov_b32 s4, exec_lo
	s_clause 0x3
	buffer_load_dword v1, v4, s[0:3], 0 offen
	buffer_load_dword v2, v4, s[0:3], 0 offen offset:4
	buffer_load_dword v3, v4, s[0:3], 0 offen offset:8
	;; [unrolled: 1-line block ×3, first 2 shown]
	s_waitcnt vmcnt(0)
	ds_write_b128 v24, v[1:4]
	s_waitcnt lgkmcnt(0)
	s_waitcnt_vscnt null, 0x0
	s_barrier
	buffer_gl0_inv
	v_cmpx_gt_u32_e32 7, v0
	s_cbranch_execz .LBB52_471
; %bb.464:
	ds_read_b128 v[1:4], v24
	v_cmp_ne_u32_e32 vcc_lo, 1, v25
	s_cbranch_vccnz .LBB52_466
; %bb.465:
	s_clause 0x3
	buffer_load_dword v26, v23, s[0:3], 0 offen offset:8
	buffer_load_dword v27, v23, s[0:3], 0 offen offset:12
	buffer_load_dword v28, v23, s[0:3], 0 offen
	buffer_load_dword v29, v23, s[0:3], 0 offen offset:4
	s_waitcnt vmcnt(2) lgkmcnt(0)
	v_mul_f64 v[30:31], v[3:4], v[26:27]
	v_mul_f64 v[26:27], v[1:2], v[26:27]
	s_waitcnt vmcnt(0)
	v_fma_f64 v[1:2], v[1:2], v[28:29], -v[30:31]
	v_fma_f64 v[3:4], v[3:4], v[28:29], v[26:27]
.LBB52_466:
	s_mov_b32 s8, exec_lo
	v_cmpx_ne_u32_e32 6, v0
	s_cbranch_execz .LBB52_470
; %bb.467:
	v_add_nc_u32_e32 v26, 0x360, v133
	v_add3_u32 v27, 0, v133, 16
	v_mov_b32_e32 v28, v0
	s_mov_b32 s60, 0
	.p2align	6
.LBB52_468:                             ; =>This Inner Loop Header: Depth=1
	s_clause 0x3
	buffer_load_dword v33, v27, s[0:3], 0 offen offset:8
	buffer_load_dword v34, v27, s[0:3], 0 offen offset:12
	buffer_load_dword v35, v27, s[0:3], 0 offen
	buffer_load_dword v36, v27, s[0:3], 0 offen offset:4
	ds_read_b128 v[29:32], v26
	v_add_nc_u32_e32 v28, 1, v28
	v_add_nc_u32_e32 v26, 16, v26
	;; [unrolled: 1-line block ×3, first 2 shown]
	v_cmp_lt_u32_e32 vcc_lo, 5, v28
	s_or_b32 s60, vcc_lo, s60
	s_waitcnt vmcnt(2) lgkmcnt(0)
	v_mul_f64 v[37:38], v[31:32], v[33:34]
	v_mul_f64 v[33:34], v[29:30], v[33:34]
	s_waitcnt vmcnt(0)
	v_fma_f64 v[29:30], v[29:30], v[35:36], -v[37:38]
	v_fma_f64 v[31:32], v[31:32], v[35:36], v[33:34]
	v_add_f64 v[1:2], v[1:2], v[29:30]
	v_add_f64 v[3:4], v[3:4], v[31:32]
	s_andn2_b32 exec_lo, exec_lo, s60
	s_cbranch_execnz .LBB52_468
; %bb.469:
	s_or_b32 exec_lo, exec_lo, s60
.LBB52_470:
	s_or_b32 exec_lo, exec_lo, s8
	v_mov_b32_e32 v26, 0
	ds_read_b128 v[26:29], v26 offset:112
	s_waitcnt lgkmcnt(0)
	v_mul_f64 v[30:31], v[3:4], v[28:29]
	v_mul_f64 v[28:29], v[1:2], v[28:29]
	v_fma_f64 v[1:2], v[1:2], v[26:27], -v[30:31]
	v_fma_f64 v[3:4], v[3:4], v[26:27], v[28:29]
	buffer_store_dword v2, off, s[0:3], 0 offset:116
	buffer_store_dword v1, off, s[0:3], 0 offset:112
	;; [unrolled: 1-line block ×4, first 2 shown]
.LBB52_471:
	s_or_b32 exec_lo, exec_lo, s4
	v_mov_b32_e32 v4, s52
	s_mov_b32 s4, exec_lo
	s_clause 0x3
	buffer_load_dword v1, v4, s[0:3], 0 offen
	buffer_load_dword v2, v4, s[0:3], 0 offen offset:4
	buffer_load_dword v3, v4, s[0:3], 0 offen offset:8
	;; [unrolled: 1-line block ×3, first 2 shown]
	s_waitcnt vmcnt(0)
	ds_write_b128 v24, v[1:4]
	s_waitcnt lgkmcnt(0)
	s_waitcnt_vscnt null, 0x0
	s_barrier
	buffer_gl0_inv
	v_cmpx_gt_u32_e32 8, v0
	s_cbranch_execz .LBB52_479
; %bb.472:
	ds_read_b128 v[1:4], v24
	v_cmp_ne_u32_e32 vcc_lo, 1, v25
	s_cbranch_vccnz .LBB52_474
; %bb.473:
	s_clause 0x3
	buffer_load_dword v26, v23, s[0:3], 0 offen offset:8
	buffer_load_dword v27, v23, s[0:3], 0 offen offset:12
	buffer_load_dword v28, v23, s[0:3], 0 offen
	buffer_load_dword v29, v23, s[0:3], 0 offen offset:4
	s_waitcnt vmcnt(2) lgkmcnt(0)
	v_mul_f64 v[30:31], v[3:4], v[26:27]
	v_mul_f64 v[26:27], v[1:2], v[26:27]
	s_waitcnt vmcnt(0)
	v_fma_f64 v[1:2], v[1:2], v[28:29], -v[30:31]
	v_fma_f64 v[3:4], v[3:4], v[28:29], v[26:27]
.LBB52_474:
	s_mov_b32 s8, exec_lo
	v_cmpx_ne_u32_e32 7, v0
	s_cbranch_execz .LBB52_478
; %bb.475:
	v_add_nc_u32_e32 v26, 0x360, v133
	v_add3_u32 v27, 0, v133, 16
	v_mov_b32_e32 v28, v0
	s_mov_b32 s60, 0
	.p2align	6
.LBB52_476:                             ; =>This Inner Loop Header: Depth=1
	s_clause 0x3
	buffer_load_dword v33, v27, s[0:3], 0 offen offset:8
	buffer_load_dword v34, v27, s[0:3], 0 offen offset:12
	buffer_load_dword v35, v27, s[0:3], 0 offen
	buffer_load_dword v36, v27, s[0:3], 0 offen offset:4
	ds_read_b128 v[29:32], v26
	v_add_nc_u32_e32 v28, 1, v28
	v_add_nc_u32_e32 v26, 16, v26
	;; [unrolled: 1-line block ×3, first 2 shown]
	v_cmp_lt_u32_e32 vcc_lo, 6, v28
	s_or_b32 s60, vcc_lo, s60
	s_waitcnt vmcnt(2) lgkmcnt(0)
	v_mul_f64 v[37:38], v[31:32], v[33:34]
	v_mul_f64 v[33:34], v[29:30], v[33:34]
	s_waitcnt vmcnt(0)
	v_fma_f64 v[29:30], v[29:30], v[35:36], -v[37:38]
	v_fma_f64 v[31:32], v[31:32], v[35:36], v[33:34]
	v_add_f64 v[1:2], v[1:2], v[29:30]
	v_add_f64 v[3:4], v[3:4], v[31:32]
	s_andn2_b32 exec_lo, exec_lo, s60
	s_cbranch_execnz .LBB52_476
; %bb.477:
	s_or_b32 exec_lo, exec_lo, s60
.LBB52_478:
	s_or_b32 exec_lo, exec_lo, s8
	v_mov_b32_e32 v26, 0
	ds_read_b128 v[26:29], v26 offset:128
	s_waitcnt lgkmcnt(0)
	v_mul_f64 v[30:31], v[3:4], v[28:29]
	v_mul_f64 v[28:29], v[1:2], v[28:29]
	v_fma_f64 v[1:2], v[1:2], v[26:27], -v[30:31]
	v_fma_f64 v[3:4], v[3:4], v[26:27], v[28:29]
	buffer_store_dword v2, off, s[0:3], 0 offset:132
	buffer_store_dword v1, off, s[0:3], 0 offset:128
	buffer_store_dword v4, off, s[0:3], 0 offset:140
	buffer_store_dword v3, off, s[0:3], 0 offset:136
.LBB52_479:
	s_or_b32 exec_lo, exec_lo, s4
	v_mov_b32_e32 v4, s51
	s_mov_b32 s4, exec_lo
	s_clause 0x3
	buffer_load_dword v1, v4, s[0:3], 0 offen
	buffer_load_dword v2, v4, s[0:3], 0 offen offset:4
	buffer_load_dword v3, v4, s[0:3], 0 offen offset:8
	;; [unrolled: 1-line block ×3, first 2 shown]
	s_waitcnt vmcnt(0)
	ds_write_b128 v24, v[1:4]
	s_waitcnt lgkmcnt(0)
	s_waitcnt_vscnt null, 0x0
	s_barrier
	buffer_gl0_inv
	v_cmpx_gt_u32_e32 9, v0
	s_cbranch_execz .LBB52_487
; %bb.480:
	ds_read_b128 v[1:4], v24
	v_cmp_ne_u32_e32 vcc_lo, 1, v25
	s_cbranch_vccnz .LBB52_482
; %bb.481:
	s_clause 0x3
	buffer_load_dword v26, v23, s[0:3], 0 offen offset:8
	buffer_load_dword v27, v23, s[0:3], 0 offen offset:12
	buffer_load_dword v28, v23, s[0:3], 0 offen
	buffer_load_dword v29, v23, s[0:3], 0 offen offset:4
	s_waitcnt vmcnt(2) lgkmcnt(0)
	v_mul_f64 v[30:31], v[3:4], v[26:27]
	v_mul_f64 v[26:27], v[1:2], v[26:27]
	s_waitcnt vmcnt(0)
	v_fma_f64 v[1:2], v[1:2], v[28:29], -v[30:31]
	v_fma_f64 v[3:4], v[3:4], v[28:29], v[26:27]
.LBB52_482:
	s_mov_b32 s8, exec_lo
	v_cmpx_ne_u32_e32 8, v0
	s_cbranch_execz .LBB52_486
; %bb.483:
	v_add_nc_u32_e32 v26, 0x360, v133
	v_add3_u32 v27, 0, v133, 16
	v_mov_b32_e32 v28, v0
	s_mov_b32 s60, 0
	.p2align	6
.LBB52_484:                             ; =>This Inner Loop Header: Depth=1
	s_clause 0x3
	buffer_load_dword v33, v27, s[0:3], 0 offen offset:8
	buffer_load_dword v34, v27, s[0:3], 0 offen offset:12
	buffer_load_dword v35, v27, s[0:3], 0 offen
	buffer_load_dword v36, v27, s[0:3], 0 offen offset:4
	ds_read_b128 v[29:32], v26
	v_add_nc_u32_e32 v28, 1, v28
	v_add_nc_u32_e32 v26, 16, v26
	;; [unrolled: 1-line block ×3, first 2 shown]
	v_cmp_lt_u32_e32 vcc_lo, 7, v28
	s_or_b32 s60, vcc_lo, s60
	s_waitcnt vmcnt(2) lgkmcnt(0)
	v_mul_f64 v[37:38], v[31:32], v[33:34]
	v_mul_f64 v[33:34], v[29:30], v[33:34]
	s_waitcnt vmcnt(0)
	v_fma_f64 v[29:30], v[29:30], v[35:36], -v[37:38]
	v_fma_f64 v[31:32], v[31:32], v[35:36], v[33:34]
	v_add_f64 v[1:2], v[1:2], v[29:30]
	v_add_f64 v[3:4], v[3:4], v[31:32]
	s_andn2_b32 exec_lo, exec_lo, s60
	s_cbranch_execnz .LBB52_484
; %bb.485:
	s_or_b32 exec_lo, exec_lo, s60
.LBB52_486:
	s_or_b32 exec_lo, exec_lo, s8
	v_mov_b32_e32 v26, 0
	ds_read_b128 v[26:29], v26 offset:144
	s_waitcnt lgkmcnt(0)
	v_mul_f64 v[30:31], v[3:4], v[28:29]
	v_mul_f64 v[28:29], v[1:2], v[28:29]
	v_fma_f64 v[1:2], v[1:2], v[26:27], -v[30:31]
	v_fma_f64 v[3:4], v[3:4], v[26:27], v[28:29]
	buffer_store_dword v2, off, s[0:3], 0 offset:148
	buffer_store_dword v1, off, s[0:3], 0 offset:144
	;; [unrolled: 1-line block ×4, first 2 shown]
.LBB52_487:
	s_or_b32 exec_lo, exec_lo, s4
	v_mov_b32_e32 v4, s50
	s_mov_b32 s4, exec_lo
	s_clause 0x3
	buffer_load_dword v1, v4, s[0:3], 0 offen
	buffer_load_dword v2, v4, s[0:3], 0 offen offset:4
	buffer_load_dword v3, v4, s[0:3], 0 offen offset:8
	;; [unrolled: 1-line block ×3, first 2 shown]
	s_waitcnt vmcnt(0)
	ds_write_b128 v24, v[1:4]
	s_waitcnt lgkmcnt(0)
	s_waitcnt_vscnt null, 0x0
	s_barrier
	buffer_gl0_inv
	v_cmpx_gt_u32_e32 10, v0
	s_cbranch_execz .LBB52_495
; %bb.488:
	ds_read_b128 v[1:4], v24
	v_cmp_ne_u32_e32 vcc_lo, 1, v25
	s_cbranch_vccnz .LBB52_490
; %bb.489:
	s_clause 0x3
	buffer_load_dword v26, v23, s[0:3], 0 offen offset:8
	buffer_load_dword v27, v23, s[0:3], 0 offen offset:12
	buffer_load_dword v28, v23, s[0:3], 0 offen
	buffer_load_dword v29, v23, s[0:3], 0 offen offset:4
	s_waitcnt vmcnt(2) lgkmcnt(0)
	v_mul_f64 v[30:31], v[3:4], v[26:27]
	v_mul_f64 v[26:27], v[1:2], v[26:27]
	s_waitcnt vmcnt(0)
	v_fma_f64 v[1:2], v[1:2], v[28:29], -v[30:31]
	v_fma_f64 v[3:4], v[3:4], v[28:29], v[26:27]
.LBB52_490:
	s_mov_b32 s8, exec_lo
	v_cmpx_ne_u32_e32 9, v0
	s_cbranch_execz .LBB52_494
; %bb.491:
	v_add_nc_u32_e32 v26, 0x360, v133
	v_add3_u32 v27, 0, v133, 16
	v_mov_b32_e32 v28, v0
	s_mov_b32 s60, 0
	.p2align	6
.LBB52_492:                             ; =>This Inner Loop Header: Depth=1
	s_clause 0x3
	buffer_load_dword v33, v27, s[0:3], 0 offen offset:8
	buffer_load_dword v34, v27, s[0:3], 0 offen offset:12
	buffer_load_dword v35, v27, s[0:3], 0 offen
	buffer_load_dword v36, v27, s[0:3], 0 offen offset:4
	ds_read_b128 v[29:32], v26
	v_add_nc_u32_e32 v28, 1, v28
	v_add_nc_u32_e32 v26, 16, v26
	;; [unrolled: 1-line block ×3, first 2 shown]
	v_cmp_lt_u32_e32 vcc_lo, 8, v28
	s_or_b32 s60, vcc_lo, s60
	s_waitcnt vmcnt(2) lgkmcnt(0)
	v_mul_f64 v[37:38], v[31:32], v[33:34]
	v_mul_f64 v[33:34], v[29:30], v[33:34]
	s_waitcnt vmcnt(0)
	v_fma_f64 v[29:30], v[29:30], v[35:36], -v[37:38]
	v_fma_f64 v[31:32], v[31:32], v[35:36], v[33:34]
	v_add_f64 v[1:2], v[1:2], v[29:30]
	v_add_f64 v[3:4], v[3:4], v[31:32]
	s_andn2_b32 exec_lo, exec_lo, s60
	s_cbranch_execnz .LBB52_492
; %bb.493:
	s_or_b32 exec_lo, exec_lo, s60
.LBB52_494:
	s_or_b32 exec_lo, exec_lo, s8
	v_mov_b32_e32 v26, 0
	ds_read_b128 v[26:29], v26 offset:160
	s_waitcnt lgkmcnt(0)
	v_mul_f64 v[30:31], v[3:4], v[28:29]
	v_mul_f64 v[28:29], v[1:2], v[28:29]
	v_fma_f64 v[1:2], v[1:2], v[26:27], -v[30:31]
	v_fma_f64 v[3:4], v[3:4], v[26:27], v[28:29]
	buffer_store_dword v2, off, s[0:3], 0 offset:164
	buffer_store_dword v1, off, s[0:3], 0 offset:160
	buffer_store_dword v4, off, s[0:3], 0 offset:172
	buffer_store_dword v3, off, s[0:3], 0 offset:168
.LBB52_495:
	s_or_b32 exec_lo, exec_lo, s4
	v_mov_b32_e32 v4, s49
	s_mov_b32 s4, exec_lo
	s_clause 0x3
	buffer_load_dword v1, v4, s[0:3], 0 offen
	buffer_load_dword v2, v4, s[0:3], 0 offen offset:4
	buffer_load_dword v3, v4, s[0:3], 0 offen offset:8
	;; [unrolled: 1-line block ×3, first 2 shown]
	s_waitcnt vmcnt(0)
	ds_write_b128 v24, v[1:4]
	s_waitcnt lgkmcnt(0)
	s_waitcnt_vscnt null, 0x0
	s_barrier
	buffer_gl0_inv
	v_cmpx_gt_u32_e32 11, v0
	s_cbranch_execz .LBB52_503
; %bb.496:
	ds_read_b128 v[1:4], v24
	v_cmp_ne_u32_e32 vcc_lo, 1, v25
	s_cbranch_vccnz .LBB52_498
; %bb.497:
	s_clause 0x3
	buffer_load_dword v26, v23, s[0:3], 0 offen offset:8
	buffer_load_dword v27, v23, s[0:3], 0 offen offset:12
	buffer_load_dword v28, v23, s[0:3], 0 offen
	buffer_load_dword v29, v23, s[0:3], 0 offen offset:4
	s_waitcnt vmcnt(2) lgkmcnt(0)
	v_mul_f64 v[30:31], v[3:4], v[26:27]
	v_mul_f64 v[26:27], v[1:2], v[26:27]
	s_waitcnt vmcnt(0)
	v_fma_f64 v[1:2], v[1:2], v[28:29], -v[30:31]
	v_fma_f64 v[3:4], v[3:4], v[28:29], v[26:27]
.LBB52_498:
	s_mov_b32 s8, exec_lo
	v_cmpx_ne_u32_e32 10, v0
	s_cbranch_execz .LBB52_502
; %bb.499:
	v_add_nc_u32_e32 v26, 0x360, v133
	v_add3_u32 v27, 0, v133, 16
	v_mov_b32_e32 v28, v0
	s_mov_b32 s60, 0
	.p2align	6
.LBB52_500:                             ; =>This Inner Loop Header: Depth=1
	s_clause 0x3
	buffer_load_dword v33, v27, s[0:3], 0 offen offset:8
	buffer_load_dword v34, v27, s[0:3], 0 offen offset:12
	buffer_load_dword v35, v27, s[0:3], 0 offen
	buffer_load_dword v36, v27, s[0:3], 0 offen offset:4
	ds_read_b128 v[29:32], v26
	v_add_nc_u32_e32 v28, 1, v28
	v_add_nc_u32_e32 v26, 16, v26
	;; [unrolled: 1-line block ×3, first 2 shown]
	v_cmp_lt_u32_e32 vcc_lo, 9, v28
	s_or_b32 s60, vcc_lo, s60
	s_waitcnt vmcnt(2) lgkmcnt(0)
	v_mul_f64 v[37:38], v[31:32], v[33:34]
	v_mul_f64 v[33:34], v[29:30], v[33:34]
	s_waitcnt vmcnt(0)
	v_fma_f64 v[29:30], v[29:30], v[35:36], -v[37:38]
	v_fma_f64 v[31:32], v[31:32], v[35:36], v[33:34]
	v_add_f64 v[1:2], v[1:2], v[29:30]
	v_add_f64 v[3:4], v[3:4], v[31:32]
	s_andn2_b32 exec_lo, exec_lo, s60
	s_cbranch_execnz .LBB52_500
; %bb.501:
	s_or_b32 exec_lo, exec_lo, s60
.LBB52_502:
	s_or_b32 exec_lo, exec_lo, s8
	v_mov_b32_e32 v26, 0
	ds_read_b128 v[26:29], v26 offset:176
	s_waitcnt lgkmcnt(0)
	v_mul_f64 v[30:31], v[3:4], v[28:29]
	v_mul_f64 v[28:29], v[1:2], v[28:29]
	v_fma_f64 v[1:2], v[1:2], v[26:27], -v[30:31]
	v_fma_f64 v[3:4], v[3:4], v[26:27], v[28:29]
	buffer_store_dword v2, off, s[0:3], 0 offset:180
	buffer_store_dword v1, off, s[0:3], 0 offset:176
	;; [unrolled: 1-line block ×4, first 2 shown]
.LBB52_503:
	s_or_b32 exec_lo, exec_lo, s4
	v_mov_b32_e32 v4, s48
	s_mov_b32 s4, exec_lo
	s_clause 0x3
	buffer_load_dword v1, v4, s[0:3], 0 offen
	buffer_load_dword v2, v4, s[0:3], 0 offen offset:4
	buffer_load_dword v3, v4, s[0:3], 0 offen offset:8
	;; [unrolled: 1-line block ×3, first 2 shown]
	s_waitcnt vmcnt(0)
	ds_write_b128 v24, v[1:4]
	s_waitcnt lgkmcnt(0)
	s_waitcnt_vscnt null, 0x0
	s_barrier
	buffer_gl0_inv
	v_cmpx_gt_u32_e32 12, v0
	s_cbranch_execz .LBB52_511
; %bb.504:
	ds_read_b128 v[1:4], v24
	v_cmp_ne_u32_e32 vcc_lo, 1, v25
	s_cbranch_vccnz .LBB52_506
; %bb.505:
	s_clause 0x3
	buffer_load_dword v26, v23, s[0:3], 0 offen offset:8
	buffer_load_dword v27, v23, s[0:3], 0 offen offset:12
	buffer_load_dword v28, v23, s[0:3], 0 offen
	buffer_load_dword v29, v23, s[0:3], 0 offen offset:4
	s_waitcnt vmcnt(2) lgkmcnt(0)
	v_mul_f64 v[30:31], v[3:4], v[26:27]
	v_mul_f64 v[26:27], v[1:2], v[26:27]
	s_waitcnt vmcnt(0)
	v_fma_f64 v[1:2], v[1:2], v[28:29], -v[30:31]
	v_fma_f64 v[3:4], v[3:4], v[28:29], v[26:27]
.LBB52_506:
	s_mov_b32 s8, exec_lo
	v_cmpx_ne_u32_e32 11, v0
	s_cbranch_execz .LBB52_510
; %bb.507:
	v_add_nc_u32_e32 v26, 0x360, v133
	v_add3_u32 v27, 0, v133, 16
	v_mov_b32_e32 v28, v0
	s_mov_b32 s60, 0
	.p2align	6
.LBB52_508:                             ; =>This Inner Loop Header: Depth=1
	s_clause 0x3
	buffer_load_dword v33, v27, s[0:3], 0 offen offset:8
	buffer_load_dword v34, v27, s[0:3], 0 offen offset:12
	buffer_load_dword v35, v27, s[0:3], 0 offen
	buffer_load_dword v36, v27, s[0:3], 0 offen offset:4
	ds_read_b128 v[29:32], v26
	v_add_nc_u32_e32 v28, 1, v28
	v_add_nc_u32_e32 v26, 16, v26
	;; [unrolled: 1-line block ×3, first 2 shown]
	v_cmp_lt_u32_e32 vcc_lo, 10, v28
	s_or_b32 s60, vcc_lo, s60
	s_waitcnt vmcnt(2) lgkmcnt(0)
	v_mul_f64 v[37:38], v[31:32], v[33:34]
	v_mul_f64 v[33:34], v[29:30], v[33:34]
	s_waitcnt vmcnt(0)
	v_fma_f64 v[29:30], v[29:30], v[35:36], -v[37:38]
	v_fma_f64 v[31:32], v[31:32], v[35:36], v[33:34]
	v_add_f64 v[1:2], v[1:2], v[29:30]
	v_add_f64 v[3:4], v[3:4], v[31:32]
	s_andn2_b32 exec_lo, exec_lo, s60
	s_cbranch_execnz .LBB52_508
; %bb.509:
	s_or_b32 exec_lo, exec_lo, s60
.LBB52_510:
	s_or_b32 exec_lo, exec_lo, s8
	v_mov_b32_e32 v26, 0
	ds_read_b128 v[26:29], v26 offset:192
	s_waitcnt lgkmcnt(0)
	v_mul_f64 v[30:31], v[3:4], v[28:29]
	v_mul_f64 v[28:29], v[1:2], v[28:29]
	v_fma_f64 v[1:2], v[1:2], v[26:27], -v[30:31]
	v_fma_f64 v[3:4], v[3:4], v[26:27], v[28:29]
	buffer_store_dword v2, off, s[0:3], 0 offset:196
	buffer_store_dword v1, off, s[0:3], 0 offset:192
	buffer_store_dword v4, off, s[0:3], 0 offset:204
	buffer_store_dword v3, off, s[0:3], 0 offset:200
.LBB52_511:
	s_or_b32 exec_lo, exec_lo, s4
	v_mov_b32_e32 v4, s47
	s_mov_b32 s4, exec_lo
	s_clause 0x3
	buffer_load_dword v1, v4, s[0:3], 0 offen
	buffer_load_dword v2, v4, s[0:3], 0 offen offset:4
	buffer_load_dword v3, v4, s[0:3], 0 offen offset:8
	;; [unrolled: 1-line block ×3, first 2 shown]
	s_waitcnt vmcnt(0)
	ds_write_b128 v24, v[1:4]
	s_waitcnt lgkmcnt(0)
	s_waitcnt_vscnt null, 0x0
	s_barrier
	buffer_gl0_inv
	v_cmpx_gt_u32_e32 13, v0
	s_cbranch_execz .LBB52_519
; %bb.512:
	ds_read_b128 v[1:4], v24
	v_cmp_ne_u32_e32 vcc_lo, 1, v25
	s_cbranch_vccnz .LBB52_514
; %bb.513:
	s_clause 0x3
	buffer_load_dword v26, v23, s[0:3], 0 offen offset:8
	buffer_load_dword v27, v23, s[0:3], 0 offen offset:12
	buffer_load_dword v28, v23, s[0:3], 0 offen
	buffer_load_dword v29, v23, s[0:3], 0 offen offset:4
	s_waitcnt vmcnt(2) lgkmcnt(0)
	v_mul_f64 v[30:31], v[3:4], v[26:27]
	v_mul_f64 v[26:27], v[1:2], v[26:27]
	s_waitcnt vmcnt(0)
	v_fma_f64 v[1:2], v[1:2], v[28:29], -v[30:31]
	v_fma_f64 v[3:4], v[3:4], v[28:29], v[26:27]
.LBB52_514:
	s_mov_b32 s8, exec_lo
	v_cmpx_ne_u32_e32 12, v0
	s_cbranch_execz .LBB52_518
; %bb.515:
	v_add_nc_u32_e32 v26, 0x360, v133
	v_add3_u32 v27, 0, v133, 16
	v_mov_b32_e32 v28, v0
	s_mov_b32 s60, 0
	.p2align	6
.LBB52_516:                             ; =>This Inner Loop Header: Depth=1
	s_clause 0x3
	buffer_load_dword v33, v27, s[0:3], 0 offen offset:8
	buffer_load_dword v34, v27, s[0:3], 0 offen offset:12
	buffer_load_dword v35, v27, s[0:3], 0 offen
	buffer_load_dword v36, v27, s[0:3], 0 offen offset:4
	ds_read_b128 v[29:32], v26
	v_add_nc_u32_e32 v28, 1, v28
	v_add_nc_u32_e32 v26, 16, v26
	;; [unrolled: 1-line block ×3, first 2 shown]
	v_cmp_lt_u32_e32 vcc_lo, 11, v28
	s_or_b32 s60, vcc_lo, s60
	s_waitcnt vmcnt(2) lgkmcnt(0)
	v_mul_f64 v[37:38], v[31:32], v[33:34]
	v_mul_f64 v[33:34], v[29:30], v[33:34]
	s_waitcnt vmcnt(0)
	v_fma_f64 v[29:30], v[29:30], v[35:36], -v[37:38]
	v_fma_f64 v[31:32], v[31:32], v[35:36], v[33:34]
	v_add_f64 v[1:2], v[1:2], v[29:30]
	v_add_f64 v[3:4], v[3:4], v[31:32]
	s_andn2_b32 exec_lo, exec_lo, s60
	s_cbranch_execnz .LBB52_516
; %bb.517:
	s_or_b32 exec_lo, exec_lo, s60
.LBB52_518:
	s_or_b32 exec_lo, exec_lo, s8
	v_mov_b32_e32 v26, 0
	ds_read_b128 v[26:29], v26 offset:208
	s_waitcnt lgkmcnt(0)
	v_mul_f64 v[30:31], v[3:4], v[28:29]
	v_mul_f64 v[28:29], v[1:2], v[28:29]
	v_fma_f64 v[1:2], v[1:2], v[26:27], -v[30:31]
	v_fma_f64 v[3:4], v[3:4], v[26:27], v[28:29]
	buffer_store_dword v2, off, s[0:3], 0 offset:212
	buffer_store_dword v1, off, s[0:3], 0 offset:208
	;; [unrolled: 1-line block ×4, first 2 shown]
.LBB52_519:
	s_or_b32 exec_lo, exec_lo, s4
	v_mov_b32_e32 v4, s46
	s_mov_b32 s4, exec_lo
	s_clause 0x3
	buffer_load_dword v1, v4, s[0:3], 0 offen
	buffer_load_dword v2, v4, s[0:3], 0 offen offset:4
	buffer_load_dword v3, v4, s[0:3], 0 offen offset:8
	;; [unrolled: 1-line block ×3, first 2 shown]
	s_waitcnt vmcnt(0)
	ds_write_b128 v24, v[1:4]
	s_waitcnt lgkmcnt(0)
	s_waitcnt_vscnt null, 0x0
	s_barrier
	buffer_gl0_inv
	v_cmpx_gt_u32_e32 14, v0
	s_cbranch_execz .LBB52_527
; %bb.520:
	ds_read_b128 v[1:4], v24
	v_cmp_ne_u32_e32 vcc_lo, 1, v25
	s_cbranch_vccnz .LBB52_522
; %bb.521:
	s_clause 0x3
	buffer_load_dword v26, v23, s[0:3], 0 offen offset:8
	buffer_load_dword v27, v23, s[0:3], 0 offen offset:12
	buffer_load_dword v28, v23, s[0:3], 0 offen
	buffer_load_dword v29, v23, s[0:3], 0 offen offset:4
	s_waitcnt vmcnt(2) lgkmcnt(0)
	v_mul_f64 v[30:31], v[3:4], v[26:27]
	v_mul_f64 v[26:27], v[1:2], v[26:27]
	s_waitcnt vmcnt(0)
	v_fma_f64 v[1:2], v[1:2], v[28:29], -v[30:31]
	v_fma_f64 v[3:4], v[3:4], v[28:29], v[26:27]
.LBB52_522:
	s_mov_b32 s8, exec_lo
	v_cmpx_ne_u32_e32 13, v0
	s_cbranch_execz .LBB52_526
; %bb.523:
	v_add_nc_u32_e32 v26, 0x360, v133
	v_add3_u32 v27, 0, v133, 16
	v_mov_b32_e32 v28, v0
	s_mov_b32 s60, 0
	.p2align	6
.LBB52_524:                             ; =>This Inner Loop Header: Depth=1
	s_clause 0x3
	buffer_load_dword v33, v27, s[0:3], 0 offen offset:8
	buffer_load_dword v34, v27, s[0:3], 0 offen offset:12
	buffer_load_dword v35, v27, s[0:3], 0 offen
	buffer_load_dword v36, v27, s[0:3], 0 offen offset:4
	ds_read_b128 v[29:32], v26
	v_add_nc_u32_e32 v28, 1, v28
	v_add_nc_u32_e32 v26, 16, v26
	;; [unrolled: 1-line block ×3, first 2 shown]
	v_cmp_lt_u32_e32 vcc_lo, 12, v28
	s_or_b32 s60, vcc_lo, s60
	s_waitcnt vmcnt(2) lgkmcnt(0)
	v_mul_f64 v[37:38], v[31:32], v[33:34]
	v_mul_f64 v[33:34], v[29:30], v[33:34]
	s_waitcnt vmcnt(0)
	v_fma_f64 v[29:30], v[29:30], v[35:36], -v[37:38]
	v_fma_f64 v[31:32], v[31:32], v[35:36], v[33:34]
	v_add_f64 v[1:2], v[1:2], v[29:30]
	v_add_f64 v[3:4], v[3:4], v[31:32]
	s_andn2_b32 exec_lo, exec_lo, s60
	s_cbranch_execnz .LBB52_524
; %bb.525:
	s_or_b32 exec_lo, exec_lo, s60
.LBB52_526:
	s_or_b32 exec_lo, exec_lo, s8
	v_mov_b32_e32 v26, 0
	ds_read_b128 v[26:29], v26 offset:224
	s_waitcnt lgkmcnt(0)
	v_mul_f64 v[30:31], v[3:4], v[28:29]
	v_mul_f64 v[28:29], v[1:2], v[28:29]
	v_fma_f64 v[1:2], v[1:2], v[26:27], -v[30:31]
	v_fma_f64 v[3:4], v[3:4], v[26:27], v[28:29]
	buffer_store_dword v2, off, s[0:3], 0 offset:228
	buffer_store_dword v1, off, s[0:3], 0 offset:224
	;; [unrolled: 1-line block ×4, first 2 shown]
.LBB52_527:
	s_or_b32 exec_lo, exec_lo, s4
	v_mov_b32_e32 v4, s45
	s_mov_b32 s4, exec_lo
	s_clause 0x3
	buffer_load_dword v1, v4, s[0:3], 0 offen
	buffer_load_dword v2, v4, s[0:3], 0 offen offset:4
	buffer_load_dword v3, v4, s[0:3], 0 offen offset:8
	;; [unrolled: 1-line block ×3, first 2 shown]
	s_waitcnt vmcnt(0)
	ds_write_b128 v24, v[1:4]
	s_waitcnt lgkmcnt(0)
	s_waitcnt_vscnt null, 0x0
	s_barrier
	buffer_gl0_inv
	v_cmpx_gt_u32_e32 15, v0
	s_cbranch_execz .LBB52_535
; %bb.528:
	ds_read_b128 v[1:4], v24
	v_cmp_ne_u32_e32 vcc_lo, 1, v25
	s_cbranch_vccnz .LBB52_530
; %bb.529:
	s_clause 0x3
	buffer_load_dword v26, v23, s[0:3], 0 offen offset:8
	buffer_load_dword v27, v23, s[0:3], 0 offen offset:12
	buffer_load_dword v28, v23, s[0:3], 0 offen
	buffer_load_dword v29, v23, s[0:3], 0 offen offset:4
	s_waitcnt vmcnt(2) lgkmcnt(0)
	v_mul_f64 v[30:31], v[3:4], v[26:27]
	v_mul_f64 v[26:27], v[1:2], v[26:27]
	s_waitcnt vmcnt(0)
	v_fma_f64 v[1:2], v[1:2], v[28:29], -v[30:31]
	v_fma_f64 v[3:4], v[3:4], v[28:29], v[26:27]
.LBB52_530:
	s_mov_b32 s8, exec_lo
	v_cmpx_ne_u32_e32 14, v0
	s_cbranch_execz .LBB52_534
; %bb.531:
	v_add_nc_u32_e32 v26, 0x360, v133
	v_add3_u32 v27, 0, v133, 16
	v_mov_b32_e32 v28, v0
	s_mov_b32 s60, 0
	.p2align	6
.LBB52_532:                             ; =>This Inner Loop Header: Depth=1
	s_clause 0x3
	buffer_load_dword v33, v27, s[0:3], 0 offen offset:8
	buffer_load_dword v34, v27, s[0:3], 0 offen offset:12
	buffer_load_dword v35, v27, s[0:3], 0 offen
	buffer_load_dword v36, v27, s[0:3], 0 offen offset:4
	ds_read_b128 v[29:32], v26
	v_add_nc_u32_e32 v28, 1, v28
	v_add_nc_u32_e32 v26, 16, v26
	;; [unrolled: 1-line block ×3, first 2 shown]
	v_cmp_lt_u32_e32 vcc_lo, 13, v28
	s_or_b32 s60, vcc_lo, s60
	s_waitcnt vmcnt(2) lgkmcnt(0)
	v_mul_f64 v[37:38], v[31:32], v[33:34]
	v_mul_f64 v[33:34], v[29:30], v[33:34]
	s_waitcnt vmcnt(0)
	v_fma_f64 v[29:30], v[29:30], v[35:36], -v[37:38]
	v_fma_f64 v[31:32], v[31:32], v[35:36], v[33:34]
	v_add_f64 v[1:2], v[1:2], v[29:30]
	v_add_f64 v[3:4], v[3:4], v[31:32]
	s_andn2_b32 exec_lo, exec_lo, s60
	s_cbranch_execnz .LBB52_532
; %bb.533:
	s_or_b32 exec_lo, exec_lo, s60
.LBB52_534:
	s_or_b32 exec_lo, exec_lo, s8
	v_mov_b32_e32 v26, 0
	ds_read_b128 v[26:29], v26 offset:240
	s_waitcnt lgkmcnt(0)
	v_mul_f64 v[30:31], v[3:4], v[28:29]
	v_mul_f64 v[28:29], v[1:2], v[28:29]
	v_fma_f64 v[1:2], v[1:2], v[26:27], -v[30:31]
	v_fma_f64 v[3:4], v[3:4], v[26:27], v[28:29]
	buffer_store_dword v2, off, s[0:3], 0 offset:244
	buffer_store_dword v1, off, s[0:3], 0 offset:240
	;; [unrolled: 1-line block ×4, first 2 shown]
.LBB52_535:
	s_or_b32 exec_lo, exec_lo, s4
	v_mov_b32_e32 v4, s44
	s_mov_b32 s4, exec_lo
	s_clause 0x3
	buffer_load_dword v1, v4, s[0:3], 0 offen
	buffer_load_dword v2, v4, s[0:3], 0 offen offset:4
	buffer_load_dword v3, v4, s[0:3], 0 offen offset:8
	;; [unrolled: 1-line block ×3, first 2 shown]
	s_waitcnt vmcnt(0)
	ds_write_b128 v24, v[1:4]
	s_waitcnt lgkmcnt(0)
	s_waitcnt_vscnt null, 0x0
	s_barrier
	buffer_gl0_inv
	v_cmpx_gt_u32_e32 16, v0
	s_cbranch_execz .LBB52_543
; %bb.536:
	ds_read_b128 v[1:4], v24
	v_cmp_ne_u32_e32 vcc_lo, 1, v25
	s_cbranch_vccnz .LBB52_538
; %bb.537:
	s_clause 0x3
	buffer_load_dword v26, v23, s[0:3], 0 offen offset:8
	buffer_load_dword v27, v23, s[0:3], 0 offen offset:12
	buffer_load_dword v28, v23, s[0:3], 0 offen
	buffer_load_dword v29, v23, s[0:3], 0 offen offset:4
	s_waitcnt vmcnt(2) lgkmcnt(0)
	v_mul_f64 v[30:31], v[3:4], v[26:27]
	v_mul_f64 v[26:27], v[1:2], v[26:27]
	s_waitcnt vmcnt(0)
	v_fma_f64 v[1:2], v[1:2], v[28:29], -v[30:31]
	v_fma_f64 v[3:4], v[3:4], v[28:29], v[26:27]
.LBB52_538:
	s_mov_b32 s8, exec_lo
	v_cmpx_ne_u32_e32 15, v0
	s_cbranch_execz .LBB52_542
; %bb.539:
	v_add_nc_u32_e32 v26, 0x360, v133
	v_add3_u32 v27, 0, v133, 16
	v_mov_b32_e32 v28, v0
	s_mov_b32 s60, 0
	.p2align	6
.LBB52_540:                             ; =>This Inner Loop Header: Depth=1
	s_clause 0x3
	buffer_load_dword v33, v27, s[0:3], 0 offen offset:8
	buffer_load_dword v34, v27, s[0:3], 0 offen offset:12
	buffer_load_dword v35, v27, s[0:3], 0 offen
	buffer_load_dword v36, v27, s[0:3], 0 offen offset:4
	ds_read_b128 v[29:32], v26
	v_add_nc_u32_e32 v28, 1, v28
	v_add_nc_u32_e32 v26, 16, v26
	;; [unrolled: 1-line block ×3, first 2 shown]
	v_cmp_lt_u32_e32 vcc_lo, 14, v28
	s_or_b32 s60, vcc_lo, s60
	s_waitcnt vmcnt(2) lgkmcnt(0)
	v_mul_f64 v[37:38], v[31:32], v[33:34]
	v_mul_f64 v[33:34], v[29:30], v[33:34]
	s_waitcnt vmcnt(0)
	v_fma_f64 v[29:30], v[29:30], v[35:36], -v[37:38]
	v_fma_f64 v[31:32], v[31:32], v[35:36], v[33:34]
	v_add_f64 v[1:2], v[1:2], v[29:30]
	v_add_f64 v[3:4], v[3:4], v[31:32]
	s_andn2_b32 exec_lo, exec_lo, s60
	s_cbranch_execnz .LBB52_540
; %bb.541:
	s_or_b32 exec_lo, exec_lo, s60
.LBB52_542:
	s_or_b32 exec_lo, exec_lo, s8
	v_mov_b32_e32 v26, 0
	ds_read_b128 v[26:29], v26 offset:256
	s_waitcnt lgkmcnt(0)
	v_mul_f64 v[30:31], v[3:4], v[28:29]
	v_mul_f64 v[28:29], v[1:2], v[28:29]
	v_fma_f64 v[1:2], v[1:2], v[26:27], -v[30:31]
	v_fma_f64 v[3:4], v[3:4], v[26:27], v[28:29]
	buffer_store_dword v2, off, s[0:3], 0 offset:260
	buffer_store_dword v1, off, s[0:3], 0 offset:256
	;; [unrolled: 1-line block ×4, first 2 shown]
.LBB52_543:
	s_or_b32 exec_lo, exec_lo, s4
	v_mov_b32_e32 v4, s43
	s_mov_b32 s4, exec_lo
	s_clause 0x3
	buffer_load_dword v1, v4, s[0:3], 0 offen
	buffer_load_dword v2, v4, s[0:3], 0 offen offset:4
	buffer_load_dword v3, v4, s[0:3], 0 offen offset:8
	;; [unrolled: 1-line block ×3, first 2 shown]
	s_waitcnt vmcnt(0)
	ds_write_b128 v24, v[1:4]
	s_waitcnt lgkmcnt(0)
	s_waitcnt_vscnt null, 0x0
	s_barrier
	buffer_gl0_inv
	v_cmpx_gt_u32_e32 17, v0
	s_cbranch_execz .LBB52_551
; %bb.544:
	ds_read_b128 v[1:4], v24
	v_cmp_ne_u32_e32 vcc_lo, 1, v25
	s_cbranch_vccnz .LBB52_546
; %bb.545:
	s_clause 0x3
	buffer_load_dword v26, v23, s[0:3], 0 offen offset:8
	buffer_load_dword v27, v23, s[0:3], 0 offen offset:12
	buffer_load_dword v28, v23, s[0:3], 0 offen
	buffer_load_dword v29, v23, s[0:3], 0 offen offset:4
	s_waitcnt vmcnt(2) lgkmcnt(0)
	v_mul_f64 v[30:31], v[3:4], v[26:27]
	v_mul_f64 v[26:27], v[1:2], v[26:27]
	s_waitcnt vmcnt(0)
	v_fma_f64 v[1:2], v[1:2], v[28:29], -v[30:31]
	v_fma_f64 v[3:4], v[3:4], v[28:29], v[26:27]
.LBB52_546:
	s_mov_b32 s8, exec_lo
	v_cmpx_ne_u32_e32 16, v0
	s_cbranch_execz .LBB52_550
; %bb.547:
	v_add_nc_u32_e32 v26, 0x360, v133
	v_add3_u32 v27, 0, v133, 16
	v_mov_b32_e32 v28, v0
	s_mov_b32 s60, 0
	.p2align	6
.LBB52_548:                             ; =>This Inner Loop Header: Depth=1
	s_clause 0x3
	buffer_load_dword v33, v27, s[0:3], 0 offen offset:8
	buffer_load_dword v34, v27, s[0:3], 0 offen offset:12
	buffer_load_dword v35, v27, s[0:3], 0 offen
	buffer_load_dword v36, v27, s[0:3], 0 offen offset:4
	ds_read_b128 v[29:32], v26
	v_add_nc_u32_e32 v28, 1, v28
	v_add_nc_u32_e32 v26, 16, v26
	v_add_nc_u32_e32 v27, 16, v27
	v_cmp_lt_u32_e32 vcc_lo, 15, v28
	s_or_b32 s60, vcc_lo, s60
	s_waitcnt vmcnt(2) lgkmcnt(0)
	v_mul_f64 v[37:38], v[31:32], v[33:34]
	v_mul_f64 v[33:34], v[29:30], v[33:34]
	s_waitcnt vmcnt(0)
	v_fma_f64 v[29:30], v[29:30], v[35:36], -v[37:38]
	v_fma_f64 v[31:32], v[31:32], v[35:36], v[33:34]
	v_add_f64 v[1:2], v[1:2], v[29:30]
	v_add_f64 v[3:4], v[3:4], v[31:32]
	s_andn2_b32 exec_lo, exec_lo, s60
	s_cbranch_execnz .LBB52_548
; %bb.549:
	s_or_b32 exec_lo, exec_lo, s60
.LBB52_550:
	s_or_b32 exec_lo, exec_lo, s8
	v_mov_b32_e32 v26, 0
	ds_read_b128 v[26:29], v26 offset:272
	s_waitcnt lgkmcnt(0)
	v_mul_f64 v[30:31], v[3:4], v[28:29]
	v_mul_f64 v[28:29], v[1:2], v[28:29]
	v_fma_f64 v[1:2], v[1:2], v[26:27], -v[30:31]
	v_fma_f64 v[3:4], v[3:4], v[26:27], v[28:29]
	buffer_store_dword v2, off, s[0:3], 0 offset:276
	buffer_store_dword v1, off, s[0:3], 0 offset:272
	;; [unrolled: 1-line block ×4, first 2 shown]
.LBB52_551:
	s_or_b32 exec_lo, exec_lo, s4
	v_mov_b32_e32 v4, s42
	s_mov_b32 s4, exec_lo
	s_clause 0x3
	buffer_load_dword v1, v4, s[0:3], 0 offen
	buffer_load_dword v2, v4, s[0:3], 0 offen offset:4
	buffer_load_dword v3, v4, s[0:3], 0 offen offset:8
	;; [unrolled: 1-line block ×3, first 2 shown]
	s_waitcnt vmcnt(0)
	ds_write_b128 v24, v[1:4]
	s_waitcnt lgkmcnt(0)
	s_waitcnt_vscnt null, 0x0
	s_barrier
	buffer_gl0_inv
	v_cmpx_gt_u32_e32 18, v0
	s_cbranch_execz .LBB52_559
; %bb.552:
	ds_read_b128 v[1:4], v24
	v_cmp_ne_u32_e32 vcc_lo, 1, v25
	s_cbranch_vccnz .LBB52_554
; %bb.553:
	s_clause 0x3
	buffer_load_dword v26, v23, s[0:3], 0 offen offset:8
	buffer_load_dword v27, v23, s[0:3], 0 offen offset:12
	buffer_load_dword v28, v23, s[0:3], 0 offen
	buffer_load_dword v29, v23, s[0:3], 0 offen offset:4
	s_waitcnt vmcnt(2) lgkmcnt(0)
	v_mul_f64 v[30:31], v[3:4], v[26:27]
	v_mul_f64 v[26:27], v[1:2], v[26:27]
	s_waitcnt vmcnt(0)
	v_fma_f64 v[1:2], v[1:2], v[28:29], -v[30:31]
	v_fma_f64 v[3:4], v[3:4], v[28:29], v[26:27]
.LBB52_554:
	s_mov_b32 s8, exec_lo
	v_cmpx_ne_u32_e32 17, v0
	s_cbranch_execz .LBB52_558
; %bb.555:
	v_add_nc_u32_e32 v26, 0x360, v133
	v_add3_u32 v27, 0, v133, 16
	v_mov_b32_e32 v28, v0
	s_mov_b32 s60, 0
	.p2align	6
.LBB52_556:                             ; =>This Inner Loop Header: Depth=1
	s_clause 0x3
	buffer_load_dword v33, v27, s[0:3], 0 offen offset:8
	buffer_load_dword v34, v27, s[0:3], 0 offen offset:12
	buffer_load_dword v35, v27, s[0:3], 0 offen
	buffer_load_dword v36, v27, s[0:3], 0 offen offset:4
	ds_read_b128 v[29:32], v26
	v_add_nc_u32_e32 v28, 1, v28
	v_add_nc_u32_e32 v26, 16, v26
	;; [unrolled: 1-line block ×3, first 2 shown]
	v_cmp_lt_u32_e32 vcc_lo, 16, v28
	s_or_b32 s60, vcc_lo, s60
	s_waitcnt vmcnt(2) lgkmcnt(0)
	v_mul_f64 v[37:38], v[31:32], v[33:34]
	v_mul_f64 v[33:34], v[29:30], v[33:34]
	s_waitcnt vmcnt(0)
	v_fma_f64 v[29:30], v[29:30], v[35:36], -v[37:38]
	v_fma_f64 v[31:32], v[31:32], v[35:36], v[33:34]
	v_add_f64 v[1:2], v[1:2], v[29:30]
	v_add_f64 v[3:4], v[3:4], v[31:32]
	s_andn2_b32 exec_lo, exec_lo, s60
	s_cbranch_execnz .LBB52_556
; %bb.557:
	s_or_b32 exec_lo, exec_lo, s60
.LBB52_558:
	s_or_b32 exec_lo, exec_lo, s8
	v_mov_b32_e32 v26, 0
	ds_read_b128 v[26:29], v26 offset:288
	s_waitcnt lgkmcnt(0)
	v_mul_f64 v[30:31], v[3:4], v[28:29]
	v_mul_f64 v[28:29], v[1:2], v[28:29]
	v_fma_f64 v[1:2], v[1:2], v[26:27], -v[30:31]
	v_fma_f64 v[3:4], v[3:4], v[26:27], v[28:29]
	buffer_store_dword v2, off, s[0:3], 0 offset:292
	buffer_store_dword v1, off, s[0:3], 0 offset:288
	;; [unrolled: 1-line block ×4, first 2 shown]
.LBB52_559:
	s_or_b32 exec_lo, exec_lo, s4
	v_mov_b32_e32 v4, s41
	s_mov_b32 s4, exec_lo
	s_clause 0x3
	buffer_load_dword v1, v4, s[0:3], 0 offen
	buffer_load_dword v2, v4, s[0:3], 0 offen offset:4
	buffer_load_dword v3, v4, s[0:3], 0 offen offset:8
	;; [unrolled: 1-line block ×3, first 2 shown]
	s_waitcnt vmcnt(0)
	ds_write_b128 v24, v[1:4]
	s_waitcnt lgkmcnt(0)
	s_waitcnt_vscnt null, 0x0
	s_barrier
	buffer_gl0_inv
	v_cmpx_gt_u32_e32 19, v0
	s_cbranch_execz .LBB52_567
; %bb.560:
	ds_read_b128 v[1:4], v24
	v_cmp_ne_u32_e32 vcc_lo, 1, v25
	s_cbranch_vccnz .LBB52_562
; %bb.561:
	s_clause 0x3
	buffer_load_dword v26, v23, s[0:3], 0 offen offset:8
	buffer_load_dword v27, v23, s[0:3], 0 offen offset:12
	buffer_load_dword v28, v23, s[0:3], 0 offen
	buffer_load_dword v29, v23, s[0:3], 0 offen offset:4
	s_waitcnt vmcnt(2) lgkmcnt(0)
	v_mul_f64 v[30:31], v[3:4], v[26:27]
	v_mul_f64 v[26:27], v[1:2], v[26:27]
	s_waitcnt vmcnt(0)
	v_fma_f64 v[1:2], v[1:2], v[28:29], -v[30:31]
	v_fma_f64 v[3:4], v[3:4], v[28:29], v[26:27]
.LBB52_562:
	s_mov_b32 s8, exec_lo
	v_cmpx_ne_u32_e32 18, v0
	s_cbranch_execz .LBB52_566
; %bb.563:
	v_add_nc_u32_e32 v26, 0x360, v133
	v_add3_u32 v27, 0, v133, 16
	v_mov_b32_e32 v28, v0
	s_mov_b32 s60, 0
	.p2align	6
.LBB52_564:                             ; =>This Inner Loop Header: Depth=1
	s_clause 0x3
	buffer_load_dword v33, v27, s[0:3], 0 offen offset:8
	buffer_load_dword v34, v27, s[0:3], 0 offen offset:12
	buffer_load_dword v35, v27, s[0:3], 0 offen
	buffer_load_dword v36, v27, s[0:3], 0 offen offset:4
	ds_read_b128 v[29:32], v26
	v_add_nc_u32_e32 v28, 1, v28
	v_add_nc_u32_e32 v26, 16, v26
	;; [unrolled: 1-line block ×3, first 2 shown]
	v_cmp_lt_u32_e32 vcc_lo, 17, v28
	s_or_b32 s60, vcc_lo, s60
	s_waitcnt vmcnt(2) lgkmcnt(0)
	v_mul_f64 v[37:38], v[31:32], v[33:34]
	v_mul_f64 v[33:34], v[29:30], v[33:34]
	s_waitcnt vmcnt(0)
	v_fma_f64 v[29:30], v[29:30], v[35:36], -v[37:38]
	v_fma_f64 v[31:32], v[31:32], v[35:36], v[33:34]
	v_add_f64 v[1:2], v[1:2], v[29:30]
	v_add_f64 v[3:4], v[3:4], v[31:32]
	s_andn2_b32 exec_lo, exec_lo, s60
	s_cbranch_execnz .LBB52_564
; %bb.565:
	s_or_b32 exec_lo, exec_lo, s60
.LBB52_566:
	s_or_b32 exec_lo, exec_lo, s8
	v_mov_b32_e32 v26, 0
	ds_read_b128 v[26:29], v26 offset:304
	s_waitcnt lgkmcnt(0)
	v_mul_f64 v[30:31], v[3:4], v[28:29]
	v_mul_f64 v[28:29], v[1:2], v[28:29]
	v_fma_f64 v[1:2], v[1:2], v[26:27], -v[30:31]
	v_fma_f64 v[3:4], v[3:4], v[26:27], v[28:29]
	buffer_store_dword v2, off, s[0:3], 0 offset:308
	buffer_store_dword v1, off, s[0:3], 0 offset:304
	;; [unrolled: 1-line block ×4, first 2 shown]
.LBB52_567:
	s_or_b32 exec_lo, exec_lo, s4
	v_mov_b32_e32 v4, s40
	s_mov_b32 s4, exec_lo
	s_clause 0x3
	buffer_load_dword v1, v4, s[0:3], 0 offen
	buffer_load_dword v2, v4, s[0:3], 0 offen offset:4
	buffer_load_dword v3, v4, s[0:3], 0 offen offset:8
	;; [unrolled: 1-line block ×3, first 2 shown]
	s_waitcnt vmcnt(0)
	ds_write_b128 v24, v[1:4]
	s_waitcnt lgkmcnt(0)
	s_waitcnt_vscnt null, 0x0
	s_barrier
	buffer_gl0_inv
	v_cmpx_gt_u32_e32 20, v0
	s_cbranch_execz .LBB52_575
; %bb.568:
	ds_read_b128 v[1:4], v24
	v_cmp_ne_u32_e32 vcc_lo, 1, v25
	s_cbranch_vccnz .LBB52_570
; %bb.569:
	s_clause 0x3
	buffer_load_dword v26, v23, s[0:3], 0 offen offset:8
	buffer_load_dword v27, v23, s[0:3], 0 offen offset:12
	buffer_load_dword v28, v23, s[0:3], 0 offen
	buffer_load_dword v29, v23, s[0:3], 0 offen offset:4
	s_waitcnt vmcnt(2) lgkmcnt(0)
	v_mul_f64 v[30:31], v[3:4], v[26:27]
	v_mul_f64 v[26:27], v[1:2], v[26:27]
	s_waitcnt vmcnt(0)
	v_fma_f64 v[1:2], v[1:2], v[28:29], -v[30:31]
	v_fma_f64 v[3:4], v[3:4], v[28:29], v[26:27]
.LBB52_570:
	s_mov_b32 s8, exec_lo
	v_cmpx_ne_u32_e32 19, v0
	s_cbranch_execz .LBB52_574
; %bb.571:
	v_add_nc_u32_e32 v26, 0x360, v133
	v_add3_u32 v27, 0, v133, 16
	v_mov_b32_e32 v28, v0
	s_mov_b32 s60, 0
	.p2align	6
.LBB52_572:                             ; =>This Inner Loop Header: Depth=1
	s_clause 0x3
	buffer_load_dword v33, v27, s[0:3], 0 offen offset:8
	buffer_load_dword v34, v27, s[0:3], 0 offen offset:12
	buffer_load_dword v35, v27, s[0:3], 0 offen
	buffer_load_dword v36, v27, s[0:3], 0 offen offset:4
	ds_read_b128 v[29:32], v26
	v_add_nc_u32_e32 v28, 1, v28
	v_add_nc_u32_e32 v26, 16, v26
	;; [unrolled: 1-line block ×3, first 2 shown]
	v_cmp_lt_u32_e32 vcc_lo, 18, v28
	s_or_b32 s60, vcc_lo, s60
	s_waitcnt vmcnt(2) lgkmcnt(0)
	v_mul_f64 v[37:38], v[31:32], v[33:34]
	v_mul_f64 v[33:34], v[29:30], v[33:34]
	s_waitcnt vmcnt(0)
	v_fma_f64 v[29:30], v[29:30], v[35:36], -v[37:38]
	v_fma_f64 v[31:32], v[31:32], v[35:36], v[33:34]
	v_add_f64 v[1:2], v[1:2], v[29:30]
	v_add_f64 v[3:4], v[3:4], v[31:32]
	s_andn2_b32 exec_lo, exec_lo, s60
	s_cbranch_execnz .LBB52_572
; %bb.573:
	s_or_b32 exec_lo, exec_lo, s60
.LBB52_574:
	s_or_b32 exec_lo, exec_lo, s8
	v_mov_b32_e32 v26, 0
	ds_read_b128 v[26:29], v26 offset:320
	s_waitcnt lgkmcnt(0)
	v_mul_f64 v[30:31], v[3:4], v[28:29]
	v_mul_f64 v[28:29], v[1:2], v[28:29]
	v_fma_f64 v[1:2], v[1:2], v[26:27], -v[30:31]
	v_fma_f64 v[3:4], v[3:4], v[26:27], v[28:29]
	buffer_store_dword v2, off, s[0:3], 0 offset:324
	buffer_store_dword v1, off, s[0:3], 0 offset:320
	buffer_store_dword v4, off, s[0:3], 0 offset:332
	buffer_store_dword v3, off, s[0:3], 0 offset:328
.LBB52_575:
	s_or_b32 exec_lo, exec_lo, s4
	v_mov_b32_e32 v4, s39
	s_mov_b32 s4, exec_lo
	s_clause 0x3
	buffer_load_dword v1, v4, s[0:3], 0 offen
	buffer_load_dword v2, v4, s[0:3], 0 offen offset:4
	buffer_load_dword v3, v4, s[0:3], 0 offen offset:8
	;; [unrolled: 1-line block ×3, first 2 shown]
	s_waitcnt vmcnt(0)
	ds_write_b128 v24, v[1:4]
	s_waitcnt lgkmcnt(0)
	s_waitcnt_vscnt null, 0x0
	s_barrier
	buffer_gl0_inv
	v_cmpx_gt_u32_e32 21, v0
	s_cbranch_execz .LBB52_583
; %bb.576:
	ds_read_b128 v[1:4], v24
	v_cmp_ne_u32_e32 vcc_lo, 1, v25
	s_cbranch_vccnz .LBB52_578
; %bb.577:
	s_clause 0x3
	buffer_load_dword v26, v23, s[0:3], 0 offen offset:8
	buffer_load_dword v27, v23, s[0:3], 0 offen offset:12
	buffer_load_dword v28, v23, s[0:3], 0 offen
	buffer_load_dword v29, v23, s[0:3], 0 offen offset:4
	s_waitcnt vmcnt(2) lgkmcnt(0)
	v_mul_f64 v[30:31], v[3:4], v[26:27]
	v_mul_f64 v[26:27], v[1:2], v[26:27]
	s_waitcnt vmcnt(0)
	v_fma_f64 v[1:2], v[1:2], v[28:29], -v[30:31]
	v_fma_f64 v[3:4], v[3:4], v[28:29], v[26:27]
.LBB52_578:
	s_mov_b32 s8, exec_lo
	v_cmpx_ne_u32_e32 20, v0
	s_cbranch_execz .LBB52_582
; %bb.579:
	v_add_nc_u32_e32 v26, 0x360, v133
	v_add3_u32 v27, 0, v133, 16
	v_mov_b32_e32 v28, v0
	s_mov_b32 s60, 0
	.p2align	6
.LBB52_580:                             ; =>This Inner Loop Header: Depth=1
	s_clause 0x3
	buffer_load_dword v33, v27, s[0:3], 0 offen offset:8
	buffer_load_dword v34, v27, s[0:3], 0 offen offset:12
	buffer_load_dword v35, v27, s[0:3], 0 offen
	buffer_load_dword v36, v27, s[0:3], 0 offen offset:4
	ds_read_b128 v[29:32], v26
	v_add_nc_u32_e32 v28, 1, v28
	v_add_nc_u32_e32 v26, 16, v26
	v_add_nc_u32_e32 v27, 16, v27
	v_cmp_lt_u32_e32 vcc_lo, 19, v28
	s_or_b32 s60, vcc_lo, s60
	s_waitcnt vmcnt(2) lgkmcnt(0)
	v_mul_f64 v[37:38], v[31:32], v[33:34]
	v_mul_f64 v[33:34], v[29:30], v[33:34]
	s_waitcnt vmcnt(0)
	v_fma_f64 v[29:30], v[29:30], v[35:36], -v[37:38]
	v_fma_f64 v[31:32], v[31:32], v[35:36], v[33:34]
	v_add_f64 v[1:2], v[1:2], v[29:30]
	v_add_f64 v[3:4], v[3:4], v[31:32]
	s_andn2_b32 exec_lo, exec_lo, s60
	s_cbranch_execnz .LBB52_580
; %bb.581:
	s_or_b32 exec_lo, exec_lo, s60
.LBB52_582:
	s_or_b32 exec_lo, exec_lo, s8
	v_mov_b32_e32 v26, 0
	ds_read_b128 v[26:29], v26 offset:336
	s_waitcnt lgkmcnt(0)
	v_mul_f64 v[30:31], v[3:4], v[28:29]
	v_mul_f64 v[28:29], v[1:2], v[28:29]
	v_fma_f64 v[1:2], v[1:2], v[26:27], -v[30:31]
	v_fma_f64 v[3:4], v[3:4], v[26:27], v[28:29]
	buffer_store_dword v2, off, s[0:3], 0 offset:340
	buffer_store_dword v1, off, s[0:3], 0 offset:336
	;; [unrolled: 1-line block ×4, first 2 shown]
.LBB52_583:
	s_or_b32 exec_lo, exec_lo, s4
	v_mov_b32_e32 v4, s38
	s_mov_b32 s4, exec_lo
	s_clause 0x3
	buffer_load_dword v1, v4, s[0:3], 0 offen
	buffer_load_dword v2, v4, s[0:3], 0 offen offset:4
	buffer_load_dword v3, v4, s[0:3], 0 offen offset:8
	;; [unrolled: 1-line block ×3, first 2 shown]
	s_waitcnt vmcnt(0)
	ds_write_b128 v24, v[1:4]
	s_waitcnt lgkmcnt(0)
	s_waitcnt_vscnt null, 0x0
	s_barrier
	buffer_gl0_inv
	v_cmpx_gt_u32_e32 22, v0
	s_cbranch_execz .LBB52_591
; %bb.584:
	ds_read_b128 v[1:4], v24
	v_cmp_ne_u32_e32 vcc_lo, 1, v25
	s_cbranch_vccnz .LBB52_586
; %bb.585:
	s_clause 0x3
	buffer_load_dword v26, v23, s[0:3], 0 offen offset:8
	buffer_load_dword v27, v23, s[0:3], 0 offen offset:12
	buffer_load_dword v28, v23, s[0:3], 0 offen
	buffer_load_dword v29, v23, s[0:3], 0 offen offset:4
	s_waitcnt vmcnt(2) lgkmcnt(0)
	v_mul_f64 v[30:31], v[3:4], v[26:27]
	v_mul_f64 v[26:27], v[1:2], v[26:27]
	s_waitcnt vmcnt(0)
	v_fma_f64 v[1:2], v[1:2], v[28:29], -v[30:31]
	v_fma_f64 v[3:4], v[3:4], v[28:29], v[26:27]
.LBB52_586:
	s_mov_b32 s8, exec_lo
	v_cmpx_ne_u32_e32 21, v0
	s_cbranch_execz .LBB52_590
; %bb.587:
	v_add_nc_u32_e32 v26, 0x360, v133
	v_add3_u32 v27, 0, v133, 16
	v_mov_b32_e32 v28, v0
	s_mov_b32 s60, 0
	.p2align	6
.LBB52_588:                             ; =>This Inner Loop Header: Depth=1
	s_clause 0x3
	buffer_load_dword v33, v27, s[0:3], 0 offen offset:8
	buffer_load_dword v34, v27, s[0:3], 0 offen offset:12
	buffer_load_dword v35, v27, s[0:3], 0 offen
	buffer_load_dword v36, v27, s[0:3], 0 offen offset:4
	ds_read_b128 v[29:32], v26
	v_add_nc_u32_e32 v28, 1, v28
	v_add_nc_u32_e32 v26, 16, v26
	;; [unrolled: 1-line block ×3, first 2 shown]
	v_cmp_lt_u32_e32 vcc_lo, 20, v28
	s_or_b32 s60, vcc_lo, s60
	s_waitcnt vmcnt(2) lgkmcnt(0)
	v_mul_f64 v[37:38], v[31:32], v[33:34]
	v_mul_f64 v[33:34], v[29:30], v[33:34]
	s_waitcnt vmcnt(0)
	v_fma_f64 v[29:30], v[29:30], v[35:36], -v[37:38]
	v_fma_f64 v[31:32], v[31:32], v[35:36], v[33:34]
	v_add_f64 v[1:2], v[1:2], v[29:30]
	v_add_f64 v[3:4], v[3:4], v[31:32]
	s_andn2_b32 exec_lo, exec_lo, s60
	s_cbranch_execnz .LBB52_588
; %bb.589:
	s_or_b32 exec_lo, exec_lo, s60
.LBB52_590:
	s_or_b32 exec_lo, exec_lo, s8
	v_mov_b32_e32 v26, 0
	ds_read_b128 v[26:29], v26 offset:352
	s_waitcnt lgkmcnt(0)
	v_mul_f64 v[30:31], v[3:4], v[28:29]
	v_mul_f64 v[28:29], v[1:2], v[28:29]
	v_fma_f64 v[1:2], v[1:2], v[26:27], -v[30:31]
	v_fma_f64 v[3:4], v[3:4], v[26:27], v[28:29]
	buffer_store_dword v2, off, s[0:3], 0 offset:356
	buffer_store_dword v1, off, s[0:3], 0 offset:352
	;; [unrolled: 1-line block ×4, first 2 shown]
.LBB52_591:
	s_or_b32 exec_lo, exec_lo, s4
	v_mov_b32_e32 v4, s37
	s_mov_b32 s4, exec_lo
	s_clause 0x3
	buffer_load_dword v1, v4, s[0:3], 0 offen
	buffer_load_dword v2, v4, s[0:3], 0 offen offset:4
	buffer_load_dword v3, v4, s[0:3], 0 offen offset:8
	;; [unrolled: 1-line block ×3, first 2 shown]
	s_waitcnt vmcnt(0)
	ds_write_b128 v24, v[1:4]
	s_waitcnt lgkmcnt(0)
	s_waitcnt_vscnt null, 0x0
	s_barrier
	buffer_gl0_inv
	v_cmpx_gt_u32_e32 23, v0
	s_cbranch_execz .LBB52_599
; %bb.592:
	ds_read_b128 v[1:4], v24
	v_cmp_ne_u32_e32 vcc_lo, 1, v25
	s_cbranch_vccnz .LBB52_594
; %bb.593:
	s_clause 0x3
	buffer_load_dword v26, v23, s[0:3], 0 offen offset:8
	buffer_load_dword v27, v23, s[0:3], 0 offen offset:12
	buffer_load_dword v28, v23, s[0:3], 0 offen
	buffer_load_dword v29, v23, s[0:3], 0 offen offset:4
	s_waitcnt vmcnt(2) lgkmcnt(0)
	v_mul_f64 v[30:31], v[3:4], v[26:27]
	v_mul_f64 v[26:27], v[1:2], v[26:27]
	s_waitcnt vmcnt(0)
	v_fma_f64 v[1:2], v[1:2], v[28:29], -v[30:31]
	v_fma_f64 v[3:4], v[3:4], v[28:29], v[26:27]
.LBB52_594:
	s_mov_b32 s8, exec_lo
	v_cmpx_ne_u32_e32 22, v0
	s_cbranch_execz .LBB52_598
; %bb.595:
	v_add_nc_u32_e32 v26, 0x360, v133
	v_add3_u32 v27, 0, v133, 16
	v_mov_b32_e32 v28, v0
	s_mov_b32 s60, 0
	.p2align	6
.LBB52_596:                             ; =>This Inner Loop Header: Depth=1
	s_clause 0x3
	buffer_load_dword v33, v27, s[0:3], 0 offen offset:8
	buffer_load_dword v34, v27, s[0:3], 0 offen offset:12
	buffer_load_dword v35, v27, s[0:3], 0 offen
	buffer_load_dword v36, v27, s[0:3], 0 offen offset:4
	ds_read_b128 v[29:32], v26
	v_add_nc_u32_e32 v28, 1, v28
	v_add_nc_u32_e32 v26, 16, v26
	;; [unrolled: 1-line block ×3, first 2 shown]
	v_cmp_lt_u32_e32 vcc_lo, 21, v28
	s_or_b32 s60, vcc_lo, s60
	s_waitcnt vmcnt(2) lgkmcnt(0)
	v_mul_f64 v[37:38], v[31:32], v[33:34]
	v_mul_f64 v[33:34], v[29:30], v[33:34]
	s_waitcnt vmcnt(0)
	v_fma_f64 v[29:30], v[29:30], v[35:36], -v[37:38]
	v_fma_f64 v[31:32], v[31:32], v[35:36], v[33:34]
	v_add_f64 v[1:2], v[1:2], v[29:30]
	v_add_f64 v[3:4], v[3:4], v[31:32]
	s_andn2_b32 exec_lo, exec_lo, s60
	s_cbranch_execnz .LBB52_596
; %bb.597:
	s_or_b32 exec_lo, exec_lo, s60
.LBB52_598:
	s_or_b32 exec_lo, exec_lo, s8
	v_mov_b32_e32 v26, 0
	ds_read_b128 v[26:29], v26 offset:368
	s_waitcnt lgkmcnt(0)
	v_mul_f64 v[30:31], v[3:4], v[28:29]
	v_mul_f64 v[28:29], v[1:2], v[28:29]
	v_fma_f64 v[1:2], v[1:2], v[26:27], -v[30:31]
	v_fma_f64 v[3:4], v[3:4], v[26:27], v[28:29]
	buffer_store_dword v2, off, s[0:3], 0 offset:372
	buffer_store_dword v1, off, s[0:3], 0 offset:368
	;; [unrolled: 1-line block ×4, first 2 shown]
.LBB52_599:
	s_or_b32 exec_lo, exec_lo, s4
	v_mov_b32_e32 v4, s36
	s_mov_b32 s4, exec_lo
	s_clause 0x3
	buffer_load_dword v1, v4, s[0:3], 0 offen
	buffer_load_dword v2, v4, s[0:3], 0 offen offset:4
	buffer_load_dword v3, v4, s[0:3], 0 offen offset:8
	;; [unrolled: 1-line block ×3, first 2 shown]
	s_waitcnt vmcnt(0)
	ds_write_b128 v24, v[1:4]
	s_waitcnt lgkmcnt(0)
	s_waitcnt_vscnt null, 0x0
	s_barrier
	buffer_gl0_inv
	v_cmpx_gt_u32_e32 24, v0
	s_cbranch_execz .LBB52_607
; %bb.600:
	ds_read_b128 v[1:4], v24
	v_cmp_ne_u32_e32 vcc_lo, 1, v25
	s_cbranch_vccnz .LBB52_602
; %bb.601:
	s_clause 0x3
	buffer_load_dword v26, v23, s[0:3], 0 offen offset:8
	buffer_load_dword v27, v23, s[0:3], 0 offen offset:12
	buffer_load_dword v28, v23, s[0:3], 0 offen
	buffer_load_dword v29, v23, s[0:3], 0 offen offset:4
	s_waitcnt vmcnt(2) lgkmcnt(0)
	v_mul_f64 v[30:31], v[3:4], v[26:27]
	v_mul_f64 v[26:27], v[1:2], v[26:27]
	s_waitcnt vmcnt(0)
	v_fma_f64 v[1:2], v[1:2], v[28:29], -v[30:31]
	v_fma_f64 v[3:4], v[3:4], v[28:29], v[26:27]
.LBB52_602:
	s_mov_b32 s8, exec_lo
	v_cmpx_ne_u32_e32 23, v0
	s_cbranch_execz .LBB52_606
; %bb.603:
	v_add_nc_u32_e32 v26, 0x360, v133
	v_add3_u32 v27, 0, v133, 16
	v_mov_b32_e32 v28, v0
	s_mov_b32 s60, 0
	.p2align	6
.LBB52_604:                             ; =>This Inner Loop Header: Depth=1
	s_clause 0x3
	buffer_load_dword v33, v27, s[0:3], 0 offen offset:8
	buffer_load_dword v34, v27, s[0:3], 0 offen offset:12
	buffer_load_dword v35, v27, s[0:3], 0 offen
	buffer_load_dword v36, v27, s[0:3], 0 offen offset:4
	ds_read_b128 v[29:32], v26
	v_add_nc_u32_e32 v28, 1, v28
	v_add_nc_u32_e32 v26, 16, v26
	;; [unrolled: 1-line block ×3, first 2 shown]
	v_cmp_lt_u32_e32 vcc_lo, 22, v28
	s_or_b32 s60, vcc_lo, s60
	s_waitcnt vmcnt(2) lgkmcnt(0)
	v_mul_f64 v[37:38], v[31:32], v[33:34]
	v_mul_f64 v[33:34], v[29:30], v[33:34]
	s_waitcnt vmcnt(0)
	v_fma_f64 v[29:30], v[29:30], v[35:36], -v[37:38]
	v_fma_f64 v[31:32], v[31:32], v[35:36], v[33:34]
	v_add_f64 v[1:2], v[1:2], v[29:30]
	v_add_f64 v[3:4], v[3:4], v[31:32]
	s_andn2_b32 exec_lo, exec_lo, s60
	s_cbranch_execnz .LBB52_604
; %bb.605:
	s_or_b32 exec_lo, exec_lo, s60
.LBB52_606:
	s_or_b32 exec_lo, exec_lo, s8
	v_mov_b32_e32 v26, 0
	ds_read_b128 v[26:29], v26 offset:384
	s_waitcnt lgkmcnt(0)
	v_mul_f64 v[30:31], v[3:4], v[28:29]
	v_mul_f64 v[28:29], v[1:2], v[28:29]
	v_fma_f64 v[1:2], v[1:2], v[26:27], -v[30:31]
	v_fma_f64 v[3:4], v[3:4], v[26:27], v[28:29]
	buffer_store_dword v2, off, s[0:3], 0 offset:388
	buffer_store_dword v1, off, s[0:3], 0 offset:384
	buffer_store_dword v4, off, s[0:3], 0 offset:396
	buffer_store_dword v3, off, s[0:3], 0 offset:392
.LBB52_607:
	s_or_b32 exec_lo, exec_lo, s4
	v_mov_b32_e32 v4, s35
	s_mov_b32 s4, exec_lo
	s_clause 0x3
	buffer_load_dword v1, v4, s[0:3], 0 offen
	buffer_load_dword v2, v4, s[0:3], 0 offen offset:4
	buffer_load_dword v3, v4, s[0:3], 0 offen offset:8
	;; [unrolled: 1-line block ×3, first 2 shown]
	s_waitcnt vmcnt(0)
	ds_write_b128 v24, v[1:4]
	s_waitcnt lgkmcnt(0)
	s_waitcnt_vscnt null, 0x0
	s_barrier
	buffer_gl0_inv
	v_cmpx_gt_u32_e32 25, v0
	s_cbranch_execz .LBB52_615
; %bb.608:
	ds_read_b128 v[1:4], v24
	v_cmp_ne_u32_e32 vcc_lo, 1, v25
	s_cbranch_vccnz .LBB52_610
; %bb.609:
	s_clause 0x3
	buffer_load_dword v26, v23, s[0:3], 0 offen offset:8
	buffer_load_dword v27, v23, s[0:3], 0 offen offset:12
	buffer_load_dword v28, v23, s[0:3], 0 offen
	buffer_load_dword v29, v23, s[0:3], 0 offen offset:4
	s_waitcnt vmcnt(2) lgkmcnt(0)
	v_mul_f64 v[30:31], v[3:4], v[26:27]
	v_mul_f64 v[26:27], v[1:2], v[26:27]
	s_waitcnt vmcnt(0)
	v_fma_f64 v[1:2], v[1:2], v[28:29], -v[30:31]
	v_fma_f64 v[3:4], v[3:4], v[28:29], v[26:27]
.LBB52_610:
	s_mov_b32 s8, exec_lo
	v_cmpx_ne_u32_e32 24, v0
	s_cbranch_execz .LBB52_614
; %bb.611:
	v_add_nc_u32_e32 v26, 0x360, v133
	v_add3_u32 v27, 0, v133, 16
	v_mov_b32_e32 v28, v0
	s_mov_b32 s60, 0
	.p2align	6
.LBB52_612:                             ; =>This Inner Loop Header: Depth=1
	s_clause 0x3
	buffer_load_dword v33, v27, s[0:3], 0 offen offset:8
	buffer_load_dword v34, v27, s[0:3], 0 offen offset:12
	buffer_load_dword v35, v27, s[0:3], 0 offen
	buffer_load_dword v36, v27, s[0:3], 0 offen offset:4
	ds_read_b128 v[29:32], v26
	v_add_nc_u32_e32 v28, 1, v28
	v_add_nc_u32_e32 v26, 16, v26
	;; [unrolled: 1-line block ×3, first 2 shown]
	v_cmp_lt_u32_e32 vcc_lo, 23, v28
	s_or_b32 s60, vcc_lo, s60
	s_waitcnt vmcnt(2) lgkmcnt(0)
	v_mul_f64 v[37:38], v[31:32], v[33:34]
	v_mul_f64 v[33:34], v[29:30], v[33:34]
	s_waitcnt vmcnt(0)
	v_fma_f64 v[29:30], v[29:30], v[35:36], -v[37:38]
	v_fma_f64 v[31:32], v[31:32], v[35:36], v[33:34]
	v_add_f64 v[1:2], v[1:2], v[29:30]
	v_add_f64 v[3:4], v[3:4], v[31:32]
	s_andn2_b32 exec_lo, exec_lo, s60
	s_cbranch_execnz .LBB52_612
; %bb.613:
	s_or_b32 exec_lo, exec_lo, s60
.LBB52_614:
	s_or_b32 exec_lo, exec_lo, s8
	v_mov_b32_e32 v26, 0
	ds_read_b128 v[26:29], v26 offset:400
	s_waitcnt lgkmcnt(0)
	v_mul_f64 v[30:31], v[3:4], v[28:29]
	v_mul_f64 v[28:29], v[1:2], v[28:29]
	v_fma_f64 v[1:2], v[1:2], v[26:27], -v[30:31]
	v_fma_f64 v[3:4], v[3:4], v[26:27], v[28:29]
	buffer_store_dword v2, off, s[0:3], 0 offset:404
	buffer_store_dword v1, off, s[0:3], 0 offset:400
	;; [unrolled: 1-line block ×4, first 2 shown]
.LBB52_615:
	s_or_b32 exec_lo, exec_lo, s4
	v_mov_b32_e32 v4, s34
	s_mov_b32 s4, exec_lo
	s_clause 0x3
	buffer_load_dword v1, v4, s[0:3], 0 offen
	buffer_load_dword v2, v4, s[0:3], 0 offen offset:4
	buffer_load_dword v3, v4, s[0:3], 0 offen offset:8
	buffer_load_dword v4, v4, s[0:3], 0 offen offset:12
	s_waitcnt vmcnt(0)
	ds_write_b128 v24, v[1:4]
	s_waitcnt lgkmcnt(0)
	s_waitcnt_vscnt null, 0x0
	s_barrier
	buffer_gl0_inv
	v_cmpx_gt_u32_e32 26, v0
	s_cbranch_execz .LBB52_623
; %bb.616:
	ds_read_b128 v[1:4], v24
	v_cmp_ne_u32_e32 vcc_lo, 1, v25
	s_cbranch_vccnz .LBB52_618
; %bb.617:
	s_clause 0x3
	buffer_load_dword v26, v23, s[0:3], 0 offen offset:8
	buffer_load_dword v27, v23, s[0:3], 0 offen offset:12
	buffer_load_dword v28, v23, s[0:3], 0 offen
	buffer_load_dword v29, v23, s[0:3], 0 offen offset:4
	s_waitcnt vmcnt(2) lgkmcnt(0)
	v_mul_f64 v[30:31], v[3:4], v[26:27]
	v_mul_f64 v[26:27], v[1:2], v[26:27]
	s_waitcnt vmcnt(0)
	v_fma_f64 v[1:2], v[1:2], v[28:29], -v[30:31]
	v_fma_f64 v[3:4], v[3:4], v[28:29], v[26:27]
.LBB52_618:
	s_mov_b32 s8, exec_lo
	v_cmpx_ne_u32_e32 25, v0
	s_cbranch_execz .LBB52_622
; %bb.619:
	v_add_nc_u32_e32 v26, 0x360, v133
	v_add3_u32 v27, 0, v133, 16
	v_mov_b32_e32 v28, v0
	s_mov_b32 s60, 0
	.p2align	6
.LBB52_620:                             ; =>This Inner Loop Header: Depth=1
	s_clause 0x3
	buffer_load_dword v33, v27, s[0:3], 0 offen offset:8
	buffer_load_dword v34, v27, s[0:3], 0 offen offset:12
	buffer_load_dword v35, v27, s[0:3], 0 offen
	buffer_load_dword v36, v27, s[0:3], 0 offen offset:4
	ds_read_b128 v[29:32], v26
	v_add_nc_u32_e32 v28, 1, v28
	v_add_nc_u32_e32 v26, 16, v26
	;; [unrolled: 1-line block ×3, first 2 shown]
	v_cmp_lt_u32_e32 vcc_lo, 24, v28
	s_or_b32 s60, vcc_lo, s60
	s_waitcnt vmcnt(2) lgkmcnt(0)
	v_mul_f64 v[37:38], v[31:32], v[33:34]
	v_mul_f64 v[33:34], v[29:30], v[33:34]
	s_waitcnt vmcnt(0)
	v_fma_f64 v[29:30], v[29:30], v[35:36], -v[37:38]
	v_fma_f64 v[31:32], v[31:32], v[35:36], v[33:34]
	v_add_f64 v[1:2], v[1:2], v[29:30]
	v_add_f64 v[3:4], v[3:4], v[31:32]
	s_andn2_b32 exec_lo, exec_lo, s60
	s_cbranch_execnz .LBB52_620
; %bb.621:
	s_or_b32 exec_lo, exec_lo, s60
.LBB52_622:
	s_or_b32 exec_lo, exec_lo, s8
	v_mov_b32_e32 v26, 0
	ds_read_b128 v[26:29], v26 offset:416
	s_waitcnt lgkmcnt(0)
	v_mul_f64 v[30:31], v[3:4], v[28:29]
	v_mul_f64 v[28:29], v[1:2], v[28:29]
	v_fma_f64 v[1:2], v[1:2], v[26:27], -v[30:31]
	v_fma_f64 v[3:4], v[3:4], v[26:27], v[28:29]
	buffer_store_dword v2, off, s[0:3], 0 offset:420
	buffer_store_dword v1, off, s[0:3], 0 offset:416
	;; [unrolled: 1-line block ×4, first 2 shown]
.LBB52_623:
	s_or_b32 exec_lo, exec_lo, s4
	v_mov_b32_e32 v4, s33
	s_mov_b32 s4, exec_lo
	s_clause 0x3
	buffer_load_dword v1, v4, s[0:3], 0 offen
	buffer_load_dword v2, v4, s[0:3], 0 offen offset:4
	buffer_load_dword v3, v4, s[0:3], 0 offen offset:8
	;; [unrolled: 1-line block ×3, first 2 shown]
	s_waitcnt vmcnt(0)
	ds_write_b128 v24, v[1:4]
	s_waitcnt lgkmcnt(0)
	s_waitcnt_vscnt null, 0x0
	s_barrier
	buffer_gl0_inv
	v_cmpx_gt_u32_e32 27, v0
	s_cbranch_execz .LBB52_631
; %bb.624:
	ds_read_b128 v[1:4], v24
	v_cmp_ne_u32_e32 vcc_lo, 1, v25
	s_cbranch_vccnz .LBB52_626
; %bb.625:
	s_clause 0x3
	buffer_load_dword v26, v23, s[0:3], 0 offen offset:8
	buffer_load_dword v27, v23, s[0:3], 0 offen offset:12
	buffer_load_dword v28, v23, s[0:3], 0 offen
	buffer_load_dword v29, v23, s[0:3], 0 offen offset:4
	s_waitcnt vmcnt(2) lgkmcnt(0)
	v_mul_f64 v[30:31], v[3:4], v[26:27]
	v_mul_f64 v[26:27], v[1:2], v[26:27]
	s_waitcnt vmcnt(0)
	v_fma_f64 v[1:2], v[1:2], v[28:29], -v[30:31]
	v_fma_f64 v[3:4], v[3:4], v[28:29], v[26:27]
.LBB52_626:
	s_mov_b32 s8, exec_lo
	v_cmpx_ne_u32_e32 26, v0
	s_cbranch_execz .LBB52_630
; %bb.627:
	v_add_nc_u32_e32 v26, 0x360, v133
	v_add3_u32 v27, 0, v133, 16
	v_mov_b32_e32 v28, v0
	s_mov_b32 s60, 0
	.p2align	6
.LBB52_628:                             ; =>This Inner Loop Header: Depth=1
	s_clause 0x3
	buffer_load_dword v33, v27, s[0:3], 0 offen offset:8
	buffer_load_dword v34, v27, s[0:3], 0 offen offset:12
	buffer_load_dword v35, v27, s[0:3], 0 offen
	buffer_load_dword v36, v27, s[0:3], 0 offen offset:4
	ds_read_b128 v[29:32], v26
	v_add_nc_u32_e32 v28, 1, v28
	v_add_nc_u32_e32 v26, 16, v26
	;; [unrolled: 1-line block ×3, first 2 shown]
	v_cmp_lt_u32_e32 vcc_lo, 25, v28
	s_or_b32 s60, vcc_lo, s60
	s_waitcnt vmcnt(2) lgkmcnt(0)
	v_mul_f64 v[37:38], v[31:32], v[33:34]
	v_mul_f64 v[33:34], v[29:30], v[33:34]
	s_waitcnt vmcnt(0)
	v_fma_f64 v[29:30], v[29:30], v[35:36], -v[37:38]
	v_fma_f64 v[31:32], v[31:32], v[35:36], v[33:34]
	v_add_f64 v[1:2], v[1:2], v[29:30]
	v_add_f64 v[3:4], v[3:4], v[31:32]
	s_andn2_b32 exec_lo, exec_lo, s60
	s_cbranch_execnz .LBB52_628
; %bb.629:
	s_or_b32 exec_lo, exec_lo, s60
.LBB52_630:
	s_or_b32 exec_lo, exec_lo, s8
	v_mov_b32_e32 v26, 0
	ds_read_b128 v[26:29], v26 offset:432
	s_waitcnt lgkmcnt(0)
	v_mul_f64 v[30:31], v[3:4], v[28:29]
	v_mul_f64 v[28:29], v[1:2], v[28:29]
	v_fma_f64 v[1:2], v[1:2], v[26:27], -v[30:31]
	v_fma_f64 v[3:4], v[3:4], v[26:27], v[28:29]
	buffer_store_dword v2, off, s[0:3], 0 offset:436
	buffer_store_dword v1, off, s[0:3], 0 offset:432
	buffer_store_dword v4, off, s[0:3], 0 offset:444
	buffer_store_dword v3, off, s[0:3], 0 offset:440
.LBB52_631:
	s_or_b32 exec_lo, exec_lo, s4
	v_mov_b32_e32 v4, s31
	s_mov_b32 s4, exec_lo
	s_clause 0x3
	buffer_load_dword v1, v4, s[0:3], 0 offen
	buffer_load_dword v2, v4, s[0:3], 0 offen offset:4
	buffer_load_dword v3, v4, s[0:3], 0 offen offset:8
	;; [unrolled: 1-line block ×3, first 2 shown]
	s_waitcnt vmcnt(0)
	ds_write_b128 v24, v[1:4]
	s_waitcnt lgkmcnt(0)
	s_waitcnt_vscnt null, 0x0
	s_barrier
	buffer_gl0_inv
	v_cmpx_gt_u32_e32 28, v0
	s_cbranch_execz .LBB52_639
; %bb.632:
	ds_read_b128 v[1:4], v24
	v_cmp_ne_u32_e32 vcc_lo, 1, v25
	s_cbranch_vccnz .LBB52_634
; %bb.633:
	s_clause 0x3
	buffer_load_dword v26, v23, s[0:3], 0 offen offset:8
	buffer_load_dword v27, v23, s[0:3], 0 offen offset:12
	buffer_load_dword v28, v23, s[0:3], 0 offen
	buffer_load_dword v29, v23, s[0:3], 0 offen offset:4
	s_waitcnt vmcnt(2) lgkmcnt(0)
	v_mul_f64 v[30:31], v[3:4], v[26:27]
	v_mul_f64 v[26:27], v[1:2], v[26:27]
	s_waitcnt vmcnt(0)
	v_fma_f64 v[1:2], v[1:2], v[28:29], -v[30:31]
	v_fma_f64 v[3:4], v[3:4], v[28:29], v[26:27]
.LBB52_634:
	s_mov_b32 s8, exec_lo
	v_cmpx_ne_u32_e32 27, v0
	s_cbranch_execz .LBB52_638
; %bb.635:
	v_add_nc_u32_e32 v26, 0x360, v133
	v_add3_u32 v27, 0, v133, 16
	v_mov_b32_e32 v28, v0
	s_mov_b32 s60, 0
	.p2align	6
.LBB52_636:                             ; =>This Inner Loop Header: Depth=1
	s_clause 0x3
	buffer_load_dword v33, v27, s[0:3], 0 offen offset:8
	buffer_load_dword v34, v27, s[0:3], 0 offen offset:12
	buffer_load_dword v35, v27, s[0:3], 0 offen
	buffer_load_dword v36, v27, s[0:3], 0 offen offset:4
	ds_read_b128 v[29:32], v26
	v_add_nc_u32_e32 v28, 1, v28
	v_add_nc_u32_e32 v26, 16, v26
	;; [unrolled: 1-line block ×3, first 2 shown]
	v_cmp_lt_u32_e32 vcc_lo, 26, v28
	s_or_b32 s60, vcc_lo, s60
	s_waitcnt vmcnt(2) lgkmcnt(0)
	v_mul_f64 v[37:38], v[31:32], v[33:34]
	v_mul_f64 v[33:34], v[29:30], v[33:34]
	s_waitcnt vmcnt(0)
	v_fma_f64 v[29:30], v[29:30], v[35:36], -v[37:38]
	v_fma_f64 v[31:32], v[31:32], v[35:36], v[33:34]
	v_add_f64 v[1:2], v[1:2], v[29:30]
	v_add_f64 v[3:4], v[3:4], v[31:32]
	s_andn2_b32 exec_lo, exec_lo, s60
	s_cbranch_execnz .LBB52_636
; %bb.637:
	s_or_b32 exec_lo, exec_lo, s60
.LBB52_638:
	s_or_b32 exec_lo, exec_lo, s8
	v_mov_b32_e32 v26, 0
	ds_read_b128 v[26:29], v26 offset:448
	s_waitcnt lgkmcnt(0)
	v_mul_f64 v[30:31], v[3:4], v[28:29]
	v_mul_f64 v[28:29], v[1:2], v[28:29]
	v_fma_f64 v[1:2], v[1:2], v[26:27], -v[30:31]
	v_fma_f64 v[3:4], v[3:4], v[26:27], v[28:29]
	buffer_store_dword v2, off, s[0:3], 0 offset:452
	buffer_store_dword v1, off, s[0:3], 0 offset:448
	;; [unrolled: 1-line block ×4, first 2 shown]
.LBB52_639:
	s_or_b32 exec_lo, exec_lo, s4
	v_mov_b32_e32 v4, s30
	s_mov_b32 s4, exec_lo
	s_clause 0x3
	buffer_load_dword v1, v4, s[0:3], 0 offen
	buffer_load_dword v2, v4, s[0:3], 0 offen offset:4
	buffer_load_dword v3, v4, s[0:3], 0 offen offset:8
	buffer_load_dword v4, v4, s[0:3], 0 offen offset:12
	s_waitcnt vmcnt(0)
	ds_write_b128 v24, v[1:4]
	s_waitcnt lgkmcnt(0)
	s_waitcnt_vscnt null, 0x0
	s_barrier
	buffer_gl0_inv
	v_cmpx_gt_u32_e32 29, v0
	s_cbranch_execz .LBB52_647
; %bb.640:
	ds_read_b128 v[1:4], v24
	v_cmp_ne_u32_e32 vcc_lo, 1, v25
	s_cbranch_vccnz .LBB52_642
; %bb.641:
	s_clause 0x3
	buffer_load_dword v26, v23, s[0:3], 0 offen offset:8
	buffer_load_dword v27, v23, s[0:3], 0 offen offset:12
	buffer_load_dword v28, v23, s[0:3], 0 offen
	buffer_load_dword v29, v23, s[0:3], 0 offen offset:4
	s_waitcnt vmcnt(2) lgkmcnt(0)
	v_mul_f64 v[30:31], v[3:4], v[26:27]
	v_mul_f64 v[26:27], v[1:2], v[26:27]
	s_waitcnt vmcnt(0)
	v_fma_f64 v[1:2], v[1:2], v[28:29], -v[30:31]
	v_fma_f64 v[3:4], v[3:4], v[28:29], v[26:27]
.LBB52_642:
	s_mov_b32 s8, exec_lo
	v_cmpx_ne_u32_e32 28, v0
	s_cbranch_execz .LBB52_646
; %bb.643:
	v_add_nc_u32_e32 v26, 0x360, v133
	v_add3_u32 v27, 0, v133, 16
	v_mov_b32_e32 v28, v0
	s_mov_b32 s60, 0
	.p2align	6
.LBB52_644:                             ; =>This Inner Loop Header: Depth=1
	s_clause 0x3
	buffer_load_dword v33, v27, s[0:3], 0 offen offset:8
	buffer_load_dword v34, v27, s[0:3], 0 offen offset:12
	buffer_load_dword v35, v27, s[0:3], 0 offen
	buffer_load_dword v36, v27, s[0:3], 0 offen offset:4
	ds_read_b128 v[29:32], v26
	v_add_nc_u32_e32 v28, 1, v28
	v_add_nc_u32_e32 v26, 16, v26
	;; [unrolled: 1-line block ×3, first 2 shown]
	v_cmp_lt_u32_e32 vcc_lo, 27, v28
	s_or_b32 s60, vcc_lo, s60
	s_waitcnt vmcnt(2) lgkmcnt(0)
	v_mul_f64 v[37:38], v[31:32], v[33:34]
	v_mul_f64 v[33:34], v[29:30], v[33:34]
	s_waitcnt vmcnt(0)
	v_fma_f64 v[29:30], v[29:30], v[35:36], -v[37:38]
	v_fma_f64 v[31:32], v[31:32], v[35:36], v[33:34]
	v_add_f64 v[1:2], v[1:2], v[29:30]
	v_add_f64 v[3:4], v[3:4], v[31:32]
	s_andn2_b32 exec_lo, exec_lo, s60
	s_cbranch_execnz .LBB52_644
; %bb.645:
	s_or_b32 exec_lo, exec_lo, s60
.LBB52_646:
	s_or_b32 exec_lo, exec_lo, s8
	v_mov_b32_e32 v26, 0
	ds_read_b128 v[26:29], v26 offset:464
	s_waitcnt lgkmcnt(0)
	v_mul_f64 v[30:31], v[3:4], v[28:29]
	v_mul_f64 v[28:29], v[1:2], v[28:29]
	v_fma_f64 v[1:2], v[1:2], v[26:27], -v[30:31]
	v_fma_f64 v[3:4], v[3:4], v[26:27], v[28:29]
	buffer_store_dword v2, off, s[0:3], 0 offset:468
	buffer_store_dword v1, off, s[0:3], 0 offset:464
	;; [unrolled: 1-line block ×4, first 2 shown]
.LBB52_647:
	s_or_b32 exec_lo, exec_lo, s4
	v_mov_b32_e32 v4, s29
	s_mov_b32 s4, exec_lo
	s_clause 0x3
	buffer_load_dword v1, v4, s[0:3], 0 offen
	buffer_load_dword v2, v4, s[0:3], 0 offen offset:4
	buffer_load_dword v3, v4, s[0:3], 0 offen offset:8
	;; [unrolled: 1-line block ×3, first 2 shown]
	s_waitcnt vmcnt(0)
	ds_write_b128 v24, v[1:4]
	s_waitcnt lgkmcnt(0)
	s_waitcnt_vscnt null, 0x0
	s_barrier
	buffer_gl0_inv
	v_cmpx_gt_u32_e32 30, v0
	s_cbranch_execz .LBB52_655
; %bb.648:
	ds_read_b128 v[1:4], v24
	v_cmp_ne_u32_e32 vcc_lo, 1, v25
	s_cbranch_vccnz .LBB52_650
; %bb.649:
	s_clause 0x3
	buffer_load_dword v26, v23, s[0:3], 0 offen offset:8
	buffer_load_dword v27, v23, s[0:3], 0 offen offset:12
	buffer_load_dword v28, v23, s[0:3], 0 offen
	buffer_load_dword v29, v23, s[0:3], 0 offen offset:4
	s_waitcnt vmcnt(2) lgkmcnt(0)
	v_mul_f64 v[30:31], v[3:4], v[26:27]
	v_mul_f64 v[26:27], v[1:2], v[26:27]
	s_waitcnt vmcnt(0)
	v_fma_f64 v[1:2], v[1:2], v[28:29], -v[30:31]
	v_fma_f64 v[3:4], v[3:4], v[28:29], v[26:27]
.LBB52_650:
	s_mov_b32 s8, exec_lo
	v_cmpx_ne_u32_e32 29, v0
	s_cbranch_execz .LBB52_654
; %bb.651:
	v_add_nc_u32_e32 v26, 0x360, v133
	v_add3_u32 v27, 0, v133, 16
	v_mov_b32_e32 v28, v0
	s_mov_b32 s60, 0
	.p2align	6
.LBB52_652:                             ; =>This Inner Loop Header: Depth=1
	s_clause 0x3
	buffer_load_dword v33, v27, s[0:3], 0 offen offset:8
	buffer_load_dword v34, v27, s[0:3], 0 offen offset:12
	buffer_load_dword v35, v27, s[0:3], 0 offen
	buffer_load_dword v36, v27, s[0:3], 0 offen offset:4
	ds_read_b128 v[29:32], v26
	v_add_nc_u32_e32 v28, 1, v28
	v_add_nc_u32_e32 v26, 16, v26
	;; [unrolled: 1-line block ×3, first 2 shown]
	v_cmp_lt_u32_e32 vcc_lo, 28, v28
	s_or_b32 s60, vcc_lo, s60
	s_waitcnt vmcnt(2) lgkmcnt(0)
	v_mul_f64 v[37:38], v[31:32], v[33:34]
	v_mul_f64 v[33:34], v[29:30], v[33:34]
	s_waitcnt vmcnt(0)
	v_fma_f64 v[29:30], v[29:30], v[35:36], -v[37:38]
	v_fma_f64 v[31:32], v[31:32], v[35:36], v[33:34]
	v_add_f64 v[1:2], v[1:2], v[29:30]
	v_add_f64 v[3:4], v[3:4], v[31:32]
	s_andn2_b32 exec_lo, exec_lo, s60
	s_cbranch_execnz .LBB52_652
; %bb.653:
	s_or_b32 exec_lo, exec_lo, s60
.LBB52_654:
	s_or_b32 exec_lo, exec_lo, s8
	v_mov_b32_e32 v26, 0
	ds_read_b128 v[26:29], v26 offset:480
	s_waitcnt lgkmcnt(0)
	v_mul_f64 v[30:31], v[3:4], v[28:29]
	v_mul_f64 v[28:29], v[1:2], v[28:29]
	v_fma_f64 v[1:2], v[1:2], v[26:27], -v[30:31]
	v_fma_f64 v[3:4], v[3:4], v[26:27], v[28:29]
	buffer_store_dword v2, off, s[0:3], 0 offset:484
	buffer_store_dword v1, off, s[0:3], 0 offset:480
	;; [unrolled: 1-line block ×4, first 2 shown]
.LBB52_655:
	s_or_b32 exec_lo, exec_lo, s4
	v_mov_b32_e32 v4, s28
	s_mov_b32 s4, exec_lo
	s_clause 0x3
	buffer_load_dword v1, v4, s[0:3], 0 offen
	buffer_load_dword v2, v4, s[0:3], 0 offen offset:4
	buffer_load_dword v3, v4, s[0:3], 0 offen offset:8
	;; [unrolled: 1-line block ×3, first 2 shown]
	s_waitcnt vmcnt(0)
	ds_write_b128 v24, v[1:4]
	s_waitcnt lgkmcnt(0)
	s_waitcnt_vscnt null, 0x0
	s_barrier
	buffer_gl0_inv
	v_cmpx_gt_u32_e32 31, v0
	s_cbranch_execz .LBB52_663
; %bb.656:
	ds_read_b128 v[1:4], v24
	v_cmp_ne_u32_e32 vcc_lo, 1, v25
	s_cbranch_vccnz .LBB52_658
; %bb.657:
	s_clause 0x3
	buffer_load_dword v26, v23, s[0:3], 0 offen offset:8
	buffer_load_dword v27, v23, s[0:3], 0 offen offset:12
	buffer_load_dword v28, v23, s[0:3], 0 offen
	buffer_load_dword v29, v23, s[0:3], 0 offen offset:4
	s_waitcnt vmcnt(2) lgkmcnt(0)
	v_mul_f64 v[30:31], v[3:4], v[26:27]
	v_mul_f64 v[26:27], v[1:2], v[26:27]
	s_waitcnt vmcnt(0)
	v_fma_f64 v[1:2], v[1:2], v[28:29], -v[30:31]
	v_fma_f64 v[3:4], v[3:4], v[28:29], v[26:27]
.LBB52_658:
	s_mov_b32 s8, exec_lo
	v_cmpx_ne_u32_e32 30, v0
	s_cbranch_execz .LBB52_662
; %bb.659:
	v_add_nc_u32_e32 v26, 0x360, v133
	v_add3_u32 v27, 0, v133, 16
	v_mov_b32_e32 v28, v0
	s_mov_b32 s60, 0
	.p2align	6
.LBB52_660:                             ; =>This Inner Loop Header: Depth=1
	s_clause 0x3
	buffer_load_dword v33, v27, s[0:3], 0 offen offset:8
	buffer_load_dword v34, v27, s[0:3], 0 offen offset:12
	buffer_load_dword v35, v27, s[0:3], 0 offen
	buffer_load_dword v36, v27, s[0:3], 0 offen offset:4
	ds_read_b128 v[29:32], v26
	v_add_nc_u32_e32 v28, 1, v28
	v_add_nc_u32_e32 v26, 16, v26
	;; [unrolled: 1-line block ×3, first 2 shown]
	v_cmp_lt_u32_e32 vcc_lo, 29, v28
	s_or_b32 s60, vcc_lo, s60
	s_waitcnt vmcnt(2) lgkmcnt(0)
	v_mul_f64 v[37:38], v[31:32], v[33:34]
	v_mul_f64 v[33:34], v[29:30], v[33:34]
	s_waitcnt vmcnt(0)
	v_fma_f64 v[29:30], v[29:30], v[35:36], -v[37:38]
	v_fma_f64 v[31:32], v[31:32], v[35:36], v[33:34]
	v_add_f64 v[1:2], v[1:2], v[29:30]
	v_add_f64 v[3:4], v[3:4], v[31:32]
	s_andn2_b32 exec_lo, exec_lo, s60
	s_cbranch_execnz .LBB52_660
; %bb.661:
	s_or_b32 exec_lo, exec_lo, s60
.LBB52_662:
	s_or_b32 exec_lo, exec_lo, s8
	v_mov_b32_e32 v26, 0
	ds_read_b128 v[26:29], v26 offset:496
	s_waitcnt lgkmcnt(0)
	v_mul_f64 v[30:31], v[3:4], v[28:29]
	v_mul_f64 v[28:29], v[1:2], v[28:29]
	v_fma_f64 v[1:2], v[1:2], v[26:27], -v[30:31]
	v_fma_f64 v[3:4], v[3:4], v[26:27], v[28:29]
	buffer_store_dword v2, off, s[0:3], 0 offset:500
	buffer_store_dword v1, off, s[0:3], 0 offset:496
	;; [unrolled: 1-line block ×4, first 2 shown]
.LBB52_663:
	s_or_b32 exec_lo, exec_lo, s4
	v_mov_b32_e32 v4, s27
	s_mov_b32 s4, exec_lo
	s_clause 0x3
	buffer_load_dword v1, v4, s[0:3], 0 offen
	buffer_load_dword v2, v4, s[0:3], 0 offen offset:4
	buffer_load_dword v3, v4, s[0:3], 0 offen offset:8
	;; [unrolled: 1-line block ×3, first 2 shown]
	s_waitcnt vmcnt(0)
	ds_write_b128 v24, v[1:4]
	s_waitcnt lgkmcnt(0)
	s_waitcnt_vscnt null, 0x0
	s_barrier
	buffer_gl0_inv
	v_cmpx_gt_u32_e32 32, v0
	s_cbranch_execz .LBB52_671
; %bb.664:
	ds_read_b128 v[1:4], v24
	v_cmp_ne_u32_e32 vcc_lo, 1, v25
	s_cbranch_vccnz .LBB52_666
; %bb.665:
	s_clause 0x3
	buffer_load_dword v26, v23, s[0:3], 0 offen offset:8
	buffer_load_dword v27, v23, s[0:3], 0 offen offset:12
	buffer_load_dword v28, v23, s[0:3], 0 offen
	buffer_load_dword v29, v23, s[0:3], 0 offen offset:4
	s_waitcnt vmcnt(2) lgkmcnt(0)
	v_mul_f64 v[30:31], v[3:4], v[26:27]
	v_mul_f64 v[26:27], v[1:2], v[26:27]
	s_waitcnt vmcnt(0)
	v_fma_f64 v[1:2], v[1:2], v[28:29], -v[30:31]
	v_fma_f64 v[3:4], v[3:4], v[28:29], v[26:27]
.LBB52_666:
	s_mov_b32 s8, exec_lo
	v_cmpx_ne_u32_e32 31, v0
	s_cbranch_execz .LBB52_670
; %bb.667:
	v_add_nc_u32_e32 v26, 0x360, v133
	v_add3_u32 v27, 0, v133, 16
	v_mov_b32_e32 v28, v0
	s_mov_b32 s60, 0
	.p2align	6
.LBB52_668:                             ; =>This Inner Loop Header: Depth=1
	s_clause 0x3
	buffer_load_dword v33, v27, s[0:3], 0 offen offset:8
	buffer_load_dword v34, v27, s[0:3], 0 offen offset:12
	buffer_load_dword v35, v27, s[0:3], 0 offen
	buffer_load_dword v36, v27, s[0:3], 0 offen offset:4
	ds_read_b128 v[29:32], v26
	v_add_nc_u32_e32 v28, 1, v28
	v_add_nc_u32_e32 v26, 16, v26
	;; [unrolled: 1-line block ×3, first 2 shown]
	v_cmp_lt_u32_e32 vcc_lo, 30, v28
	s_or_b32 s60, vcc_lo, s60
	s_waitcnt vmcnt(2) lgkmcnt(0)
	v_mul_f64 v[37:38], v[31:32], v[33:34]
	v_mul_f64 v[33:34], v[29:30], v[33:34]
	s_waitcnt vmcnt(0)
	v_fma_f64 v[29:30], v[29:30], v[35:36], -v[37:38]
	v_fma_f64 v[31:32], v[31:32], v[35:36], v[33:34]
	v_add_f64 v[1:2], v[1:2], v[29:30]
	v_add_f64 v[3:4], v[3:4], v[31:32]
	s_andn2_b32 exec_lo, exec_lo, s60
	s_cbranch_execnz .LBB52_668
; %bb.669:
	s_or_b32 exec_lo, exec_lo, s60
.LBB52_670:
	s_or_b32 exec_lo, exec_lo, s8
	v_mov_b32_e32 v26, 0
	ds_read_b128 v[26:29], v26 offset:512
	s_waitcnt lgkmcnt(0)
	v_mul_f64 v[30:31], v[3:4], v[28:29]
	v_mul_f64 v[28:29], v[1:2], v[28:29]
	v_fma_f64 v[1:2], v[1:2], v[26:27], -v[30:31]
	v_fma_f64 v[3:4], v[3:4], v[26:27], v[28:29]
	buffer_store_dword v2, off, s[0:3], 0 offset:516
	buffer_store_dword v1, off, s[0:3], 0 offset:512
	;; [unrolled: 1-line block ×4, first 2 shown]
.LBB52_671:
	s_or_b32 exec_lo, exec_lo, s4
	v_mov_b32_e32 v4, s26
	s_mov_b32 s4, exec_lo
	s_clause 0x3
	buffer_load_dword v1, v4, s[0:3], 0 offen
	buffer_load_dword v2, v4, s[0:3], 0 offen offset:4
	buffer_load_dword v3, v4, s[0:3], 0 offen offset:8
	;; [unrolled: 1-line block ×3, first 2 shown]
	s_waitcnt vmcnt(0)
	ds_write_b128 v24, v[1:4]
	s_waitcnt lgkmcnt(0)
	s_waitcnt_vscnt null, 0x0
	s_barrier
	buffer_gl0_inv
	v_cmpx_gt_u32_e32 33, v0
	s_cbranch_execz .LBB52_679
; %bb.672:
	ds_read_b128 v[1:4], v24
	v_cmp_ne_u32_e32 vcc_lo, 1, v25
	s_cbranch_vccnz .LBB52_674
; %bb.673:
	s_clause 0x3
	buffer_load_dword v26, v23, s[0:3], 0 offen offset:8
	buffer_load_dword v27, v23, s[0:3], 0 offen offset:12
	buffer_load_dword v28, v23, s[0:3], 0 offen
	buffer_load_dword v29, v23, s[0:3], 0 offen offset:4
	s_waitcnt vmcnt(2) lgkmcnt(0)
	v_mul_f64 v[30:31], v[3:4], v[26:27]
	v_mul_f64 v[26:27], v[1:2], v[26:27]
	s_waitcnt vmcnt(0)
	v_fma_f64 v[1:2], v[1:2], v[28:29], -v[30:31]
	v_fma_f64 v[3:4], v[3:4], v[28:29], v[26:27]
.LBB52_674:
	s_mov_b32 s8, exec_lo
	v_cmpx_ne_u32_e32 32, v0
	s_cbranch_execz .LBB52_678
; %bb.675:
	v_add_nc_u32_e32 v26, 0x360, v133
	v_add3_u32 v27, 0, v133, 16
	v_mov_b32_e32 v28, v0
	s_mov_b32 s60, 0
	.p2align	6
.LBB52_676:                             ; =>This Inner Loop Header: Depth=1
	s_clause 0x3
	buffer_load_dword v33, v27, s[0:3], 0 offen offset:8
	buffer_load_dword v34, v27, s[0:3], 0 offen offset:12
	buffer_load_dword v35, v27, s[0:3], 0 offen
	buffer_load_dword v36, v27, s[0:3], 0 offen offset:4
	ds_read_b128 v[29:32], v26
	v_add_nc_u32_e32 v28, 1, v28
	v_add_nc_u32_e32 v26, 16, v26
	;; [unrolled: 1-line block ×3, first 2 shown]
	v_cmp_lt_u32_e32 vcc_lo, 31, v28
	s_or_b32 s60, vcc_lo, s60
	s_waitcnt vmcnt(2) lgkmcnt(0)
	v_mul_f64 v[37:38], v[31:32], v[33:34]
	v_mul_f64 v[33:34], v[29:30], v[33:34]
	s_waitcnt vmcnt(0)
	v_fma_f64 v[29:30], v[29:30], v[35:36], -v[37:38]
	v_fma_f64 v[31:32], v[31:32], v[35:36], v[33:34]
	v_add_f64 v[1:2], v[1:2], v[29:30]
	v_add_f64 v[3:4], v[3:4], v[31:32]
	s_andn2_b32 exec_lo, exec_lo, s60
	s_cbranch_execnz .LBB52_676
; %bb.677:
	s_or_b32 exec_lo, exec_lo, s60
.LBB52_678:
	s_or_b32 exec_lo, exec_lo, s8
	v_mov_b32_e32 v26, 0
	ds_read_b128 v[26:29], v26 offset:528
	s_waitcnt lgkmcnt(0)
	v_mul_f64 v[30:31], v[3:4], v[28:29]
	v_mul_f64 v[28:29], v[1:2], v[28:29]
	v_fma_f64 v[1:2], v[1:2], v[26:27], -v[30:31]
	v_fma_f64 v[3:4], v[3:4], v[26:27], v[28:29]
	buffer_store_dword v2, off, s[0:3], 0 offset:532
	buffer_store_dword v1, off, s[0:3], 0 offset:528
	;; [unrolled: 1-line block ×4, first 2 shown]
.LBB52_679:
	s_or_b32 exec_lo, exec_lo, s4
	v_mov_b32_e32 v4, s25
	s_mov_b32 s4, exec_lo
	s_clause 0x3
	buffer_load_dword v1, v4, s[0:3], 0 offen
	buffer_load_dword v2, v4, s[0:3], 0 offen offset:4
	buffer_load_dword v3, v4, s[0:3], 0 offen offset:8
	;; [unrolled: 1-line block ×3, first 2 shown]
	s_waitcnt vmcnt(0)
	ds_write_b128 v24, v[1:4]
	s_waitcnt lgkmcnt(0)
	s_waitcnt_vscnt null, 0x0
	s_barrier
	buffer_gl0_inv
	v_cmpx_gt_u32_e32 34, v0
	s_cbranch_execz .LBB52_687
; %bb.680:
	ds_read_b128 v[1:4], v24
	v_cmp_ne_u32_e32 vcc_lo, 1, v25
	s_cbranch_vccnz .LBB52_682
; %bb.681:
	s_clause 0x3
	buffer_load_dword v26, v23, s[0:3], 0 offen offset:8
	buffer_load_dword v27, v23, s[0:3], 0 offen offset:12
	buffer_load_dword v28, v23, s[0:3], 0 offen
	buffer_load_dword v29, v23, s[0:3], 0 offen offset:4
	s_waitcnt vmcnt(2) lgkmcnt(0)
	v_mul_f64 v[30:31], v[3:4], v[26:27]
	v_mul_f64 v[26:27], v[1:2], v[26:27]
	s_waitcnt vmcnt(0)
	v_fma_f64 v[1:2], v[1:2], v[28:29], -v[30:31]
	v_fma_f64 v[3:4], v[3:4], v[28:29], v[26:27]
.LBB52_682:
	s_mov_b32 s8, exec_lo
	v_cmpx_ne_u32_e32 33, v0
	s_cbranch_execz .LBB52_686
; %bb.683:
	v_add_nc_u32_e32 v26, 0x360, v133
	v_add3_u32 v27, 0, v133, 16
	v_mov_b32_e32 v28, v0
	s_mov_b32 s60, 0
	.p2align	6
.LBB52_684:                             ; =>This Inner Loop Header: Depth=1
	s_clause 0x3
	buffer_load_dword v33, v27, s[0:3], 0 offen offset:8
	buffer_load_dword v34, v27, s[0:3], 0 offen offset:12
	buffer_load_dword v35, v27, s[0:3], 0 offen
	buffer_load_dword v36, v27, s[0:3], 0 offen offset:4
	ds_read_b128 v[29:32], v26
	v_add_nc_u32_e32 v28, 1, v28
	v_add_nc_u32_e32 v26, 16, v26
	v_add_nc_u32_e32 v27, 16, v27
	v_cmp_lt_u32_e32 vcc_lo, 32, v28
	s_or_b32 s60, vcc_lo, s60
	s_waitcnt vmcnt(2) lgkmcnt(0)
	v_mul_f64 v[37:38], v[31:32], v[33:34]
	v_mul_f64 v[33:34], v[29:30], v[33:34]
	s_waitcnt vmcnt(0)
	v_fma_f64 v[29:30], v[29:30], v[35:36], -v[37:38]
	v_fma_f64 v[31:32], v[31:32], v[35:36], v[33:34]
	v_add_f64 v[1:2], v[1:2], v[29:30]
	v_add_f64 v[3:4], v[3:4], v[31:32]
	s_andn2_b32 exec_lo, exec_lo, s60
	s_cbranch_execnz .LBB52_684
; %bb.685:
	s_or_b32 exec_lo, exec_lo, s60
.LBB52_686:
	s_or_b32 exec_lo, exec_lo, s8
	v_mov_b32_e32 v26, 0
	ds_read_b128 v[26:29], v26 offset:544
	s_waitcnt lgkmcnt(0)
	v_mul_f64 v[30:31], v[3:4], v[28:29]
	v_mul_f64 v[28:29], v[1:2], v[28:29]
	v_fma_f64 v[1:2], v[1:2], v[26:27], -v[30:31]
	v_fma_f64 v[3:4], v[3:4], v[26:27], v[28:29]
	buffer_store_dword v2, off, s[0:3], 0 offset:548
	buffer_store_dword v1, off, s[0:3], 0 offset:544
	;; [unrolled: 1-line block ×4, first 2 shown]
.LBB52_687:
	s_or_b32 exec_lo, exec_lo, s4
	v_mov_b32_e32 v4, s24
	s_mov_b32 s4, exec_lo
	s_clause 0x3
	buffer_load_dword v1, v4, s[0:3], 0 offen
	buffer_load_dword v2, v4, s[0:3], 0 offen offset:4
	buffer_load_dword v3, v4, s[0:3], 0 offen offset:8
	;; [unrolled: 1-line block ×3, first 2 shown]
	s_waitcnt vmcnt(0)
	ds_write_b128 v24, v[1:4]
	s_waitcnt lgkmcnt(0)
	s_waitcnt_vscnt null, 0x0
	s_barrier
	buffer_gl0_inv
	v_cmpx_gt_u32_e32 35, v0
	s_cbranch_execz .LBB52_695
; %bb.688:
	ds_read_b128 v[1:4], v24
	v_cmp_ne_u32_e32 vcc_lo, 1, v25
	s_cbranch_vccnz .LBB52_690
; %bb.689:
	s_clause 0x3
	buffer_load_dword v26, v23, s[0:3], 0 offen offset:8
	buffer_load_dword v27, v23, s[0:3], 0 offen offset:12
	buffer_load_dword v28, v23, s[0:3], 0 offen
	buffer_load_dword v29, v23, s[0:3], 0 offen offset:4
	s_waitcnt vmcnt(2) lgkmcnt(0)
	v_mul_f64 v[30:31], v[3:4], v[26:27]
	v_mul_f64 v[26:27], v[1:2], v[26:27]
	s_waitcnt vmcnt(0)
	v_fma_f64 v[1:2], v[1:2], v[28:29], -v[30:31]
	v_fma_f64 v[3:4], v[3:4], v[28:29], v[26:27]
.LBB52_690:
	s_mov_b32 s8, exec_lo
	v_cmpx_ne_u32_e32 34, v0
	s_cbranch_execz .LBB52_694
; %bb.691:
	v_add_nc_u32_e32 v26, 0x360, v133
	v_add3_u32 v27, 0, v133, 16
	v_mov_b32_e32 v28, v0
	s_mov_b32 s60, 0
	.p2align	6
.LBB52_692:                             ; =>This Inner Loop Header: Depth=1
	s_clause 0x3
	buffer_load_dword v33, v27, s[0:3], 0 offen offset:8
	buffer_load_dword v34, v27, s[0:3], 0 offen offset:12
	buffer_load_dword v35, v27, s[0:3], 0 offen
	buffer_load_dword v36, v27, s[0:3], 0 offen offset:4
	ds_read_b128 v[29:32], v26
	v_add_nc_u32_e32 v28, 1, v28
	v_add_nc_u32_e32 v26, 16, v26
	;; [unrolled: 1-line block ×3, first 2 shown]
	v_cmp_lt_u32_e32 vcc_lo, 33, v28
	s_or_b32 s60, vcc_lo, s60
	s_waitcnt vmcnt(2) lgkmcnt(0)
	v_mul_f64 v[37:38], v[31:32], v[33:34]
	v_mul_f64 v[33:34], v[29:30], v[33:34]
	s_waitcnt vmcnt(0)
	v_fma_f64 v[29:30], v[29:30], v[35:36], -v[37:38]
	v_fma_f64 v[31:32], v[31:32], v[35:36], v[33:34]
	v_add_f64 v[1:2], v[1:2], v[29:30]
	v_add_f64 v[3:4], v[3:4], v[31:32]
	s_andn2_b32 exec_lo, exec_lo, s60
	s_cbranch_execnz .LBB52_692
; %bb.693:
	s_or_b32 exec_lo, exec_lo, s60
.LBB52_694:
	s_or_b32 exec_lo, exec_lo, s8
	v_mov_b32_e32 v26, 0
	ds_read_b128 v[26:29], v26 offset:560
	s_waitcnt lgkmcnt(0)
	v_mul_f64 v[30:31], v[3:4], v[28:29]
	v_mul_f64 v[28:29], v[1:2], v[28:29]
	v_fma_f64 v[1:2], v[1:2], v[26:27], -v[30:31]
	v_fma_f64 v[3:4], v[3:4], v[26:27], v[28:29]
	buffer_store_dword v2, off, s[0:3], 0 offset:564
	buffer_store_dword v1, off, s[0:3], 0 offset:560
	;; [unrolled: 1-line block ×4, first 2 shown]
.LBB52_695:
	s_or_b32 exec_lo, exec_lo, s4
	v_mov_b32_e32 v4, s23
	s_mov_b32 s4, exec_lo
	s_clause 0x3
	buffer_load_dword v1, v4, s[0:3], 0 offen
	buffer_load_dword v2, v4, s[0:3], 0 offen offset:4
	buffer_load_dword v3, v4, s[0:3], 0 offen offset:8
	;; [unrolled: 1-line block ×3, first 2 shown]
	s_waitcnt vmcnt(0)
	ds_write_b128 v24, v[1:4]
	s_waitcnt lgkmcnt(0)
	s_waitcnt_vscnt null, 0x0
	s_barrier
	buffer_gl0_inv
	v_cmpx_gt_u32_e32 36, v0
	s_cbranch_execz .LBB52_703
; %bb.696:
	ds_read_b128 v[1:4], v24
	v_cmp_ne_u32_e32 vcc_lo, 1, v25
	s_cbranch_vccnz .LBB52_698
; %bb.697:
	s_clause 0x3
	buffer_load_dword v26, v23, s[0:3], 0 offen offset:8
	buffer_load_dword v27, v23, s[0:3], 0 offen offset:12
	buffer_load_dword v28, v23, s[0:3], 0 offen
	buffer_load_dword v29, v23, s[0:3], 0 offen offset:4
	s_waitcnt vmcnt(2) lgkmcnt(0)
	v_mul_f64 v[30:31], v[3:4], v[26:27]
	v_mul_f64 v[26:27], v[1:2], v[26:27]
	s_waitcnt vmcnt(0)
	v_fma_f64 v[1:2], v[1:2], v[28:29], -v[30:31]
	v_fma_f64 v[3:4], v[3:4], v[28:29], v[26:27]
.LBB52_698:
	s_mov_b32 s8, exec_lo
	v_cmpx_ne_u32_e32 35, v0
	s_cbranch_execz .LBB52_702
; %bb.699:
	v_add_nc_u32_e32 v26, 0x360, v133
	v_add3_u32 v27, 0, v133, 16
	v_mov_b32_e32 v28, v0
	s_mov_b32 s60, 0
	.p2align	6
.LBB52_700:                             ; =>This Inner Loop Header: Depth=1
	s_clause 0x3
	buffer_load_dword v33, v27, s[0:3], 0 offen offset:8
	buffer_load_dword v34, v27, s[0:3], 0 offen offset:12
	buffer_load_dword v35, v27, s[0:3], 0 offen
	buffer_load_dword v36, v27, s[0:3], 0 offen offset:4
	ds_read_b128 v[29:32], v26
	v_add_nc_u32_e32 v28, 1, v28
	v_add_nc_u32_e32 v26, 16, v26
	;; [unrolled: 1-line block ×3, first 2 shown]
	v_cmp_lt_u32_e32 vcc_lo, 34, v28
	s_or_b32 s60, vcc_lo, s60
	s_waitcnt vmcnt(2) lgkmcnt(0)
	v_mul_f64 v[37:38], v[31:32], v[33:34]
	v_mul_f64 v[33:34], v[29:30], v[33:34]
	s_waitcnt vmcnt(0)
	v_fma_f64 v[29:30], v[29:30], v[35:36], -v[37:38]
	v_fma_f64 v[31:32], v[31:32], v[35:36], v[33:34]
	v_add_f64 v[1:2], v[1:2], v[29:30]
	v_add_f64 v[3:4], v[3:4], v[31:32]
	s_andn2_b32 exec_lo, exec_lo, s60
	s_cbranch_execnz .LBB52_700
; %bb.701:
	s_or_b32 exec_lo, exec_lo, s60
.LBB52_702:
	s_or_b32 exec_lo, exec_lo, s8
	v_mov_b32_e32 v26, 0
	ds_read_b128 v[26:29], v26 offset:576
	s_waitcnt lgkmcnt(0)
	v_mul_f64 v[30:31], v[3:4], v[28:29]
	v_mul_f64 v[28:29], v[1:2], v[28:29]
	v_fma_f64 v[1:2], v[1:2], v[26:27], -v[30:31]
	v_fma_f64 v[3:4], v[3:4], v[26:27], v[28:29]
	buffer_store_dword v2, off, s[0:3], 0 offset:580
	buffer_store_dword v1, off, s[0:3], 0 offset:576
	;; [unrolled: 1-line block ×4, first 2 shown]
.LBB52_703:
	s_or_b32 exec_lo, exec_lo, s4
	v_mov_b32_e32 v4, s22
	s_mov_b32 s4, exec_lo
	s_clause 0x3
	buffer_load_dword v1, v4, s[0:3], 0 offen
	buffer_load_dword v2, v4, s[0:3], 0 offen offset:4
	buffer_load_dword v3, v4, s[0:3], 0 offen offset:8
	;; [unrolled: 1-line block ×3, first 2 shown]
	s_waitcnt vmcnt(0)
	ds_write_b128 v24, v[1:4]
	s_waitcnt lgkmcnt(0)
	s_waitcnt_vscnt null, 0x0
	s_barrier
	buffer_gl0_inv
	v_cmpx_gt_u32_e32 37, v0
	s_cbranch_execz .LBB52_711
; %bb.704:
	ds_read_b128 v[1:4], v24
	v_cmp_ne_u32_e32 vcc_lo, 1, v25
	s_cbranch_vccnz .LBB52_706
; %bb.705:
	s_clause 0x3
	buffer_load_dword v26, v23, s[0:3], 0 offen offset:8
	buffer_load_dword v27, v23, s[0:3], 0 offen offset:12
	buffer_load_dword v28, v23, s[0:3], 0 offen
	buffer_load_dword v29, v23, s[0:3], 0 offen offset:4
	s_waitcnt vmcnt(2) lgkmcnt(0)
	v_mul_f64 v[30:31], v[3:4], v[26:27]
	v_mul_f64 v[26:27], v[1:2], v[26:27]
	s_waitcnt vmcnt(0)
	v_fma_f64 v[1:2], v[1:2], v[28:29], -v[30:31]
	v_fma_f64 v[3:4], v[3:4], v[28:29], v[26:27]
.LBB52_706:
	s_mov_b32 s8, exec_lo
	v_cmpx_ne_u32_e32 36, v0
	s_cbranch_execz .LBB52_710
; %bb.707:
	v_add_nc_u32_e32 v26, 0x360, v133
	v_add3_u32 v27, 0, v133, 16
	v_mov_b32_e32 v28, v0
	s_mov_b32 s60, 0
	.p2align	6
.LBB52_708:                             ; =>This Inner Loop Header: Depth=1
	s_clause 0x3
	buffer_load_dword v33, v27, s[0:3], 0 offen offset:8
	buffer_load_dword v34, v27, s[0:3], 0 offen offset:12
	buffer_load_dword v35, v27, s[0:3], 0 offen
	buffer_load_dword v36, v27, s[0:3], 0 offen offset:4
	ds_read_b128 v[29:32], v26
	v_add_nc_u32_e32 v28, 1, v28
	v_add_nc_u32_e32 v26, 16, v26
	;; [unrolled: 1-line block ×3, first 2 shown]
	v_cmp_lt_u32_e32 vcc_lo, 35, v28
	s_or_b32 s60, vcc_lo, s60
	s_waitcnt vmcnt(2) lgkmcnt(0)
	v_mul_f64 v[37:38], v[31:32], v[33:34]
	v_mul_f64 v[33:34], v[29:30], v[33:34]
	s_waitcnt vmcnt(0)
	v_fma_f64 v[29:30], v[29:30], v[35:36], -v[37:38]
	v_fma_f64 v[31:32], v[31:32], v[35:36], v[33:34]
	v_add_f64 v[1:2], v[1:2], v[29:30]
	v_add_f64 v[3:4], v[3:4], v[31:32]
	s_andn2_b32 exec_lo, exec_lo, s60
	s_cbranch_execnz .LBB52_708
; %bb.709:
	s_or_b32 exec_lo, exec_lo, s60
.LBB52_710:
	s_or_b32 exec_lo, exec_lo, s8
	v_mov_b32_e32 v26, 0
	ds_read_b128 v[26:29], v26 offset:592
	s_waitcnt lgkmcnt(0)
	v_mul_f64 v[30:31], v[3:4], v[28:29]
	v_mul_f64 v[28:29], v[1:2], v[28:29]
	v_fma_f64 v[1:2], v[1:2], v[26:27], -v[30:31]
	v_fma_f64 v[3:4], v[3:4], v[26:27], v[28:29]
	buffer_store_dword v2, off, s[0:3], 0 offset:596
	buffer_store_dword v1, off, s[0:3], 0 offset:592
	;; [unrolled: 1-line block ×4, first 2 shown]
.LBB52_711:
	s_or_b32 exec_lo, exec_lo, s4
	v_mov_b32_e32 v4, s21
	s_mov_b32 s4, exec_lo
	s_clause 0x3
	buffer_load_dword v1, v4, s[0:3], 0 offen
	buffer_load_dword v2, v4, s[0:3], 0 offen offset:4
	buffer_load_dword v3, v4, s[0:3], 0 offen offset:8
	;; [unrolled: 1-line block ×3, first 2 shown]
	s_waitcnt vmcnt(0)
	ds_write_b128 v24, v[1:4]
	s_waitcnt lgkmcnt(0)
	s_waitcnt_vscnt null, 0x0
	s_barrier
	buffer_gl0_inv
	v_cmpx_gt_u32_e32 38, v0
	s_cbranch_execz .LBB52_719
; %bb.712:
	ds_read_b128 v[1:4], v24
	v_cmp_ne_u32_e32 vcc_lo, 1, v25
	s_cbranch_vccnz .LBB52_714
; %bb.713:
	s_clause 0x3
	buffer_load_dword v26, v23, s[0:3], 0 offen offset:8
	buffer_load_dword v27, v23, s[0:3], 0 offen offset:12
	buffer_load_dword v28, v23, s[0:3], 0 offen
	buffer_load_dword v29, v23, s[0:3], 0 offen offset:4
	s_waitcnt vmcnt(2) lgkmcnt(0)
	v_mul_f64 v[30:31], v[3:4], v[26:27]
	v_mul_f64 v[26:27], v[1:2], v[26:27]
	s_waitcnt vmcnt(0)
	v_fma_f64 v[1:2], v[1:2], v[28:29], -v[30:31]
	v_fma_f64 v[3:4], v[3:4], v[28:29], v[26:27]
.LBB52_714:
	s_mov_b32 s8, exec_lo
	v_cmpx_ne_u32_e32 37, v0
	s_cbranch_execz .LBB52_718
; %bb.715:
	v_add_nc_u32_e32 v26, 0x360, v133
	v_add3_u32 v27, 0, v133, 16
	v_mov_b32_e32 v28, v0
	s_mov_b32 s60, 0
	.p2align	6
.LBB52_716:                             ; =>This Inner Loop Header: Depth=1
	s_clause 0x3
	buffer_load_dword v33, v27, s[0:3], 0 offen offset:8
	buffer_load_dword v34, v27, s[0:3], 0 offen offset:12
	buffer_load_dword v35, v27, s[0:3], 0 offen
	buffer_load_dword v36, v27, s[0:3], 0 offen offset:4
	ds_read_b128 v[29:32], v26
	v_add_nc_u32_e32 v28, 1, v28
	v_add_nc_u32_e32 v26, 16, v26
	;; [unrolled: 1-line block ×3, first 2 shown]
	v_cmp_lt_u32_e32 vcc_lo, 36, v28
	s_or_b32 s60, vcc_lo, s60
	s_waitcnt vmcnt(2) lgkmcnt(0)
	v_mul_f64 v[37:38], v[31:32], v[33:34]
	v_mul_f64 v[33:34], v[29:30], v[33:34]
	s_waitcnt vmcnt(0)
	v_fma_f64 v[29:30], v[29:30], v[35:36], -v[37:38]
	v_fma_f64 v[31:32], v[31:32], v[35:36], v[33:34]
	v_add_f64 v[1:2], v[1:2], v[29:30]
	v_add_f64 v[3:4], v[3:4], v[31:32]
	s_andn2_b32 exec_lo, exec_lo, s60
	s_cbranch_execnz .LBB52_716
; %bb.717:
	s_or_b32 exec_lo, exec_lo, s60
.LBB52_718:
	s_or_b32 exec_lo, exec_lo, s8
	v_mov_b32_e32 v26, 0
	ds_read_b128 v[26:29], v26 offset:608
	s_waitcnt lgkmcnt(0)
	v_mul_f64 v[30:31], v[3:4], v[28:29]
	v_mul_f64 v[28:29], v[1:2], v[28:29]
	v_fma_f64 v[1:2], v[1:2], v[26:27], -v[30:31]
	v_fma_f64 v[3:4], v[3:4], v[26:27], v[28:29]
	buffer_store_dword v2, off, s[0:3], 0 offset:612
	buffer_store_dword v1, off, s[0:3], 0 offset:608
	buffer_store_dword v4, off, s[0:3], 0 offset:620
	buffer_store_dword v3, off, s[0:3], 0 offset:616
.LBB52_719:
	s_or_b32 exec_lo, exec_lo, s4
	v_mov_b32_e32 v4, s20
	s_mov_b32 s4, exec_lo
	s_clause 0x3
	buffer_load_dword v1, v4, s[0:3], 0 offen
	buffer_load_dword v2, v4, s[0:3], 0 offen offset:4
	buffer_load_dword v3, v4, s[0:3], 0 offen offset:8
	;; [unrolled: 1-line block ×3, first 2 shown]
	s_waitcnt vmcnt(0)
	ds_write_b128 v24, v[1:4]
	s_waitcnt lgkmcnt(0)
	s_waitcnt_vscnt null, 0x0
	s_barrier
	buffer_gl0_inv
	v_cmpx_gt_u32_e32 39, v0
	s_cbranch_execz .LBB52_727
; %bb.720:
	ds_read_b128 v[1:4], v24
	v_cmp_ne_u32_e32 vcc_lo, 1, v25
	s_cbranch_vccnz .LBB52_722
; %bb.721:
	s_clause 0x3
	buffer_load_dword v26, v23, s[0:3], 0 offen offset:8
	buffer_load_dword v27, v23, s[0:3], 0 offen offset:12
	buffer_load_dword v28, v23, s[0:3], 0 offen
	buffer_load_dword v29, v23, s[0:3], 0 offen offset:4
	s_waitcnt vmcnt(2) lgkmcnt(0)
	v_mul_f64 v[30:31], v[3:4], v[26:27]
	v_mul_f64 v[26:27], v[1:2], v[26:27]
	s_waitcnt vmcnt(0)
	v_fma_f64 v[1:2], v[1:2], v[28:29], -v[30:31]
	v_fma_f64 v[3:4], v[3:4], v[28:29], v[26:27]
.LBB52_722:
	s_mov_b32 s8, exec_lo
	v_cmpx_ne_u32_e32 38, v0
	s_cbranch_execz .LBB52_726
; %bb.723:
	v_add_nc_u32_e32 v26, 0x360, v133
	v_add3_u32 v27, 0, v133, 16
	v_mov_b32_e32 v28, v0
	s_mov_b32 s60, 0
	.p2align	6
.LBB52_724:                             ; =>This Inner Loop Header: Depth=1
	s_clause 0x3
	buffer_load_dword v33, v27, s[0:3], 0 offen offset:8
	buffer_load_dword v34, v27, s[0:3], 0 offen offset:12
	buffer_load_dword v35, v27, s[0:3], 0 offen
	buffer_load_dword v36, v27, s[0:3], 0 offen offset:4
	ds_read_b128 v[29:32], v26
	v_add_nc_u32_e32 v28, 1, v28
	v_add_nc_u32_e32 v26, 16, v26
	;; [unrolled: 1-line block ×3, first 2 shown]
	v_cmp_lt_u32_e32 vcc_lo, 37, v28
	s_or_b32 s60, vcc_lo, s60
	s_waitcnt vmcnt(2) lgkmcnt(0)
	v_mul_f64 v[37:38], v[31:32], v[33:34]
	v_mul_f64 v[33:34], v[29:30], v[33:34]
	s_waitcnt vmcnt(0)
	v_fma_f64 v[29:30], v[29:30], v[35:36], -v[37:38]
	v_fma_f64 v[31:32], v[31:32], v[35:36], v[33:34]
	v_add_f64 v[1:2], v[1:2], v[29:30]
	v_add_f64 v[3:4], v[3:4], v[31:32]
	s_andn2_b32 exec_lo, exec_lo, s60
	s_cbranch_execnz .LBB52_724
; %bb.725:
	s_or_b32 exec_lo, exec_lo, s60
.LBB52_726:
	s_or_b32 exec_lo, exec_lo, s8
	v_mov_b32_e32 v26, 0
	ds_read_b128 v[26:29], v26 offset:624
	s_waitcnt lgkmcnt(0)
	v_mul_f64 v[30:31], v[3:4], v[28:29]
	v_mul_f64 v[28:29], v[1:2], v[28:29]
	v_fma_f64 v[1:2], v[1:2], v[26:27], -v[30:31]
	v_fma_f64 v[3:4], v[3:4], v[26:27], v[28:29]
	buffer_store_dword v2, off, s[0:3], 0 offset:628
	buffer_store_dword v1, off, s[0:3], 0 offset:624
	;; [unrolled: 1-line block ×4, first 2 shown]
.LBB52_727:
	s_or_b32 exec_lo, exec_lo, s4
	v_mov_b32_e32 v4, s19
	s_mov_b32 s4, exec_lo
	s_clause 0x3
	buffer_load_dword v1, v4, s[0:3], 0 offen
	buffer_load_dword v2, v4, s[0:3], 0 offen offset:4
	buffer_load_dword v3, v4, s[0:3], 0 offen offset:8
	;; [unrolled: 1-line block ×3, first 2 shown]
	s_waitcnt vmcnt(0)
	ds_write_b128 v24, v[1:4]
	s_waitcnt lgkmcnt(0)
	s_waitcnt_vscnt null, 0x0
	s_barrier
	buffer_gl0_inv
	v_cmpx_gt_u32_e32 40, v0
	s_cbranch_execz .LBB52_735
; %bb.728:
	ds_read_b128 v[1:4], v24
	v_cmp_ne_u32_e32 vcc_lo, 1, v25
	s_cbranch_vccnz .LBB52_730
; %bb.729:
	s_clause 0x3
	buffer_load_dword v26, v23, s[0:3], 0 offen offset:8
	buffer_load_dword v27, v23, s[0:3], 0 offen offset:12
	buffer_load_dword v28, v23, s[0:3], 0 offen
	buffer_load_dword v29, v23, s[0:3], 0 offen offset:4
	s_waitcnt vmcnt(2) lgkmcnt(0)
	v_mul_f64 v[30:31], v[3:4], v[26:27]
	v_mul_f64 v[26:27], v[1:2], v[26:27]
	s_waitcnt vmcnt(0)
	v_fma_f64 v[1:2], v[1:2], v[28:29], -v[30:31]
	v_fma_f64 v[3:4], v[3:4], v[28:29], v[26:27]
.LBB52_730:
	s_mov_b32 s8, exec_lo
	v_cmpx_ne_u32_e32 39, v0
	s_cbranch_execz .LBB52_734
; %bb.731:
	v_add_nc_u32_e32 v26, 0x360, v133
	v_add3_u32 v27, 0, v133, 16
	v_mov_b32_e32 v28, v0
	s_mov_b32 s60, 0
	.p2align	6
.LBB52_732:                             ; =>This Inner Loop Header: Depth=1
	s_clause 0x3
	buffer_load_dword v33, v27, s[0:3], 0 offen offset:8
	buffer_load_dword v34, v27, s[0:3], 0 offen offset:12
	buffer_load_dword v35, v27, s[0:3], 0 offen
	buffer_load_dword v36, v27, s[0:3], 0 offen offset:4
	ds_read_b128 v[29:32], v26
	v_add_nc_u32_e32 v28, 1, v28
	v_add_nc_u32_e32 v26, 16, v26
	;; [unrolled: 1-line block ×3, first 2 shown]
	v_cmp_lt_u32_e32 vcc_lo, 38, v28
	s_or_b32 s60, vcc_lo, s60
	s_waitcnt vmcnt(2) lgkmcnt(0)
	v_mul_f64 v[37:38], v[31:32], v[33:34]
	v_mul_f64 v[33:34], v[29:30], v[33:34]
	s_waitcnt vmcnt(0)
	v_fma_f64 v[29:30], v[29:30], v[35:36], -v[37:38]
	v_fma_f64 v[31:32], v[31:32], v[35:36], v[33:34]
	v_add_f64 v[1:2], v[1:2], v[29:30]
	v_add_f64 v[3:4], v[3:4], v[31:32]
	s_andn2_b32 exec_lo, exec_lo, s60
	s_cbranch_execnz .LBB52_732
; %bb.733:
	s_or_b32 exec_lo, exec_lo, s60
.LBB52_734:
	s_or_b32 exec_lo, exec_lo, s8
	v_mov_b32_e32 v26, 0
	ds_read_b128 v[26:29], v26 offset:640
	s_waitcnt lgkmcnt(0)
	v_mul_f64 v[30:31], v[3:4], v[28:29]
	v_mul_f64 v[28:29], v[1:2], v[28:29]
	v_fma_f64 v[1:2], v[1:2], v[26:27], -v[30:31]
	v_fma_f64 v[3:4], v[3:4], v[26:27], v[28:29]
	buffer_store_dword v2, off, s[0:3], 0 offset:644
	buffer_store_dword v1, off, s[0:3], 0 offset:640
	;; [unrolled: 1-line block ×4, first 2 shown]
.LBB52_735:
	s_or_b32 exec_lo, exec_lo, s4
	v_mov_b32_e32 v4, s18
	s_mov_b32 s4, exec_lo
	s_clause 0x3
	buffer_load_dword v1, v4, s[0:3], 0 offen
	buffer_load_dword v2, v4, s[0:3], 0 offen offset:4
	buffer_load_dword v3, v4, s[0:3], 0 offen offset:8
	;; [unrolled: 1-line block ×3, first 2 shown]
	s_waitcnt vmcnt(0)
	ds_write_b128 v24, v[1:4]
	s_waitcnt lgkmcnt(0)
	s_waitcnt_vscnt null, 0x0
	s_barrier
	buffer_gl0_inv
	v_cmpx_gt_u32_e32 41, v0
	s_cbranch_execz .LBB52_743
; %bb.736:
	ds_read_b128 v[1:4], v24
	v_cmp_ne_u32_e32 vcc_lo, 1, v25
	s_cbranch_vccnz .LBB52_738
; %bb.737:
	s_clause 0x3
	buffer_load_dword v26, v23, s[0:3], 0 offen offset:8
	buffer_load_dword v27, v23, s[0:3], 0 offen offset:12
	buffer_load_dword v28, v23, s[0:3], 0 offen
	buffer_load_dword v29, v23, s[0:3], 0 offen offset:4
	s_waitcnt vmcnt(2) lgkmcnt(0)
	v_mul_f64 v[30:31], v[3:4], v[26:27]
	v_mul_f64 v[26:27], v[1:2], v[26:27]
	s_waitcnt vmcnt(0)
	v_fma_f64 v[1:2], v[1:2], v[28:29], -v[30:31]
	v_fma_f64 v[3:4], v[3:4], v[28:29], v[26:27]
.LBB52_738:
	s_mov_b32 s8, exec_lo
	v_cmpx_ne_u32_e32 40, v0
	s_cbranch_execz .LBB52_742
; %bb.739:
	v_add_nc_u32_e32 v26, 0x360, v133
	v_add3_u32 v27, 0, v133, 16
	v_mov_b32_e32 v28, v0
	s_mov_b32 s60, 0
	.p2align	6
.LBB52_740:                             ; =>This Inner Loop Header: Depth=1
	s_clause 0x3
	buffer_load_dword v33, v27, s[0:3], 0 offen offset:8
	buffer_load_dword v34, v27, s[0:3], 0 offen offset:12
	buffer_load_dword v35, v27, s[0:3], 0 offen
	buffer_load_dword v36, v27, s[0:3], 0 offen offset:4
	ds_read_b128 v[29:32], v26
	v_add_nc_u32_e32 v28, 1, v28
	v_add_nc_u32_e32 v26, 16, v26
	;; [unrolled: 1-line block ×3, first 2 shown]
	v_cmp_lt_u32_e32 vcc_lo, 39, v28
	s_or_b32 s60, vcc_lo, s60
	s_waitcnt vmcnt(2) lgkmcnt(0)
	v_mul_f64 v[37:38], v[31:32], v[33:34]
	v_mul_f64 v[33:34], v[29:30], v[33:34]
	s_waitcnt vmcnt(0)
	v_fma_f64 v[29:30], v[29:30], v[35:36], -v[37:38]
	v_fma_f64 v[31:32], v[31:32], v[35:36], v[33:34]
	v_add_f64 v[1:2], v[1:2], v[29:30]
	v_add_f64 v[3:4], v[3:4], v[31:32]
	s_andn2_b32 exec_lo, exec_lo, s60
	s_cbranch_execnz .LBB52_740
; %bb.741:
	s_or_b32 exec_lo, exec_lo, s60
.LBB52_742:
	s_or_b32 exec_lo, exec_lo, s8
	v_mov_b32_e32 v26, 0
	ds_read_b128 v[26:29], v26 offset:656
	s_waitcnt lgkmcnt(0)
	v_mul_f64 v[30:31], v[3:4], v[28:29]
	v_mul_f64 v[28:29], v[1:2], v[28:29]
	v_fma_f64 v[1:2], v[1:2], v[26:27], -v[30:31]
	v_fma_f64 v[3:4], v[3:4], v[26:27], v[28:29]
	buffer_store_dword v2, off, s[0:3], 0 offset:660
	buffer_store_dword v1, off, s[0:3], 0 offset:656
	;; [unrolled: 1-line block ×4, first 2 shown]
.LBB52_743:
	s_or_b32 exec_lo, exec_lo, s4
	v_mov_b32_e32 v4, s17
	s_mov_b32 s4, exec_lo
	s_clause 0x3
	buffer_load_dword v1, v4, s[0:3], 0 offen
	buffer_load_dword v2, v4, s[0:3], 0 offen offset:4
	buffer_load_dword v3, v4, s[0:3], 0 offen offset:8
	;; [unrolled: 1-line block ×3, first 2 shown]
	s_waitcnt vmcnt(0)
	ds_write_b128 v24, v[1:4]
	s_waitcnt lgkmcnt(0)
	s_waitcnt_vscnt null, 0x0
	s_barrier
	buffer_gl0_inv
	v_cmpx_gt_u32_e32 42, v0
	s_cbranch_execz .LBB52_751
; %bb.744:
	ds_read_b128 v[1:4], v24
	v_cmp_ne_u32_e32 vcc_lo, 1, v25
	s_cbranch_vccnz .LBB52_746
; %bb.745:
	s_clause 0x3
	buffer_load_dword v26, v23, s[0:3], 0 offen offset:8
	buffer_load_dword v27, v23, s[0:3], 0 offen offset:12
	buffer_load_dword v28, v23, s[0:3], 0 offen
	buffer_load_dword v29, v23, s[0:3], 0 offen offset:4
	s_waitcnt vmcnt(2) lgkmcnt(0)
	v_mul_f64 v[30:31], v[3:4], v[26:27]
	v_mul_f64 v[26:27], v[1:2], v[26:27]
	s_waitcnt vmcnt(0)
	v_fma_f64 v[1:2], v[1:2], v[28:29], -v[30:31]
	v_fma_f64 v[3:4], v[3:4], v[28:29], v[26:27]
.LBB52_746:
	s_mov_b32 s8, exec_lo
	v_cmpx_ne_u32_e32 41, v0
	s_cbranch_execz .LBB52_750
; %bb.747:
	v_add_nc_u32_e32 v26, 0x360, v133
	v_add3_u32 v27, 0, v133, 16
	v_mov_b32_e32 v28, v0
	s_mov_b32 s60, 0
	.p2align	6
.LBB52_748:                             ; =>This Inner Loop Header: Depth=1
	s_clause 0x3
	buffer_load_dword v33, v27, s[0:3], 0 offen offset:8
	buffer_load_dword v34, v27, s[0:3], 0 offen offset:12
	buffer_load_dword v35, v27, s[0:3], 0 offen
	buffer_load_dword v36, v27, s[0:3], 0 offen offset:4
	ds_read_b128 v[29:32], v26
	v_add_nc_u32_e32 v28, 1, v28
	v_add_nc_u32_e32 v26, 16, v26
	;; [unrolled: 1-line block ×3, first 2 shown]
	v_cmp_lt_u32_e32 vcc_lo, 40, v28
	s_or_b32 s60, vcc_lo, s60
	s_waitcnt vmcnt(2) lgkmcnt(0)
	v_mul_f64 v[37:38], v[31:32], v[33:34]
	v_mul_f64 v[33:34], v[29:30], v[33:34]
	s_waitcnt vmcnt(0)
	v_fma_f64 v[29:30], v[29:30], v[35:36], -v[37:38]
	v_fma_f64 v[31:32], v[31:32], v[35:36], v[33:34]
	v_add_f64 v[1:2], v[1:2], v[29:30]
	v_add_f64 v[3:4], v[3:4], v[31:32]
	s_andn2_b32 exec_lo, exec_lo, s60
	s_cbranch_execnz .LBB52_748
; %bb.749:
	s_or_b32 exec_lo, exec_lo, s60
.LBB52_750:
	s_or_b32 exec_lo, exec_lo, s8
	v_mov_b32_e32 v26, 0
	ds_read_b128 v[26:29], v26 offset:672
	s_waitcnt lgkmcnt(0)
	v_mul_f64 v[30:31], v[3:4], v[28:29]
	v_mul_f64 v[28:29], v[1:2], v[28:29]
	v_fma_f64 v[1:2], v[1:2], v[26:27], -v[30:31]
	v_fma_f64 v[3:4], v[3:4], v[26:27], v[28:29]
	buffer_store_dword v2, off, s[0:3], 0 offset:676
	buffer_store_dword v1, off, s[0:3], 0 offset:672
	;; [unrolled: 1-line block ×4, first 2 shown]
.LBB52_751:
	s_or_b32 exec_lo, exec_lo, s4
	v_mov_b32_e32 v4, s16
	s_mov_b32 s4, exec_lo
	s_clause 0x3
	buffer_load_dword v1, v4, s[0:3], 0 offen
	buffer_load_dword v2, v4, s[0:3], 0 offen offset:4
	buffer_load_dword v3, v4, s[0:3], 0 offen offset:8
	;; [unrolled: 1-line block ×3, first 2 shown]
	s_waitcnt vmcnt(0)
	ds_write_b128 v24, v[1:4]
	s_waitcnt lgkmcnt(0)
	s_waitcnt_vscnt null, 0x0
	s_barrier
	buffer_gl0_inv
	v_cmpx_gt_u32_e32 43, v0
	s_cbranch_execz .LBB52_759
; %bb.752:
	ds_read_b128 v[1:4], v24
	v_cmp_ne_u32_e32 vcc_lo, 1, v25
	s_cbranch_vccnz .LBB52_754
; %bb.753:
	s_clause 0x3
	buffer_load_dword v26, v23, s[0:3], 0 offen offset:8
	buffer_load_dword v27, v23, s[0:3], 0 offen offset:12
	buffer_load_dword v28, v23, s[0:3], 0 offen
	buffer_load_dword v29, v23, s[0:3], 0 offen offset:4
	s_waitcnt vmcnt(2) lgkmcnt(0)
	v_mul_f64 v[30:31], v[3:4], v[26:27]
	v_mul_f64 v[26:27], v[1:2], v[26:27]
	s_waitcnt vmcnt(0)
	v_fma_f64 v[1:2], v[1:2], v[28:29], -v[30:31]
	v_fma_f64 v[3:4], v[3:4], v[28:29], v[26:27]
.LBB52_754:
	s_mov_b32 s8, exec_lo
	v_cmpx_ne_u32_e32 42, v0
	s_cbranch_execz .LBB52_758
; %bb.755:
	v_add_nc_u32_e32 v26, 0x360, v133
	v_add3_u32 v27, 0, v133, 16
	v_mov_b32_e32 v28, v0
	s_mov_b32 s60, 0
	.p2align	6
.LBB52_756:                             ; =>This Inner Loop Header: Depth=1
	s_clause 0x3
	buffer_load_dword v33, v27, s[0:3], 0 offen offset:8
	buffer_load_dword v34, v27, s[0:3], 0 offen offset:12
	buffer_load_dword v35, v27, s[0:3], 0 offen
	buffer_load_dword v36, v27, s[0:3], 0 offen offset:4
	ds_read_b128 v[29:32], v26
	v_add_nc_u32_e32 v28, 1, v28
	v_add_nc_u32_e32 v26, 16, v26
	;; [unrolled: 1-line block ×3, first 2 shown]
	v_cmp_lt_u32_e32 vcc_lo, 41, v28
	s_or_b32 s60, vcc_lo, s60
	s_waitcnt vmcnt(2) lgkmcnt(0)
	v_mul_f64 v[37:38], v[31:32], v[33:34]
	v_mul_f64 v[33:34], v[29:30], v[33:34]
	s_waitcnt vmcnt(0)
	v_fma_f64 v[29:30], v[29:30], v[35:36], -v[37:38]
	v_fma_f64 v[31:32], v[31:32], v[35:36], v[33:34]
	v_add_f64 v[1:2], v[1:2], v[29:30]
	v_add_f64 v[3:4], v[3:4], v[31:32]
	s_andn2_b32 exec_lo, exec_lo, s60
	s_cbranch_execnz .LBB52_756
; %bb.757:
	s_or_b32 exec_lo, exec_lo, s60
.LBB52_758:
	s_or_b32 exec_lo, exec_lo, s8
	v_mov_b32_e32 v26, 0
	ds_read_b128 v[26:29], v26 offset:688
	s_waitcnt lgkmcnt(0)
	v_mul_f64 v[30:31], v[3:4], v[28:29]
	v_mul_f64 v[28:29], v[1:2], v[28:29]
	v_fma_f64 v[1:2], v[1:2], v[26:27], -v[30:31]
	v_fma_f64 v[3:4], v[3:4], v[26:27], v[28:29]
	buffer_store_dword v2, off, s[0:3], 0 offset:692
	buffer_store_dword v1, off, s[0:3], 0 offset:688
	;; [unrolled: 1-line block ×4, first 2 shown]
.LBB52_759:
	s_or_b32 exec_lo, exec_lo, s4
	v_mov_b32_e32 v4, s15
	s_mov_b32 s4, exec_lo
	s_clause 0x3
	buffer_load_dword v1, v4, s[0:3], 0 offen
	buffer_load_dword v2, v4, s[0:3], 0 offen offset:4
	buffer_load_dword v3, v4, s[0:3], 0 offen offset:8
	;; [unrolled: 1-line block ×3, first 2 shown]
	s_waitcnt vmcnt(0)
	ds_write_b128 v24, v[1:4]
	s_waitcnt lgkmcnt(0)
	s_waitcnt_vscnt null, 0x0
	s_barrier
	buffer_gl0_inv
	v_cmpx_gt_u32_e32 44, v0
	s_cbranch_execz .LBB52_767
; %bb.760:
	ds_read_b128 v[1:4], v24
	v_cmp_ne_u32_e32 vcc_lo, 1, v25
	s_cbranch_vccnz .LBB52_762
; %bb.761:
	s_clause 0x3
	buffer_load_dword v26, v23, s[0:3], 0 offen offset:8
	buffer_load_dword v27, v23, s[0:3], 0 offen offset:12
	buffer_load_dword v28, v23, s[0:3], 0 offen
	buffer_load_dword v29, v23, s[0:3], 0 offen offset:4
	s_waitcnt vmcnt(2) lgkmcnt(0)
	v_mul_f64 v[30:31], v[3:4], v[26:27]
	v_mul_f64 v[26:27], v[1:2], v[26:27]
	s_waitcnt vmcnt(0)
	v_fma_f64 v[1:2], v[1:2], v[28:29], -v[30:31]
	v_fma_f64 v[3:4], v[3:4], v[28:29], v[26:27]
.LBB52_762:
	s_mov_b32 s8, exec_lo
	v_cmpx_ne_u32_e32 43, v0
	s_cbranch_execz .LBB52_766
; %bb.763:
	v_add_nc_u32_e32 v26, 0x360, v133
	v_add3_u32 v27, 0, v133, 16
	v_mov_b32_e32 v28, v0
	s_mov_b32 s60, 0
	.p2align	6
.LBB52_764:                             ; =>This Inner Loop Header: Depth=1
	s_clause 0x3
	buffer_load_dword v33, v27, s[0:3], 0 offen offset:8
	buffer_load_dword v34, v27, s[0:3], 0 offen offset:12
	buffer_load_dword v35, v27, s[0:3], 0 offen
	buffer_load_dword v36, v27, s[0:3], 0 offen offset:4
	ds_read_b128 v[29:32], v26
	v_add_nc_u32_e32 v28, 1, v28
	v_add_nc_u32_e32 v26, 16, v26
	;; [unrolled: 1-line block ×3, first 2 shown]
	v_cmp_lt_u32_e32 vcc_lo, 42, v28
	s_or_b32 s60, vcc_lo, s60
	s_waitcnt vmcnt(2) lgkmcnt(0)
	v_mul_f64 v[37:38], v[31:32], v[33:34]
	v_mul_f64 v[33:34], v[29:30], v[33:34]
	s_waitcnt vmcnt(0)
	v_fma_f64 v[29:30], v[29:30], v[35:36], -v[37:38]
	v_fma_f64 v[31:32], v[31:32], v[35:36], v[33:34]
	v_add_f64 v[1:2], v[1:2], v[29:30]
	v_add_f64 v[3:4], v[3:4], v[31:32]
	s_andn2_b32 exec_lo, exec_lo, s60
	s_cbranch_execnz .LBB52_764
; %bb.765:
	s_or_b32 exec_lo, exec_lo, s60
.LBB52_766:
	s_or_b32 exec_lo, exec_lo, s8
	v_mov_b32_e32 v26, 0
	ds_read_b128 v[26:29], v26 offset:704
	s_waitcnt lgkmcnt(0)
	v_mul_f64 v[30:31], v[3:4], v[28:29]
	v_mul_f64 v[28:29], v[1:2], v[28:29]
	v_fma_f64 v[1:2], v[1:2], v[26:27], -v[30:31]
	v_fma_f64 v[3:4], v[3:4], v[26:27], v[28:29]
	buffer_store_dword v2, off, s[0:3], 0 offset:708
	buffer_store_dword v1, off, s[0:3], 0 offset:704
	;; [unrolled: 1-line block ×4, first 2 shown]
.LBB52_767:
	s_or_b32 exec_lo, exec_lo, s4
	v_mov_b32_e32 v4, s14
	s_mov_b32 s4, exec_lo
	s_clause 0x3
	buffer_load_dword v1, v4, s[0:3], 0 offen
	buffer_load_dword v2, v4, s[0:3], 0 offen offset:4
	buffer_load_dword v3, v4, s[0:3], 0 offen offset:8
	;; [unrolled: 1-line block ×3, first 2 shown]
	s_waitcnt vmcnt(0)
	ds_write_b128 v24, v[1:4]
	s_waitcnt lgkmcnt(0)
	s_waitcnt_vscnt null, 0x0
	s_barrier
	buffer_gl0_inv
	v_cmpx_gt_u32_e32 45, v0
	s_cbranch_execz .LBB52_775
; %bb.768:
	ds_read_b128 v[1:4], v24
	v_cmp_ne_u32_e32 vcc_lo, 1, v25
	s_cbranch_vccnz .LBB52_770
; %bb.769:
	s_clause 0x3
	buffer_load_dword v26, v23, s[0:3], 0 offen offset:8
	buffer_load_dword v27, v23, s[0:3], 0 offen offset:12
	buffer_load_dword v28, v23, s[0:3], 0 offen
	buffer_load_dword v29, v23, s[0:3], 0 offen offset:4
	s_waitcnt vmcnt(2) lgkmcnt(0)
	v_mul_f64 v[30:31], v[3:4], v[26:27]
	v_mul_f64 v[26:27], v[1:2], v[26:27]
	s_waitcnt vmcnt(0)
	v_fma_f64 v[1:2], v[1:2], v[28:29], -v[30:31]
	v_fma_f64 v[3:4], v[3:4], v[28:29], v[26:27]
.LBB52_770:
	s_mov_b32 s8, exec_lo
	v_cmpx_ne_u32_e32 44, v0
	s_cbranch_execz .LBB52_774
; %bb.771:
	v_add_nc_u32_e32 v26, 0x360, v133
	v_add3_u32 v27, 0, v133, 16
	v_mov_b32_e32 v28, v0
	s_mov_b32 s60, 0
	.p2align	6
.LBB52_772:                             ; =>This Inner Loop Header: Depth=1
	s_clause 0x3
	buffer_load_dword v33, v27, s[0:3], 0 offen offset:8
	buffer_load_dword v34, v27, s[0:3], 0 offen offset:12
	buffer_load_dword v35, v27, s[0:3], 0 offen
	buffer_load_dword v36, v27, s[0:3], 0 offen offset:4
	ds_read_b128 v[29:32], v26
	v_add_nc_u32_e32 v28, 1, v28
	v_add_nc_u32_e32 v26, 16, v26
	;; [unrolled: 1-line block ×3, first 2 shown]
	v_cmp_lt_u32_e32 vcc_lo, 43, v28
	s_or_b32 s60, vcc_lo, s60
	s_waitcnt vmcnt(2) lgkmcnt(0)
	v_mul_f64 v[37:38], v[31:32], v[33:34]
	v_mul_f64 v[33:34], v[29:30], v[33:34]
	s_waitcnt vmcnt(0)
	v_fma_f64 v[29:30], v[29:30], v[35:36], -v[37:38]
	v_fma_f64 v[31:32], v[31:32], v[35:36], v[33:34]
	v_add_f64 v[1:2], v[1:2], v[29:30]
	v_add_f64 v[3:4], v[3:4], v[31:32]
	s_andn2_b32 exec_lo, exec_lo, s60
	s_cbranch_execnz .LBB52_772
; %bb.773:
	s_or_b32 exec_lo, exec_lo, s60
.LBB52_774:
	s_or_b32 exec_lo, exec_lo, s8
	v_mov_b32_e32 v26, 0
	ds_read_b128 v[26:29], v26 offset:720
	s_waitcnt lgkmcnt(0)
	v_mul_f64 v[30:31], v[3:4], v[28:29]
	v_mul_f64 v[28:29], v[1:2], v[28:29]
	v_fma_f64 v[1:2], v[1:2], v[26:27], -v[30:31]
	v_fma_f64 v[3:4], v[3:4], v[26:27], v[28:29]
	buffer_store_dword v2, off, s[0:3], 0 offset:724
	buffer_store_dword v1, off, s[0:3], 0 offset:720
	;; [unrolled: 1-line block ×4, first 2 shown]
.LBB52_775:
	s_or_b32 exec_lo, exec_lo, s4
	v_mov_b32_e32 v4, s13
	s_mov_b32 s4, exec_lo
	s_clause 0x3
	buffer_load_dword v1, v4, s[0:3], 0 offen
	buffer_load_dword v2, v4, s[0:3], 0 offen offset:4
	buffer_load_dword v3, v4, s[0:3], 0 offen offset:8
	;; [unrolled: 1-line block ×3, first 2 shown]
	s_waitcnt vmcnt(0)
	ds_write_b128 v24, v[1:4]
	s_waitcnt lgkmcnt(0)
	s_waitcnt_vscnt null, 0x0
	s_barrier
	buffer_gl0_inv
	v_cmpx_gt_u32_e32 46, v0
	s_cbranch_execz .LBB52_783
; %bb.776:
	ds_read_b128 v[1:4], v24
	v_cmp_ne_u32_e32 vcc_lo, 1, v25
	s_cbranch_vccnz .LBB52_778
; %bb.777:
	s_clause 0x3
	buffer_load_dword v26, v23, s[0:3], 0 offen offset:8
	buffer_load_dword v27, v23, s[0:3], 0 offen offset:12
	buffer_load_dword v28, v23, s[0:3], 0 offen
	buffer_load_dword v29, v23, s[0:3], 0 offen offset:4
	s_waitcnt vmcnt(2) lgkmcnt(0)
	v_mul_f64 v[30:31], v[3:4], v[26:27]
	v_mul_f64 v[26:27], v[1:2], v[26:27]
	s_waitcnt vmcnt(0)
	v_fma_f64 v[1:2], v[1:2], v[28:29], -v[30:31]
	v_fma_f64 v[3:4], v[3:4], v[28:29], v[26:27]
.LBB52_778:
	s_mov_b32 s8, exec_lo
	v_cmpx_ne_u32_e32 45, v0
	s_cbranch_execz .LBB52_782
; %bb.779:
	v_add_nc_u32_e32 v26, 0x360, v133
	v_add3_u32 v27, 0, v133, 16
	v_mov_b32_e32 v28, v0
	s_mov_b32 s60, 0
	.p2align	6
.LBB52_780:                             ; =>This Inner Loop Header: Depth=1
	s_clause 0x3
	buffer_load_dword v33, v27, s[0:3], 0 offen offset:8
	buffer_load_dword v34, v27, s[0:3], 0 offen offset:12
	buffer_load_dword v35, v27, s[0:3], 0 offen
	buffer_load_dword v36, v27, s[0:3], 0 offen offset:4
	ds_read_b128 v[29:32], v26
	v_add_nc_u32_e32 v28, 1, v28
	v_add_nc_u32_e32 v26, 16, v26
	;; [unrolled: 1-line block ×3, first 2 shown]
	v_cmp_lt_u32_e32 vcc_lo, 44, v28
	s_or_b32 s60, vcc_lo, s60
	s_waitcnt vmcnt(2) lgkmcnt(0)
	v_mul_f64 v[37:38], v[31:32], v[33:34]
	v_mul_f64 v[33:34], v[29:30], v[33:34]
	s_waitcnt vmcnt(0)
	v_fma_f64 v[29:30], v[29:30], v[35:36], -v[37:38]
	v_fma_f64 v[31:32], v[31:32], v[35:36], v[33:34]
	v_add_f64 v[1:2], v[1:2], v[29:30]
	v_add_f64 v[3:4], v[3:4], v[31:32]
	s_andn2_b32 exec_lo, exec_lo, s60
	s_cbranch_execnz .LBB52_780
; %bb.781:
	s_or_b32 exec_lo, exec_lo, s60
.LBB52_782:
	s_or_b32 exec_lo, exec_lo, s8
	v_mov_b32_e32 v26, 0
	ds_read_b128 v[26:29], v26 offset:736
	s_waitcnt lgkmcnt(0)
	v_mul_f64 v[30:31], v[3:4], v[28:29]
	v_mul_f64 v[28:29], v[1:2], v[28:29]
	v_fma_f64 v[1:2], v[1:2], v[26:27], -v[30:31]
	v_fma_f64 v[3:4], v[3:4], v[26:27], v[28:29]
	buffer_store_dword v2, off, s[0:3], 0 offset:740
	buffer_store_dword v1, off, s[0:3], 0 offset:736
	;; [unrolled: 1-line block ×4, first 2 shown]
.LBB52_783:
	s_or_b32 exec_lo, exec_lo, s4
	v_mov_b32_e32 v4, s12
	s_mov_b32 s4, exec_lo
	s_clause 0x3
	buffer_load_dword v1, v4, s[0:3], 0 offen
	buffer_load_dword v2, v4, s[0:3], 0 offen offset:4
	buffer_load_dword v3, v4, s[0:3], 0 offen offset:8
	;; [unrolled: 1-line block ×3, first 2 shown]
	s_waitcnt vmcnt(0)
	ds_write_b128 v24, v[1:4]
	s_waitcnt lgkmcnt(0)
	s_waitcnt_vscnt null, 0x0
	s_barrier
	buffer_gl0_inv
	v_cmpx_gt_u32_e32 47, v0
	s_cbranch_execz .LBB52_791
; %bb.784:
	ds_read_b128 v[1:4], v24
	v_cmp_ne_u32_e32 vcc_lo, 1, v25
	s_cbranch_vccnz .LBB52_786
; %bb.785:
	s_clause 0x3
	buffer_load_dword v26, v23, s[0:3], 0 offen offset:8
	buffer_load_dword v27, v23, s[0:3], 0 offen offset:12
	buffer_load_dword v28, v23, s[0:3], 0 offen
	buffer_load_dword v29, v23, s[0:3], 0 offen offset:4
	s_waitcnt vmcnt(2) lgkmcnt(0)
	v_mul_f64 v[30:31], v[3:4], v[26:27]
	v_mul_f64 v[26:27], v[1:2], v[26:27]
	s_waitcnt vmcnt(0)
	v_fma_f64 v[1:2], v[1:2], v[28:29], -v[30:31]
	v_fma_f64 v[3:4], v[3:4], v[28:29], v[26:27]
.LBB52_786:
	s_mov_b32 s8, exec_lo
	v_cmpx_ne_u32_e32 46, v0
	s_cbranch_execz .LBB52_790
; %bb.787:
	v_add_nc_u32_e32 v26, 0x360, v133
	v_add3_u32 v27, 0, v133, 16
	v_mov_b32_e32 v28, v0
	s_mov_b32 s60, 0
	.p2align	6
.LBB52_788:                             ; =>This Inner Loop Header: Depth=1
	s_clause 0x3
	buffer_load_dword v33, v27, s[0:3], 0 offen offset:8
	buffer_load_dword v34, v27, s[0:3], 0 offen offset:12
	buffer_load_dword v35, v27, s[0:3], 0 offen
	buffer_load_dword v36, v27, s[0:3], 0 offen offset:4
	ds_read_b128 v[29:32], v26
	v_add_nc_u32_e32 v28, 1, v28
	v_add_nc_u32_e32 v26, 16, v26
	;; [unrolled: 1-line block ×3, first 2 shown]
	v_cmp_lt_u32_e32 vcc_lo, 45, v28
	s_or_b32 s60, vcc_lo, s60
	s_waitcnt vmcnt(2) lgkmcnt(0)
	v_mul_f64 v[37:38], v[31:32], v[33:34]
	v_mul_f64 v[33:34], v[29:30], v[33:34]
	s_waitcnt vmcnt(0)
	v_fma_f64 v[29:30], v[29:30], v[35:36], -v[37:38]
	v_fma_f64 v[31:32], v[31:32], v[35:36], v[33:34]
	v_add_f64 v[1:2], v[1:2], v[29:30]
	v_add_f64 v[3:4], v[3:4], v[31:32]
	s_andn2_b32 exec_lo, exec_lo, s60
	s_cbranch_execnz .LBB52_788
; %bb.789:
	s_or_b32 exec_lo, exec_lo, s60
.LBB52_790:
	s_or_b32 exec_lo, exec_lo, s8
	v_mov_b32_e32 v26, 0
	ds_read_b128 v[26:29], v26 offset:752
	s_waitcnt lgkmcnt(0)
	v_mul_f64 v[30:31], v[3:4], v[28:29]
	v_mul_f64 v[28:29], v[1:2], v[28:29]
	v_fma_f64 v[1:2], v[1:2], v[26:27], -v[30:31]
	v_fma_f64 v[3:4], v[3:4], v[26:27], v[28:29]
	buffer_store_dword v2, off, s[0:3], 0 offset:756
	buffer_store_dword v1, off, s[0:3], 0 offset:752
	;; [unrolled: 1-line block ×4, first 2 shown]
.LBB52_791:
	s_or_b32 exec_lo, exec_lo, s4
	v_mov_b32_e32 v4, s11
	s_mov_b32 s4, exec_lo
	s_clause 0x3
	buffer_load_dword v1, v4, s[0:3], 0 offen
	buffer_load_dword v2, v4, s[0:3], 0 offen offset:4
	buffer_load_dword v3, v4, s[0:3], 0 offen offset:8
	;; [unrolled: 1-line block ×3, first 2 shown]
	s_waitcnt vmcnt(0)
	ds_write_b128 v24, v[1:4]
	s_waitcnt lgkmcnt(0)
	s_waitcnt_vscnt null, 0x0
	s_barrier
	buffer_gl0_inv
	v_cmpx_gt_u32_e32 48, v0
	s_cbranch_execz .LBB52_799
; %bb.792:
	ds_read_b128 v[1:4], v24
	v_cmp_ne_u32_e32 vcc_lo, 1, v25
	s_cbranch_vccnz .LBB52_794
; %bb.793:
	s_clause 0x3
	buffer_load_dword v26, v23, s[0:3], 0 offen offset:8
	buffer_load_dword v27, v23, s[0:3], 0 offen offset:12
	buffer_load_dword v28, v23, s[0:3], 0 offen
	buffer_load_dword v29, v23, s[0:3], 0 offen offset:4
	s_waitcnt vmcnt(2) lgkmcnt(0)
	v_mul_f64 v[30:31], v[3:4], v[26:27]
	v_mul_f64 v[26:27], v[1:2], v[26:27]
	s_waitcnt vmcnt(0)
	v_fma_f64 v[1:2], v[1:2], v[28:29], -v[30:31]
	v_fma_f64 v[3:4], v[3:4], v[28:29], v[26:27]
.LBB52_794:
	s_mov_b32 s8, exec_lo
	v_cmpx_ne_u32_e32 47, v0
	s_cbranch_execz .LBB52_798
; %bb.795:
	v_add_nc_u32_e32 v26, 0x360, v133
	v_add3_u32 v27, 0, v133, 16
	v_mov_b32_e32 v28, v0
	s_mov_b32 s60, 0
	.p2align	6
.LBB52_796:                             ; =>This Inner Loop Header: Depth=1
	s_clause 0x3
	buffer_load_dword v33, v27, s[0:3], 0 offen offset:8
	buffer_load_dword v34, v27, s[0:3], 0 offen offset:12
	buffer_load_dword v35, v27, s[0:3], 0 offen
	buffer_load_dword v36, v27, s[0:3], 0 offen offset:4
	ds_read_b128 v[29:32], v26
	v_add_nc_u32_e32 v28, 1, v28
	v_add_nc_u32_e32 v26, 16, v26
	;; [unrolled: 1-line block ×3, first 2 shown]
	v_cmp_lt_u32_e32 vcc_lo, 46, v28
	s_or_b32 s60, vcc_lo, s60
	s_waitcnt vmcnt(2) lgkmcnt(0)
	v_mul_f64 v[37:38], v[31:32], v[33:34]
	v_mul_f64 v[33:34], v[29:30], v[33:34]
	s_waitcnt vmcnt(0)
	v_fma_f64 v[29:30], v[29:30], v[35:36], -v[37:38]
	v_fma_f64 v[31:32], v[31:32], v[35:36], v[33:34]
	v_add_f64 v[1:2], v[1:2], v[29:30]
	v_add_f64 v[3:4], v[3:4], v[31:32]
	s_andn2_b32 exec_lo, exec_lo, s60
	s_cbranch_execnz .LBB52_796
; %bb.797:
	s_or_b32 exec_lo, exec_lo, s60
.LBB52_798:
	s_or_b32 exec_lo, exec_lo, s8
	v_mov_b32_e32 v26, 0
	ds_read_b128 v[26:29], v26 offset:768
	s_waitcnt lgkmcnt(0)
	v_mul_f64 v[30:31], v[3:4], v[28:29]
	v_mul_f64 v[28:29], v[1:2], v[28:29]
	v_fma_f64 v[1:2], v[1:2], v[26:27], -v[30:31]
	v_fma_f64 v[3:4], v[3:4], v[26:27], v[28:29]
	buffer_store_dword v2, off, s[0:3], 0 offset:772
	buffer_store_dword v1, off, s[0:3], 0 offset:768
	;; [unrolled: 1-line block ×4, first 2 shown]
.LBB52_799:
	s_or_b32 exec_lo, exec_lo, s4
	v_mov_b32_e32 v4, s10
	s_mov_b32 s4, exec_lo
	s_clause 0x3
	buffer_load_dword v1, v4, s[0:3], 0 offen
	buffer_load_dword v2, v4, s[0:3], 0 offen offset:4
	buffer_load_dword v3, v4, s[0:3], 0 offen offset:8
	;; [unrolled: 1-line block ×3, first 2 shown]
	s_waitcnt vmcnt(0)
	ds_write_b128 v24, v[1:4]
	s_waitcnt lgkmcnt(0)
	s_waitcnt_vscnt null, 0x0
	s_barrier
	buffer_gl0_inv
	v_cmpx_gt_u32_e32 49, v0
	s_cbranch_execz .LBB52_807
; %bb.800:
	ds_read_b128 v[1:4], v24
	v_cmp_ne_u32_e32 vcc_lo, 1, v25
	s_cbranch_vccnz .LBB52_802
; %bb.801:
	s_clause 0x3
	buffer_load_dword v26, v23, s[0:3], 0 offen offset:8
	buffer_load_dword v27, v23, s[0:3], 0 offen offset:12
	buffer_load_dword v28, v23, s[0:3], 0 offen
	buffer_load_dword v29, v23, s[0:3], 0 offen offset:4
	s_waitcnt vmcnt(2) lgkmcnt(0)
	v_mul_f64 v[30:31], v[3:4], v[26:27]
	v_mul_f64 v[26:27], v[1:2], v[26:27]
	s_waitcnt vmcnt(0)
	v_fma_f64 v[1:2], v[1:2], v[28:29], -v[30:31]
	v_fma_f64 v[3:4], v[3:4], v[28:29], v[26:27]
.LBB52_802:
	s_mov_b32 s8, exec_lo
	v_cmpx_ne_u32_e32 48, v0
	s_cbranch_execz .LBB52_806
; %bb.803:
	v_add_nc_u32_e32 v26, 0x360, v133
	v_add3_u32 v27, 0, v133, 16
	v_mov_b32_e32 v28, v0
	s_mov_b32 s60, 0
	.p2align	6
.LBB52_804:                             ; =>This Inner Loop Header: Depth=1
	s_clause 0x3
	buffer_load_dword v33, v27, s[0:3], 0 offen offset:8
	buffer_load_dword v34, v27, s[0:3], 0 offen offset:12
	buffer_load_dword v35, v27, s[0:3], 0 offen
	buffer_load_dword v36, v27, s[0:3], 0 offen offset:4
	ds_read_b128 v[29:32], v26
	v_add_nc_u32_e32 v28, 1, v28
	v_add_nc_u32_e32 v26, 16, v26
	;; [unrolled: 1-line block ×3, first 2 shown]
	v_cmp_lt_u32_e32 vcc_lo, 47, v28
	s_or_b32 s60, vcc_lo, s60
	s_waitcnt vmcnt(2) lgkmcnt(0)
	v_mul_f64 v[37:38], v[31:32], v[33:34]
	v_mul_f64 v[33:34], v[29:30], v[33:34]
	s_waitcnt vmcnt(0)
	v_fma_f64 v[29:30], v[29:30], v[35:36], -v[37:38]
	v_fma_f64 v[31:32], v[31:32], v[35:36], v[33:34]
	v_add_f64 v[1:2], v[1:2], v[29:30]
	v_add_f64 v[3:4], v[3:4], v[31:32]
	s_andn2_b32 exec_lo, exec_lo, s60
	s_cbranch_execnz .LBB52_804
; %bb.805:
	s_or_b32 exec_lo, exec_lo, s60
.LBB52_806:
	s_or_b32 exec_lo, exec_lo, s8
	v_mov_b32_e32 v26, 0
	ds_read_b128 v[26:29], v26 offset:784
	s_waitcnt lgkmcnt(0)
	v_mul_f64 v[30:31], v[3:4], v[28:29]
	v_mul_f64 v[28:29], v[1:2], v[28:29]
	v_fma_f64 v[1:2], v[1:2], v[26:27], -v[30:31]
	v_fma_f64 v[3:4], v[3:4], v[26:27], v[28:29]
	buffer_store_dword v2, off, s[0:3], 0 offset:788
	buffer_store_dword v1, off, s[0:3], 0 offset:784
	;; [unrolled: 1-line block ×4, first 2 shown]
.LBB52_807:
	s_or_b32 exec_lo, exec_lo, s4
	v_mov_b32_e32 v4, s9
	s_mov_b32 s4, exec_lo
	s_clause 0x3
	buffer_load_dword v1, v4, s[0:3], 0 offen
	buffer_load_dword v2, v4, s[0:3], 0 offen offset:4
	buffer_load_dword v3, v4, s[0:3], 0 offen offset:8
	;; [unrolled: 1-line block ×3, first 2 shown]
	s_waitcnt vmcnt(0)
	ds_write_b128 v24, v[1:4]
	s_waitcnt lgkmcnt(0)
	s_waitcnt_vscnt null, 0x0
	s_barrier
	buffer_gl0_inv
	v_cmpx_gt_u32_e32 50, v0
	s_cbranch_execz .LBB52_815
; %bb.808:
	ds_read_b128 v[1:4], v24
	v_cmp_ne_u32_e32 vcc_lo, 1, v25
	s_cbranch_vccnz .LBB52_810
; %bb.809:
	s_clause 0x3
	buffer_load_dword v26, v23, s[0:3], 0 offen offset:8
	buffer_load_dword v27, v23, s[0:3], 0 offen offset:12
	buffer_load_dword v28, v23, s[0:3], 0 offen
	buffer_load_dword v29, v23, s[0:3], 0 offen offset:4
	s_waitcnt vmcnt(2) lgkmcnt(0)
	v_mul_f64 v[30:31], v[3:4], v[26:27]
	v_mul_f64 v[26:27], v[1:2], v[26:27]
	s_waitcnt vmcnt(0)
	v_fma_f64 v[1:2], v[1:2], v[28:29], -v[30:31]
	v_fma_f64 v[3:4], v[3:4], v[28:29], v[26:27]
.LBB52_810:
	s_mov_b32 s8, exec_lo
	v_cmpx_ne_u32_e32 49, v0
	s_cbranch_execz .LBB52_814
; %bb.811:
	v_add_nc_u32_e32 v26, 0x360, v133
	v_add3_u32 v27, 0, v133, 16
	v_mov_b32_e32 v28, v0
	s_mov_b32 s60, 0
	.p2align	6
.LBB52_812:                             ; =>This Inner Loop Header: Depth=1
	s_clause 0x3
	buffer_load_dword v33, v27, s[0:3], 0 offen offset:8
	buffer_load_dword v34, v27, s[0:3], 0 offen offset:12
	buffer_load_dword v35, v27, s[0:3], 0 offen
	buffer_load_dword v36, v27, s[0:3], 0 offen offset:4
	ds_read_b128 v[29:32], v26
	v_add_nc_u32_e32 v28, 1, v28
	v_add_nc_u32_e32 v26, 16, v26
	;; [unrolled: 1-line block ×3, first 2 shown]
	v_cmp_lt_u32_e32 vcc_lo, 48, v28
	s_or_b32 s60, vcc_lo, s60
	s_waitcnt vmcnt(2) lgkmcnt(0)
	v_mul_f64 v[37:38], v[31:32], v[33:34]
	v_mul_f64 v[33:34], v[29:30], v[33:34]
	s_waitcnt vmcnt(0)
	v_fma_f64 v[29:30], v[29:30], v[35:36], -v[37:38]
	v_fma_f64 v[31:32], v[31:32], v[35:36], v[33:34]
	v_add_f64 v[1:2], v[1:2], v[29:30]
	v_add_f64 v[3:4], v[3:4], v[31:32]
	s_andn2_b32 exec_lo, exec_lo, s60
	s_cbranch_execnz .LBB52_812
; %bb.813:
	s_or_b32 exec_lo, exec_lo, s60
.LBB52_814:
	s_or_b32 exec_lo, exec_lo, s8
	v_mov_b32_e32 v26, 0
	ds_read_b128 v[26:29], v26 offset:800
	s_waitcnt lgkmcnt(0)
	v_mul_f64 v[30:31], v[3:4], v[28:29]
	v_mul_f64 v[28:29], v[1:2], v[28:29]
	v_fma_f64 v[1:2], v[1:2], v[26:27], -v[30:31]
	v_fma_f64 v[3:4], v[3:4], v[26:27], v[28:29]
	buffer_store_dword v2, off, s[0:3], 0 offset:804
	buffer_store_dword v1, off, s[0:3], 0 offset:800
	buffer_store_dword v4, off, s[0:3], 0 offset:812
	buffer_store_dword v3, off, s[0:3], 0 offset:808
.LBB52_815:
	s_or_b32 exec_lo, exec_lo, s4
	v_mov_b32_e32 v4, s7
	v_cmp_gt_u32_e64 s4, 51, v0
	s_clause 0x3
	buffer_load_dword v1, v4, s[0:3], 0 offen
	buffer_load_dword v2, v4, s[0:3], 0 offen offset:4
	buffer_load_dword v3, v4, s[0:3], 0 offen offset:8
	buffer_load_dword v4, v4, s[0:3], 0 offen offset:12
	s_waitcnt vmcnt(0)
	ds_write_b128 v24, v[1:4]
	s_waitcnt lgkmcnt(0)
	s_waitcnt_vscnt null, 0x0
	s_barrier
	buffer_gl0_inv
	s_and_saveexec_b32 s8, s4
	s_cbranch_execz .LBB52_823
; %bb.816:
	ds_read_b128 v[1:4], v24
	v_cmp_ne_u32_e32 vcc_lo, 1, v25
	s_cbranch_vccnz .LBB52_818
; %bb.817:
	s_clause 0x3
	buffer_load_dword v26, v23, s[0:3], 0 offen offset:8
	buffer_load_dword v27, v23, s[0:3], 0 offen offset:12
	buffer_load_dword v28, v23, s[0:3], 0 offen
	buffer_load_dword v29, v23, s[0:3], 0 offen offset:4
	s_waitcnt vmcnt(2) lgkmcnt(0)
	v_mul_f64 v[30:31], v[3:4], v[26:27]
	v_mul_f64 v[26:27], v[1:2], v[26:27]
	s_waitcnt vmcnt(0)
	v_fma_f64 v[1:2], v[1:2], v[28:29], -v[30:31]
	v_fma_f64 v[3:4], v[3:4], v[28:29], v[26:27]
.LBB52_818:
	s_mov_b32 s60, exec_lo
	v_cmpx_ne_u32_e32 50, v0
	s_cbranch_execz .LBB52_822
; %bb.819:
	v_add_nc_u32_e32 v26, 0x360, v133
	v_add3_u32 v27, 0, v133, 16
	v_mov_b32_e32 v28, v0
	s_mov_b32 s61, 0
	.p2align	6
.LBB52_820:                             ; =>This Inner Loop Header: Depth=1
	s_clause 0x3
	buffer_load_dword v33, v27, s[0:3], 0 offen offset:8
	buffer_load_dword v34, v27, s[0:3], 0 offen offset:12
	buffer_load_dword v35, v27, s[0:3], 0 offen
	buffer_load_dword v36, v27, s[0:3], 0 offen offset:4
	ds_read_b128 v[29:32], v26
	v_add_nc_u32_e32 v28, 1, v28
	v_add_nc_u32_e32 v26, 16, v26
	;; [unrolled: 1-line block ×3, first 2 shown]
	v_cmp_lt_u32_e32 vcc_lo, 49, v28
	s_or_b32 s61, vcc_lo, s61
	s_waitcnt vmcnt(2) lgkmcnt(0)
	v_mul_f64 v[37:38], v[31:32], v[33:34]
	v_mul_f64 v[33:34], v[29:30], v[33:34]
	s_waitcnt vmcnt(0)
	v_fma_f64 v[29:30], v[29:30], v[35:36], -v[37:38]
	v_fma_f64 v[31:32], v[31:32], v[35:36], v[33:34]
	v_add_f64 v[1:2], v[1:2], v[29:30]
	v_add_f64 v[3:4], v[3:4], v[31:32]
	s_andn2_b32 exec_lo, exec_lo, s61
	s_cbranch_execnz .LBB52_820
; %bb.821:
	s_or_b32 exec_lo, exec_lo, s61
.LBB52_822:
	s_or_b32 exec_lo, exec_lo, s60
	v_mov_b32_e32 v26, 0
	ds_read_b128 v[26:29], v26 offset:816
	s_waitcnt lgkmcnt(0)
	v_mul_f64 v[30:31], v[3:4], v[28:29]
	v_mul_f64 v[28:29], v[1:2], v[28:29]
	v_fma_f64 v[1:2], v[1:2], v[26:27], -v[30:31]
	v_fma_f64 v[3:4], v[3:4], v[26:27], v[28:29]
	buffer_store_dword v2, off, s[0:3], 0 offset:820
	buffer_store_dword v1, off, s[0:3], 0 offset:816
	;; [unrolled: 1-line block ×4, first 2 shown]
.LBB52_823:
	s_or_b32 exec_lo, exec_lo, s8
	v_mov_b32_e32 v4, s6
	s_mov_b32 s8, exec_lo
                                        ; implicit-def: $sgpr62
	s_clause 0x3
	buffer_load_dword v1, v4, s[0:3], 0 offen
	buffer_load_dword v2, v4, s[0:3], 0 offen offset:4
	buffer_load_dword v3, v4, s[0:3], 0 offen offset:8
	;; [unrolled: 1-line block ×3, first 2 shown]
	s_waitcnt vmcnt(0)
	ds_write_b128 v24, v[1:4]
	s_waitcnt lgkmcnt(0)
	s_waitcnt_vscnt null, 0x0
	s_barrier
	buffer_gl0_inv
                                        ; implicit-def: $vgpr1_vgpr2
	v_cmpx_ne_u32_e32 52, v0
	s_cbranch_execz .LBB52_831
; %bb.824:
	ds_read_b128 v[1:4], v24
	v_cmp_ne_u32_e32 vcc_lo, 1, v25
	s_cbranch_vccnz .LBB52_826
; %bb.825:
	s_clause 0x3
	buffer_load_dword v24, v23, s[0:3], 0 offen offset:8
	buffer_load_dword v25, v23, s[0:3], 0 offen offset:12
	buffer_load_dword v26, v23, s[0:3], 0 offen
	buffer_load_dword v27, v23, s[0:3], 0 offen offset:4
	s_waitcnt vmcnt(2) lgkmcnt(0)
	v_mul_f64 v[28:29], v[3:4], v[24:25]
	v_mul_f64 v[23:24], v[1:2], v[24:25]
	s_waitcnt vmcnt(0)
	v_fma_f64 v[1:2], v[1:2], v[26:27], -v[28:29]
	v_fma_f64 v[3:4], v[3:4], v[26:27], v[23:24]
.LBB52_826:
	s_and_saveexec_b32 s60, s4
	s_cbranch_execz .LBB52_830
; %bb.827:
	v_add_nc_u32_e32 v23, 0x360, v133
	v_add3_u32 v24, 0, v133, 16
	s_mov_b32 s4, 0
	.p2align	6
.LBB52_828:                             ; =>This Inner Loop Header: Depth=1
	s_clause 0x3
	buffer_load_dword v29, v24, s[0:3], 0 offen offset:8
	buffer_load_dword v30, v24, s[0:3], 0 offen offset:12
	buffer_load_dword v31, v24, s[0:3], 0 offen
	buffer_load_dword v32, v24, s[0:3], 0 offen offset:4
	ds_read_b128 v[25:28], v23
	v_add_nc_u32_e32 v0, 1, v0
	v_add_nc_u32_e32 v23, 16, v23
	;; [unrolled: 1-line block ×3, first 2 shown]
	v_cmp_lt_u32_e32 vcc_lo, 50, v0
	s_or_b32 s4, vcc_lo, s4
	s_waitcnt vmcnt(2) lgkmcnt(0)
	v_mul_f64 v[33:34], v[27:28], v[29:30]
	v_mul_f64 v[29:30], v[25:26], v[29:30]
	s_waitcnt vmcnt(0)
	v_fma_f64 v[25:26], v[25:26], v[31:32], -v[33:34]
	v_fma_f64 v[27:28], v[27:28], v[31:32], v[29:30]
	v_add_f64 v[1:2], v[1:2], v[25:26]
	v_add_f64 v[3:4], v[3:4], v[27:28]
	s_andn2_b32 exec_lo, exec_lo, s4
	s_cbranch_execnz .LBB52_828
; %bb.829:
	s_or_b32 exec_lo, exec_lo, s4
.LBB52_830:
	s_or_b32 exec_lo, exec_lo, s60
	v_mov_b32_e32 v0, 0
	s_movk_i32 s62, 0x348
	s_or_b32 s5, s5, exec_lo
	ds_read_b128 v[23:26], v0 offset:832
	s_waitcnt lgkmcnt(0)
	v_mul_f64 v[27:28], v[3:4], v[25:26]
	v_mul_f64 v[25:26], v[1:2], v[25:26]
	v_fma_f64 v[27:28], v[1:2], v[23:24], -v[27:28]
	v_fma_f64 v[1:2], v[3:4], v[23:24], v[25:26]
	buffer_store_dword v28, off, s[0:3], 0 offset:836
	buffer_store_dword v27, off, s[0:3], 0 offset:832
.LBB52_831:
	s_or_b32 exec_lo, exec_lo, s8
.LBB52_832:
	s_and_saveexec_b32 s4, s5
	s_cbranch_execz .LBB52_834
; %bb.833:
	v_mov_b32_e32 v0, s62
	buffer_store_dword v2, v0, s[0:3], 0 offen offset:4
	buffer_store_dword v1, v0, s[0:3], 0 offen
.LBB52_834:
	s_or_b32 exec_lo, exec_lo, s4
	s_clause 0x3
	buffer_load_dword v0, off, s[0:3], 0
	buffer_load_dword v1, off, s[0:3], 0 offset:4
	buffer_load_dword v2, off, s[0:3], 0 offset:8
	;; [unrolled: 1-line block ×3, first 2 shown]
	v_mov_b32_e32 v4, s59
	v_mov_b32_e32 v43, s53
	v_mov_b32_e32 v145, s17
	v_mov_b32_e32 v147, s15
	s_clause 0x3
	buffer_load_dword v23, v4, s[0:3], 0 offen
	buffer_load_dword v24, v4, s[0:3], 0 offen offset:4
	buffer_load_dword v25, v4, s[0:3], 0 offen offset:8
	;; [unrolled: 1-line block ×3, first 2 shown]
	v_mov_b32_e32 v4, s58
	v_mov_b32_e32 v149, s13
	;; [unrolled: 1-line block ×3, first 2 shown]
	s_clause 0x3
	buffer_load_dword v27, v4, s[0:3], 0 offen
	buffer_load_dword v28, v4, s[0:3], 0 offen offset:4
	buffer_load_dword v29, v4, s[0:3], 0 offen offset:8
	buffer_load_dword v30, v4, s[0:3], 0 offen offset:12
	v_mov_b32_e32 v4, s57
	v_mov_b32_e32 v146, s16
	s_clause 0x3
	buffer_load_dword v31, v4, s[0:3], 0 offen
	buffer_load_dword v32, v4, s[0:3], 0 offen offset:4
	buffer_load_dword v33, v4, s[0:3], 0 offen offset:8
	buffer_load_dword v34, v4, s[0:3], 0 offen offset:12
	v_mov_b32_e32 v4, s56
	s_clause 0x3
	buffer_load_dword v35, v4, s[0:3], 0 offen
	buffer_load_dword v36, v4, s[0:3], 0 offen offset:4
	buffer_load_dword v37, v4, s[0:3], 0 offen offset:8
	buffer_load_dword v38, v4, s[0:3], 0 offen offset:12
	;; [unrolled: 6-line block ×4, first 2 shown]
	buffer_load_dword v137, v43, s[0:3], 0 offen
	buffer_load_dword v138, v43, s[0:3], 0 offen offset:4
	buffer_load_dword v139, v43, s[0:3], 0 offen offset:8
	;; [unrolled: 1-line block ×3, first 2 shown]
	v_mov_b32_e32 v4, s52
	v_mov_b32_e32 v43, s44
	;; [unrolled: 1-line block ×8, first 2 shown]
	s_waitcnt vmcnt(28)
	global_store_dwordx4 v[51:52], v[0:3], off
	s_clause 0x3
	buffer_load_dword v0, v4, s[0:3], 0 offen
	buffer_load_dword v1, v4, s[0:3], 0 offen offset:4
	buffer_load_dword v2, v4, s[0:3], 0 offen offset:8
	;; [unrolled: 1-line block ×3, first 2 shown]
	v_mov_b32_e32 v4, s51
	s_clause 0x3
	buffer_load_dword v141, v4, s[0:3], 0 offen
	buffer_load_dword v142, v4, s[0:3], 0 offen offset:4
	buffer_load_dword v143, v4, s[0:3], 0 offen offset:8
	;; [unrolled: 1-line block ×3, first 2 shown]
	v_mov_b32_e32 v4, s50
	s_waitcnt vmcnt(32)
	global_store_dwordx4 v[57:58], v[23:26], off
	s_clause 0x3
	buffer_load_dword v23, v4, s[0:3], 0 offen
	buffer_load_dword v24, v4, s[0:3], 0 offen offset:4
	buffer_load_dword v25, v4, s[0:3], 0 offen offset:8
	;; [unrolled: 1-line block ×3, first 2 shown]
	v_mov_b32_e32 v4, s49
	s_waitcnt vmcnt(32)
	global_store_dwordx4 v[53:54], v[27:30], off
	s_clause 0x3
	buffer_load_dword v27, v4, s[0:3], 0 offen
	buffer_load_dword v28, v4, s[0:3], 0 offen offset:4
	buffer_load_dword v29, v4, s[0:3], 0 offen offset:8
	;; [unrolled: 1-line block ×3, first 2 shown]
	v_mov_b32_e32 v4, s48
	s_clause 0x3
	buffer_load_dword v51, v4, s[0:3], 0 offen
	buffer_load_dword v52, v4, s[0:3], 0 offen offset:4
	buffer_load_dword v53, v4, s[0:3], 0 offen offset:8
	buffer_load_dword v54, v4, s[0:3], 0 offen offset:12
	v_mov_b32_e32 v4, s47
	s_waitcnt vmcnt(36)
	global_store_dwordx4 v[47:48], v[31:34], off
	s_clause 0x3
	buffer_load_dword v31, v4, s[0:3], 0 offen
	buffer_load_dword v32, v4, s[0:3], 0 offen offset:4
	buffer_load_dword v33, v4, s[0:3], 0 offen offset:8
	buffer_load_dword v34, v4, s[0:3], 0 offen offset:12
	v_mov_b32_e32 v4, s46
	s_waitcnt vmcnt(36)
	global_store_dwordx4 v[55:56], v[35:38], off
	;; [unrolled: 8-line block ×3, first 2 shown]
	s_clause 0x3
	buffer_load_dword v39, v4, s[0:3], 0 offen
	buffer_load_dword v40, v4, s[0:3], 0 offen offset:4
	buffer_load_dword v41, v4, s[0:3], 0 offen offset:8
	;; [unrolled: 1-line block ×3, first 2 shown]
	v_mov_b32_e32 v4, s43
	s_clause 0x3
	buffer_load_dword v55, v43, s[0:3], 0 offen
	buffer_load_dword v56, v43, s[0:3], 0 offen offset:4
	buffer_load_dword v57, v43, s[0:3], 0 offen offset:8
	;; [unrolled: 1-line block ×3, first 2 shown]
	v_mov_b32_e32 v59, s42
	s_waitcnt vmcnt(40)
	global_store_dwordx4 v[49:50], v[133:136], off
	s_clause 0x3
	buffer_load_dword v47, v4, s[0:3], 0 offen
	buffer_load_dword v48, v4, s[0:3], 0 offen offset:4
	buffer_load_dword v49, v4, s[0:3], 0 offen offset:8
	;; [unrolled: 1-line block ×3, first 2 shown]
	v_mov_b32_e32 v4, s40
	v_mov_b32_e32 v60, s41
	s_waitcnt vmcnt(40)
	global_store_dwordx4 v[45:46], v[137:140], off
	s_clause 0x7
	buffer_load_dword v43, v59, s[0:3], 0 offen
	buffer_load_dword v44, v59, s[0:3], 0 offen offset:4
	buffer_load_dword v45, v59, s[0:3], 0 offen offset:8
	;; [unrolled: 1-line block ×3, first 2 shown]
	buffer_load_dword v133, v60, s[0:3], 0 offen
	buffer_load_dword v134, v60, s[0:3], 0 offen offset:4
	buffer_load_dword v135, v60, s[0:3], 0 offen offset:8
	;; [unrolled: 1-line block ×3, first 2 shown]
	v_mov_b32_e32 v137, s39
	s_waitcnt vmcnt(44)
	global_store_dwordx4 v[61:62], v[0:3], off
	s_clause 0x7
	buffer_load_dword v0, v4, s[0:3], 0 offen
	buffer_load_dword v1, v4, s[0:3], 0 offen offset:4
	buffer_load_dword v2, v4, s[0:3], 0 offen offset:8
	;; [unrolled: 1-line block ×3, first 2 shown]
	buffer_load_dword v59, v137, s[0:3], 0 offen
	buffer_load_dword v60, v137, s[0:3], 0 offen offset:4
	buffer_load_dword v61, v137, s[0:3], 0 offen offset:8
	;; [unrolled: 1-line block ×3, first 2 shown]
	v_mov_b32_e32 v4, s38
	s_waitcnt vmcnt(48)
	global_store_dwordx4 v[69:70], v[141:144], off
	s_clause 0x3
	buffer_load_dword v137, v4, s[0:3], 0 offen
	buffer_load_dword v138, v4, s[0:3], 0 offen offset:4
	buffer_load_dword v139, v4, s[0:3], 0 offen offset:8
	;; [unrolled: 1-line block ×3, first 2 shown]
	v_mov_b32_e32 v4, s37
	v_mov_b32_e32 v69, s36
	;; [unrolled: 1-line block ×3, first 2 shown]
	s_waitcnt vmcnt(48)
	global_store_dwordx4 v[73:74], v[23:26], off
	s_clause 0x7
	buffer_load_dword v23, v4, s[0:3], 0 offen
	buffer_load_dword v24, v4, s[0:3], 0 offen offset:4
	buffer_load_dword v25, v4, s[0:3], 0 offen offset:8
	;; [unrolled: 1-line block ×3, first 2 shown]
	buffer_load_dword v141, v69, s[0:3], 0 offen
	buffer_load_dword v142, v69, s[0:3], 0 offen offset:4
	buffer_load_dword v143, v69, s[0:3], 0 offen offset:8
	;; [unrolled: 1-line block ×3, first 2 shown]
	v_mov_b32_e32 v4, s35
	v_mov_b32_e32 v69, s33
	;; [unrolled: 1-line block ×4, first 2 shown]
	s_waitcnt vmcnt(52)
	global_store_dwordx4 v[77:78], v[27:30], off
	s_clause 0x3
	buffer_load_dword v27, v4, s[0:3], 0 offen
	buffer_load_dword v28, v4, s[0:3], 0 offen offset:4
	buffer_load_dword v29, v4, s[0:3], 0 offen offset:8
	buffer_load_dword v30, v4, s[0:3], 0 offen offset:12
	v_mov_b32_e32 v4, s34
	s_waitcnt vmcnt(52)
	global_store_dwordx4 v[79:80], v[51:54], off
	s_clause 0x7
	buffer_load_dword v51, v4, s[0:3], 0 offen
	buffer_load_dword v52, v4, s[0:3], 0 offen offset:4
	buffer_load_dword v53, v4, s[0:3], 0 offen offset:8
	buffer_load_dword v54, v4, s[0:3], 0 offen offset:12
	buffer_load_dword v77, v69, s[0:3], 0 offen
	buffer_load_dword v78, v69, s[0:3], 0 offen offset:4
	buffer_load_dword v79, v69, s[0:3], 0 offen offset:8
	;; [unrolled: 1-line block ×3, first 2 shown]
	v_mov_b32_e32 v4, s31
	v_mov_b32_e32 v69, s28
	s_waitcnt vmcnt(56)
	global_store_dwordx4 v[81:82], v[31:34], off
	s_clause 0x3
	buffer_load_dword v31, v4, s[0:3], 0 offen
	buffer_load_dword v32, v4, s[0:3], 0 offen offset:4
	buffer_load_dword v33, v4, s[0:3], 0 offen offset:8
	;; [unrolled: 1-line block ×3, first 2 shown]
	v_mov_b32_e32 v4, s30
	v_mov_b32_e32 v82, s23
	;; [unrolled: 1-line block ×3, first 2 shown]
	s_waitcnt vmcnt(56)
	global_store_dwordx4 v[85:86], v[35:38], off
	s_clause 0x3
	buffer_load_dword v35, v4, s[0:3], 0 offen
	buffer_load_dword v36, v4, s[0:3], 0 offen offset:4
	buffer_load_dword v37, v4, s[0:3], 0 offen offset:8
	;; [unrolled: 1-line block ×3, first 2 shown]
	v_mov_b32_e32 v4, s29
	v_mov_b32_e32 v85, s20
	s_waitcnt vmcnt(56)
	global_store_dwordx4 v[83:84], v[39:42], off
	v_mov_b32_e32 v84, s21
	s_waitcnt vmcnt(52)
	global_store_dwordx4 v[75:76], v[55:58], off
	v_mov_b32_e32 v75, s19
	v_mov_b32_e32 v83, s22
	;; [unrolled: 1-line block ×3, first 2 shown]
	s_waitcnt vmcnt(48)
	global_store_dwordx4 v[67:68], v[47:50], off
	s_waitcnt vmcnt(44)
	global_store_dwordx4 v[63:64], v[43:46], off
	;; [unrolled: 2-line block ×3, first 2 shown]
	s_clause 0x7
	buffer_load_dword v39, v4, s[0:3], 0 offen
	buffer_load_dword v40, v4, s[0:3], 0 offen offset:4
	buffer_load_dword v41, v4, s[0:3], 0 offen offset:8
	buffer_load_dword v42, v4, s[0:3], 0 offen offset:12
	buffer_load_dword v43, v69, s[0:3], 0 offen
	buffer_load_dword v44, v69, s[0:3], 0 offen offset:4
	buffer_load_dword v45, v69, s[0:3], 0 offen offset:8
	buffer_load_dword v46, v69, s[0:3], 0 offen offset:12
	s_waitcnt vmcnt(44)
	global_store_dwordx4 v[71:72], v[0:3], off
	s_clause 0x7
	buffer_load_dword v0, v70, s[0:3], 0 offen
	buffer_load_dword v1, v70, s[0:3], 0 offen offset:4
	buffer_load_dword v2, v70, s[0:3], 0 offen offset:8
	buffer_load_dword v3, v70, s[0:3], 0 offen offset:12
	buffer_load_dword v47, v73, s[0:3], 0 offen
	buffer_load_dword v48, v73, s[0:3], 0 offen offset:4
	buffer_load_dword v49, v73, s[0:3], 0 offen offset:8
	buffer_load_dword v50, v73, s[0:3], 0 offen offset:12
	s_waitcnt vmcnt(48)
	global_store_dwordx4 v[87:88], v[59:62], off
	;; [unrolled: 11-line block ×7, first 2 shown]
	s_clause 0x7
	buffer_load_dword v51, v147, s[0:3], 0 offen
	buffer_load_dword v52, v147, s[0:3], 0 offen offset:4
	buffer_load_dword v53, v147, s[0:3], 0 offen offset:8
	;; [unrolled: 1-line block ×3, first 2 shown]
	buffer_load_dword v93, v148, s[0:3], 0 offen
	buffer_load_dword v94, v148, s[0:3], 0 offen offset:4
	buffer_load_dword v95, v148, s[0:3], 0 offen offset:8
	;; [unrolled: 1-line block ×3, first 2 shown]
	global_store_dwordx4 v[99:100], v[77:80], off
	s_clause 0x7
	buffer_load_dword v75, v149, s[0:3], 0 offen
	buffer_load_dword v76, v149, s[0:3], 0 offen offset:4
	buffer_load_dword v77, v149, s[0:3], 0 offen offset:8
	;; [unrolled: 1-line block ×3, first 2 shown]
	buffer_load_dword v97, v150, s[0:3], 0 offen
	buffer_load_dword v98, v150, s[0:3], 0 offen offset:4
	buffer_load_dword v99, v150, s[0:3], 0 offen offset:8
	buffer_load_dword v100, v150, s[0:3], 0 offen offset:12
	s_waitcnt vmcnt(62)
	global_store_dwordx4 v[101:102], v[31:34], off
	s_clause 0x7
	buffer_load_dword v31, v151, s[0:3], 0 offen
	buffer_load_dword v32, v151, s[0:3], 0 offen offset:4
	buffer_load_dword v33, v151, s[0:3], 0 offen offset:8
	;; [unrolled: 1-line block ×3, first 2 shown]
	buffer_load_dword v133, v152, s[0:3], 0 offen
	buffer_load_dword v134, v152, s[0:3], 0 offen offset:4
	buffer_load_dword v135, v152, s[0:3], 0 offen offset:8
	;; [unrolled: 1-line block ×3, first 2 shown]
	global_store_dwordx4 v[103:104], v[35:38], off
	s_clause 0xb
	buffer_load_dword v35, v153, s[0:3], 0 offen
	buffer_load_dword v36, v153, s[0:3], 0 offen offset:4
	buffer_load_dword v37, v153, s[0:3], 0 offen offset:8
	buffer_load_dword v38, v153, s[0:3], 0 offen offset:12
	buffer_load_dword v101, v154, s[0:3], 0 offen
	buffer_load_dword v102, v154, s[0:3], 0 offen offset:4
	buffer_load_dword v103, v154, s[0:3], 0 offen offset:8
	buffer_load_dword v104, v154, s[0:3], 0 offen offset:12
	buffer_load_dword v137, v155, s[0:3], 0 offen
	buffer_load_dword v138, v155, s[0:3], 0 offen offset:4
	buffer_load_dword v139, v155, s[0:3], 0 offen offset:8
	buffer_load_dword v140, v155, s[0:3], 0 offen offset:12
	global_store_dwordx4 v[105:106], v[39:42], off
	global_store_dwordx4 v[107:108], v[43:46], off
	s_waitcnt vmcnt(62)
	global_store_dwordx4 v[109:110], v[0:3], off
	global_store_dwordx4 v[111:112], v[47:50], off
	;; [unrolled: 1-line block ×5, first 2 shown]
	s_waitcnt vmcnt(60)
	global_store_dwordx4 v[119:120], v[67:70], off
	s_waitcnt vmcnt(56)
	global_store_dwordx4 v[121:122], v[23:26], off
	;; [unrolled: 2-line block ×16, first 2 shown]
.LBB52_835:
	s_endpgm
	.section	.rodata,"a",@progbits
	.p2align	6, 0x0
	.amdhsa_kernel _ZN9rocsolver6v33100L18trti2_kernel_smallILi53E19rocblas_complex_numIdEPS3_EEv13rocblas_fill_17rocblas_diagonal_T1_iil
		.amdhsa_group_segment_fixed_size 1696
		.amdhsa_private_segment_fixed_size 864
		.amdhsa_kernarg_size 32
		.amdhsa_user_sgpr_count 6
		.amdhsa_user_sgpr_private_segment_buffer 1
		.amdhsa_user_sgpr_dispatch_ptr 0
		.amdhsa_user_sgpr_queue_ptr 0
		.amdhsa_user_sgpr_kernarg_segment_ptr 1
		.amdhsa_user_sgpr_dispatch_id 0
		.amdhsa_user_sgpr_flat_scratch_init 0
		.amdhsa_user_sgpr_private_segment_size 0
		.amdhsa_wavefront_size32 1
		.amdhsa_uses_dynamic_stack 0
		.amdhsa_system_sgpr_private_segment_wavefront_offset 1
		.amdhsa_system_sgpr_workgroup_id_x 1
		.amdhsa_system_sgpr_workgroup_id_y 0
		.amdhsa_system_sgpr_workgroup_id_z 0
		.amdhsa_system_sgpr_workgroup_info 0
		.amdhsa_system_vgpr_workitem_id 0
		.amdhsa_next_free_vgpr 156
		.amdhsa_next_free_sgpr 84
		.amdhsa_reserve_vcc 1
		.amdhsa_reserve_flat_scratch 0
		.amdhsa_float_round_mode_32 0
		.amdhsa_float_round_mode_16_64 0
		.amdhsa_float_denorm_mode_32 3
		.amdhsa_float_denorm_mode_16_64 3
		.amdhsa_dx10_clamp 1
		.amdhsa_ieee_mode 1
		.amdhsa_fp16_overflow 0
		.amdhsa_workgroup_processor_mode 1
		.amdhsa_memory_ordered 1
		.amdhsa_forward_progress 1
		.amdhsa_shared_vgpr_count 0
		.amdhsa_exception_fp_ieee_invalid_op 0
		.amdhsa_exception_fp_denorm_src 0
		.amdhsa_exception_fp_ieee_div_zero 0
		.amdhsa_exception_fp_ieee_overflow 0
		.amdhsa_exception_fp_ieee_underflow 0
		.amdhsa_exception_fp_ieee_inexact 0
		.amdhsa_exception_int_div_zero 0
	.end_amdhsa_kernel
	.section	.text._ZN9rocsolver6v33100L18trti2_kernel_smallILi53E19rocblas_complex_numIdEPS3_EEv13rocblas_fill_17rocblas_diagonal_T1_iil,"axG",@progbits,_ZN9rocsolver6v33100L18trti2_kernel_smallILi53E19rocblas_complex_numIdEPS3_EEv13rocblas_fill_17rocblas_diagonal_T1_iil,comdat
.Lfunc_end52:
	.size	_ZN9rocsolver6v33100L18trti2_kernel_smallILi53E19rocblas_complex_numIdEPS3_EEv13rocblas_fill_17rocblas_diagonal_T1_iil, .Lfunc_end52-_ZN9rocsolver6v33100L18trti2_kernel_smallILi53E19rocblas_complex_numIdEPS3_EEv13rocblas_fill_17rocblas_diagonal_T1_iil
                                        ; -- End function
	.set _ZN9rocsolver6v33100L18trti2_kernel_smallILi53E19rocblas_complex_numIdEPS3_EEv13rocblas_fill_17rocblas_diagonal_T1_iil.num_vgpr, 156
	.set _ZN9rocsolver6v33100L18trti2_kernel_smallILi53E19rocblas_complex_numIdEPS3_EEv13rocblas_fill_17rocblas_diagonal_T1_iil.num_agpr, 0
	.set _ZN9rocsolver6v33100L18trti2_kernel_smallILi53E19rocblas_complex_numIdEPS3_EEv13rocblas_fill_17rocblas_diagonal_T1_iil.numbered_sgpr, 84
	.set _ZN9rocsolver6v33100L18trti2_kernel_smallILi53E19rocblas_complex_numIdEPS3_EEv13rocblas_fill_17rocblas_diagonal_T1_iil.num_named_barrier, 0
	.set _ZN9rocsolver6v33100L18trti2_kernel_smallILi53E19rocblas_complex_numIdEPS3_EEv13rocblas_fill_17rocblas_diagonal_T1_iil.private_seg_size, 864
	.set _ZN9rocsolver6v33100L18trti2_kernel_smallILi53E19rocblas_complex_numIdEPS3_EEv13rocblas_fill_17rocblas_diagonal_T1_iil.uses_vcc, 1
	.set _ZN9rocsolver6v33100L18trti2_kernel_smallILi53E19rocblas_complex_numIdEPS3_EEv13rocblas_fill_17rocblas_diagonal_T1_iil.uses_flat_scratch, 0
	.set _ZN9rocsolver6v33100L18trti2_kernel_smallILi53E19rocblas_complex_numIdEPS3_EEv13rocblas_fill_17rocblas_diagonal_T1_iil.has_dyn_sized_stack, 0
	.set _ZN9rocsolver6v33100L18trti2_kernel_smallILi53E19rocblas_complex_numIdEPS3_EEv13rocblas_fill_17rocblas_diagonal_T1_iil.has_recursion, 0
	.set _ZN9rocsolver6v33100L18trti2_kernel_smallILi53E19rocblas_complex_numIdEPS3_EEv13rocblas_fill_17rocblas_diagonal_T1_iil.has_indirect_call, 0
	.section	.AMDGPU.csdata,"",@progbits
; Kernel info:
; codeLenInByte = 53972
; TotalNumSgprs: 86
; NumVgprs: 156
; ScratchSize: 864
; MemoryBound: 0
; FloatMode: 240
; IeeeMode: 1
; LDSByteSize: 1696 bytes/workgroup (compile time only)
; SGPRBlocks: 0
; VGPRBlocks: 19
; NumSGPRsForWavesPerEU: 86
; NumVGPRsForWavesPerEU: 156
; Occupancy: 6
; WaveLimiterHint : 0
; COMPUTE_PGM_RSRC2:SCRATCH_EN: 1
; COMPUTE_PGM_RSRC2:USER_SGPR: 6
; COMPUTE_PGM_RSRC2:TRAP_HANDLER: 0
; COMPUTE_PGM_RSRC2:TGID_X_EN: 1
; COMPUTE_PGM_RSRC2:TGID_Y_EN: 0
; COMPUTE_PGM_RSRC2:TGID_Z_EN: 0
; COMPUTE_PGM_RSRC2:TIDIG_COMP_CNT: 0
	.section	.text._ZN9rocsolver6v33100L18trti2_kernel_smallILi54E19rocblas_complex_numIdEPS3_EEv13rocblas_fill_17rocblas_diagonal_T1_iil,"axG",@progbits,_ZN9rocsolver6v33100L18trti2_kernel_smallILi54E19rocblas_complex_numIdEPS3_EEv13rocblas_fill_17rocblas_diagonal_T1_iil,comdat
	.globl	_ZN9rocsolver6v33100L18trti2_kernel_smallILi54E19rocblas_complex_numIdEPS3_EEv13rocblas_fill_17rocblas_diagonal_T1_iil ; -- Begin function _ZN9rocsolver6v33100L18trti2_kernel_smallILi54E19rocblas_complex_numIdEPS3_EEv13rocblas_fill_17rocblas_diagonal_T1_iil
	.p2align	8
	.type	_ZN9rocsolver6v33100L18trti2_kernel_smallILi54E19rocblas_complex_numIdEPS3_EEv13rocblas_fill_17rocblas_diagonal_T1_iil,@function
_ZN9rocsolver6v33100L18trti2_kernel_smallILi54E19rocblas_complex_numIdEPS3_EEv13rocblas_fill_17rocblas_diagonal_T1_iil: ; @_ZN9rocsolver6v33100L18trti2_kernel_smallILi54E19rocblas_complex_numIdEPS3_EEv13rocblas_fill_17rocblas_diagonal_T1_iil
; %bb.0:
	s_add_u32 s0, s0, s7
	s_addc_u32 s1, s1, 0
	s_mov_b32 s7, exec_lo
	v_cmpx_gt_u32_e32 54, v0
	s_cbranch_execz .LBB53_851
; %bb.1:
	s_load_dwordx8 s[8:15], s[4:5], 0x0
	s_ashr_i32 s4, s6, 31
	v_lshlrev_b32_e32 v119, 4, v0
	s_movk_i32 s17, 0x100
	s_movk_i32 s18, 0x110
	;; [unrolled: 1-line block ×17, first 2 shown]
	s_waitcnt lgkmcnt(0)
	s_mul_hi_u32 s7, s14, s6
	s_mul_i32 s16, s14, s4
	s_mul_i32 s15, s15, s6
	s_add_i32 s7, s7, s16
	v_add3_u32 v1, s13, s13, v0
	s_mul_i32 s6, s14, s6
	s_add_i32 s7, s7, s15
	s_ashr_i32 s5, s12, 31
	s_lshl_b64 s[6:7], s[6:7], 4
	s_mov_b32 s4, s12
	s_add_u32 s6, s10, s6
	v_ashrrev_i32_e32 v2, 31, v1
	s_addc_u32 s7, s11, s7
	s_lshl_b64 s[4:5], s[4:5], 4
	v_add_nc_u32_e32 v3, s13, v1
	s_add_u32 s4, s6, s4
	s_addc_u32 s5, s7, s5
	v_add_co_u32 v77, s6, s4, v119
	s_mov_b32 s14, s13
	v_lshlrev_b64 v[1:2], 4, v[1:2]
	s_ashr_i32 s15, s13, 31
	v_add_co_ci_u32_e64 v78, null, s5, 0, s6
	s_lshl_b64 s[6:7], s[14:15], 4
	v_ashrrev_i32_e32 v4, 31, v3
	v_add_co_u32 v65, vcc_lo, v77, s6
	v_add_co_ci_u32_e64 v66, null, s7, v78, vcc_lo
	v_add_co_u32 v53, vcc_lo, s4, v1
	v_add_co_ci_u32_e64 v54, null, s5, v2, vcc_lo
	v_lshlrev_b64 v[1:2], 4, v[3:4]
	s_clause 0x2
	global_load_dwordx4 v[7:10], v119, s[4:5]
	global_load_dwordx4 v[11:14], v[65:66], off
	global_load_dwordx4 v[15:18], v[53:54], off
	s_cmpk_lg_i32 s9, 0x84
	s_movk_i32 s6, 0x70
	v_add_co_u32 v47, vcc_lo, s4, v1
	v_add_nc_u32_e32 v1, s13, v3
	v_add_co_ci_u32_e64 v48, null, s5, v2, vcc_lo
	s_movk_i32 s7, 0x80
	s_movk_i32 s10, 0x90
	v_ashrrev_i32_e32 v2, 31, v1
	global_load_dwordx4 v[19:22], v[47:48], off
	s_movk_i32 s11, 0xa0
	s_movk_i32 s12, 0xb0
	;; [unrolled: 1-line block ×3, first 2 shown]
	v_lshlrev_b64 v[2:3], 4, v[1:2]
	v_add_nc_u32_e32 v1, s13, v1
	s_movk_i32 s15, 0xe0
	s_movk_i32 s16, 0xf0
	;; [unrolled: 1-line block ×4, first 2 shown]
	v_add_co_u32 v45, vcc_lo, s4, v2
	v_add_co_ci_u32_e64 v46, null, s5, v3, vcc_lo
	v_add_nc_u32_e32 v3, s13, v1
	v_ashrrev_i32_e32 v2, 31, v1
	s_movk_i32 s67, 0x230
	global_load_dwordx4 v[23:26], v[45:46], off
	s_movk_i32 s68, 0x240
	v_add_nc_u32_e32 v5, s13, v3
	v_ashrrev_i32_e32 v4, 31, v3
	v_lshlrev_b64 v[1:2], 4, v[1:2]
	s_movk_i32 s69, 0x250
	s_movk_i32 s70, 0x260
	v_add_nc_u32_e32 v31, s13, v5
	v_ashrrev_i32_e32 v6, 31, v5
	v_lshlrev_b64 v[3:4], 4, v[3:4]
	v_add_co_u32 v87, vcc_lo, s4, v1
	v_add_nc_u32_e32 v33, s13, v31
	v_ashrrev_i32_e32 v32, 31, v31
	v_lshlrev_b64 v[55:56], 4, v[5:6]
	v_add_co_ci_u32_e64 v88, null, s5, v2, vcc_lo
	v_add_nc_u32_e32 v35, s13, v33
	v_lshlrev_b64 v[31:32], 4, v[31:32]
	v_ashrrev_i32_e32 v34, 31, v33
	s_movk_i32 s71, 0x270
	s_movk_i32 s72, 0x280
	v_add_nc_u32_e32 v37, s13, v35
	v_ashrrev_i32_e32 v36, 31, v35
	v_lshlrev_b64 v[33:34], 4, v[33:34]
	s_movk_i32 s73, 0x290
	s_movk_i32 s74, 0x2a0
	v_add_nc_u32_e32 v39, s13, v37
	v_ashrrev_i32_e32 v38, 31, v37
	s_movk_i32 s75, 0x2b0
	s_movk_i32 s76, 0x2c0
	s_movk_i32 s77, 0x2d0
	v_add_nc_u32_e32 v41, s13, v39
	v_ashrrev_i32_e32 v40, 31, v39
	s_movk_i32 s78, 0x2e0
	s_movk_i32 s79, 0x2f0
	s_movk_i32 s80, 0x300
	v_add_nc_u32_e32 v43, s13, v41
	v_ashrrev_i32_e32 v42, 31, v41
	s_movk_i32 s81, 0x310
	s_movk_i32 s82, 0x320
	s_movk_i32 s83, 0x330
	v_add_nc_u32_e32 v49, s13, v43
	v_ashrrev_i32_e32 v44, 31, v43
	s_movk_i32 s84, 0x340
	s_cselect_b32 s62, -1, 0
	s_cmpk_eq_i32 s9, 0x84
	v_add_nc_u32_e32 v83, s13, v49
	v_ashrrev_i32_e32 v50, 31, v49
	s_movk_i32 s85, 0x350
	v_add_nc_u32_e32 v97, s13, v83
	v_ashrrev_i32_e32 v84, 31, v83
	v_add_nc_u32_e32 v107, s13, v97
	v_ashrrev_i32_e32 v98, 31, v97
	;; [unrolled: 2-line block ×25, first 2 shown]
	v_add_nc_u32_e32 v96, s13, v89
	v_lshlrev_b64 v[85:86], 4, v[85:86]
	v_ashrrev_i32_e32 v90, 31, v89
	v_add_nc_u32_e32 v91, s13, v96
	v_lshlrev_b64 v[89:90], 4, v[89:90]
	v_add_nc_u32_e32 v93, s13, v91
	v_ashrrev_i32_e32 v92, 31, v91
	v_add_nc_u32_e32 v95, s13, v93
	v_ashrrev_i32_e32 v94, 31, v93
	v_add_nc_u32_e32 v99, s13, v95
	v_add_nc_u32_e32 v106, s13, v99
	v_ashrrev_i32_e32 v100, 31, v99
	v_add_nc_u32_e32 v101, s13, v106
	v_lshlrev_b64 v[99:100], 4, v[99:100]
	v_add_nc_u32_e32 v103, s13, v101
	v_ashrrev_i32_e32 v102, 31, v101
	v_add_nc_u32_e32 v105, s13, v103
	v_ashrrev_i32_e32 v104, 31, v103
	v_add_nc_u32_e32 v111, s13, v105
	v_add_nc_u32_e32 v109, s13, v111
	;; [unrolled: 1-line block ×3, first 2 shown]
	v_ashrrev_i32_e32 v110, 31, v109
	s_movk_i32 s13, 0xc0
	v_ashrrev_i32_e32 v28, 31, v27
	v_lshlrev_b64 v[27:28], 4, v[27:28]
	v_add_co_u32 v5, vcc_lo, s4, v27
	v_add_co_ci_u32_e64 v6, null, s5, v28, vcc_lo
	v_add_co_u32 v81, vcc_lo, s4, v3
	v_add_co_ci_u32_e64 v82, null, s5, v4, vcc_lo
	;; [unrolled: 2-line block ×3, first 2 shown]
	s_clause 0x1
	global_load_dwordx4 v[27:30], v[87:88], off
	global_load_dwordx4 v[1:4], v[5:6], off
	v_add_co_u32 v71, vcc_lo, s4, v31
	v_add_co_ci_u32_e64 v72, null, s5, v32, vcc_lo
	v_lshlrev_b64 v[31:32], 4, v[35:36]
	v_add_co_u32 v57, vcc_lo, s4, v33
	s_waitcnt vmcnt(6)
	buffer_store_dword v10, off, s[0:3], 0 offset:12
	buffer_store_dword v9, off, s[0:3], 0 offset:8
	;; [unrolled: 1-line block ×3, first 2 shown]
	buffer_store_dword v7, off, s[0:3], 0
	global_load_dwordx4 v[7:10], v[81:82], off
	s_waitcnt vmcnt(6)
	buffer_store_dword v14, off, s[0:3], 0 offset:28
	buffer_store_dword v13, off, s[0:3], 0 offset:24
	;; [unrolled: 1-line block ×4, first 2 shown]
	global_load_dwordx4 v[11:14], v[79:80], off
	v_add_co_ci_u32_e64 v58, null, s5, v34, vcc_lo
	v_add_co_u32 v61, vcc_lo, s4, v31
	s_waitcnt vmcnt(6)
	buffer_store_dword v18, off, s[0:3], 0 offset:44
	buffer_store_dword v17, off, s[0:3], 0 offset:40
	;; [unrolled: 1-line block ×4, first 2 shown]
	v_add_co_ci_u32_e64 v62, null, s5, v32, vcc_lo
	global_load_dwordx4 v[15:18], v[71:72], off
	s_waitcnt vmcnt(6)
	buffer_store_dword v22, off, s[0:3], 0 offset:60
	buffer_store_dword v21, off, s[0:3], 0 offset:56
	;; [unrolled: 1-line block ×4, first 2 shown]
	global_load_dwordx4 v[19:22], v[57:58], off
	v_lshlrev_b64 v[31:32], 4, v[37:38]
	s_waitcnt vmcnt(6)
	buffer_store_dword v26, off, s[0:3], 0 offset:76
	buffer_store_dword v25, off, s[0:3], 0 offset:72
	;; [unrolled: 1-line block ×4, first 2 shown]
	global_load_dwordx4 v[23:26], v[61:62], off
	v_lshlrev_b64 v[33:34], 4, v[39:40]
	v_add_co_u32 v69, vcc_lo, s4, v31
	v_add_co_ci_u32_e64 v70, null, s5, v32, vcc_lo
	v_lshlrev_b64 v[31:32], 4, v[41:42]
	v_add_co_u32 v67, vcc_lo, s4, v33
	v_add_co_ci_u32_e64 v68, null, s5, v34, vcc_lo
	v_lshlrev_b64 v[33:34], 4, v[43:44]
	v_add_co_u32 v63, vcc_lo, s4, v31
	v_lshlrev_b64 v[35:36], 4, v[49:50]
	v_add_co_ci_u32_e64 v64, null, s5, v32, vcc_lo
	v_add_co_u32 v59, vcc_lo, s4, v33
	v_add_co_ci_u32_e64 v60, null, s5, v34, vcc_lo
	v_add_co_u32 v55, vcc_lo, s4, v35
	v_add_co_ci_u32_e64 v56, null, s5, v36, vcc_lo
	v_lshlrev_b64 v[41:42], 4, v[150:151]
	v_lshlrev_b64 v[49:50], 4, v[154:155]
	s_waitcnt vmcnt(6)
	buffer_store_dword v30, off, s[0:3], 0 offset:92
	buffer_store_dword v29, off, s[0:3], 0 offset:88
	;; [unrolled: 1-line block ×4, first 2 shown]
	global_load_dwordx4 v[27:30], v[69:70], off
	s_waitcnt vmcnt(5)
	buffer_store_dword v10, off, s[0:3], 0 offset:108
	buffer_store_dword v9, off, s[0:3], 0 offset:104
	;; [unrolled: 1-line block ×4, first 2 shown]
	global_load_dwordx4 v[7:10], v[67:68], off
	s_waitcnt vmcnt(5)
	buffer_store_dword v14, off, s[0:3], 0 offset:124
	buffer_store_dword v13, off, s[0:3], 0 offset:120
	;; [unrolled: 1-line block ×4, first 2 shown]
	v_lshlrev_b64 v[11:12], 4, v[83:84]
	global_load_dwordx4 v[31:34], v[63:64], off
	s_waitcnt vmcnt(5)
	buffer_store_dword v18, off, s[0:3], 0 offset:140
	buffer_store_dword v17, off, s[0:3], 0 offset:136
	;; [unrolled: 1-line block ×4, first 2 shown]
	v_add_co_u32 v43, vcc_lo, s4, v11
	v_add_co_ci_u32_e64 v44, null, s5, v12, vcc_lo
	global_load_dwordx4 v[15:18], v[59:60], off
	s_waitcnt vmcnt(5)
	buffer_store_dword v19, off, s[0:3], 0 offset:144
	buffer_store_dword v20, off, s[0:3], 0 offset:148
	;; [unrolled: 1-line block ×4, first 2 shown]
	global_load_dwordx4 v[19:22], v[55:56], off
	s_waitcnt vmcnt(5)
	buffer_store_dword v23, off, s[0:3], 0 offset:160
	buffer_store_dword v24, off, s[0:3], 0 offset:164
	;; [unrolled: 1-line block ×4, first 2 shown]
	global_load_dwordx4 v[35:38], v[43:44], off
	v_lshlrev_b64 v[11:12], 4, v[97:98]
	v_lshlrev_b64 v[13:14], 4, v[107:108]
	;; [unrolled: 1-line block ×5, first 2 shown]
	s_waitcnt vmcnt(5)
	buffer_store_dword v27, off, s[0:3], 0 offset:176
	buffer_store_dword v28, off, s[0:3], 0 offset:180
	buffer_store_dword v29, off, s[0:3], 0 offset:184
	buffer_store_dword v30, off, s[0:3], 0 offset:188
	v_add_co_u32 v39, vcc_lo, s4, v11
	v_add_co_ci_u32_e64 v40, null, s5, v12, vcc_lo
	v_lshlrev_b64 v[11:12], 4, v[112:113]
	v_add_co_u32 v23, vcc_lo, s4, v13
	v_add_co_ci_u32_e64 v24, null, s5, v14, vcc_lo
	v_lshlrev_b64 v[29:30], 4, v[114:115]
	global_load_dwordx4 v[25:28], v[39:40], off
	s_waitcnt vmcnt(5)
	buffer_store_dword v10, off, s[0:3], 0 offset:204
	buffer_store_dword v9, off, s[0:3], 0 offset:200
	;; [unrolled: 1-line block ×4, first 2 shown]
	v_add_co_u32 v13, vcc_lo, s4, v11
	v_lshlrev_b64 v[9:10], 4, v[116:117]
	v_add_co_ci_u32_e64 v14, null, s5, v12, vcc_lo
	v_lshlrev_b64 v[11:12], 4, v[128:129]
	global_load_dwordx4 v[112:115], v[23:24], off
	v_add_co_u32 v7, vcc_lo, s4, v29
	v_add_co_ci_u32_e64 v8, null, s5, v30, vcc_lo
	s_waitcnt vmcnt(5)
	buffer_store_dword v34, off, s[0:3], 0 offset:220
	buffer_store_dword v33, off, s[0:3], 0 offset:216
	;; [unrolled: 1-line block ×4, first 2 shown]
	v_add_co_u32 v9, vcc_lo, s4, v9
	global_load_dwordx4 v[29:32], v[13:14], off
	v_add_co_ci_u32_e64 v10, null, s5, v10, vcc_lo
	v_add_co_u32 v11, vcc_lo, s4, v11
	s_waitcnt vmcnt(5)
	buffer_store_dword v18, off, s[0:3], 0 offset:236
	buffer_store_dword v17, off, s[0:3], 0 offset:232
	buffer_store_dword v16, off, s[0:3], 0 offset:228
	buffer_store_dword v15, off, s[0:3], 0 offset:224
	v_add_co_ci_u32_e64 v12, null, s5, v12, vcc_lo
	global_load_dwordx4 v[120:123], v[7:8], off
	s_waitcnt vmcnt(5)
	buffer_store_dword v22, off, s[0:3], 0 offset:252
	buffer_store_dword v21, off, s[0:3], 0 offset:248
	;; [unrolled: 1-line block ×4, first 2 shown]
	global_load_dwordx4 v[124:127], v[9:10], off
	s_waitcnt vmcnt(5)
	buffer_store_dword v38, off, s[0:3], 0 offset:268
	buffer_store_dword v37, off, s[0:3], 0 offset:264
	;; [unrolled: 1-line block ×4, first 2 shown]
	global_load_dwordx4 v[33:36], v[11:12], off
	v_lshlrev_b64 v[15:16], 4, v[130:131]
	v_lshlrev_b64 v[19:20], 4, v[132:133]
	;; [unrolled: 1-line block ×4, first 2 shown]
	s_waitcnt vmcnt(5)
	buffer_store_dword v28, off, s[0:3], 0 offset:284
	buffer_store_dword v27, off, s[0:3], 0 offset:280
	;; [unrolled: 1-line block ×4, first 2 shown]
	v_add_co_u32 v17, vcc_lo, s4, v15
	v_add_co_ci_u32_e64 v18, null, s5, v16, vcc_lo
	v_add_co_u32 v15, vcc_lo, s4, v19
	v_add_co_ci_u32_e64 v16, null, s5, v20, vcc_lo
	v_lshlrev_b64 v[19:20], 4, v[136:137]
	v_add_co_u32 v25, vcc_lo, s4, v21
	global_load_dwordx4 v[128:131], v[17:18], off
	v_add_co_ci_u32_e64 v26, null, s5, v22, vcc_lo
	v_lshlrev_b64 v[21:22], 4, v[138:139]
	s_waitcnt vmcnt(5)
	buffer_store_dword v115, off, s[0:3], 0 offset:300
	buffer_store_dword v114, off, s[0:3], 0 offset:296
	;; [unrolled: 1-line block ×4, first 2 shown]
	v_lshlrev_b64 v[27:28], 4, v[140:141]
	global_load_dwordx4 v[112:115], v[15:16], off
	v_add_co_u32 v19, vcc_lo, s4, v19
	v_add_co_ci_u32_e64 v20, null, s5, v20, vcc_lo
	s_waitcnt vmcnt(5)
	buffer_store_dword v32, off, s[0:3], 0 offset:316
	buffer_store_dword v31, off, s[0:3], 0 offset:312
	;; [unrolled: 1-line block ×4, first 2 shown]
	v_add_co_u32 v21, vcc_lo, s4, v21
	global_load_dwordx4 v[132:135], v[25:26], off
	v_add_co_ci_u32_e64 v22, null, s5, v22, vcc_lo
	v_add_co_u32 v27, vcc_lo, s4, v27
	s_waitcnt vmcnt(5)
	buffer_store_dword v123, off, s[0:3], 0 offset:332
	buffer_store_dword v122, off, s[0:3], 0 offset:328
	;; [unrolled: 1-line block ×4, first 2 shown]
	v_add_co_ci_u32_e64 v28, null, s5, v28, vcc_lo
	global_load_dwordx4 v[120:123], v[19:20], off
	s_waitcnt vmcnt(5)
	buffer_store_dword v127, off, s[0:3], 0 offset:348
	buffer_store_dword v126, off, s[0:3], 0 offset:344
	;; [unrolled: 1-line block ×4, first 2 shown]
	global_load_dwordx4 v[124:127], v[21:22], off
	s_waitcnt vmcnt(5)
	buffer_store_dword v36, off, s[0:3], 0 offset:364
	buffer_store_dword v35, off, s[0:3], 0 offset:360
	;; [unrolled: 1-line block ×4, first 2 shown]
	global_load_dwordx4 v[136:139], v[27:28], off
	v_lshlrev_b64 v[29:30], 4, v[142:143]
	v_lshlrev_b64 v[33:34], 4, v[144:145]
	;; [unrolled: 1-line block ×3, first 2 shown]
	s_waitcnt vmcnt(5)
	buffer_store_dword v131, off, s[0:3], 0 offset:380
	buffer_store_dword v130, off, s[0:3], 0 offset:376
	;; [unrolled: 1-line block ×4, first 2 shown]
	v_add_co_u32 v31, vcc_lo, s4, v29
	v_add_co_ci_u32_e64 v32, null, s5, v30, vcc_lo
	v_add_co_u32 v29, vcc_lo, s4, v33
	v_add_co_ci_u32_e64 v30, null, s5, v34, vcc_lo
	;; [unrolled: 2-line block ×3, first 2 shown]
	v_add_co_u32 v35, vcc_lo, s4, v37
	global_load_dwordx4 v[128:131], v[31:32], off
	v_add_co_ci_u32_e64 v36, null, s5, v38, vcc_lo
	v_add_co_u32 v37, vcc_lo, s4, v41
	s_waitcnt vmcnt(5)
	buffer_store_dword v115, off, s[0:3], 0 offset:396
	buffer_store_dword v114, off, s[0:3], 0 offset:392
	;; [unrolled: 1-line block ×4, first 2 shown]
	v_add_co_ci_u32_e64 v38, null, s5, v42, vcc_lo
	v_lshlrev_b64 v[41:42], 4, v[152:153]
	global_load_dwordx4 v[112:115], v[29:30], off
	s_waitcnt vmcnt(5)
	buffer_store_dword v135, off, s[0:3], 0 offset:412
	buffer_store_dword v134, off, s[0:3], 0 offset:408
	buffer_store_dword v133, off, s[0:3], 0 offset:404
	buffer_store_dword v132, off, s[0:3], 0 offset:400
	global_load_dwordx4 v[132:135], v[33:34], off
	s_waitcnt vmcnt(5)
	buffer_store_dword v123, off, s[0:3], 0 offset:428
	buffer_store_dword v122, off, s[0:3], 0 offset:424
	;; [unrolled: 1-line block ×4, first 2 shown]
	v_add_co_u32 v41, vcc_lo, s4, v41
	v_add_co_ci_u32_e64 v42, null, s5, v42, vcc_lo
	global_load_dwordx4 v[120:123], v[35:36], off
	s_waitcnt vmcnt(5)
	buffer_store_dword v127, off, s[0:3], 0 offset:444
	buffer_store_dword v126, off, s[0:3], 0 offset:440
	;; [unrolled: 1-line block ×4, first 2 shown]
	global_load_dwordx4 v[124:127], v[37:38], off
	s_waitcnt vmcnt(5)
	buffer_store_dword v139, off, s[0:3], 0 offset:460
	buffer_store_dword v138, off, s[0:3], 0 offset:456
	;; [unrolled: 1-line block ×4, first 2 shown]
	global_load_dwordx4 v[136:139], v[41:42], off
	v_add_co_u32 v49, vcc_lo, s4, v49
	v_add_co_ci_u32_e64 v50, null, s5, v50, vcc_lo
	v_add_co_u32 v51, vcc_lo, s4, v83
	v_add_co_ci_u32_e64 v52, null, s5, v84, vcc_lo
	v_lshlrev_b64 v[83:84], 4, v[73:74]
	v_add_co_u32 v73, vcc_lo, s4, v97
	v_add_co_ci_u32_e64 v74, null, s5, v98, vcc_lo
	v_lshlrev_b64 v[97:98], 4, v[75:76]
	v_add_co_u32 v75, vcc_lo, s4, v83
	v_add_co_ci_u32_e64 v76, null, s5, v84, vcc_lo
	s_waitcnt vmcnt(5)
	buffer_store_dword v131, off, s[0:3], 0 offset:476
	buffer_store_dword v130, off, s[0:3], 0 offset:472
	;; [unrolled: 1-line block ×4, first 2 shown]
	s_waitcnt vmcnt(4)
	buffer_store_dword v115, off, s[0:3], 0 offset:492
	buffer_store_dword v114, off, s[0:3], 0 offset:488
	;; [unrolled: 1-line block ×4, first 2 shown]
	s_clause 0x1
	global_load_dwordx4 v[112:115], v[49:50], off
	global_load_dwordx4 v[128:131], v[51:52], off
	s_waitcnt vmcnt(5)
	buffer_store_dword v135, off, s[0:3], 0 offset:508
	buffer_store_dword v134, off, s[0:3], 0 offset:504
	;; [unrolled: 1-line block ×4, first 2 shown]
	s_waitcnt vmcnt(4)
	buffer_store_dword v123, off, s[0:3], 0 offset:524
	buffer_store_dword v122, off, s[0:3], 0 offset:520
	;; [unrolled: 1-line block ×4, first 2 shown]
	v_add_co_u32 v83, vcc_lo, s4, v97
	s_clause 0x1
	global_load_dwordx4 v[120:123], v[73:74], off
	global_load_dwordx4 v[132:135], v[75:76], off
	v_add_co_ci_u32_e64 v84, null, s5, v98, vcc_lo
	v_add_co_u32 v85, vcc_lo, s4, v85
	v_add_co_ci_u32_e64 v86, null, s5, v86, vcc_lo
	s_waitcnt vmcnt(5)
	buffer_store_dword v127, off, s[0:3], 0 offset:540
	buffer_store_dword v126, off, s[0:3], 0 offset:536
	;; [unrolled: 1-line block ×4, first 2 shown]
	global_load_dwordx4 v[124:127], v[83:84], off
	s_waitcnt vmcnt(5)
	buffer_store_dword v139, off, s[0:3], 0 offset:556
	buffer_store_dword v138, off, s[0:3], 0 offset:552
	;; [unrolled: 1-line block ×4, first 2 shown]
	global_load_dwordx4 v[136:139], v[85:86], off
	v_ashrrev_i32_e32 v97, 31, v96
	v_add_co_u32 v89, vcc_lo, s4, v89
	v_add_co_ci_u32_e64 v90, null, s5, v90, vcc_lo
	v_lshlrev_b64 v[96:97], 4, v[96:97]
	s_waitcnt vmcnt(5)
	buffer_store_dword v115, off, s[0:3], 0 offset:572
	buffer_store_dword v114, off, s[0:3], 0 offset:568
	;; [unrolled: 1-line block ×4, first 2 shown]
	s_waitcnt vmcnt(4)
	buffer_store_dword v131, off, s[0:3], 0 offset:588
	buffer_store_dword v130, off, s[0:3], 0 offset:584
	;; [unrolled: 1-line block ×4, first 2 shown]
	v_add_co_u32 v91, vcc_lo, s4, v96
	v_add_co_ci_u32_e64 v92, null, s5, v97, vcc_lo
	v_ashrrev_i32_e32 v96, 31, v95
	v_lshlrev_b64 v[97:98], 4, v[93:94]
	v_add_co_u32 v93, vcc_lo, s4, v107
	s_clause 0x1
	global_load_dwordx4 v[112:115], v[89:90], off
	global_load_dwordx4 v[128:131], v[91:92], off
	v_add_co_ci_u32_e64 v94, null, s5, v108, vcc_lo
	v_lshlrev_b64 v[107:108], 4, v[95:96]
	v_add_co_u32 v95, vcc_lo, s4, v97
	s_waitcnt vmcnt(5)
	buffer_store_dword v123, off, s[0:3], 0 offset:604
	buffer_store_dword v122, off, s[0:3], 0 offset:600
	buffer_store_dword v121, off, s[0:3], 0 offset:596
	buffer_store_dword v120, off, s[0:3], 0 offset:592
	s_waitcnt vmcnt(4)
	buffer_store_dword v135, off, s[0:3], 0 offset:620
	buffer_store_dword v134, off, s[0:3], 0 offset:616
	;; [unrolled: 1-line block ×4, first 2 shown]
	s_waitcnt vmcnt(3)
	buffer_store_dword v127, off, s[0:3], 0 offset:636
	buffer_store_dword v126, off, s[0:3], 0 offset:632
	v_add_co_ci_u32_e64 v96, null, s5, v98, vcc_lo
	v_add_co_u32 v97, vcc_lo, s4, v107
	s_clause 0x1
	global_load_dwordx4 v[120:123], v[93:94], off
	global_load_dwordx4 v[132:135], v[95:96], off
	v_add_co_ci_u32_e64 v98, null, s5, v108, vcc_lo
	v_add_co_u32 v99, vcc_lo, s4, v99
	v_add_co_ci_u32_e64 v100, null, s5, v100, vcc_lo
	buffer_store_dword v125, off, s[0:3], 0 offset:628
	buffer_store_dword v124, off, s[0:3], 0 offset:624
	global_load_dwordx4 v[124:127], v[97:98], off
	s_waitcnt vmcnt(5)
	buffer_store_dword v139, off, s[0:3], 0 offset:652
	buffer_store_dword v138, off, s[0:3], 0 offset:648
	;; [unrolled: 1-line block ×4, first 2 shown]
	global_load_dwordx4 v[136:139], v[99:100], off
	v_ashrrev_i32_e32 v107, 31, v106
	s_waitcnt vmcnt(5)
	buffer_store_dword v115, off, s[0:3], 0 offset:668
	buffer_store_dword v114, off, s[0:3], 0 offset:664
	buffer_store_dword v113, off, s[0:3], 0 offset:660
	buffer_store_dword v112, off, s[0:3], 0 offset:656
	s_waitcnt vmcnt(4)
	buffer_store_dword v131, off, s[0:3], 0 offset:684
	buffer_store_dword v130, off, s[0:3], 0 offset:680
	buffer_store_dword v129, off, s[0:3], 0 offset:676
	buffer_store_dword v128, off, s[0:3], 0 offset:672
	;; [unrolled: 5-line block ×4, first 2 shown]
	v_lshlrev_b64 v[106:107], 4, v[106:107]
	v_lshlrev_b64 v[112:113], 4, v[101:102]
	s_waitcnt vmcnt(1)
	buffer_store_dword v127, off, s[0:3], 0 offset:732
	buffer_store_dword v126, off, s[0:3], 0 offset:728
	v_add_co_u32 v101, vcc_lo, s4, v106
	v_ashrrev_i32_e32 v106, 31, v105
	v_add_co_ci_u32_e64 v102, null, s5, v107, vcc_lo
	v_lshlrev_b64 v[107:108], 4, v[103:104]
	v_add_co_u32 v103, vcc_lo, s4, v112
	v_lshlrev_b64 v[117:118], 4, v[105:106]
	v_add_co_ci_u32_e64 v104, null, s5, v113, vcc_lo
	v_add_co_u32 v105, vcc_lo, s4, v107
	v_add_co_ci_u32_e64 v106, null, s5, v108, vcc_lo
	v_add_co_u32 v107, vcc_lo, s4, v117
	v_add_co_ci_u32_e64 v108, null, s5, v118, vcc_lo
	v_ashrrev_i32_e32 v112, 31, v111
	buffer_store_dword v125, off, s[0:3], 0 offset:724
	buffer_store_dword v124, off, s[0:3], 0 offset:720
	s_waitcnt vmcnt(0)
	buffer_store_dword v139, off, s[0:3], 0 offset:748
	s_clause 0x3
	global_load_dwordx4 v[113:116], v[101:102], off
	global_load_dwordx4 v[120:123], v[103:104], off
	;; [unrolled: 1-line block ×4, first 2 shown]
	v_lshlrev_b64 v[111:112], 4, v[111:112]
	v_lshlrev_b64 v[117:118], 4, v[109:110]
	v_add_co_u32 v109, vcc_lo, s4, v111
	v_add_co_ci_u32_e64 v110, null, s5, v112, vcc_lo
	v_add_co_u32 v111, vcc_lo, s4, v117
	v_add_co_ci_u32_e64 v112, null, s5, v118, vcc_lo
	global_load_dwordx4 v[132:135], v[109:110], off
	buffer_store_dword v138, off, s[0:3], 0 offset:744
	buffer_store_dword v137, off, s[0:3], 0 offset:740
	;; [unrolled: 1-line block ×3, first 2 shown]
	s_movk_i32 s4, 0x50
	global_load_dwordx4 v[136:139], v[111:112], off
	s_movk_i32 s5, 0x60
	s_waitcnt vmcnt(5)
	buffer_store_dword v116, off, s[0:3], 0 offset:764
	buffer_store_dword v115, off, s[0:3], 0 offset:760
	buffer_store_dword v114, off, s[0:3], 0 offset:756
	buffer_store_dword v113, off, s[0:3], 0 offset:752
	s_waitcnt vmcnt(4)
	buffer_store_dword v123, off, s[0:3], 0 offset:780
	buffer_store_dword v122, off, s[0:3], 0 offset:776
	buffer_store_dword v121, off, s[0:3], 0 offset:772
	buffer_store_dword v120, off, s[0:3], 0 offset:768
	;; [unrolled: 5-line block ×6, first 2 shown]
	buffer_store_dword v4, off, s[0:3], 0 offset:860
	buffer_store_dword v3, off, s[0:3], 0 offset:856
	;; [unrolled: 1-line block ×4, first 2 shown]
	s_cbranch_scc1 .LBB53_7
; %bb.2:
	v_lshl_add_u32 v120, v0, 4, 0
                                        ; implicit-def: $vgpr115_vgpr116
                                        ; implicit-def: $vgpr3_vgpr4
	s_clause 0x3
	buffer_load_dword v113, v120, s[0:3], 0 offen
	buffer_load_dword v114, v120, s[0:3], 0 offen offset:4
	buffer_load_dword v117, v120, s[0:3], 0 offen offset:8
	;; [unrolled: 1-line block ×3, first 2 shown]
	s_waitcnt vmcnt(0)
	v_cmp_ngt_f64_e64 s9, |v[113:114]|, |v[117:118]|
	s_and_saveexec_b32 s33, s9
	s_xor_b32 s9, exec_lo, s33
	s_cbranch_execz .LBB53_4
; %bb.3:
	v_div_scale_f64 v[1:2], null, v[117:118], v[117:118], v[113:114]
	v_div_scale_f64 v[121:122], vcc_lo, v[113:114], v[117:118], v[113:114]
	v_rcp_f64_e32 v[3:4], v[1:2]
	v_fma_f64 v[115:116], -v[1:2], v[3:4], 1.0
	v_fma_f64 v[3:4], v[3:4], v[115:116], v[3:4]
	v_fma_f64 v[115:116], -v[1:2], v[3:4], 1.0
	v_fma_f64 v[3:4], v[3:4], v[115:116], v[3:4]
	v_mul_f64 v[115:116], v[121:122], v[3:4]
	v_fma_f64 v[1:2], -v[1:2], v[115:116], v[121:122]
	v_div_fmas_f64 v[1:2], v[1:2], v[3:4], v[115:116]
	v_div_fixup_f64 v[1:2], v[1:2], v[117:118], v[113:114]
	v_fma_f64 v[3:4], v[113:114], v[1:2], v[117:118]
	v_div_scale_f64 v[113:114], null, v[3:4], v[3:4], 1.0
	v_div_scale_f64 v[121:122], vcc_lo, 1.0, v[3:4], 1.0
	v_rcp_f64_e32 v[115:116], v[113:114]
	v_fma_f64 v[117:118], -v[113:114], v[115:116], 1.0
	v_fma_f64 v[115:116], v[115:116], v[117:118], v[115:116]
	v_fma_f64 v[117:118], -v[113:114], v[115:116], 1.0
	v_fma_f64 v[115:116], v[115:116], v[117:118], v[115:116]
	v_mul_f64 v[117:118], v[121:122], v[115:116]
	v_fma_f64 v[113:114], -v[113:114], v[117:118], v[121:122]
	v_div_fmas_f64 v[113:114], v[113:114], v[115:116], v[117:118]
                                        ; implicit-def: $vgpr117_vgpr118
	v_div_fixup_f64 v[3:4], v[113:114], v[3:4], 1.0
                                        ; implicit-def: $vgpr113_vgpr114
	v_mul_f64 v[115:116], v[1:2], v[3:4]
	v_xor_b32_e32 v4, 0x80000000, v4
	v_xor_b32_e32 v2, 0x80000000, v116
	v_mov_b32_e32 v1, v115
.LBB53_4:
	s_andn2_saveexec_b32 s9, s9
	s_cbranch_execz .LBB53_6
; %bb.5:
	v_div_scale_f64 v[1:2], null, v[113:114], v[113:114], v[117:118]
	v_div_scale_f64 v[121:122], vcc_lo, v[117:118], v[113:114], v[117:118]
	v_rcp_f64_e32 v[3:4], v[1:2]
	v_fma_f64 v[115:116], -v[1:2], v[3:4], 1.0
	v_fma_f64 v[3:4], v[3:4], v[115:116], v[3:4]
	v_fma_f64 v[115:116], -v[1:2], v[3:4], 1.0
	v_fma_f64 v[3:4], v[3:4], v[115:116], v[3:4]
	v_mul_f64 v[115:116], v[121:122], v[3:4]
	v_fma_f64 v[1:2], -v[1:2], v[115:116], v[121:122]
	v_div_fmas_f64 v[1:2], v[1:2], v[3:4], v[115:116]
	v_div_fixup_f64 v[1:2], v[1:2], v[113:114], v[117:118]
	v_fma_f64 v[3:4], v[117:118], v[1:2], v[113:114]
	v_div_scale_f64 v[113:114], null, v[3:4], v[3:4], 1.0
	v_rcp_f64_e32 v[115:116], v[113:114]
	v_fma_f64 v[117:118], -v[113:114], v[115:116], 1.0
	v_fma_f64 v[115:116], v[115:116], v[117:118], v[115:116]
	v_fma_f64 v[117:118], -v[113:114], v[115:116], 1.0
	v_fma_f64 v[115:116], v[115:116], v[117:118], v[115:116]
	v_div_scale_f64 v[117:118], vcc_lo, 1.0, v[3:4], 1.0
	v_mul_f64 v[121:122], v[117:118], v[115:116]
	v_fma_f64 v[113:114], -v[113:114], v[121:122], v[117:118]
	v_div_fmas_f64 v[113:114], v[113:114], v[115:116], v[121:122]
	v_div_fixup_f64 v[115:116], v[113:114], v[3:4], 1.0
	v_mul_f64 v[3:4], v[1:2], -v[115:116]
	v_xor_b32_e32 v2, 0x80000000, v116
	v_mov_b32_e32 v1, v115
.LBB53_6:
	s_or_b32 exec_lo, exec_lo, s9
	buffer_store_dword v4, v120, s[0:3], 0 offen offset:12
	v_xor_b32_e32 v4, 0x80000000, v4
	buffer_store_dword v116, v120, s[0:3], 0 offen offset:4
	buffer_store_dword v115, v120, s[0:3], 0 offen
	buffer_store_dword v3, v120, s[0:3], 0 offen offset:8
	s_branch .LBB53_8
.LBB53_7:
	v_mov_b32_e32 v1, 0
	v_mov_b32_e32 v3, 0
	;; [unrolled: 1-line block ×4, first 2 shown]
.LBB53_8:
	v_add_nc_u32_e32 v114, 0x360, v119
	v_mov_b32_e32 v113, v119
	s_mov_b32 s61, 16
	s_mov_b32 s60, 32
	;; [unrolled: 1-line block ×52, first 2 shown]
	s_cmpk_eq_i32 s8, 0x79
	ds_write_b128 v119, v[1:4]
	s_cbranch_scc1 .LBB53_428
; %bb.9:
	v_mov_b32_e32 v4, s9
	v_cmp_eq_u32_e64 s4, 53, v0
	s_clause 0x3
	buffer_load_dword v1, v4, s[0:3], 0 offen
	buffer_load_dword v2, v4, s[0:3], 0 offen offset:4
	buffer_load_dword v3, v4, s[0:3], 0 offen offset:8
	;; [unrolled: 1-line block ×3, first 2 shown]
	s_waitcnt vmcnt(0)
	ds_write_b128 v114, v[1:4]
	s_waitcnt lgkmcnt(0)
	s_waitcnt_vscnt null, 0x0
	s_barrier
	buffer_gl0_inv
	s_and_saveexec_b32 s5, s4
	s_cbranch_execz .LBB53_13
; %bb.10:
	ds_read_b128 v[1:4], v114
	s_andn2_b32 vcc_lo, exec_lo, s62
	s_cbranch_vccnz .LBB53_12
; %bb.11:
	s_clause 0x3
	buffer_load_dword v115, v113, s[0:3], 0 offen offset:8
	buffer_load_dword v116, v113, s[0:3], 0 offen offset:12
	buffer_load_dword v117, v113, s[0:3], 0 offen
	buffer_load_dword v118, v113, s[0:3], 0 offen offset:4
	s_waitcnt vmcnt(2) lgkmcnt(0)
	v_mul_f64 v[120:121], v[3:4], v[115:116]
	v_mul_f64 v[115:116], v[1:2], v[115:116]
	s_waitcnt vmcnt(0)
	v_fma_f64 v[1:2], v[1:2], v[117:118], -v[120:121]
	v_fma_f64 v[3:4], v[3:4], v[117:118], v[115:116]
.LBB53_12:
	v_mov_b32_e32 v115, 0
	ds_read_b128 v[115:118], v115 offset:832
	s_waitcnt lgkmcnt(0)
	v_mul_f64 v[120:121], v[3:4], v[117:118]
	v_mul_f64 v[117:118], v[1:2], v[117:118]
	v_fma_f64 v[1:2], v[1:2], v[115:116], -v[120:121]
	v_fma_f64 v[3:4], v[3:4], v[115:116], v[117:118]
	buffer_store_dword v2, off, s[0:3], 0 offset:836
	buffer_store_dword v1, off, s[0:3], 0 offset:832
	;; [unrolled: 1-line block ×4, first 2 shown]
.LBB53_13:
	s_or_b32 exec_lo, exec_lo, s5
	v_mov_b32_e32 v4, s10
	v_cmp_lt_u32_e64 s5, 51, v0
	s_clause 0x3
	buffer_load_dword v1, v4, s[0:3], 0 offen
	buffer_load_dword v2, v4, s[0:3], 0 offen offset:4
	buffer_load_dword v3, v4, s[0:3], 0 offen offset:8
	;; [unrolled: 1-line block ×3, first 2 shown]
	s_waitcnt vmcnt(0)
	ds_write_b128 v114, v[1:4]
	s_waitcnt lgkmcnt(0)
	s_waitcnt_vscnt null, 0x0
	s_barrier
	buffer_gl0_inv
	s_and_saveexec_b32 s6, s5
	s_cbranch_execz .LBB53_19
; %bb.14:
	ds_read_b128 v[1:4], v114
	s_andn2_b32 vcc_lo, exec_lo, s62
	s_cbranch_vccnz .LBB53_16
; %bb.15:
	s_clause 0x3
	buffer_load_dword v115, v113, s[0:3], 0 offen offset:8
	buffer_load_dword v116, v113, s[0:3], 0 offen offset:12
	buffer_load_dword v117, v113, s[0:3], 0 offen
	buffer_load_dword v118, v113, s[0:3], 0 offen offset:4
	s_waitcnt vmcnt(2) lgkmcnt(0)
	v_mul_f64 v[120:121], v[3:4], v[115:116]
	v_mul_f64 v[115:116], v[1:2], v[115:116]
	s_waitcnt vmcnt(0)
	v_fma_f64 v[1:2], v[1:2], v[117:118], -v[120:121]
	v_fma_f64 v[3:4], v[3:4], v[117:118], v[115:116]
.LBB53_16:
	s_and_saveexec_b32 s8, s4
	s_cbranch_execz .LBB53_18
; %bb.17:
	s_clause 0x3
	buffer_load_dword v120, off, s[0:3], 0 offset:840
	buffer_load_dword v121, off, s[0:3], 0 offset:844
	buffer_load_dword v122, off, s[0:3], 0 offset:832
	buffer_load_dword v123, off, s[0:3], 0 offset:836
	v_mov_b32_e32 v115, 0
	ds_read_b128 v[115:118], v115 offset:1696
	s_waitcnt vmcnt(2) lgkmcnt(0)
	v_mul_f64 v[124:125], v[115:116], v[120:121]
	v_mul_f64 v[120:121], v[117:118], v[120:121]
	s_waitcnt vmcnt(0)
	v_fma_f64 v[117:118], v[117:118], v[122:123], v[124:125]
	v_fma_f64 v[115:116], v[115:116], v[122:123], -v[120:121]
	v_add_f64 v[3:4], v[3:4], v[117:118]
	v_add_f64 v[1:2], v[1:2], v[115:116]
.LBB53_18:
	s_or_b32 exec_lo, exec_lo, s8
	v_mov_b32_e32 v115, 0
	ds_read_b128 v[115:118], v115 offset:816
	s_waitcnt lgkmcnt(0)
	v_mul_f64 v[120:121], v[3:4], v[117:118]
	v_mul_f64 v[117:118], v[1:2], v[117:118]
	v_fma_f64 v[1:2], v[1:2], v[115:116], -v[120:121]
	v_fma_f64 v[3:4], v[3:4], v[115:116], v[117:118]
	buffer_store_dword v2, off, s[0:3], 0 offset:820
	buffer_store_dword v1, off, s[0:3], 0 offset:816
	;; [unrolled: 1-line block ×4, first 2 shown]
.LBB53_19:
	s_or_b32 exec_lo, exec_lo, s6
	v_mov_b32_e32 v4, s11
	v_cmp_lt_u32_e64 s4, 50, v0
	s_clause 0x3
	buffer_load_dword v1, v4, s[0:3], 0 offen
	buffer_load_dword v2, v4, s[0:3], 0 offen offset:4
	buffer_load_dword v3, v4, s[0:3], 0 offen offset:8
	;; [unrolled: 1-line block ×3, first 2 shown]
	s_waitcnt vmcnt(0)
	ds_write_b128 v114, v[1:4]
	s_waitcnt lgkmcnt(0)
	s_waitcnt_vscnt null, 0x0
	s_barrier
	buffer_gl0_inv
	s_and_saveexec_b32 s6, s4
	s_cbranch_execz .LBB53_27
; %bb.20:
	ds_read_b128 v[1:4], v114
	s_andn2_b32 vcc_lo, exec_lo, s62
	s_cbranch_vccnz .LBB53_22
; %bb.21:
	s_clause 0x3
	buffer_load_dword v115, v113, s[0:3], 0 offen offset:8
	buffer_load_dword v116, v113, s[0:3], 0 offen offset:12
	buffer_load_dword v117, v113, s[0:3], 0 offen
	buffer_load_dword v118, v113, s[0:3], 0 offen offset:4
	s_waitcnt vmcnt(2) lgkmcnt(0)
	v_mul_f64 v[120:121], v[3:4], v[115:116]
	v_mul_f64 v[115:116], v[1:2], v[115:116]
	s_waitcnt vmcnt(0)
	v_fma_f64 v[1:2], v[1:2], v[117:118], -v[120:121]
	v_fma_f64 v[3:4], v[3:4], v[117:118], v[115:116]
.LBB53_22:
	s_and_saveexec_b32 s8, s5
	s_cbranch_execz .LBB53_26
; %bb.23:
	v_subrev_nc_u32_e32 v115, 51, v0
	s_movk_i32 s63, 0x690
	s_mov_b32 s5, 0
	s_mov_b32 s64, s10
	.p2align	6
.LBB53_24:                              ; =>This Inner Loop Header: Depth=1
	v_mov_b32_e32 v118, s64
	v_add_nc_u32_e32 v115, -1, v115
	s_add_i32 s64, s64, 16
	s_clause 0x3
	buffer_load_dword v116, v118, s[0:3], 0 offen offset:8
	buffer_load_dword v117, v118, s[0:3], 0 offen offset:12
	buffer_load_dword v124, v118, s[0:3], 0 offen
	buffer_load_dword v125, v118, s[0:3], 0 offen offset:4
	v_mov_b32_e32 v118, s63
	v_cmp_eq_u32_e32 vcc_lo, 0, v115
	s_add_i32 s63, s63, 16
	ds_read_b128 v[120:123], v118
	s_or_b32 s5, vcc_lo, s5
	s_waitcnt vmcnt(2) lgkmcnt(0)
	v_mul_f64 v[126:127], v[122:123], v[116:117]
	v_mul_f64 v[116:117], v[120:121], v[116:117]
	s_waitcnt vmcnt(0)
	v_fma_f64 v[120:121], v[120:121], v[124:125], -v[126:127]
	v_fma_f64 v[116:117], v[122:123], v[124:125], v[116:117]
	v_add_f64 v[1:2], v[1:2], v[120:121]
	v_add_f64 v[3:4], v[3:4], v[116:117]
	s_andn2_b32 exec_lo, exec_lo, s5
	s_cbranch_execnz .LBB53_24
; %bb.25:
	s_or_b32 exec_lo, exec_lo, s5
.LBB53_26:
	s_or_b32 exec_lo, exec_lo, s8
	v_mov_b32_e32 v115, 0
	ds_read_b128 v[115:118], v115 offset:800
	s_waitcnt lgkmcnt(0)
	v_mul_f64 v[120:121], v[3:4], v[117:118]
	v_mul_f64 v[117:118], v[1:2], v[117:118]
	v_fma_f64 v[1:2], v[1:2], v[115:116], -v[120:121]
	v_fma_f64 v[3:4], v[3:4], v[115:116], v[117:118]
	buffer_store_dword v2, off, s[0:3], 0 offset:804
	buffer_store_dword v1, off, s[0:3], 0 offset:800
	;; [unrolled: 1-line block ×4, first 2 shown]
.LBB53_27:
	s_or_b32 exec_lo, exec_lo, s6
	v_mov_b32_e32 v4, s12
	v_cmp_lt_u32_e64 s5, 49, v0
	s_clause 0x3
	buffer_load_dword v1, v4, s[0:3], 0 offen
	buffer_load_dword v2, v4, s[0:3], 0 offen offset:4
	buffer_load_dword v3, v4, s[0:3], 0 offen offset:8
	;; [unrolled: 1-line block ×3, first 2 shown]
	s_waitcnt vmcnt(0)
	ds_write_b128 v114, v[1:4]
	s_waitcnt lgkmcnt(0)
	s_waitcnt_vscnt null, 0x0
	s_barrier
	buffer_gl0_inv
	s_and_saveexec_b32 s6, s5
	s_cbranch_execz .LBB53_35
; %bb.28:
	ds_read_b128 v[1:4], v114
	s_andn2_b32 vcc_lo, exec_lo, s62
	s_cbranch_vccnz .LBB53_30
; %bb.29:
	s_clause 0x3
	buffer_load_dword v115, v113, s[0:3], 0 offen offset:8
	buffer_load_dword v116, v113, s[0:3], 0 offen offset:12
	buffer_load_dword v117, v113, s[0:3], 0 offen
	buffer_load_dword v118, v113, s[0:3], 0 offen offset:4
	s_waitcnt vmcnt(2) lgkmcnt(0)
	v_mul_f64 v[120:121], v[3:4], v[115:116]
	v_mul_f64 v[115:116], v[1:2], v[115:116]
	s_waitcnt vmcnt(0)
	v_fma_f64 v[1:2], v[1:2], v[117:118], -v[120:121]
	v_fma_f64 v[3:4], v[3:4], v[117:118], v[115:116]
.LBB53_30:
	s_and_saveexec_b32 s8, s4
	s_cbranch_execz .LBB53_34
; %bb.31:
	v_subrev_nc_u32_e32 v115, 50, v0
	s_movk_i32 s63, 0x680
	s_mov_b32 s4, 0
	s_mov_b32 s64, s11
	.p2align	6
.LBB53_32:                              ; =>This Inner Loop Header: Depth=1
	v_mov_b32_e32 v118, s64
	v_add_nc_u32_e32 v115, -1, v115
	s_add_i32 s64, s64, 16
	s_clause 0x3
	buffer_load_dword v116, v118, s[0:3], 0 offen offset:8
	buffer_load_dword v117, v118, s[0:3], 0 offen offset:12
	buffer_load_dword v124, v118, s[0:3], 0 offen
	buffer_load_dword v125, v118, s[0:3], 0 offen offset:4
	v_mov_b32_e32 v118, s63
	v_cmp_eq_u32_e32 vcc_lo, 0, v115
	s_add_i32 s63, s63, 16
	ds_read_b128 v[120:123], v118
	s_or_b32 s4, vcc_lo, s4
	s_waitcnt vmcnt(2) lgkmcnt(0)
	v_mul_f64 v[126:127], v[122:123], v[116:117]
	v_mul_f64 v[116:117], v[120:121], v[116:117]
	s_waitcnt vmcnt(0)
	v_fma_f64 v[120:121], v[120:121], v[124:125], -v[126:127]
	v_fma_f64 v[116:117], v[122:123], v[124:125], v[116:117]
	v_add_f64 v[1:2], v[1:2], v[120:121]
	v_add_f64 v[3:4], v[3:4], v[116:117]
	s_andn2_b32 exec_lo, exec_lo, s4
	s_cbranch_execnz .LBB53_32
; %bb.33:
	s_or_b32 exec_lo, exec_lo, s4
.LBB53_34:
	s_or_b32 exec_lo, exec_lo, s8
	v_mov_b32_e32 v115, 0
	ds_read_b128 v[115:118], v115 offset:784
	s_waitcnt lgkmcnt(0)
	v_mul_f64 v[120:121], v[3:4], v[117:118]
	v_mul_f64 v[117:118], v[1:2], v[117:118]
	v_fma_f64 v[1:2], v[1:2], v[115:116], -v[120:121]
	v_fma_f64 v[3:4], v[3:4], v[115:116], v[117:118]
	buffer_store_dword v2, off, s[0:3], 0 offset:788
	buffer_store_dword v1, off, s[0:3], 0 offset:784
	;; [unrolled: 1-line block ×4, first 2 shown]
.LBB53_35:
	s_or_b32 exec_lo, exec_lo, s6
	v_mov_b32_e32 v4, s13
	v_cmp_lt_u32_e64 s4, 48, v0
	s_clause 0x3
	buffer_load_dword v1, v4, s[0:3], 0 offen
	buffer_load_dword v2, v4, s[0:3], 0 offen offset:4
	buffer_load_dword v3, v4, s[0:3], 0 offen offset:8
	;; [unrolled: 1-line block ×3, first 2 shown]
	s_waitcnt vmcnt(0)
	ds_write_b128 v114, v[1:4]
	s_waitcnt lgkmcnt(0)
	s_waitcnt_vscnt null, 0x0
	s_barrier
	buffer_gl0_inv
	s_and_saveexec_b32 s6, s4
	s_cbranch_execz .LBB53_43
; %bb.36:
	ds_read_b128 v[1:4], v114
	s_andn2_b32 vcc_lo, exec_lo, s62
	s_cbranch_vccnz .LBB53_38
; %bb.37:
	s_clause 0x3
	buffer_load_dword v115, v113, s[0:3], 0 offen offset:8
	buffer_load_dword v116, v113, s[0:3], 0 offen offset:12
	buffer_load_dword v117, v113, s[0:3], 0 offen
	buffer_load_dword v118, v113, s[0:3], 0 offen offset:4
	s_waitcnt vmcnt(2) lgkmcnt(0)
	v_mul_f64 v[120:121], v[3:4], v[115:116]
	v_mul_f64 v[115:116], v[1:2], v[115:116]
	s_waitcnt vmcnt(0)
	v_fma_f64 v[1:2], v[1:2], v[117:118], -v[120:121]
	v_fma_f64 v[3:4], v[3:4], v[117:118], v[115:116]
.LBB53_38:
	s_and_saveexec_b32 s8, s5
	s_cbranch_execz .LBB53_42
; %bb.39:
	v_subrev_nc_u32_e32 v115, 49, v0
	s_movk_i32 s63, 0x670
	s_mov_b32 s5, 0
	s_mov_b32 s64, s12
	.p2align	6
.LBB53_40:                              ; =>This Inner Loop Header: Depth=1
	v_mov_b32_e32 v118, s64
	v_add_nc_u32_e32 v115, -1, v115
	s_add_i32 s64, s64, 16
	s_clause 0x3
	buffer_load_dword v116, v118, s[0:3], 0 offen offset:8
	buffer_load_dword v117, v118, s[0:3], 0 offen offset:12
	buffer_load_dword v124, v118, s[0:3], 0 offen
	buffer_load_dword v125, v118, s[0:3], 0 offen offset:4
	v_mov_b32_e32 v118, s63
	v_cmp_eq_u32_e32 vcc_lo, 0, v115
	s_add_i32 s63, s63, 16
	ds_read_b128 v[120:123], v118
	s_or_b32 s5, vcc_lo, s5
	s_waitcnt vmcnt(2) lgkmcnt(0)
	v_mul_f64 v[126:127], v[122:123], v[116:117]
	v_mul_f64 v[116:117], v[120:121], v[116:117]
	s_waitcnt vmcnt(0)
	v_fma_f64 v[120:121], v[120:121], v[124:125], -v[126:127]
	v_fma_f64 v[116:117], v[122:123], v[124:125], v[116:117]
	v_add_f64 v[1:2], v[1:2], v[120:121]
	v_add_f64 v[3:4], v[3:4], v[116:117]
	s_andn2_b32 exec_lo, exec_lo, s5
	s_cbranch_execnz .LBB53_40
; %bb.41:
	s_or_b32 exec_lo, exec_lo, s5
.LBB53_42:
	s_or_b32 exec_lo, exec_lo, s8
	v_mov_b32_e32 v115, 0
	ds_read_b128 v[115:118], v115 offset:768
	s_waitcnt lgkmcnt(0)
	v_mul_f64 v[120:121], v[3:4], v[117:118]
	v_mul_f64 v[117:118], v[1:2], v[117:118]
	v_fma_f64 v[1:2], v[1:2], v[115:116], -v[120:121]
	v_fma_f64 v[3:4], v[3:4], v[115:116], v[117:118]
	buffer_store_dword v2, off, s[0:3], 0 offset:772
	buffer_store_dword v1, off, s[0:3], 0 offset:768
	;; [unrolled: 1-line block ×4, first 2 shown]
.LBB53_43:
	s_or_b32 exec_lo, exec_lo, s6
	v_mov_b32_e32 v4, s14
	v_cmp_lt_u32_e64 s5, 47, v0
	s_clause 0x3
	buffer_load_dword v1, v4, s[0:3], 0 offen
	buffer_load_dword v2, v4, s[0:3], 0 offen offset:4
	buffer_load_dword v3, v4, s[0:3], 0 offen offset:8
	;; [unrolled: 1-line block ×3, first 2 shown]
	s_waitcnt vmcnt(0)
	ds_write_b128 v114, v[1:4]
	s_waitcnt lgkmcnt(0)
	s_waitcnt_vscnt null, 0x0
	s_barrier
	buffer_gl0_inv
	s_and_saveexec_b32 s6, s5
	s_cbranch_execz .LBB53_51
; %bb.44:
	ds_read_b128 v[1:4], v114
	s_andn2_b32 vcc_lo, exec_lo, s62
	s_cbranch_vccnz .LBB53_46
; %bb.45:
	s_clause 0x3
	buffer_load_dword v115, v113, s[0:3], 0 offen offset:8
	buffer_load_dword v116, v113, s[0:3], 0 offen offset:12
	buffer_load_dword v117, v113, s[0:3], 0 offen
	buffer_load_dword v118, v113, s[0:3], 0 offen offset:4
	s_waitcnt vmcnt(2) lgkmcnt(0)
	v_mul_f64 v[120:121], v[3:4], v[115:116]
	v_mul_f64 v[115:116], v[1:2], v[115:116]
	s_waitcnt vmcnt(0)
	v_fma_f64 v[1:2], v[1:2], v[117:118], -v[120:121]
	v_fma_f64 v[3:4], v[3:4], v[117:118], v[115:116]
.LBB53_46:
	s_and_saveexec_b32 s8, s4
	s_cbranch_execz .LBB53_50
; %bb.47:
	v_subrev_nc_u32_e32 v115, 48, v0
	s_movk_i32 s63, 0x660
	s_mov_b32 s4, 0
	s_mov_b32 s64, s13
	.p2align	6
.LBB53_48:                              ; =>This Inner Loop Header: Depth=1
	v_mov_b32_e32 v118, s64
	v_add_nc_u32_e32 v115, -1, v115
	s_add_i32 s64, s64, 16
	s_clause 0x3
	buffer_load_dword v116, v118, s[0:3], 0 offen offset:8
	buffer_load_dword v117, v118, s[0:3], 0 offen offset:12
	buffer_load_dword v124, v118, s[0:3], 0 offen
	buffer_load_dword v125, v118, s[0:3], 0 offen offset:4
	v_mov_b32_e32 v118, s63
	v_cmp_eq_u32_e32 vcc_lo, 0, v115
	s_add_i32 s63, s63, 16
	ds_read_b128 v[120:123], v118
	s_or_b32 s4, vcc_lo, s4
	s_waitcnt vmcnt(2) lgkmcnt(0)
	v_mul_f64 v[126:127], v[122:123], v[116:117]
	v_mul_f64 v[116:117], v[120:121], v[116:117]
	s_waitcnt vmcnt(0)
	v_fma_f64 v[120:121], v[120:121], v[124:125], -v[126:127]
	v_fma_f64 v[116:117], v[122:123], v[124:125], v[116:117]
	v_add_f64 v[1:2], v[1:2], v[120:121]
	v_add_f64 v[3:4], v[3:4], v[116:117]
	s_andn2_b32 exec_lo, exec_lo, s4
	s_cbranch_execnz .LBB53_48
; %bb.49:
	s_or_b32 exec_lo, exec_lo, s4
.LBB53_50:
	s_or_b32 exec_lo, exec_lo, s8
	v_mov_b32_e32 v115, 0
	ds_read_b128 v[115:118], v115 offset:752
	s_waitcnt lgkmcnt(0)
	v_mul_f64 v[120:121], v[3:4], v[117:118]
	v_mul_f64 v[117:118], v[1:2], v[117:118]
	v_fma_f64 v[1:2], v[1:2], v[115:116], -v[120:121]
	v_fma_f64 v[3:4], v[3:4], v[115:116], v[117:118]
	buffer_store_dword v2, off, s[0:3], 0 offset:756
	buffer_store_dword v1, off, s[0:3], 0 offset:752
	buffer_store_dword v4, off, s[0:3], 0 offset:764
	buffer_store_dword v3, off, s[0:3], 0 offset:760
.LBB53_51:
	s_or_b32 exec_lo, exec_lo, s6
	v_mov_b32_e32 v4, s15
	v_cmp_lt_u32_e64 s4, 46, v0
	s_clause 0x3
	buffer_load_dword v1, v4, s[0:3], 0 offen
	buffer_load_dword v2, v4, s[0:3], 0 offen offset:4
	buffer_load_dword v3, v4, s[0:3], 0 offen offset:8
	;; [unrolled: 1-line block ×3, first 2 shown]
	s_waitcnt vmcnt(0)
	ds_write_b128 v114, v[1:4]
	s_waitcnt lgkmcnt(0)
	s_waitcnt_vscnt null, 0x0
	s_barrier
	buffer_gl0_inv
	s_and_saveexec_b32 s6, s4
	s_cbranch_execz .LBB53_59
; %bb.52:
	ds_read_b128 v[1:4], v114
	s_andn2_b32 vcc_lo, exec_lo, s62
	s_cbranch_vccnz .LBB53_54
; %bb.53:
	s_clause 0x3
	buffer_load_dword v115, v113, s[0:3], 0 offen offset:8
	buffer_load_dword v116, v113, s[0:3], 0 offen offset:12
	buffer_load_dword v117, v113, s[0:3], 0 offen
	buffer_load_dword v118, v113, s[0:3], 0 offen offset:4
	s_waitcnt vmcnt(2) lgkmcnt(0)
	v_mul_f64 v[120:121], v[3:4], v[115:116]
	v_mul_f64 v[115:116], v[1:2], v[115:116]
	s_waitcnt vmcnt(0)
	v_fma_f64 v[1:2], v[1:2], v[117:118], -v[120:121]
	v_fma_f64 v[3:4], v[3:4], v[117:118], v[115:116]
.LBB53_54:
	s_and_saveexec_b32 s8, s5
	s_cbranch_execz .LBB53_58
; %bb.55:
	v_subrev_nc_u32_e32 v115, 47, v0
	s_movk_i32 s63, 0x650
	s_mov_b32 s5, 0
	s_mov_b32 s64, s14
	.p2align	6
.LBB53_56:                              ; =>This Inner Loop Header: Depth=1
	v_mov_b32_e32 v118, s64
	v_add_nc_u32_e32 v115, -1, v115
	s_add_i32 s64, s64, 16
	s_clause 0x3
	buffer_load_dword v116, v118, s[0:3], 0 offen offset:8
	buffer_load_dword v117, v118, s[0:3], 0 offen offset:12
	buffer_load_dword v124, v118, s[0:3], 0 offen
	buffer_load_dword v125, v118, s[0:3], 0 offen offset:4
	v_mov_b32_e32 v118, s63
	v_cmp_eq_u32_e32 vcc_lo, 0, v115
	s_add_i32 s63, s63, 16
	ds_read_b128 v[120:123], v118
	s_or_b32 s5, vcc_lo, s5
	s_waitcnt vmcnt(2) lgkmcnt(0)
	v_mul_f64 v[126:127], v[122:123], v[116:117]
	v_mul_f64 v[116:117], v[120:121], v[116:117]
	s_waitcnt vmcnt(0)
	v_fma_f64 v[120:121], v[120:121], v[124:125], -v[126:127]
	v_fma_f64 v[116:117], v[122:123], v[124:125], v[116:117]
	v_add_f64 v[1:2], v[1:2], v[120:121]
	v_add_f64 v[3:4], v[3:4], v[116:117]
	s_andn2_b32 exec_lo, exec_lo, s5
	s_cbranch_execnz .LBB53_56
; %bb.57:
	s_or_b32 exec_lo, exec_lo, s5
.LBB53_58:
	s_or_b32 exec_lo, exec_lo, s8
	v_mov_b32_e32 v115, 0
	ds_read_b128 v[115:118], v115 offset:736
	s_waitcnt lgkmcnt(0)
	v_mul_f64 v[120:121], v[3:4], v[117:118]
	v_mul_f64 v[117:118], v[1:2], v[117:118]
	v_fma_f64 v[1:2], v[1:2], v[115:116], -v[120:121]
	v_fma_f64 v[3:4], v[3:4], v[115:116], v[117:118]
	buffer_store_dword v2, off, s[0:3], 0 offset:740
	buffer_store_dword v1, off, s[0:3], 0 offset:736
	buffer_store_dword v4, off, s[0:3], 0 offset:748
	buffer_store_dword v3, off, s[0:3], 0 offset:744
.LBB53_59:
	s_or_b32 exec_lo, exec_lo, s6
	v_mov_b32_e32 v4, s16
	v_cmp_lt_u32_e64 s5, 45, v0
	s_clause 0x3
	buffer_load_dword v1, v4, s[0:3], 0 offen
	buffer_load_dword v2, v4, s[0:3], 0 offen offset:4
	buffer_load_dword v3, v4, s[0:3], 0 offen offset:8
	;; [unrolled: 1-line block ×3, first 2 shown]
	s_waitcnt vmcnt(0)
	ds_write_b128 v114, v[1:4]
	s_waitcnt lgkmcnt(0)
	s_waitcnt_vscnt null, 0x0
	s_barrier
	buffer_gl0_inv
	s_and_saveexec_b32 s6, s5
	s_cbranch_execz .LBB53_67
; %bb.60:
	ds_read_b128 v[1:4], v114
	s_andn2_b32 vcc_lo, exec_lo, s62
	s_cbranch_vccnz .LBB53_62
; %bb.61:
	s_clause 0x3
	buffer_load_dword v115, v113, s[0:3], 0 offen offset:8
	buffer_load_dword v116, v113, s[0:3], 0 offen offset:12
	buffer_load_dword v117, v113, s[0:3], 0 offen
	buffer_load_dword v118, v113, s[0:3], 0 offen offset:4
	s_waitcnt vmcnt(2) lgkmcnt(0)
	v_mul_f64 v[120:121], v[3:4], v[115:116]
	v_mul_f64 v[115:116], v[1:2], v[115:116]
	s_waitcnt vmcnt(0)
	v_fma_f64 v[1:2], v[1:2], v[117:118], -v[120:121]
	v_fma_f64 v[3:4], v[3:4], v[117:118], v[115:116]
.LBB53_62:
	s_and_saveexec_b32 s8, s4
	s_cbranch_execz .LBB53_66
; %bb.63:
	v_subrev_nc_u32_e32 v115, 46, v0
	s_movk_i32 s63, 0x640
	s_mov_b32 s4, 0
	s_mov_b32 s64, s15
	.p2align	6
.LBB53_64:                              ; =>This Inner Loop Header: Depth=1
	v_mov_b32_e32 v118, s64
	v_add_nc_u32_e32 v115, -1, v115
	s_add_i32 s64, s64, 16
	s_clause 0x3
	buffer_load_dword v116, v118, s[0:3], 0 offen offset:8
	buffer_load_dword v117, v118, s[0:3], 0 offen offset:12
	buffer_load_dword v124, v118, s[0:3], 0 offen
	buffer_load_dword v125, v118, s[0:3], 0 offen offset:4
	v_mov_b32_e32 v118, s63
	v_cmp_eq_u32_e32 vcc_lo, 0, v115
	s_add_i32 s63, s63, 16
	ds_read_b128 v[120:123], v118
	s_or_b32 s4, vcc_lo, s4
	s_waitcnt vmcnt(2) lgkmcnt(0)
	v_mul_f64 v[126:127], v[122:123], v[116:117]
	v_mul_f64 v[116:117], v[120:121], v[116:117]
	s_waitcnt vmcnt(0)
	v_fma_f64 v[120:121], v[120:121], v[124:125], -v[126:127]
	v_fma_f64 v[116:117], v[122:123], v[124:125], v[116:117]
	v_add_f64 v[1:2], v[1:2], v[120:121]
	v_add_f64 v[3:4], v[3:4], v[116:117]
	s_andn2_b32 exec_lo, exec_lo, s4
	s_cbranch_execnz .LBB53_64
; %bb.65:
	s_or_b32 exec_lo, exec_lo, s4
.LBB53_66:
	s_or_b32 exec_lo, exec_lo, s8
	v_mov_b32_e32 v115, 0
	ds_read_b128 v[115:118], v115 offset:720
	s_waitcnt lgkmcnt(0)
	v_mul_f64 v[120:121], v[3:4], v[117:118]
	v_mul_f64 v[117:118], v[1:2], v[117:118]
	v_fma_f64 v[1:2], v[1:2], v[115:116], -v[120:121]
	v_fma_f64 v[3:4], v[3:4], v[115:116], v[117:118]
	buffer_store_dword v2, off, s[0:3], 0 offset:724
	buffer_store_dword v1, off, s[0:3], 0 offset:720
	;; [unrolled: 1-line block ×4, first 2 shown]
.LBB53_67:
	s_or_b32 exec_lo, exec_lo, s6
	v_mov_b32_e32 v4, s17
	v_cmp_lt_u32_e64 s4, 44, v0
	s_clause 0x3
	buffer_load_dword v1, v4, s[0:3], 0 offen
	buffer_load_dword v2, v4, s[0:3], 0 offen offset:4
	buffer_load_dword v3, v4, s[0:3], 0 offen offset:8
	;; [unrolled: 1-line block ×3, first 2 shown]
	s_waitcnt vmcnt(0)
	ds_write_b128 v114, v[1:4]
	s_waitcnt lgkmcnt(0)
	s_waitcnt_vscnt null, 0x0
	s_barrier
	buffer_gl0_inv
	s_and_saveexec_b32 s6, s4
	s_cbranch_execz .LBB53_75
; %bb.68:
	ds_read_b128 v[1:4], v114
	s_andn2_b32 vcc_lo, exec_lo, s62
	s_cbranch_vccnz .LBB53_70
; %bb.69:
	s_clause 0x3
	buffer_load_dword v115, v113, s[0:3], 0 offen offset:8
	buffer_load_dword v116, v113, s[0:3], 0 offen offset:12
	buffer_load_dword v117, v113, s[0:3], 0 offen
	buffer_load_dword v118, v113, s[0:3], 0 offen offset:4
	s_waitcnt vmcnt(2) lgkmcnt(0)
	v_mul_f64 v[120:121], v[3:4], v[115:116]
	v_mul_f64 v[115:116], v[1:2], v[115:116]
	s_waitcnt vmcnt(0)
	v_fma_f64 v[1:2], v[1:2], v[117:118], -v[120:121]
	v_fma_f64 v[3:4], v[3:4], v[117:118], v[115:116]
.LBB53_70:
	s_and_saveexec_b32 s8, s5
	s_cbranch_execz .LBB53_74
; %bb.71:
	v_subrev_nc_u32_e32 v115, 45, v0
	s_movk_i32 s63, 0x630
	s_mov_b32 s5, 0
	s_mov_b32 s64, s16
	.p2align	6
.LBB53_72:                              ; =>This Inner Loop Header: Depth=1
	v_mov_b32_e32 v118, s64
	v_add_nc_u32_e32 v115, -1, v115
	s_add_i32 s64, s64, 16
	s_clause 0x3
	buffer_load_dword v116, v118, s[0:3], 0 offen offset:8
	buffer_load_dword v117, v118, s[0:3], 0 offen offset:12
	buffer_load_dword v124, v118, s[0:3], 0 offen
	buffer_load_dword v125, v118, s[0:3], 0 offen offset:4
	v_mov_b32_e32 v118, s63
	v_cmp_eq_u32_e32 vcc_lo, 0, v115
	s_add_i32 s63, s63, 16
	ds_read_b128 v[120:123], v118
	s_or_b32 s5, vcc_lo, s5
	s_waitcnt vmcnt(2) lgkmcnt(0)
	v_mul_f64 v[126:127], v[122:123], v[116:117]
	v_mul_f64 v[116:117], v[120:121], v[116:117]
	s_waitcnt vmcnt(0)
	v_fma_f64 v[120:121], v[120:121], v[124:125], -v[126:127]
	v_fma_f64 v[116:117], v[122:123], v[124:125], v[116:117]
	v_add_f64 v[1:2], v[1:2], v[120:121]
	v_add_f64 v[3:4], v[3:4], v[116:117]
	s_andn2_b32 exec_lo, exec_lo, s5
	s_cbranch_execnz .LBB53_72
; %bb.73:
	s_or_b32 exec_lo, exec_lo, s5
.LBB53_74:
	s_or_b32 exec_lo, exec_lo, s8
	v_mov_b32_e32 v115, 0
	ds_read_b128 v[115:118], v115 offset:704
	s_waitcnt lgkmcnt(0)
	v_mul_f64 v[120:121], v[3:4], v[117:118]
	v_mul_f64 v[117:118], v[1:2], v[117:118]
	v_fma_f64 v[1:2], v[1:2], v[115:116], -v[120:121]
	v_fma_f64 v[3:4], v[3:4], v[115:116], v[117:118]
	buffer_store_dword v2, off, s[0:3], 0 offset:708
	buffer_store_dword v1, off, s[0:3], 0 offset:704
	;; [unrolled: 1-line block ×4, first 2 shown]
.LBB53_75:
	s_or_b32 exec_lo, exec_lo, s6
	v_mov_b32_e32 v4, s18
	v_cmp_lt_u32_e64 s5, 43, v0
	s_clause 0x3
	buffer_load_dword v1, v4, s[0:3], 0 offen
	buffer_load_dword v2, v4, s[0:3], 0 offen offset:4
	buffer_load_dword v3, v4, s[0:3], 0 offen offset:8
	;; [unrolled: 1-line block ×3, first 2 shown]
	s_waitcnt vmcnt(0)
	ds_write_b128 v114, v[1:4]
	s_waitcnt lgkmcnt(0)
	s_waitcnt_vscnt null, 0x0
	s_barrier
	buffer_gl0_inv
	s_and_saveexec_b32 s6, s5
	s_cbranch_execz .LBB53_83
; %bb.76:
	ds_read_b128 v[1:4], v114
	s_andn2_b32 vcc_lo, exec_lo, s62
	s_cbranch_vccnz .LBB53_78
; %bb.77:
	s_clause 0x3
	buffer_load_dword v115, v113, s[0:3], 0 offen offset:8
	buffer_load_dword v116, v113, s[0:3], 0 offen offset:12
	buffer_load_dword v117, v113, s[0:3], 0 offen
	buffer_load_dword v118, v113, s[0:3], 0 offen offset:4
	s_waitcnt vmcnt(2) lgkmcnt(0)
	v_mul_f64 v[120:121], v[3:4], v[115:116]
	v_mul_f64 v[115:116], v[1:2], v[115:116]
	s_waitcnt vmcnt(0)
	v_fma_f64 v[1:2], v[1:2], v[117:118], -v[120:121]
	v_fma_f64 v[3:4], v[3:4], v[117:118], v[115:116]
.LBB53_78:
	s_and_saveexec_b32 s8, s4
	s_cbranch_execz .LBB53_82
; %bb.79:
	v_subrev_nc_u32_e32 v115, 44, v0
	s_movk_i32 s63, 0x620
	s_mov_b32 s4, 0
	s_mov_b32 s64, s17
	.p2align	6
.LBB53_80:                              ; =>This Inner Loop Header: Depth=1
	v_mov_b32_e32 v118, s64
	v_add_nc_u32_e32 v115, -1, v115
	s_add_i32 s64, s64, 16
	s_clause 0x3
	buffer_load_dword v116, v118, s[0:3], 0 offen offset:8
	buffer_load_dword v117, v118, s[0:3], 0 offen offset:12
	buffer_load_dword v124, v118, s[0:3], 0 offen
	buffer_load_dword v125, v118, s[0:3], 0 offen offset:4
	v_mov_b32_e32 v118, s63
	v_cmp_eq_u32_e32 vcc_lo, 0, v115
	s_add_i32 s63, s63, 16
	ds_read_b128 v[120:123], v118
	s_or_b32 s4, vcc_lo, s4
	s_waitcnt vmcnt(2) lgkmcnt(0)
	v_mul_f64 v[126:127], v[122:123], v[116:117]
	v_mul_f64 v[116:117], v[120:121], v[116:117]
	s_waitcnt vmcnt(0)
	v_fma_f64 v[120:121], v[120:121], v[124:125], -v[126:127]
	v_fma_f64 v[116:117], v[122:123], v[124:125], v[116:117]
	v_add_f64 v[1:2], v[1:2], v[120:121]
	v_add_f64 v[3:4], v[3:4], v[116:117]
	s_andn2_b32 exec_lo, exec_lo, s4
	s_cbranch_execnz .LBB53_80
; %bb.81:
	s_or_b32 exec_lo, exec_lo, s4
.LBB53_82:
	s_or_b32 exec_lo, exec_lo, s8
	v_mov_b32_e32 v115, 0
	ds_read_b128 v[115:118], v115 offset:688
	s_waitcnt lgkmcnt(0)
	v_mul_f64 v[120:121], v[3:4], v[117:118]
	v_mul_f64 v[117:118], v[1:2], v[117:118]
	v_fma_f64 v[1:2], v[1:2], v[115:116], -v[120:121]
	v_fma_f64 v[3:4], v[3:4], v[115:116], v[117:118]
	buffer_store_dword v2, off, s[0:3], 0 offset:692
	buffer_store_dword v1, off, s[0:3], 0 offset:688
	;; [unrolled: 1-line block ×4, first 2 shown]
.LBB53_83:
	s_or_b32 exec_lo, exec_lo, s6
	v_mov_b32_e32 v4, s19
	v_cmp_lt_u32_e64 s4, 42, v0
	s_clause 0x3
	buffer_load_dword v1, v4, s[0:3], 0 offen
	buffer_load_dword v2, v4, s[0:3], 0 offen offset:4
	buffer_load_dword v3, v4, s[0:3], 0 offen offset:8
	;; [unrolled: 1-line block ×3, first 2 shown]
	s_waitcnt vmcnt(0)
	ds_write_b128 v114, v[1:4]
	s_waitcnt lgkmcnt(0)
	s_waitcnt_vscnt null, 0x0
	s_barrier
	buffer_gl0_inv
	s_and_saveexec_b32 s6, s4
	s_cbranch_execz .LBB53_91
; %bb.84:
	ds_read_b128 v[1:4], v114
	s_andn2_b32 vcc_lo, exec_lo, s62
	s_cbranch_vccnz .LBB53_86
; %bb.85:
	s_clause 0x3
	buffer_load_dword v115, v113, s[0:3], 0 offen offset:8
	buffer_load_dword v116, v113, s[0:3], 0 offen offset:12
	buffer_load_dword v117, v113, s[0:3], 0 offen
	buffer_load_dword v118, v113, s[0:3], 0 offen offset:4
	s_waitcnt vmcnt(2) lgkmcnt(0)
	v_mul_f64 v[120:121], v[3:4], v[115:116]
	v_mul_f64 v[115:116], v[1:2], v[115:116]
	s_waitcnt vmcnt(0)
	v_fma_f64 v[1:2], v[1:2], v[117:118], -v[120:121]
	v_fma_f64 v[3:4], v[3:4], v[117:118], v[115:116]
.LBB53_86:
	s_and_saveexec_b32 s8, s5
	s_cbranch_execz .LBB53_90
; %bb.87:
	v_subrev_nc_u32_e32 v115, 43, v0
	s_movk_i32 s63, 0x610
	s_mov_b32 s5, 0
	s_mov_b32 s64, s18
	.p2align	6
.LBB53_88:                              ; =>This Inner Loop Header: Depth=1
	v_mov_b32_e32 v118, s64
	v_add_nc_u32_e32 v115, -1, v115
	s_add_i32 s64, s64, 16
	s_clause 0x3
	buffer_load_dword v116, v118, s[0:3], 0 offen offset:8
	buffer_load_dword v117, v118, s[0:3], 0 offen offset:12
	buffer_load_dword v124, v118, s[0:3], 0 offen
	buffer_load_dword v125, v118, s[0:3], 0 offen offset:4
	v_mov_b32_e32 v118, s63
	v_cmp_eq_u32_e32 vcc_lo, 0, v115
	s_add_i32 s63, s63, 16
	ds_read_b128 v[120:123], v118
	s_or_b32 s5, vcc_lo, s5
	s_waitcnt vmcnt(2) lgkmcnt(0)
	v_mul_f64 v[126:127], v[122:123], v[116:117]
	v_mul_f64 v[116:117], v[120:121], v[116:117]
	s_waitcnt vmcnt(0)
	v_fma_f64 v[120:121], v[120:121], v[124:125], -v[126:127]
	v_fma_f64 v[116:117], v[122:123], v[124:125], v[116:117]
	v_add_f64 v[1:2], v[1:2], v[120:121]
	v_add_f64 v[3:4], v[3:4], v[116:117]
	s_andn2_b32 exec_lo, exec_lo, s5
	s_cbranch_execnz .LBB53_88
; %bb.89:
	s_or_b32 exec_lo, exec_lo, s5
.LBB53_90:
	s_or_b32 exec_lo, exec_lo, s8
	v_mov_b32_e32 v115, 0
	ds_read_b128 v[115:118], v115 offset:672
	s_waitcnt lgkmcnt(0)
	v_mul_f64 v[120:121], v[3:4], v[117:118]
	v_mul_f64 v[117:118], v[1:2], v[117:118]
	v_fma_f64 v[1:2], v[1:2], v[115:116], -v[120:121]
	v_fma_f64 v[3:4], v[3:4], v[115:116], v[117:118]
	buffer_store_dword v2, off, s[0:3], 0 offset:676
	buffer_store_dword v1, off, s[0:3], 0 offset:672
	;; [unrolled: 1-line block ×4, first 2 shown]
.LBB53_91:
	s_or_b32 exec_lo, exec_lo, s6
	v_mov_b32_e32 v4, s20
	v_cmp_lt_u32_e64 s5, 41, v0
	s_clause 0x3
	buffer_load_dword v1, v4, s[0:3], 0 offen
	buffer_load_dword v2, v4, s[0:3], 0 offen offset:4
	buffer_load_dword v3, v4, s[0:3], 0 offen offset:8
	;; [unrolled: 1-line block ×3, first 2 shown]
	s_waitcnt vmcnt(0)
	ds_write_b128 v114, v[1:4]
	s_waitcnt lgkmcnt(0)
	s_waitcnt_vscnt null, 0x0
	s_barrier
	buffer_gl0_inv
	s_and_saveexec_b32 s6, s5
	s_cbranch_execz .LBB53_99
; %bb.92:
	ds_read_b128 v[1:4], v114
	s_andn2_b32 vcc_lo, exec_lo, s62
	s_cbranch_vccnz .LBB53_94
; %bb.93:
	s_clause 0x3
	buffer_load_dword v115, v113, s[0:3], 0 offen offset:8
	buffer_load_dword v116, v113, s[0:3], 0 offen offset:12
	buffer_load_dword v117, v113, s[0:3], 0 offen
	buffer_load_dword v118, v113, s[0:3], 0 offen offset:4
	s_waitcnt vmcnt(2) lgkmcnt(0)
	v_mul_f64 v[120:121], v[3:4], v[115:116]
	v_mul_f64 v[115:116], v[1:2], v[115:116]
	s_waitcnt vmcnt(0)
	v_fma_f64 v[1:2], v[1:2], v[117:118], -v[120:121]
	v_fma_f64 v[3:4], v[3:4], v[117:118], v[115:116]
.LBB53_94:
	s_and_saveexec_b32 s8, s4
	s_cbranch_execz .LBB53_98
; %bb.95:
	v_subrev_nc_u32_e32 v115, 42, v0
	s_movk_i32 s63, 0x600
	s_mov_b32 s4, 0
	s_mov_b32 s64, s19
	.p2align	6
.LBB53_96:                              ; =>This Inner Loop Header: Depth=1
	v_mov_b32_e32 v118, s64
	v_add_nc_u32_e32 v115, -1, v115
	s_add_i32 s64, s64, 16
	s_clause 0x3
	buffer_load_dword v116, v118, s[0:3], 0 offen offset:8
	buffer_load_dword v117, v118, s[0:3], 0 offen offset:12
	buffer_load_dword v124, v118, s[0:3], 0 offen
	buffer_load_dword v125, v118, s[0:3], 0 offen offset:4
	v_mov_b32_e32 v118, s63
	v_cmp_eq_u32_e32 vcc_lo, 0, v115
	s_add_i32 s63, s63, 16
	ds_read_b128 v[120:123], v118
	s_or_b32 s4, vcc_lo, s4
	s_waitcnt vmcnt(2) lgkmcnt(0)
	v_mul_f64 v[126:127], v[122:123], v[116:117]
	v_mul_f64 v[116:117], v[120:121], v[116:117]
	s_waitcnt vmcnt(0)
	v_fma_f64 v[120:121], v[120:121], v[124:125], -v[126:127]
	v_fma_f64 v[116:117], v[122:123], v[124:125], v[116:117]
	v_add_f64 v[1:2], v[1:2], v[120:121]
	v_add_f64 v[3:4], v[3:4], v[116:117]
	s_andn2_b32 exec_lo, exec_lo, s4
	s_cbranch_execnz .LBB53_96
; %bb.97:
	s_or_b32 exec_lo, exec_lo, s4
.LBB53_98:
	s_or_b32 exec_lo, exec_lo, s8
	v_mov_b32_e32 v115, 0
	ds_read_b128 v[115:118], v115 offset:656
	s_waitcnt lgkmcnt(0)
	v_mul_f64 v[120:121], v[3:4], v[117:118]
	v_mul_f64 v[117:118], v[1:2], v[117:118]
	v_fma_f64 v[1:2], v[1:2], v[115:116], -v[120:121]
	v_fma_f64 v[3:4], v[3:4], v[115:116], v[117:118]
	buffer_store_dword v2, off, s[0:3], 0 offset:660
	buffer_store_dword v1, off, s[0:3], 0 offset:656
	;; [unrolled: 1-line block ×4, first 2 shown]
.LBB53_99:
	s_or_b32 exec_lo, exec_lo, s6
	v_mov_b32_e32 v4, s21
	v_cmp_lt_u32_e64 s4, 40, v0
	s_clause 0x3
	buffer_load_dword v1, v4, s[0:3], 0 offen
	buffer_load_dword v2, v4, s[0:3], 0 offen offset:4
	buffer_load_dword v3, v4, s[0:3], 0 offen offset:8
	;; [unrolled: 1-line block ×3, first 2 shown]
	s_waitcnt vmcnt(0)
	ds_write_b128 v114, v[1:4]
	s_waitcnt lgkmcnt(0)
	s_waitcnt_vscnt null, 0x0
	s_barrier
	buffer_gl0_inv
	s_and_saveexec_b32 s6, s4
	s_cbranch_execz .LBB53_107
; %bb.100:
	ds_read_b128 v[1:4], v114
	s_andn2_b32 vcc_lo, exec_lo, s62
	s_cbranch_vccnz .LBB53_102
; %bb.101:
	s_clause 0x3
	buffer_load_dword v115, v113, s[0:3], 0 offen offset:8
	buffer_load_dword v116, v113, s[0:3], 0 offen offset:12
	buffer_load_dword v117, v113, s[0:3], 0 offen
	buffer_load_dword v118, v113, s[0:3], 0 offen offset:4
	s_waitcnt vmcnt(2) lgkmcnt(0)
	v_mul_f64 v[120:121], v[3:4], v[115:116]
	v_mul_f64 v[115:116], v[1:2], v[115:116]
	s_waitcnt vmcnt(0)
	v_fma_f64 v[1:2], v[1:2], v[117:118], -v[120:121]
	v_fma_f64 v[3:4], v[3:4], v[117:118], v[115:116]
.LBB53_102:
	s_and_saveexec_b32 s8, s5
	s_cbranch_execz .LBB53_106
; %bb.103:
	v_subrev_nc_u32_e32 v115, 41, v0
	s_movk_i32 s63, 0x5f0
	s_mov_b32 s5, 0
	s_mov_b32 s64, s20
	.p2align	6
.LBB53_104:                             ; =>This Inner Loop Header: Depth=1
	v_mov_b32_e32 v118, s64
	v_add_nc_u32_e32 v115, -1, v115
	s_add_i32 s64, s64, 16
	s_clause 0x3
	buffer_load_dword v116, v118, s[0:3], 0 offen offset:8
	buffer_load_dword v117, v118, s[0:3], 0 offen offset:12
	buffer_load_dword v124, v118, s[0:3], 0 offen
	buffer_load_dword v125, v118, s[0:3], 0 offen offset:4
	v_mov_b32_e32 v118, s63
	v_cmp_eq_u32_e32 vcc_lo, 0, v115
	s_add_i32 s63, s63, 16
	ds_read_b128 v[120:123], v118
	s_or_b32 s5, vcc_lo, s5
	s_waitcnt vmcnt(2) lgkmcnt(0)
	v_mul_f64 v[126:127], v[122:123], v[116:117]
	v_mul_f64 v[116:117], v[120:121], v[116:117]
	s_waitcnt vmcnt(0)
	v_fma_f64 v[120:121], v[120:121], v[124:125], -v[126:127]
	v_fma_f64 v[116:117], v[122:123], v[124:125], v[116:117]
	v_add_f64 v[1:2], v[1:2], v[120:121]
	v_add_f64 v[3:4], v[3:4], v[116:117]
	s_andn2_b32 exec_lo, exec_lo, s5
	s_cbranch_execnz .LBB53_104
; %bb.105:
	s_or_b32 exec_lo, exec_lo, s5
.LBB53_106:
	s_or_b32 exec_lo, exec_lo, s8
	v_mov_b32_e32 v115, 0
	ds_read_b128 v[115:118], v115 offset:640
	s_waitcnt lgkmcnt(0)
	v_mul_f64 v[120:121], v[3:4], v[117:118]
	v_mul_f64 v[117:118], v[1:2], v[117:118]
	v_fma_f64 v[1:2], v[1:2], v[115:116], -v[120:121]
	v_fma_f64 v[3:4], v[3:4], v[115:116], v[117:118]
	buffer_store_dword v2, off, s[0:3], 0 offset:644
	buffer_store_dword v1, off, s[0:3], 0 offset:640
	;; [unrolled: 1-line block ×4, first 2 shown]
.LBB53_107:
	s_or_b32 exec_lo, exec_lo, s6
	v_mov_b32_e32 v4, s22
	v_cmp_lt_u32_e64 s5, 39, v0
	s_clause 0x3
	buffer_load_dword v1, v4, s[0:3], 0 offen
	buffer_load_dword v2, v4, s[0:3], 0 offen offset:4
	buffer_load_dword v3, v4, s[0:3], 0 offen offset:8
	;; [unrolled: 1-line block ×3, first 2 shown]
	s_waitcnt vmcnt(0)
	ds_write_b128 v114, v[1:4]
	s_waitcnt lgkmcnt(0)
	s_waitcnt_vscnt null, 0x0
	s_barrier
	buffer_gl0_inv
	s_and_saveexec_b32 s6, s5
	s_cbranch_execz .LBB53_115
; %bb.108:
	ds_read_b128 v[1:4], v114
	s_andn2_b32 vcc_lo, exec_lo, s62
	s_cbranch_vccnz .LBB53_110
; %bb.109:
	s_clause 0x3
	buffer_load_dword v115, v113, s[0:3], 0 offen offset:8
	buffer_load_dword v116, v113, s[0:3], 0 offen offset:12
	buffer_load_dword v117, v113, s[0:3], 0 offen
	buffer_load_dword v118, v113, s[0:3], 0 offen offset:4
	s_waitcnt vmcnt(2) lgkmcnt(0)
	v_mul_f64 v[120:121], v[3:4], v[115:116]
	v_mul_f64 v[115:116], v[1:2], v[115:116]
	s_waitcnt vmcnt(0)
	v_fma_f64 v[1:2], v[1:2], v[117:118], -v[120:121]
	v_fma_f64 v[3:4], v[3:4], v[117:118], v[115:116]
.LBB53_110:
	s_and_saveexec_b32 s8, s4
	s_cbranch_execz .LBB53_114
; %bb.111:
	v_subrev_nc_u32_e32 v115, 40, v0
	s_movk_i32 s63, 0x5e0
	s_mov_b32 s4, 0
	s_mov_b32 s64, s21
	.p2align	6
.LBB53_112:                             ; =>This Inner Loop Header: Depth=1
	v_mov_b32_e32 v118, s64
	v_add_nc_u32_e32 v115, -1, v115
	s_add_i32 s64, s64, 16
	s_clause 0x3
	buffer_load_dword v116, v118, s[0:3], 0 offen offset:8
	buffer_load_dword v117, v118, s[0:3], 0 offen offset:12
	buffer_load_dword v124, v118, s[0:3], 0 offen
	buffer_load_dword v125, v118, s[0:3], 0 offen offset:4
	v_mov_b32_e32 v118, s63
	v_cmp_eq_u32_e32 vcc_lo, 0, v115
	s_add_i32 s63, s63, 16
	ds_read_b128 v[120:123], v118
	s_or_b32 s4, vcc_lo, s4
	s_waitcnt vmcnt(2) lgkmcnt(0)
	v_mul_f64 v[126:127], v[122:123], v[116:117]
	v_mul_f64 v[116:117], v[120:121], v[116:117]
	s_waitcnt vmcnt(0)
	v_fma_f64 v[120:121], v[120:121], v[124:125], -v[126:127]
	v_fma_f64 v[116:117], v[122:123], v[124:125], v[116:117]
	v_add_f64 v[1:2], v[1:2], v[120:121]
	v_add_f64 v[3:4], v[3:4], v[116:117]
	s_andn2_b32 exec_lo, exec_lo, s4
	s_cbranch_execnz .LBB53_112
; %bb.113:
	s_or_b32 exec_lo, exec_lo, s4
.LBB53_114:
	s_or_b32 exec_lo, exec_lo, s8
	v_mov_b32_e32 v115, 0
	ds_read_b128 v[115:118], v115 offset:624
	s_waitcnt lgkmcnt(0)
	v_mul_f64 v[120:121], v[3:4], v[117:118]
	v_mul_f64 v[117:118], v[1:2], v[117:118]
	v_fma_f64 v[1:2], v[1:2], v[115:116], -v[120:121]
	v_fma_f64 v[3:4], v[3:4], v[115:116], v[117:118]
	buffer_store_dword v2, off, s[0:3], 0 offset:628
	buffer_store_dword v1, off, s[0:3], 0 offset:624
	;; [unrolled: 1-line block ×4, first 2 shown]
.LBB53_115:
	s_or_b32 exec_lo, exec_lo, s6
	v_mov_b32_e32 v4, s23
	v_cmp_lt_u32_e64 s4, 38, v0
	s_clause 0x3
	buffer_load_dword v1, v4, s[0:3], 0 offen
	buffer_load_dword v2, v4, s[0:3], 0 offen offset:4
	buffer_load_dword v3, v4, s[0:3], 0 offen offset:8
	;; [unrolled: 1-line block ×3, first 2 shown]
	s_waitcnt vmcnt(0)
	ds_write_b128 v114, v[1:4]
	s_waitcnt lgkmcnt(0)
	s_waitcnt_vscnt null, 0x0
	s_barrier
	buffer_gl0_inv
	s_and_saveexec_b32 s6, s4
	s_cbranch_execz .LBB53_123
; %bb.116:
	ds_read_b128 v[1:4], v114
	s_andn2_b32 vcc_lo, exec_lo, s62
	s_cbranch_vccnz .LBB53_118
; %bb.117:
	s_clause 0x3
	buffer_load_dword v115, v113, s[0:3], 0 offen offset:8
	buffer_load_dword v116, v113, s[0:3], 0 offen offset:12
	buffer_load_dword v117, v113, s[0:3], 0 offen
	buffer_load_dword v118, v113, s[0:3], 0 offen offset:4
	s_waitcnt vmcnt(2) lgkmcnt(0)
	v_mul_f64 v[120:121], v[3:4], v[115:116]
	v_mul_f64 v[115:116], v[1:2], v[115:116]
	s_waitcnt vmcnt(0)
	v_fma_f64 v[1:2], v[1:2], v[117:118], -v[120:121]
	v_fma_f64 v[3:4], v[3:4], v[117:118], v[115:116]
.LBB53_118:
	s_and_saveexec_b32 s8, s5
	s_cbranch_execz .LBB53_122
; %bb.119:
	v_subrev_nc_u32_e32 v115, 39, v0
	s_movk_i32 s63, 0x5d0
	s_mov_b32 s5, 0
	s_mov_b32 s64, s22
	.p2align	6
.LBB53_120:                             ; =>This Inner Loop Header: Depth=1
	v_mov_b32_e32 v118, s64
	v_add_nc_u32_e32 v115, -1, v115
	s_add_i32 s64, s64, 16
	s_clause 0x3
	buffer_load_dword v116, v118, s[0:3], 0 offen offset:8
	buffer_load_dword v117, v118, s[0:3], 0 offen offset:12
	buffer_load_dword v124, v118, s[0:3], 0 offen
	buffer_load_dword v125, v118, s[0:3], 0 offen offset:4
	v_mov_b32_e32 v118, s63
	v_cmp_eq_u32_e32 vcc_lo, 0, v115
	s_add_i32 s63, s63, 16
	ds_read_b128 v[120:123], v118
	s_or_b32 s5, vcc_lo, s5
	s_waitcnt vmcnt(2) lgkmcnt(0)
	v_mul_f64 v[126:127], v[122:123], v[116:117]
	v_mul_f64 v[116:117], v[120:121], v[116:117]
	s_waitcnt vmcnt(0)
	v_fma_f64 v[120:121], v[120:121], v[124:125], -v[126:127]
	v_fma_f64 v[116:117], v[122:123], v[124:125], v[116:117]
	v_add_f64 v[1:2], v[1:2], v[120:121]
	v_add_f64 v[3:4], v[3:4], v[116:117]
	s_andn2_b32 exec_lo, exec_lo, s5
	s_cbranch_execnz .LBB53_120
; %bb.121:
	s_or_b32 exec_lo, exec_lo, s5
.LBB53_122:
	s_or_b32 exec_lo, exec_lo, s8
	v_mov_b32_e32 v115, 0
	ds_read_b128 v[115:118], v115 offset:608
	s_waitcnt lgkmcnt(0)
	v_mul_f64 v[120:121], v[3:4], v[117:118]
	v_mul_f64 v[117:118], v[1:2], v[117:118]
	v_fma_f64 v[1:2], v[1:2], v[115:116], -v[120:121]
	v_fma_f64 v[3:4], v[3:4], v[115:116], v[117:118]
	buffer_store_dword v2, off, s[0:3], 0 offset:612
	buffer_store_dword v1, off, s[0:3], 0 offset:608
	;; [unrolled: 1-line block ×4, first 2 shown]
.LBB53_123:
	s_or_b32 exec_lo, exec_lo, s6
	v_mov_b32_e32 v4, s24
	v_cmp_lt_u32_e64 s5, 37, v0
	s_clause 0x3
	buffer_load_dword v1, v4, s[0:3], 0 offen
	buffer_load_dword v2, v4, s[0:3], 0 offen offset:4
	buffer_load_dword v3, v4, s[0:3], 0 offen offset:8
	;; [unrolled: 1-line block ×3, first 2 shown]
	s_waitcnt vmcnt(0)
	ds_write_b128 v114, v[1:4]
	s_waitcnt lgkmcnt(0)
	s_waitcnt_vscnt null, 0x0
	s_barrier
	buffer_gl0_inv
	s_and_saveexec_b32 s6, s5
	s_cbranch_execz .LBB53_131
; %bb.124:
	ds_read_b128 v[1:4], v114
	s_andn2_b32 vcc_lo, exec_lo, s62
	s_cbranch_vccnz .LBB53_126
; %bb.125:
	s_clause 0x3
	buffer_load_dword v115, v113, s[0:3], 0 offen offset:8
	buffer_load_dword v116, v113, s[0:3], 0 offen offset:12
	buffer_load_dword v117, v113, s[0:3], 0 offen
	buffer_load_dword v118, v113, s[0:3], 0 offen offset:4
	s_waitcnt vmcnt(2) lgkmcnt(0)
	v_mul_f64 v[120:121], v[3:4], v[115:116]
	v_mul_f64 v[115:116], v[1:2], v[115:116]
	s_waitcnt vmcnt(0)
	v_fma_f64 v[1:2], v[1:2], v[117:118], -v[120:121]
	v_fma_f64 v[3:4], v[3:4], v[117:118], v[115:116]
.LBB53_126:
	s_and_saveexec_b32 s8, s4
	s_cbranch_execz .LBB53_130
; %bb.127:
	v_subrev_nc_u32_e32 v115, 38, v0
	s_movk_i32 s63, 0x5c0
	s_mov_b32 s4, 0
	s_mov_b32 s64, s23
	.p2align	6
.LBB53_128:                             ; =>This Inner Loop Header: Depth=1
	v_mov_b32_e32 v118, s64
	v_add_nc_u32_e32 v115, -1, v115
	s_add_i32 s64, s64, 16
	s_clause 0x3
	buffer_load_dword v116, v118, s[0:3], 0 offen offset:8
	buffer_load_dword v117, v118, s[0:3], 0 offen offset:12
	buffer_load_dword v124, v118, s[0:3], 0 offen
	buffer_load_dword v125, v118, s[0:3], 0 offen offset:4
	v_mov_b32_e32 v118, s63
	v_cmp_eq_u32_e32 vcc_lo, 0, v115
	s_add_i32 s63, s63, 16
	ds_read_b128 v[120:123], v118
	s_or_b32 s4, vcc_lo, s4
	s_waitcnt vmcnt(2) lgkmcnt(0)
	v_mul_f64 v[126:127], v[122:123], v[116:117]
	v_mul_f64 v[116:117], v[120:121], v[116:117]
	s_waitcnt vmcnt(0)
	v_fma_f64 v[120:121], v[120:121], v[124:125], -v[126:127]
	v_fma_f64 v[116:117], v[122:123], v[124:125], v[116:117]
	v_add_f64 v[1:2], v[1:2], v[120:121]
	v_add_f64 v[3:4], v[3:4], v[116:117]
	s_andn2_b32 exec_lo, exec_lo, s4
	s_cbranch_execnz .LBB53_128
; %bb.129:
	s_or_b32 exec_lo, exec_lo, s4
.LBB53_130:
	s_or_b32 exec_lo, exec_lo, s8
	v_mov_b32_e32 v115, 0
	ds_read_b128 v[115:118], v115 offset:592
	s_waitcnt lgkmcnt(0)
	v_mul_f64 v[120:121], v[3:4], v[117:118]
	v_mul_f64 v[117:118], v[1:2], v[117:118]
	v_fma_f64 v[1:2], v[1:2], v[115:116], -v[120:121]
	v_fma_f64 v[3:4], v[3:4], v[115:116], v[117:118]
	buffer_store_dword v2, off, s[0:3], 0 offset:596
	buffer_store_dword v1, off, s[0:3], 0 offset:592
	;; [unrolled: 1-line block ×4, first 2 shown]
.LBB53_131:
	s_or_b32 exec_lo, exec_lo, s6
	v_mov_b32_e32 v4, s25
	v_cmp_lt_u32_e64 s4, 36, v0
	s_clause 0x3
	buffer_load_dword v1, v4, s[0:3], 0 offen
	buffer_load_dword v2, v4, s[0:3], 0 offen offset:4
	buffer_load_dword v3, v4, s[0:3], 0 offen offset:8
	;; [unrolled: 1-line block ×3, first 2 shown]
	s_waitcnt vmcnt(0)
	ds_write_b128 v114, v[1:4]
	s_waitcnt lgkmcnt(0)
	s_waitcnt_vscnt null, 0x0
	s_barrier
	buffer_gl0_inv
	s_and_saveexec_b32 s6, s4
	s_cbranch_execz .LBB53_139
; %bb.132:
	ds_read_b128 v[1:4], v114
	s_andn2_b32 vcc_lo, exec_lo, s62
	s_cbranch_vccnz .LBB53_134
; %bb.133:
	s_clause 0x3
	buffer_load_dword v115, v113, s[0:3], 0 offen offset:8
	buffer_load_dword v116, v113, s[0:3], 0 offen offset:12
	buffer_load_dword v117, v113, s[0:3], 0 offen
	buffer_load_dword v118, v113, s[0:3], 0 offen offset:4
	s_waitcnt vmcnt(2) lgkmcnt(0)
	v_mul_f64 v[120:121], v[3:4], v[115:116]
	v_mul_f64 v[115:116], v[1:2], v[115:116]
	s_waitcnt vmcnt(0)
	v_fma_f64 v[1:2], v[1:2], v[117:118], -v[120:121]
	v_fma_f64 v[3:4], v[3:4], v[117:118], v[115:116]
.LBB53_134:
	s_and_saveexec_b32 s8, s5
	s_cbranch_execz .LBB53_138
; %bb.135:
	v_subrev_nc_u32_e32 v115, 37, v0
	s_movk_i32 s63, 0x5b0
	s_mov_b32 s5, 0
	s_mov_b32 s64, s24
	.p2align	6
.LBB53_136:                             ; =>This Inner Loop Header: Depth=1
	v_mov_b32_e32 v118, s64
	v_add_nc_u32_e32 v115, -1, v115
	s_add_i32 s64, s64, 16
	s_clause 0x3
	buffer_load_dword v116, v118, s[0:3], 0 offen offset:8
	buffer_load_dword v117, v118, s[0:3], 0 offen offset:12
	buffer_load_dword v124, v118, s[0:3], 0 offen
	buffer_load_dword v125, v118, s[0:3], 0 offen offset:4
	v_mov_b32_e32 v118, s63
	v_cmp_eq_u32_e32 vcc_lo, 0, v115
	s_add_i32 s63, s63, 16
	ds_read_b128 v[120:123], v118
	s_or_b32 s5, vcc_lo, s5
	s_waitcnt vmcnt(2) lgkmcnt(0)
	v_mul_f64 v[126:127], v[122:123], v[116:117]
	v_mul_f64 v[116:117], v[120:121], v[116:117]
	s_waitcnt vmcnt(0)
	v_fma_f64 v[120:121], v[120:121], v[124:125], -v[126:127]
	v_fma_f64 v[116:117], v[122:123], v[124:125], v[116:117]
	v_add_f64 v[1:2], v[1:2], v[120:121]
	v_add_f64 v[3:4], v[3:4], v[116:117]
	s_andn2_b32 exec_lo, exec_lo, s5
	s_cbranch_execnz .LBB53_136
; %bb.137:
	s_or_b32 exec_lo, exec_lo, s5
.LBB53_138:
	s_or_b32 exec_lo, exec_lo, s8
	v_mov_b32_e32 v115, 0
	ds_read_b128 v[115:118], v115 offset:576
	s_waitcnt lgkmcnt(0)
	v_mul_f64 v[120:121], v[3:4], v[117:118]
	v_mul_f64 v[117:118], v[1:2], v[117:118]
	v_fma_f64 v[1:2], v[1:2], v[115:116], -v[120:121]
	v_fma_f64 v[3:4], v[3:4], v[115:116], v[117:118]
	buffer_store_dword v2, off, s[0:3], 0 offset:580
	buffer_store_dword v1, off, s[0:3], 0 offset:576
	;; [unrolled: 1-line block ×4, first 2 shown]
.LBB53_139:
	s_or_b32 exec_lo, exec_lo, s6
	v_mov_b32_e32 v4, s26
	v_cmp_lt_u32_e64 s5, 35, v0
	s_clause 0x3
	buffer_load_dword v1, v4, s[0:3], 0 offen
	buffer_load_dword v2, v4, s[0:3], 0 offen offset:4
	buffer_load_dword v3, v4, s[0:3], 0 offen offset:8
	buffer_load_dword v4, v4, s[0:3], 0 offen offset:12
	s_waitcnt vmcnt(0)
	ds_write_b128 v114, v[1:4]
	s_waitcnt lgkmcnt(0)
	s_waitcnt_vscnt null, 0x0
	s_barrier
	buffer_gl0_inv
	s_and_saveexec_b32 s6, s5
	s_cbranch_execz .LBB53_147
; %bb.140:
	ds_read_b128 v[1:4], v114
	s_andn2_b32 vcc_lo, exec_lo, s62
	s_cbranch_vccnz .LBB53_142
; %bb.141:
	s_clause 0x3
	buffer_load_dword v115, v113, s[0:3], 0 offen offset:8
	buffer_load_dword v116, v113, s[0:3], 0 offen offset:12
	buffer_load_dword v117, v113, s[0:3], 0 offen
	buffer_load_dword v118, v113, s[0:3], 0 offen offset:4
	s_waitcnt vmcnt(2) lgkmcnt(0)
	v_mul_f64 v[120:121], v[3:4], v[115:116]
	v_mul_f64 v[115:116], v[1:2], v[115:116]
	s_waitcnt vmcnt(0)
	v_fma_f64 v[1:2], v[1:2], v[117:118], -v[120:121]
	v_fma_f64 v[3:4], v[3:4], v[117:118], v[115:116]
.LBB53_142:
	s_and_saveexec_b32 s8, s4
	s_cbranch_execz .LBB53_146
; %bb.143:
	v_subrev_nc_u32_e32 v115, 36, v0
	s_movk_i32 s63, 0x5a0
	s_mov_b32 s4, 0
	s_mov_b32 s64, s25
	.p2align	6
.LBB53_144:                             ; =>This Inner Loop Header: Depth=1
	v_mov_b32_e32 v118, s64
	v_add_nc_u32_e32 v115, -1, v115
	s_add_i32 s64, s64, 16
	s_clause 0x3
	buffer_load_dword v116, v118, s[0:3], 0 offen offset:8
	buffer_load_dword v117, v118, s[0:3], 0 offen offset:12
	buffer_load_dword v124, v118, s[0:3], 0 offen
	buffer_load_dword v125, v118, s[0:3], 0 offen offset:4
	v_mov_b32_e32 v118, s63
	v_cmp_eq_u32_e32 vcc_lo, 0, v115
	s_add_i32 s63, s63, 16
	ds_read_b128 v[120:123], v118
	s_or_b32 s4, vcc_lo, s4
	s_waitcnt vmcnt(2) lgkmcnt(0)
	v_mul_f64 v[126:127], v[122:123], v[116:117]
	v_mul_f64 v[116:117], v[120:121], v[116:117]
	s_waitcnt vmcnt(0)
	v_fma_f64 v[120:121], v[120:121], v[124:125], -v[126:127]
	v_fma_f64 v[116:117], v[122:123], v[124:125], v[116:117]
	v_add_f64 v[1:2], v[1:2], v[120:121]
	v_add_f64 v[3:4], v[3:4], v[116:117]
	s_andn2_b32 exec_lo, exec_lo, s4
	s_cbranch_execnz .LBB53_144
; %bb.145:
	s_or_b32 exec_lo, exec_lo, s4
.LBB53_146:
	s_or_b32 exec_lo, exec_lo, s8
	v_mov_b32_e32 v115, 0
	ds_read_b128 v[115:118], v115 offset:560
	s_waitcnt lgkmcnt(0)
	v_mul_f64 v[120:121], v[3:4], v[117:118]
	v_mul_f64 v[117:118], v[1:2], v[117:118]
	v_fma_f64 v[1:2], v[1:2], v[115:116], -v[120:121]
	v_fma_f64 v[3:4], v[3:4], v[115:116], v[117:118]
	buffer_store_dword v2, off, s[0:3], 0 offset:564
	buffer_store_dword v1, off, s[0:3], 0 offset:560
	;; [unrolled: 1-line block ×4, first 2 shown]
.LBB53_147:
	s_or_b32 exec_lo, exec_lo, s6
	v_mov_b32_e32 v4, s27
	v_cmp_lt_u32_e64 s4, 34, v0
	s_clause 0x3
	buffer_load_dword v1, v4, s[0:3], 0 offen
	buffer_load_dword v2, v4, s[0:3], 0 offen offset:4
	buffer_load_dword v3, v4, s[0:3], 0 offen offset:8
	buffer_load_dword v4, v4, s[0:3], 0 offen offset:12
	s_waitcnt vmcnt(0)
	ds_write_b128 v114, v[1:4]
	s_waitcnt lgkmcnt(0)
	s_waitcnt_vscnt null, 0x0
	s_barrier
	buffer_gl0_inv
	s_and_saveexec_b32 s6, s4
	s_cbranch_execz .LBB53_155
; %bb.148:
	ds_read_b128 v[1:4], v114
	s_andn2_b32 vcc_lo, exec_lo, s62
	s_cbranch_vccnz .LBB53_150
; %bb.149:
	s_clause 0x3
	buffer_load_dword v115, v113, s[0:3], 0 offen offset:8
	buffer_load_dword v116, v113, s[0:3], 0 offen offset:12
	buffer_load_dword v117, v113, s[0:3], 0 offen
	buffer_load_dword v118, v113, s[0:3], 0 offen offset:4
	s_waitcnt vmcnt(2) lgkmcnt(0)
	v_mul_f64 v[120:121], v[3:4], v[115:116]
	v_mul_f64 v[115:116], v[1:2], v[115:116]
	s_waitcnt vmcnt(0)
	v_fma_f64 v[1:2], v[1:2], v[117:118], -v[120:121]
	v_fma_f64 v[3:4], v[3:4], v[117:118], v[115:116]
.LBB53_150:
	s_and_saveexec_b32 s8, s5
	s_cbranch_execz .LBB53_154
; %bb.151:
	v_subrev_nc_u32_e32 v115, 35, v0
	s_movk_i32 s63, 0x590
	s_mov_b32 s5, 0
	s_mov_b32 s64, s26
	.p2align	6
.LBB53_152:                             ; =>This Inner Loop Header: Depth=1
	v_mov_b32_e32 v118, s64
	v_add_nc_u32_e32 v115, -1, v115
	s_add_i32 s64, s64, 16
	s_clause 0x3
	buffer_load_dword v116, v118, s[0:3], 0 offen offset:8
	buffer_load_dword v117, v118, s[0:3], 0 offen offset:12
	buffer_load_dword v124, v118, s[0:3], 0 offen
	buffer_load_dword v125, v118, s[0:3], 0 offen offset:4
	v_mov_b32_e32 v118, s63
	v_cmp_eq_u32_e32 vcc_lo, 0, v115
	s_add_i32 s63, s63, 16
	ds_read_b128 v[120:123], v118
	s_or_b32 s5, vcc_lo, s5
	s_waitcnt vmcnt(2) lgkmcnt(0)
	v_mul_f64 v[126:127], v[122:123], v[116:117]
	v_mul_f64 v[116:117], v[120:121], v[116:117]
	s_waitcnt vmcnt(0)
	v_fma_f64 v[120:121], v[120:121], v[124:125], -v[126:127]
	v_fma_f64 v[116:117], v[122:123], v[124:125], v[116:117]
	v_add_f64 v[1:2], v[1:2], v[120:121]
	v_add_f64 v[3:4], v[3:4], v[116:117]
	s_andn2_b32 exec_lo, exec_lo, s5
	s_cbranch_execnz .LBB53_152
; %bb.153:
	s_or_b32 exec_lo, exec_lo, s5
.LBB53_154:
	s_or_b32 exec_lo, exec_lo, s8
	v_mov_b32_e32 v115, 0
	ds_read_b128 v[115:118], v115 offset:544
	s_waitcnt lgkmcnt(0)
	v_mul_f64 v[120:121], v[3:4], v[117:118]
	v_mul_f64 v[117:118], v[1:2], v[117:118]
	v_fma_f64 v[1:2], v[1:2], v[115:116], -v[120:121]
	v_fma_f64 v[3:4], v[3:4], v[115:116], v[117:118]
	buffer_store_dword v2, off, s[0:3], 0 offset:548
	buffer_store_dword v1, off, s[0:3], 0 offset:544
	;; [unrolled: 1-line block ×4, first 2 shown]
.LBB53_155:
	s_or_b32 exec_lo, exec_lo, s6
	v_mov_b32_e32 v4, s28
	v_cmp_lt_u32_e64 s5, 33, v0
	s_clause 0x3
	buffer_load_dword v1, v4, s[0:3], 0 offen
	buffer_load_dword v2, v4, s[0:3], 0 offen offset:4
	buffer_load_dword v3, v4, s[0:3], 0 offen offset:8
	;; [unrolled: 1-line block ×3, first 2 shown]
	s_waitcnt vmcnt(0)
	ds_write_b128 v114, v[1:4]
	s_waitcnt lgkmcnt(0)
	s_waitcnt_vscnt null, 0x0
	s_barrier
	buffer_gl0_inv
	s_and_saveexec_b32 s6, s5
	s_cbranch_execz .LBB53_163
; %bb.156:
	ds_read_b128 v[1:4], v114
	s_andn2_b32 vcc_lo, exec_lo, s62
	s_cbranch_vccnz .LBB53_158
; %bb.157:
	s_clause 0x3
	buffer_load_dword v115, v113, s[0:3], 0 offen offset:8
	buffer_load_dword v116, v113, s[0:3], 0 offen offset:12
	buffer_load_dword v117, v113, s[0:3], 0 offen
	buffer_load_dword v118, v113, s[0:3], 0 offen offset:4
	s_waitcnt vmcnt(2) lgkmcnt(0)
	v_mul_f64 v[120:121], v[3:4], v[115:116]
	v_mul_f64 v[115:116], v[1:2], v[115:116]
	s_waitcnt vmcnt(0)
	v_fma_f64 v[1:2], v[1:2], v[117:118], -v[120:121]
	v_fma_f64 v[3:4], v[3:4], v[117:118], v[115:116]
.LBB53_158:
	s_and_saveexec_b32 s8, s4
	s_cbranch_execz .LBB53_162
; %bb.159:
	v_subrev_nc_u32_e32 v115, 34, v0
	s_movk_i32 s63, 0x580
	s_mov_b32 s4, 0
	s_mov_b32 s64, s27
	.p2align	6
.LBB53_160:                             ; =>This Inner Loop Header: Depth=1
	v_mov_b32_e32 v118, s64
	v_add_nc_u32_e32 v115, -1, v115
	s_add_i32 s64, s64, 16
	s_clause 0x3
	buffer_load_dword v116, v118, s[0:3], 0 offen offset:8
	buffer_load_dword v117, v118, s[0:3], 0 offen offset:12
	buffer_load_dword v124, v118, s[0:3], 0 offen
	buffer_load_dword v125, v118, s[0:3], 0 offen offset:4
	v_mov_b32_e32 v118, s63
	v_cmp_eq_u32_e32 vcc_lo, 0, v115
	s_add_i32 s63, s63, 16
	ds_read_b128 v[120:123], v118
	s_or_b32 s4, vcc_lo, s4
	s_waitcnt vmcnt(2) lgkmcnt(0)
	v_mul_f64 v[126:127], v[122:123], v[116:117]
	v_mul_f64 v[116:117], v[120:121], v[116:117]
	s_waitcnt vmcnt(0)
	v_fma_f64 v[120:121], v[120:121], v[124:125], -v[126:127]
	v_fma_f64 v[116:117], v[122:123], v[124:125], v[116:117]
	v_add_f64 v[1:2], v[1:2], v[120:121]
	v_add_f64 v[3:4], v[3:4], v[116:117]
	s_andn2_b32 exec_lo, exec_lo, s4
	s_cbranch_execnz .LBB53_160
; %bb.161:
	s_or_b32 exec_lo, exec_lo, s4
.LBB53_162:
	s_or_b32 exec_lo, exec_lo, s8
	v_mov_b32_e32 v115, 0
	ds_read_b128 v[115:118], v115 offset:528
	s_waitcnt lgkmcnt(0)
	v_mul_f64 v[120:121], v[3:4], v[117:118]
	v_mul_f64 v[117:118], v[1:2], v[117:118]
	v_fma_f64 v[1:2], v[1:2], v[115:116], -v[120:121]
	v_fma_f64 v[3:4], v[3:4], v[115:116], v[117:118]
	buffer_store_dword v2, off, s[0:3], 0 offset:532
	buffer_store_dword v1, off, s[0:3], 0 offset:528
	;; [unrolled: 1-line block ×4, first 2 shown]
.LBB53_163:
	s_or_b32 exec_lo, exec_lo, s6
	v_mov_b32_e32 v4, s29
	v_cmp_lt_u32_e64 s4, 32, v0
	s_clause 0x3
	buffer_load_dword v1, v4, s[0:3], 0 offen
	buffer_load_dword v2, v4, s[0:3], 0 offen offset:4
	buffer_load_dword v3, v4, s[0:3], 0 offen offset:8
	;; [unrolled: 1-line block ×3, first 2 shown]
	s_waitcnt vmcnt(0)
	ds_write_b128 v114, v[1:4]
	s_waitcnt lgkmcnt(0)
	s_waitcnt_vscnt null, 0x0
	s_barrier
	buffer_gl0_inv
	s_and_saveexec_b32 s6, s4
	s_cbranch_execz .LBB53_171
; %bb.164:
	ds_read_b128 v[1:4], v114
	s_andn2_b32 vcc_lo, exec_lo, s62
	s_cbranch_vccnz .LBB53_166
; %bb.165:
	s_clause 0x3
	buffer_load_dword v115, v113, s[0:3], 0 offen offset:8
	buffer_load_dword v116, v113, s[0:3], 0 offen offset:12
	buffer_load_dword v117, v113, s[0:3], 0 offen
	buffer_load_dword v118, v113, s[0:3], 0 offen offset:4
	s_waitcnt vmcnt(2) lgkmcnt(0)
	v_mul_f64 v[120:121], v[3:4], v[115:116]
	v_mul_f64 v[115:116], v[1:2], v[115:116]
	s_waitcnt vmcnt(0)
	v_fma_f64 v[1:2], v[1:2], v[117:118], -v[120:121]
	v_fma_f64 v[3:4], v[3:4], v[117:118], v[115:116]
.LBB53_166:
	s_and_saveexec_b32 s8, s5
	s_cbranch_execz .LBB53_170
; %bb.167:
	v_subrev_nc_u32_e32 v115, 33, v0
	s_movk_i32 s63, 0x570
	s_mov_b32 s5, 0
	s_mov_b32 s64, s28
	.p2align	6
.LBB53_168:                             ; =>This Inner Loop Header: Depth=1
	v_mov_b32_e32 v118, s64
	v_add_nc_u32_e32 v115, -1, v115
	s_add_i32 s64, s64, 16
	s_clause 0x3
	buffer_load_dword v116, v118, s[0:3], 0 offen offset:8
	buffer_load_dword v117, v118, s[0:3], 0 offen offset:12
	buffer_load_dword v124, v118, s[0:3], 0 offen
	buffer_load_dword v125, v118, s[0:3], 0 offen offset:4
	v_mov_b32_e32 v118, s63
	v_cmp_eq_u32_e32 vcc_lo, 0, v115
	s_add_i32 s63, s63, 16
	ds_read_b128 v[120:123], v118
	s_or_b32 s5, vcc_lo, s5
	s_waitcnt vmcnt(2) lgkmcnt(0)
	v_mul_f64 v[126:127], v[122:123], v[116:117]
	v_mul_f64 v[116:117], v[120:121], v[116:117]
	s_waitcnt vmcnt(0)
	v_fma_f64 v[120:121], v[120:121], v[124:125], -v[126:127]
	v_fma_f64 v[116:117], v[122:123], v[124:125], v[116:117]
	v_add_f64 v[1:2], v[1:2], v[120:121]
	v_add_f64 v[3:4], v[3:4], v[116:117]
	s_andn2_b32 exec_lo, exec_lo, s5
	s_cbranch_execnz .LBB53_168
; %bb.169:
	s_or_b32 exec_lo, exec_lo, s5
.LBB53_170:
	s_or_b32 exec_lo, exec_lo, s8
	v_mov_b32_e32 v115, 0
	ds_read_b128 v[115:118], v115 offset:512
	s_waitcnt lgkmcnt(0)
	v_mul_f64 v[120:121], v[3:4], v[117:118]
	v_mul_f64 v[117:118], v[1:2], v[117:118]
	v_fma_f64 v[1:2], v[1:2], v[115:116], -v[120:121]
	v_fma_f64 v[3:4], v[3:4], v[115:116], v[117:118]
	buffer_store_dword v2, off, s[0:3], 0 offset:516
	buffer_store_dword v1, off, s[0:3], 0 offset:512
	;; [unrolled: 1-line block ×4, first 2 shown]
.LBB53_171:
	s_or_b32 exec_lo, exec_lo, s6
	v_mov_b32_e32 v4, s30
	v_cmp_lt_u32_e64 s5, 31, v0
	s_clause 0x3
	buffer_load_dword v1, v4, s[0:3], 0 offen
	buffer_load_dword v2, v4, s[0:3], 0 offen offset:4
	buffer_load_dword v3, v4, s[0:3], 0 offen offset:8
	buffer_load_dword v4, v4, s[0:3], 0 offen offset:12
	s_waitcnt vmcnt(0)
	ds_write_b128 v114, v[1:4]
	s_waitcnt lgkmcnt(0)
	s_waitcnt_vscnt null, 0x0
	s_barrier
	buffer_gl0_inv
	s_and_saveexec_b32 s6, s5
	s_cbranch_execz .LBB53_179
; %bb.172:
	ds_read_b128 v[1:4], v114
	s_andn2_b32 vcc_lo, exec_lo, s62
	s_cbranch_vccnz .LBB53_174
; %bb.173:
	s_clause 0x3
	buffer_load_dword v115, v113, s[0:3], 0 offen offset:8
	buffer_load_dword v116, v113, s[0:3], 0 offen offset:12
	buffer_load_dword v117, v113, s[0:3], 0 offen
	buffer_load_dword v118, v113, s[0:3], 0 offen offset:4
	s_waitcnt vmcnt(2) lgkmcnt(0)
	v_mul_f64 v[120:121], v[3:4], v[115:116]
	v_mul_f64 v[115:116], v[1:2], v[115:116]
	s_waitcnt vmcnt(0)
	v_fma_f64 v[1:2], v[1:2], v[117:118], -v[120:121]
	v_fma_f64 v[3:4], v[3:4], v[117:118], v[115:116]
.LBB53_174:
	s_and_saveexec_b32 s8, s4
	s_cbranch_execz .LBB53_178
; %bb.175:
	v_subrev_nc_u32_e32 v115, 32, v0
	s_movk_i32 s63, 0x560
	s_mov_b32 s4, 0
	s_mov_b32 s64, s29
	.p2align	6
.LBB53_176:                             ; =>This Inner Loop Header: Depth=1
	v_mov_b32_e32 v118, s64
	v_add_nc_u32_e32 v115, -1, v115
	s_add_i32 s64, s64, 16
	s_clause 0x3
	buffer_load_dword v116, v118, s[0:3], 0 offen offset:8
	buffer_load_dword v117, v118, s[0:3], 0 offen offset:12
	buffer_load_dword v124, v118, s[0:3], 0 offen
	buffer_load_dword v125, v118, s[0:3], 0 offen offset:4
	v_mov_b32_e32 v118, s63
	v_cmp_eq_u32_e32 vcc_lo, 0, v115
	s_add_i32 s63, s63, 16
	ds_read_b128 v[120:123], v118
	s_or_b32 s4, vcc_lo, s4
	s_waitcnt vmcnt(2) lgkmcnt(0)
	v_mul_f64 v[126:127], v[122:123], v[116:117]
	v_mul_f64 v[116:117], v[120:121], v[116:117]
	s_waitcnt vmcnt(0)
	v_fma_f64 v[120:121], v[120:121], v[124:125], -v[126:127]
	v_fma_f64 v[116:117], v[122:123], v[124:125], v[116:117]
	v_add_f64 v[1:2], v[1:2], v[120:121]
	v_add_f64 v[3:4], v[3:4], v[116:117]
	s_andn2_b32 exec_lo, exec_lo, s4
	s_cbranch_execnz .LBB53_176
; %bb.177:
	s_or_b32 exec_lo, exec_lo, s4
.LBB53_178:
	s_or_b32 exec_lo, exec_lo, s8
	v_mov_b32_e32 v115, 0
	ds_read_b128 v[115:118], v115 offset:496
	s_waitcnt lgkmcnt(0)
	v_mul_f64 v[120:121], v[3:4], v[117:118]
	v_mul_f64 v[117:118], v[1:2], v[117:118]
	v_fma_f64 v[1:2], v[1:2], v[115:116], -v[120:121]
	v_fma_f64 v[3:4], v[3:4], v[115:116], v[117:118]
	buffer_store_dword v2, off, s[0:3], 0 offset:500
	buffer_store_dword v1, off, s[0:3], 0 offset:496
	;; [unrolled: 1-line block ×4, first 2 shown]
.LBB53_179:
	s_or_b32 exec_lo, exec_lo, s6
	v_mov_b32_e32 v4, s31
	v_cmp_lt_u32_e64 s4, 30, v0
	s_clause 0x3
	buffer_load_dword v1, v4, s[0:3], 0 offen
	buffer_load_dword v2, v4, s[0:3], 0 offen offset:4
	buffer_load_dword v3, v4, s[0:3], 0 offen offset:8
	;; [unrolled: 1-line block ×3, first 2 shown]
	s_waitcnt vmcnt(0)
	ds_write_b128 v114, v[1:4]
	s_waitcnt lgkmcnt(0)
	s_waitcnt_vscnt null, 0x0
	s_barrier
	buffer_gl0_inv
	s_and_saveexec_b32 s6, s4
	s_cbranch_execz .LBB53_187
; %bb.180:
	ds_read_b128 v[1:4], v114
	s_andn2_b32 vcc_lo, exec_lo, s62
	s_cbranch_vccnz .LBB53_182
; %bb.181:
	s_clause 0x3
	buffer_load_dword v115, v113, s[0:3], 0 offen offset:8
	buffer_load_dword v116, v113, s[0:3], 0 offen offset:12
	buffer_load_dword v117, v113, s[0:3], 0 offen
	buffer_load_dword v118, v113, s[0:3], 0 offen offset:4
	s_waitcnt vmcnt(2) lgkmcnt(0)
	v_mul_f64 v[120:121], v[3:4], v[115:116]
	v_mul_f64 v[115:116], v[1:2], v[115:116]
	s_waitcnt vmcnt(0)
	v_fma_f64 v[1:2], v[1:2], v[117:118], -v[120:121]
	v_fma_f64 v[3:4], v[3:4], v[117:118], v[115:116]
.LBB53_182:
	s_and_saveexec_b32 s8, s5
	s_cbranch_execz .LBB53_186
; %bb.183:
	v_subrev_nc_u32_e32 v115, 31, v0
	s_movk_i32 s63, 0x550
	s_mov_b32 s5, 0
	s_mov_b32 s64, s30
	.p2align	6
.LBB53_184:                             ; =>This Inner Loop Header: Depth=1
	v_mov_b32_e32 v118, s64
	v_add_nc_u32_e32 v115, -1, v115
	s_add_i32 s64, s64, 16
	s_clause 0x3
	buffer_load_dword v116, v118, s[0:3], 0 offen offset:8
	buffer_load_dword v117, v118, s[0:3], 0 offen offset:12
	buffer_load_dword v124, v118, s[0:3], 0 offen
	buffer_load_dword v125, v118, s[0:3], 0 offen offset:4
	v_mov_b32_e32 v118, s63
	v_cmp_eq_u32_e32 vcc_lo, 0, v115
	s_add_i32 s63, s63, 16
	ds_read_b128 v[120:123], v118
	s_or_b32 s5, vcc_lo, s5
	s_waitcnt vmcnt(2) lgkmcnt(0)
	v_mul_f64 v[126:127], v[122:123], v[116:117]
	v_mul_f64 v[116:117], v[120:121], v[116:117]
	s_waitcnt vmcnt(0)
	v_fma_f64 v[120:121], v[120:121], v[124:125], -v[126:127]
	v_fma_f64 v[116:117], v[122:123], v[124:125], v[116:117]
	v_add_f64 v[1:2], v[1:2], v[120:121]
	v_add_f64 v[3:4], v[3:4], v[116:117]
	s_andn2_b32 exec_lo, exec_lo, s5
	s_cbranch_execnz .LBB53_184
; %bb.185:
	s_or_b32 exec_lo, exec_lo, s5
.LBB53_186:
	s_or_b32 exec_lo, exec_lo, s8
	v_mov_b32_e32 v115, 0
	ds_read_b128 v[115:118], v115 offset:480
	s_waitcnt lgkmcnt(0)
	v_mul_f64 v[120:121], v[3:4], v[117:118]
	v_mul_f64 v[117:118], v[1:2], v[117:118]
	v_fma_f64 v[1:2], v[1:2], v[115:116], -v[120:121]
	v_fma_f64 v[3:4], v[3:4], v[115:116], v[117:118]
	buffer_store_dword v2, off, s[0:3], 0 offset:484
	buffer_store_dword v1, off, s[0:3], 0 offset:480
	buffer_store_dword v4, off, s[0:3], 0 offset:492
	buffer_store_dword v3, off, s[0:3], 0 offset:488
.LBB53_187:
	s_or_b32 exec_lo, exec_lo, s6
	v_mov_b32_e32 v4, s33
	v_cmp_lt_u32_e64 s5, 29, v0
	s_clause 0x3
	buffer_load_dword v1, v4, s[0:3], 0 offen
	buffer_load_dword v2, v4, s[0:3], 0 offen offset:4
	buffer_load_dword v3, v4, s[0:3], 0 offen offset:8
	;; [unrolled: 1-line block ×3, first 2 shown]
	s_waitcnt vmcnt(0)
	ds_write_b128 v114, v[1:4]
	s_waitcnt lgkmcnt(0)
	s_waitcnt_vscnt null, 0x0
	s_barrier
	buffer_gl0_inv
	s_and_saveexec_b32 s6, s5
	s_cbranch_execz .LBB53_195
; %bb.188:
	ds_read_b128 v[1:4], v114
	s_andn2_b32 vcc_lo, exec_lo, s62
	s_cbranch_vccnz .LBB53_190
; %bb.189:
	s_clause 0x3
	buffer_load_dword v115, v113, s[0:3], 0 offen offset:8
	buffer_load_dword v116, v113, s[0:3], 0 offen offset:12
	buffer_load_dword v117, v113, s[0:3], 0 offen
	buffer_load_dword v118, v113, s[0:3], 0 offen offset:4
	s_waitcnt vmcnt(2) lgkmcnt(0)
	v_mul_f64 v[120:121], v[3:4], v[115:116]
	v_mul_f64 v[115:116], v[1:2], v[115:116]
	s_waitcnt vmcnt(0)
	v_fma_f64 v[1:2], v[1:2], v[117:118], -v[120:121]
	v_fma_f64 v[3:4], v[3:4], v[117:118], v[115:116]
.LBB53_190:
	s_and_saveexec_b32 s8, s4
	s_cbranch_execz .LBB53_194
; %bb.191:
	v_subrev_nc_u32_e32 v115, 30, v0
	s_movk_i32 s63, 0x540
	s_mov_b32 s4, 0
	s_mov_b32 s64, s31
	.p2align	6
.LBB53_192:                             ; =>This Inner Loop Header: Depth=1
	v_mov_b32_e32 v118, s64
	v_add_nc_u32_e32 v115, -1, v115
	s_add_i32 s64, s64, 16
	s_clause 0x3
	buffer_load_dword v116, v118, s[0:3], 0 offen offset:8
	buffer_load_dword v117, v118, s[0:3], 0 offen offset:12
	buffer_load_dword v124, v118, s[0:3], 0 offen
	buffer_load_dword v125, v118, s[0:3], 0 offen offset:4
	v_mov_b32_e32 v118, s63
	v_cmp_eq_u32_e32 vcc_lo, 0, v115
	s_add_i32 s63, s63, 16
	ds_read_b128 v[120:123], v118
	s_or_b32 s4, vcc_lo, s4
	s_waitcnt vmcnt(2) lgkmcnt(0)
	v_mul_f64 v[126:127], v[122:123], v[116:117]
	v_mul_f64 v[116:117], v[120:121], v[116:117]
	s_waitcnt vmcnt(0)
	v_fma_f64 v[120:121], v[120:121], v[124:125], -v[126:127]
	v_fma_f64 v[116:117], v[122:123], v[124:125], v[116:117]
	v_add_f64 v[1:2], v[1:2], v[120:121]
	v_add_f64 v[3:4], v[3:4], v[116:117]
	s_andn2_b32 exec_lo, exec_lo, s4
	s_cbranch_execnz .LBB53_192
; %bb.193:
	s_or_b32 exec_lo, exec_lo, s4
.LBB53_194:
	s_or_b32 exec_lo, exec_lo, s8
	v_mov_b32_e32 v115, 0
	ds_read_b128 v[115:118], v115 offset:464
	s_waitcnt lgkmcnt(0)
	v_mul_f64 v[120:121], v[3:4], v[117:118]
	v_mul_f64 v[117:118], v[1:2], v[117:118]
	v_fma_f64 v[1:2], v[1:2], v[115:116], -v[120:121]
	v_fma_f64 v[3:4], v[3:4], v[115:116], v[117:118]
	buffer_store_dword v2, off, s[0:3], 0 offset:468
	buffer_store_dword v1, off, s[0:3], 0 offset:464
	;; [unrolled: 1-line block ×4, first 2 shown]
.LBB53_195:
	s_or_b32 exec_lo, exec_lo, s6
	v_mov_b32_e32 v4, s34
	v_cmp_lt_u32_e64 s4, 28, v0
	s_clause 0x3
	buffer_load_dword v1, v4, s[0:3], 0 offen
	buffer_load_dword v2, v4, s[0:3], 0 offen offset:4
	buffer_load_dword v3, v4, s[0:3], 0 offen offset:8
	;; [unrolled: 1-line block ×3, first 2 shown]
	s_waitcnt vmcnt(0)
	ds_write_b128 v114, v[1:4]
	s_waitcnt lgkmcnt(0)
	s_waitcnt_vscnt null, 0x0
	s_barrier
	buffer_gl0_inv
	s_and_saveexec_b32 s6, s4
	s_cbranch_execz .LBB53_203
; %bb.196:
	ds_read_b128 v[1:4], v114
	s_andn2_b32 vcc_lo, exec_lo, s62
	s_cbranch_vccnz .LBB53_198
; %bb.197:
	s_clause 0x3
	buffer_load_dword v115, v113, s[0:3], 0 offen offset:8
	buffer_load_dword v116, v113, s[0:3], 0 offen offset:12
	buffer_load_dword v117, v113, s[0:3], 0 offen
	buffer_load_dword v118, v113, s[0:3], 0 offen offset:4
	s_waitcnt vmcnt(2) lgkmcnt(0)
	v_mul_f64 v[120:121], v[3:4], v[115:116]
	v_mul_f64 v[115:116], v[1:2], v[115:116]
	s_waitcnt vmcnt(0)
	v_fma_f64 v[1:2], v[1:2], v[117:118], -v[120:121]
	v_fma_f64 v[3:4], v[3:4], v[117:118], v[115:116]
.LBB53_198:
	s_and_saveexec_b32 s8, s5
	s_cbranch_execz .LBB53_202
; %bb.199:
	v_subrev_nc_u32_e32 v115, 29, v0
	s_movk_i32 s63, 0x530
	s_mov_b32 s5, 0
	s_mov_b32 s64, s33
	.p2align	6
.LBB53_200:                             ; =>This Inner Loop Header: Depth=1
	v_mov_b32_e32 v118, s64
	v_add_nc_u32_e32 v115, -1, v115
	s_add_i32 s64, s64, 16
	s_clause 0x3
	buffer_load_dword v116, v118, s[0:3], 0 offen offset:8
	buffer_load_dword v117, v118, s[0:3], 0 offen offset:12
	buffer_load_dword v124, v118, s[0:3], 0 offen
	buffer_load_dword v125, v118, s[0:3], 0 offen offset:4
	v_mov_b32_e32 v118, s63
	v_cmp_eq_u32_e32 vcc_lo, 0, v115
	s_add_i32 s63, s63, 16
	ds_read_b128 v[120:123], v118
	s_or_b32 s5, vcc_lo, s5
	s_waitcnt vmcnt(2) lgkmcnt(0)
	v_mul_f64 v[126:127], v[122:123], v[116:117]
	v_mul_f64 v[116:117], v[120:121], v[116:117]
	s_waitcnt vmcnt(0)
	v_fma_f64 v[120:121], v[120:121], v[124:125], -v[126:127]
	v_fma_f64 v[116:117], v[122:123], v[124:125], v[116:117]
	v_add_f64 v[1:2], v[1:2], v[120:121]
	v_add_f64 v[3:4], v[3:4], v[116:117]
	s_andn2_b32 exec_lo, exec_lo, s5
	s_cbranch_execnz .LBB53_200
; %bb.201:
	s_or_b32 exec_lo, exec_lo, s5
.LBB53_202:
	s_or_b32 exec_lo, exec_lo, s8
	v_mov_b32_e32 v115, 0
	ds_read_b128 v[115:118], v115 offset:448
	s_waitcnt lgkmcnt(0)
	v_mul_f64 v[120:121], v[3:4], v[117:118]
	v_mul_f64 v[117:118], v[1:2], v[117:118]
	v_fma_f64 v[1:2], v[1:2], v[115:116], -v[120:121]
	v_fma_f64 v[3:4], v[3:4], v[115:116], v[117:118]
	buffer_store_dword v2, off, s[0:3], 0 offset:452
	buffer_store_dword v1, off, s[0:3], 0 offset:448
	;; [unrolled: 1-line block ×4, first 2 shown]
.LBB53_203:
	s_or_b32 exec_lo, exec_lo, s6
	v_mov_b32_e32 v4, s35
	v_cmp_lt_u32_e64 s5, 27, v0
	s_clause 0x3
	buffer_load_dword v1, v4, s[0:3], 0 offen
	buffer_load_dword v2, v4, s[0:3], 0 offen offset:4
	buffer_load_dword v3, v4, s[0:3], 0 offen offset:8
	;; [unrolled: 1-line block ×3, first 2 shown]
	s_waitcnt vmcnt(0)
	ds_write_b128 v114, v[1:4]
	s_waitcnt lgkmcnt(0)
	s_waitcnt_vscnt null, 0x0
	s_barrier
	buffer_gl0_inv
	s_and_saveexec_b32 s6, s5
	s_cbranch_execz .LBB53_211
; %bb.204:
	ds_read_b128 v[1:4], v114
	s_andn2_b32 vcc_lo, exec_lo, s62
	s_cbranch_vccnz .LBB53_206
; %bb.205:
	s_clause 0x3
	buffer_load_dword v115, v113, s[0:3], 0 offen offset:8
	buffer_load_dword v116, v113, s[0:3], 0 offen offset:12
	buffer_load_dword v117, v113, s[0:3], 0 offen
	buffer_load_dword v118, v113, s[0:3], 0 offen offset:4
	s_waitcnt vmcnt(2) lgkmcnt(0)
	v_mul_f64 v[120:121], v[3:4], v[115:116]
	v_mul_f64 v[115:116], v[1:2], v[115:116]
	s_waitcnt vmcnt(0)
	v_fma_f64 v[1:2], v[1:2], v[117:118], -v[120:121]
	v_fma_f64 v[3:4], v[3:4], v[117:118], v[115:116]
.LBB53_206:
	s_and_saveexec_b32 s8, s4
	s_cbranch_execz .LBB53_210
; %bb.207:
	v_subrev_nc_u32_e32 v115, 28, v0
	s_movk_i32 s63, 0x520
	s_mov_b32 s4, 0
	s_mov_b32 s64, s34
	.p2align	6
.LBB53_208:                             ; =>This Inner Loop Header: Depth=1
	v_mov_b32_e32 v118, s64
	v_add_nc_u32_e32 v115, -1, v115
	s_add_i32 s64, s64, 16
	s_clause 0x3
	buffer_load_dword v116, v118, s[0:3], 0 offen offset:8
	buffer_load_dword v117, v118, s[0:3], 0 offen offset:12
	buffer_load_dword v124, v118, s[0:3], 0 offen
	buffer_load_dword v125, v118, s[0:3], 0 offen offset:4
	v_mov_b32_e32 v118, s63
	v_cmp_eq_u32_e32 vcc_lo, 0, v115
	s_add_i32 s63, s63, 16
	ds_read_b128 v[120:123], v118
	s_or_b32 s4, vcc_lo, s4
	s_waitcnt vmcnt(2) lgkmcnt(0)
	v_mul_f64 v[126:127], v[122:123], v[116:117]
	v_mul_f64 v[116:117], v[120:121], v[116:117]
	s_waitcnt vmcnt(0)
	v_fma_f64 v[120:121], v[120:121], v[124:125], -v[126:127]
	v_fma_f64 v[116:117], v[122:123], v[124:125], v[116:117]
	v_add_f64 v[1:2], v[1:2], v[120:121]
	v_add_f64 v[3:4], v[3:4], v[116:117]
	s_andn2_b32 exec_lo, exec_lo, s4
	s_cbranch_execnz .LBB53_208
; %bb.209:
	s_or_b32 exec_lo, exec_lo, s4
.LBB53_210:
	s_or_b32 exec_lo, exec_lo, s8
	v_mov_b32_e32 v115, 0
	ds_read_b128 v[115:118], v115 offset:432
	s_waitcnt lgkmcnt(0)
	v_mul_f64 v[120:121], v[3:4], v[117:118]
	v_mul_f64 v[117:118], v[1:2], v[117:118]
	v_fma_f64 v[1:2], v[1:2], v[115:116], -v[120:121]
	v_fma_f64 v[3:4], v[3:4], v[115:116], v[117:118]
	buffer_store_dword v2, off, s[0:3], 0 offset:436
	buffer_store_dword v1, off, s[0:3], 0 offset:432
	;; [unrolled: 1-line block ×4, first 2 shown]
.LBB53_211:
	s_or_b32 exec_lo, exec_lo, s6
	v_mov_b32_e32 v4, s36
	v_cmp_lt_u32_e64 s4, 26, v0
	s_clause 0x3
	buffer_load_dword v1, v4, s[0:3], 0 offen
	buffer_load_dword v2, v4, s[0:3], 0 offen offset:4
	buffer_load_dword v3, v4, s[0:3], 0 offen offset:8
	;; [unrolled: 1-line block ×3, first 2 shown]
	s_waitcnt vmcnt(0)
	ds_write_b128 v114, v[1:4]
	s_waitcnt lgkmcnt(0)
	s_waitcnt_vscnt null, 0x0
	s_barrier
	buffer_gl0_inv
	s_and_saveexec_b32 s6, s4
	s_cbranch_execz .LBB53_219
; %bb.212:
	ds_read_b128 v[1:4], v114
	s_andn2_b32 vcc_lo, exec_lo, s62
	s_cbranch_vccnz .LBB53_214
; %bb.213:
	s_clause 0x3
	buffer_load_dword v115, v113, s[0:3], 0 offen offset:8
	buffer_load_dword v116, v113, s[0:3], 0 offen offset:12
	buffer_load_dword v117, v113, s[0:3], 0 offen
	buffer_load_dword v118, v113, s[0:3], 0 offen offset:4
	s_waitcnt vmcnt(2) lgkmcnt(0)
	v_mul_f64 v[120:121], v[3:4], v[115:116]
	v_mul_f64 v[115:116], v[1:2], v[115:116]
	s_waitcnt vmcnt(0)
	v_fma_f64 v[1:2], v[1:2], v[117:118], -v[120:121]
	v_fma_f64 v[3:4], v[3:4], v[117:118], v[115:116]
.LBB53_214:
	s_and_saveexec_b32 s8, s5
	s_cbranch_execz .LBB53_218
; %bb.215:
	v_subrev_nc_u32_e32 v115, 27, v0
	s_movk_i32 s63, 0x510
	s_mov_b32 s5, 0
	s_mov_b32 s64, s35
	.p2align	6
.LBB53_216:                             ; =>This Inner Loop Header: Depth=1
	v_mov_b32_e32 v118, s64
	v_add_nc_u32_e32 v115, -1, v115
	s_add_i32 s64, s64, 16
	s_clause 0x3
	buffer_load_dword v116, v118, s[0:3], 0 offen offset:8
	buffer_load_dword v117, v118, s[0:3], 0 offen offset:12
	buffer_load_dword v124, v118, s[0:3], 0 offen
	buffer_load_dword v125, v118, s[0:3], 0 offen offset:4
	v_mov_b32_e32 v118, s63
	v_cmp_eq_u32_e32 vcc_lo, 0, v115
	s_add_i32 s63, s63, 16
	ds_read_b128 v[120:123], v118
	s_or_b32 s5, vcc_lo, s5
	s_waitcnt vmcnt(2) lgkmcnt(0)
	v_mul_f64 v[126:127], v[122:123], v[116:117]
	v_mul_f64 v[116:117], v[120:121], v[116:117]
	s_waitcnt vmcnt(0)
	v_fma_f64 v[120:121], v[120:121], v[124:125], -v[126:127]
	v_fma_f64 v[116:117], v[122:123], v[124:125], v[116:117]
	v_add_f64 v[1:2], v[1:2], v[120:121]
	v_add_f64 v[3:4], v[3:4], v[116:117]
	s_andn2_b32 exec_lo, exec_lo, s5
	s_cbranch_execnz .LBB53_216
; %bb.217:
	s_or_b32 exec_lo, exec_lo, s5
.LBB53_218:
	s_or_b32 exec_lo, exec_lo, s8
	v_mov_b32_e32 v115, 0
	ds_read_b128 v[115:118], v115 offset:416
	s_waitcnt lgkmcnt(0)
	v_mul_f64 v[120:121], v[3:4], v[117:118]
	v_mul_f64 v[117:118], v[1:2], v[117:118]
	v_fma_f64 v[1:2], v[1:2], v[115:116], -v[120:121]
	v_fma_f64 v[3:4], v[3:4], v[115:116], v[117:118]
	buffer_store_dword v2, off, s[0:3], 0 offset:420
	buffer_store_dword v1, off, s[0:3], 0 offset:416
	;; [unrolled: 1-line block ×4, first 2 shown]
.LBB53_219:
	s_or_b32 exec_lo, exec_lo, s6
	v_mov_b32_e32 v4, s37
	v_cmp_lt_u32_e64 s5, 25, v0
	s_clause 0x3
	buffer_load_dword v1, v4, s[0:3], 0 offen
	buffer_load_dword v2, v4, s[0:3], 0 offen offset:4
	buffer_load_dword v3, v4, s[0:3], 0 offen offset:8
	;; [unrolled: 1-line block ×3, first 2 shown]
	s_waitcnt vmcnt(0)
	ds_write_b128 v114, v[1:4]
	s_waitcnt lgkmcnt(0)
	s_waitcnt_vscnt null, 0x0
	s_barrier
	buffer_gl0_inv
	s_and_saveexec_b32 s6, s5
	s_cbranch_execz .LBB53_227
; %bb.220:
	ds_read_b128 v[1:4], v114
	s_andn2_b32 vcc_lo, exec_lo, s62
	s_cbranch_vccnz .LBB53_222
; %bb.221:
	s_clause 0x3
	buffer_load_dword v115, v113, s[0:3], 0 offen offset:8
	buffer_load_dword v116, v113, s[0:3], 0 offen offset:12
	buffer_load_dword v117, v113, s[0:3], 0 offen
	buffer_load_dword v118, v113, s[0:3], 0 offen offset:4
	s_waitcnt vmcnt(2) lgkmcnt(0)
	v_mul_f64 v[120:121], v[3:4], v[115:116]
	v_mul_f64 v[115:116], v[1:2], v[115:116]
	s_waitcnt vmcnt(0)
	v_fma_f64 v[1:2], v[1:2], v[117:118], -v[120:121]
	v_fma_f64 v[3:4], v[3:4], v[117:118], v[115:116]
.LBB53_222:
	s_and_saveexec_b32 s8, s4
	s_cbranch_execz .LBB53_226
; %bb.223:
	v_subrev_nc_u32_e32 v115, 26, v0
	s_movk_i32 s63, 0x500
	s_mov_b32 s4, 0
	s_mov_b32 s64, s36
	.p2align	6
.LBB53_224:                             ; =>This Inner Loop Header: Depth=1
	v_mov_b32_e32 v118, s64
	v_add_nc_u32_e32 v115, -1, v115
	s_add_i32 s64, s64, 16
	s_clause 0x3
	buffer_load_dword v116, v118, s[0:3], 0 offen offset:8
	buffer_load_dword v117, v118, s[0:3], 0 offen offset:12
	buffer_load_dword v124, v118, s[0:3], 0 offen
	buffer_load_dword v125, v118, s[0:3], 0 offen offset:4
	v_mov_b32_e32 v118, s63
	v_cmp_eq_u32_e32 vcc_lo, 0, v115
	s_add_i32 s63, s63, 16
	ds_read_b128 v[120:123], v118
	s_or_b32 s4, vcc_lo, s4
	s_waitcnt vmcnt(2) lgkmcnt(0)
	v_mul_f64 v[126:127], v[122:123], v[116:117]
	v_mul_f64 v[116:117], v[120:121], v[116:117]
	s_waitcnt vmcnt(0)
	v_fma_f64 v[120:121], v[120:121], v[124:125], -v[126:127]
	v_fma_f64 v[116:117], v[122:123], v[124:125], v[116:117]
	v_add_f64 v[1:2], v[1:2], v[120:121]
	v_add_f64 v[3:4], v[3:4], v[116:117]
	s_andn2_b32 exec_lo, exec_lo, s4
	s_cbranch_execnz .LBB53_224
; %bb.225:
	s_or_b32 exec_lo, exec_lo, s4
.LBB53_226:
	s_or_b32 exec_lo, exec_lo, s8
	v_mov_b32_e32 v115, 0
	ds_read_b128 v[115:118], v115 offset:400
	s_waitcnt lgkmcnt(0)
	v_mul_f64 v[120:121], v[3:4], v[117:118]
	v_mul_f64 v[117:118], v[1:2], v[117:118]
	v_fma_f64 v[1:2], v[1:2], v[115:116], -v[120:121]
	v_fma_f64 v[3:4], v[3:4], v[115:116], v[117:118]
	buffer_store_dword v2, off, s[0:3], 0 offset:404
	buffer_store_dword v1, off, s[0:3], 0 offset:400
	;; [unrolled: 1-line block ×4, first 2 shown]
.LBB53_227:
	s_or_b32 exec_lo, exec_lo, s6
	v_mov_b32_e32 v4, s38
	v_cmp_lt_u32_e64 s4, 24, v0
	s_clause 0x3
	buffer_load_dword v1, v4, s[0:3], 0 offen
	buffer_load_dword v2, v4, s[0:3], 0 offen offset:4
	buffer_load_dword v3, v4, s[0:3], 0 offen offset:8
	;; [unrolled: 1-line block ×3, first 2 shown]
	s_waitcnt vmcnt(0)
	ds_write_b128 v114, v[1:4]
	s_waitcnt lgkmcnt(0)
	s_waitcnt_vscnt null, 0x0
	s_barrier
	buffer_gl0_inv
	s_and_saveexec_b32 s6, s4
	s_cbranch_execz .LBB53_235
; %bb.228:
	ds_read_b128 v[1:4], v114
	s_andn2_b32 vcc_lo, exec_lo, s62
	s_cbranch_vccnz .LBB53_230
; %bb.229:
	s_clause 0x3
	buffer_load_dword v115, v113, s[0:3], 0 offen offset:8
	buffer_load_dword v116, v113, s[0:3], 0 offen offset:12
	buffer_load_dword v117, v113, s[0:3], 0 offen
	buffer_load_dword v118, v113, s[0:3], 0 offen offset:4
	s_waitcnt vmcnt(2) lgkmcnt(0)
	v_mul_f64 v[120:121], v[3:4], v[115:116]
	v_mul_f64 v[115:116], v[1:2], v[115:116]
	s_waitcnt vmcnt(0)
	v_fma_f64 v[1:2], v[1:2], v[117:118], -v[120:121]
	v_fma_f64 v[3:4], v[3:4], v[117:118], v[115:116]
.LBB53_230:
	s_and_saveexec_b32 s8, s5
	s_cbranch_execz .LBB53_234
; %bb.231:
	v_subrev_nc_u32_e32 v115, 25, v0
	s_movk_i32 s63, 0x4f0
	s_mov_b32 s5, 0
	s_mov_b32 s64, s37
	.p2align	6
.LBB53_232:                             ; =>This Inner Loop Header: Depth=1
	v_mov_b32_e32 v118, s64
	v_add_nc_u32_e32 v115, -1, v115
	s_add_i32 s64, s64, 16
	s_clause 0x3
	buffer_load_dword v116, v118, s[0:3], 0 offen offset:8
	buffer_load_dword v117, v118, s[0:3], 0 offen offset:12
	buffer_load_dword v124, v118, s[0:3], 0 offen
	buffer_load_dword v125, v118, s[0:3], 0 offen offset:4
	v_mov_b32_e32 v118, s63
	v_cmp_eq_u32_e32 vcc_lo, 0, v115
	s_add_i32 s63, s63, 16
	ds_read_b128 v[120:123], v118
	s_or_b32 s5, vcc_lo, s5
	s_waitcnt vmcnt(2) lgkmcnt(0)
	v_mul_f64 v[126:127], v[122:123], v[116:117]
	v_mul_f64 v[116:117], v[120:121], v[116:117]
	s_waitcnt vmcnt(0)
	v_fma_f64 v[120:121], v[120:121], v[124:125], -v[126:127]
	v_fma_f64 v[116:117], v[122:123], v[124:125], v[116:117]
	v_add_f64 v[1:2], v[1:2], v[120:121]
	v_add_f64 v[3:4], v[3:4], v[116:117]
	s_andn2_b32 exec_lo, exec_lo, s5
	s_cbranch_execnz .LBB53_232
; %bb.233:
	s_or_b32 exec_lo, exec_lo, s5
.LBB53_234:
	s_or_b32 exec_lo, exec_lo, s8
	v_mov_b32_e32 v115, 0
	ds_read_b128 v[115:118], v115 offset:384
	s_waitcnt lgkmcnt(0)
	v_mul_f64 v[120:121], v[3:4], v[117:118]
	v_mul_f64 v[117:118], v[1:2], v[117:118]
	v_fma_f64 v[1:2], v[1:2], v[115:116], -v[120:121]
	v_fma_f64 v[3:4], v[3:4], v[115:116], v[117:118]
	buffer_store_dword v2, off, s[0:3], 0 offset:388
	buffer_store_dword v1, off, s[0:3], 0 offset:384
	;; [unrolled: 1-line block ×4, first 2 shown]
.LBB53_235:
	s_or_b32 exec_lo, exec_lo, s6
	v_mov_b32_e32 v4, s39
	v_cmp_lt_u32_e64 s5, 23, v0
	s_clause 0x3
	buffer_load_dword v1, v4, s[0:3], 0 offen
	buffer_load_dword v2, v4, s[0:3], 0 offen offset:4
	buffer_load_dword v3, v4, s[0:3], 0 offen offset:8
	;; [unrolled: 1-line block ×3, first 2 shown]
	s_waitcnt vmcnt(0)
	ds_write_b128 v114, v[1:4]
	s_waitcnt lgkmcnt(0)
	s_waitcnt_vscnt null, 0x0
	s_barrier
	buffer_gl0_inv
	s_and_saveexec_b32 s6, s5
	s_cbranch_execz .LBB53_243
; %bb.236:
	ds_read_b128 v[1:4], v114
	s_andn2_b32 vcc_lo, exec_lo, s62
	s_cbranch_vccnz .LBB53_238
; %bb.237:
	s_clause 0x3
	buffer_load_dword v115, v113, s[0:3], 0 offen offset:8
	buffer_load_dword v116, v113, s[0:3], 0 offen offset:12
	buffer_load_dword v117, v113, s[0:3], 0 offen
	buffer_load_dword v118, v113, s[0:3], 0 offen offset:4
	s_waitcnt vmcnt(2) lgkmcnt(0)
	v_mul_f64 v[120:121], v[3:4], v[115:116]
	v_mul_f64 v[115:116], v[1:2], v[115:116]
	s_waitcnt vmcnt(0)
	v_fma_f64 v[1:2], v[1:2], v[117:118], -v[120:121]
	v_fma_f64 v[3:4], v[3:4], v[117:118], v[115:116]
.LBB53_238:
	s_and_saveexec_b32 s8, s4
	s_cbranch_execz .LBB53_242
; %bb.239:
	v_subrev_nc_u32_e32 v115, 24, v0
	s_movk_i32 s63, 0x4e0
	s_mov_b32 s4, 0
	s_mov_b32 s64, s38
	.p2align	6
.LBB53_240:                             ; =>This Inner Loop Header: Depth=1
	v_mov_b32_e32 v118, s64
	v_add_nc_u32_e32 v115, -1, v115
	s_add_i32 s64, s64, 16
	s_clause 0x3
	buffer_load_dword v116, v118, s[0:3], 0 offen offset:8
	buffer_load_dword v117, v118, s[0:3], 0 offen offset:12
	buffer_load_dword v124, v118, s[0:3], 0 offen
	buffer_load_dword v125, v118, s[0:3], 0 offen offset:4
	v_mov_b32_e32 v118, s63
	v_cmp_eq_u32_e32 vcc_lo, 0, v115
	s_add_i32 s63, s63, 16
	ds_read_b128 v[120:123], v118
	s_or_b32 s4, vcc_lo, s4
	s_waitcnt vmcnt(2) lgkmcnt(0)
	v_mul_f64 v[126:127], v[122:123], v[116:117]
	v_mul_f64 v[116:117], v[120:121], v[116:117]
	s_waitcnt vmcnt(0)
	v_fma_f64 v[120:121], v[120:121], v[124:125], -v[126:127]
	v_fma_f64 v[116:117], v[122:123], v[124:125], v[116:117]
	v_add_f64 v[1:2], v[1:2], v[120:121]
	v_add_f64 v[3:4], v[3:4], v[116:117]
	s_andn2_b32 exec_lo, exec_lo, s4
	s_cbranch_execnz .LBB53_240
; %bb.241:
	s_or_b32 exec_lo, exec_lo, s4
.LBB53_242:
	s_or_b32 exec_lo, exec_lo, s8
	v_mov_b32_e32 v115, 0
	ds_read_b128 v[115:118], v115 offset:368
	s_waitcnt lgkmcnt(0)
	v_mul_f64 v[120:121], v[3:4], v[117:118]
	v_mul_f64 v[117:118], v[1:2], v[117:118]
	v_fma_f64 v[1:2], v[1:2], v[115:116], -v[120:121]
	v_fma_f64 v[3:4], v[3:4], v[115:116], v[117:118]
	buffer_store_dword v2, off, s[0:3], 0 offset:372
	buffer_store_dword v1, off, s[0:3], 0 offset:368
	buffer_store_dword v4, off, s[0:3], 0 offset:380
	buffer_store_dword v3, off, s[0:3], 0 offset:376
.LBB53_243:
	s_or_b32 exec_lo, exec_lo, s6
	v_mov_b32_e32 v4, s40
	v_cmp_lt_u32_e64 s4, 22, v0
	s_clause 0x3
	buffer_load_dword v1, v4, s[0:3], 0 offen
	buffer_load_dword v2, v4, s[0:3], 0 offen offset:4
	buffer_load_dword v3, v4, s[0:3], 0 offen offset:8
	;; [unrolled: 1-line block ×3, first 2 shown]
	s_waitcnt vmcnt(0)
	ds_write_b128 v114, v[1:4]
	s_waitcnt lgkmcnt(0)
	s_waitcnt_vscnt null, 0x0
	s_barrier
	buffer_gl0_inv
	s_and_saveexec_b32 s6, s4
	s_cbranch_execz .LBB53_251
; %bb.244:
	ds_read_b128 v[1:4], v114
	s_andn2_b32 vcc_lo, exec_lo, s62
	s_cbranch_vccnz .LBB53_246
; %bb.245:
	s_clause 0x3
	buffer_load_dword v115, v113, s[0:3], 0 offen offset:8
	buffer_load_dword v116, v113, s[0:3], 0 offen offset:12
	buffer_load_dword v117, v113, s[0:3], 0 offen
	buffer_load_dword v118, v113, s[0:3], 0 offen offset:4
	s_waitcnt vmcnt(2) lgkmcnt(0)
	v_mul_f64 v[120:121], v[3:4], v[115:116]
	v_mul_f64 v[115:116], v[1:2], v[115:116]
	s_waitcnt vmcnt(0)
	v_fma_f64 v[1:2], v[1:2], v[117:118], -v[120:121]
	v_fma_f64 v[3:4], v[3:4], v[117:118], v[115:116]
.LBB53_246:
	s_and_saveexec_b32 s8, s5
	s_cbranch_execz .LBB53_250
; %bb.247:
	v_subrev_nc_u32_e32 v115, 23, v0
	s_movk_i32 s63, 0x4d0
	s_mov_b32 s5, 0
	s_mov_b32 s64, s39
	.p2align	6
.LBB53_248:                             ; =>This Inner Loop Header: Depth=1
	v_mov_b32_e32 v118, s64
	v_add_nc_u32_e32 v115, -1, v115
	s_add_i32 s64, s64, 16
	s_clause 0x3
	buffer_load_dword v116, v118, s[0:3], 0 offen offset:8
	buffer_load_dword v117, v118, s[0:3], 0 offen offset:12
	buffer_load_dword v124, v118, s[0:3], 0 offen
	buffer_load_dword v125, v118, s[0:3], 0 offen offset:4
	v_mov_b32_e32 v118, s63
	v_cmp_eq_u32_e32 vcc_lo, 0, v115
	s_add_i32 s63, s63, 16
	ds_read_b128 v[120:123], v118
	s_or_b32 s5, vcc_lo, s5
	s_waitcnt vmcnt(2) lgkmcnt(0)
	v_mul_f64 v[126:127], v[122:123], v[116:117]
	v_mul_f64 v[116:117], v[120:121], v[116:117]
	s_waitcnt vmcnt(0)
	v_fma_f64 v[120:121], v[120:121], v[124:125], -v[126:127]
	v_fma_f64 v[116:117], v[122:123], v[124:125], v[116:117]
	v_add_f64 v[1:2], v[1:2], v[120:121]
	v_add_f64 v[3:4], v[3:4], v[116:117]
	s_andn2_b32 exec_lo, exec_lo, s5
	s_cbranch_execnz .LBB53_248
; %bb.249:
	s_or_b32 exec_lo, exec_lo, s5
.LBB53_250:
	s_or_b32 exec_lo, exec_lo, s8
	v_mov_b32_e32 v115, 0
	ds_read_b128 v[115:118], v115 offset:352
	s_waitcnt lgkmcnt(0)
	v_mul_f64 v[120:121], v[3:4], v[117:118]
	v_mul_f64 v[117:118], v[1:2], v[117:118]
	v_fma_f64 v[1:2], v[1:2], v[115:116], -v[120:121]
	v_fma_f64 v[3:4], v[3:4], v[115:116], v[117:118]
	buffer_store_dword v2, off, s[0:3], 0 offset:356
	buffer_store_dword v1, off, s[0:3], 0 offset:352
	;; [unrolled: 1-line block ×4, first 2 shown]
.LBB53_251:
	s_or_b32 exec_lo, exec_lo, s6
	v_mov_b32_e32 v4, s41
	v_cmp_lt_u32_e64 s5, 21, v0
	s_clause 0x3
	buffer_load_dword v1, v4, s[0:3], 0 offen
	buffer_load_dword v2, v4, s[0:3], 0 offen offset:4
	buffer_load_dword v3, v4, s[0:3], 0 offen offset:8
	;; [unrolled: 1-line block ×3, first 2 shown]
	s_waitcnt vmcnt(0)
	ds_write_b128 v114, v[1:4]
	s_waitcnt lgkmcnt(0)
	s_waitcnt_vscnt null, 0x0
	s_barrier
	buffer_gl0_inv
	s_and_saveexec_b32 s6, s5
	s_cbranch_execz .LBB53_259
; %bb.252:
	ds_read_b128 v[1:4], v114
	s_andn2_b32 vcc_lo, exec_lo, s62
	s_cbranch_vccnz .LBB53_254
; %bb.253:
	s_clause 0x3
	buffer_load_dword v115, v113, s[0:3], 0 offen offset:8
	buffer_load_dword v116, v113, s[0:3], 0 offen offset:12
	buffer_load_dword v117, v113, s[0:3], 0 offen
	buffer_load_dword v118, v113, s[0:3], 0 offen offset:4
	s_waitcnt vmcnt(2) lgkmcnt(0)
	v_mul_f64 v[120:121], v[3:4], v[115:116]
	v_mul_f64 v[115:116], v[1:2], v[115:116]
	s_waitcnt vmcnt(0)
	v_fma_f64 v[1:2], v[1:2], v[117:118], -v[120:121]
	v_fma_f64 v[3:4], v[3:4], v[117:118], v[115:116]
.LBB53_254:
	s_and_saveexec_b32 s8, s4
	s_cbranch_execz .LBB53_258
; %bb.255:
	v_subrev_nc_u32_e32 v115, 22, v0
	s_movk_i32 s63, 0x4c0
	s_mov_b32 s4, 0
	s_mov_b32 s64, s40
	.p2align	6
.LBB53_256:                             ; =>This Inner Loop Header: Depth=1
	v_mov_b32_e32 v118, s64
	v_add_nc_u32_e32 v115, -1, v115
	s_add_i32 s64, s64, 16
	s_clause 0x3
	buffer_load_dword v116, v118, s[0:3], 0 offen offset:8
	buffer_load_dword v117, v118, s[0:3], 0 offen offset:12
	buffer_load_dword v124, v118, s[0:3], 0 offen
	buffer_load_dword v125, v118, s[0:3], 0 offen offset:4
	v_mov_b32_e32 v118, s63
	v_cmp_eq_u32_e32 vcc_lo, 0, v115
	s_add_i32 s63, s63, 16
	ds_read_b128 v[120:123], v118
	s_or_b32 s4, vcc_lo, s4
	s_waitcnt vmcnt(2) lgkmcnt(0)
	v_mul_f64 v[126:127], v[122:123], v[116:117]
	v_mul_f64 v[116:117], v[120:121], v[116:117]
	s_waitcnt vmcnt(0)
	v_fma_f64 v[120:121], v[120:121], v[124:125], -v[126:127]
	v_fma_f64 v[116:117], v[122:123], v[124:125], v[116:117]
	v_add_f64 v[1:2], v[1:2], v[120:121]
	v_add_f64 v[3:4], v[3:4], v[116:117]
	s_andn2_b32 exec_lo, exec_lo, s4
	s_cbranch_execnz .LBB53_256
; %bb.257:
	s_or_b32 exec_lo, exec_lo, s4
.LBB53_258:
	s_or_b32 exec_lo, exec_lo, s8
	v_mov_b32_e32 v115, 0
	ds_read_b128 v[115:118], v115 offset:336
	s_waitcnt lgkmcnt(0)
	v_mul_f64 v[120:121], v[3:4], v[117:118]
	v_mul_f64 v[117:118], v[1:2], v[117:118]
	v_fma_f64 v[1:2], v[1:2], v[115:116], -v[120:121]
	v_fma_f64 v[3:4], v[3:4], v[115:116], v[117:118]
	buffer_store_dword v2, off, s[0:3], 0 offset:340
	buffer_store_dword v1, off, s[0:3], 0 offset:336
	;; [unrolled: 1-line block ×4, first 2 shown]
.LBB53_259:
	s_or_b32 exec_lo, exec_lo, s6
	v_mov_b32_e32 v4, s42
	v_cmp_lt_u32_e64 s4, 20, v0
	s_clause 0x3
	buffer_load_dword v1, v4, s[0:3], 0 offen
	buffer_load_dword v2, v4, s[0:3], 0 offen offset:4
	buffer_load_dword v3, v4, s[0:3], 0 offen offset:8
	;; [unrolled: 1-line block ×3, first 2 shown]
	s_waitcnt vmcnt(0)
	ds_write_b128 v114, v[1:4]
	s_waitcnt lgkmcnt(0)
	s_waitcnt_vscnt null, 0x0
	s_barrier
	buffer_gl0_inv
	s_and_saveexec_b32 s6, s4
	s_cbranch_execz .LBB53_267
; %bb.260:
	ds_read_b128 v[1:4], v114
	s_andn2_b32 vcc_lo, exec_lo, s62
	s_cbranch_vccnz .LBB53_262
; %bb.261:
	s_clause 0x3
	buffer_load_dword v115, v113, s[0:3], 0 offen offset:8
	buffer_load_dword v116, v113, s[0:3], 0 offen offset:12
	buffer_load_dword v117, v113, s[0:3], 0 offen
	buffer_load_dword v118, v113, s[0:3], 0 offen offset:4
	s_waitcnt vmcnt(2) lgkmcnt(0)
	v_mul_f64 v[120:121], v[3:4], v[115:116]
	v_mul_f64 v[115:116], v[1:2], v[115:116]
	s_waitcnt vmcnt(0)
	v_fma_f64 v[1:2], v[1:2], v[117:118], -v[120:121]
	v_fma_f64 v[3:4], v[3:4], v[117:118], v[115:116]
.LBB53_262:
	s_and_saveexec_b32 s8, s5
	s_cbranch_execz .LBB53_266
; %bb.263:
	v_subrev_nc_u32_e32 v115, 21, v0
	s_movk_i32 s63, 0x4b0
	s_mov_b32 s5, 0
	s_mov_b32 s64, s41
	.p2align	6
.LBB53_264:                             ; =>This Inner Loop Header: Depth=1
	v_mov_b32_e32 v118, s64
	v_add_nc_u32_e32 v115, -1, v115
	s_add_i32 s64, s64, 16
	s_clause 0x3
	buffer_load_dword v116, v118, s[0:3], 0 offen offset:8
	buffer_load_dword v117, v118, s[0:3], 0 offen offset:12
	buffer_load_dword v124, v118, s[0:3], 0 offen
	buffer_load_dword v125, v118, s[0:3], 0 offen offset:4
	v_mov_b32_e32 v118, s63
	v_cmp_eq_u32_e32 vcc_lo, 0, v115
	s_add_i32 s63, s63, 16
	ds_read_b128 v[120:123], v118
	s_or_b32 s5, vcc_lo, s5
	s_waitcnt vmcnt(2) lgkmcnt(0)
	v_mul_f64 v[126:127], v[122:123], v[116:117]
	v_mul_f64 v[116:117], v[120:121], v[116:117]
	s_waitcnt vmcnt(0)
	v_fma_f64 v[120:121], v[120:121], v[124:125], -v[126:127]
	v_fma_f64 v[116:117], v[122:123], v[124:125], v[116:117]
	v_add_f64 v[1:2], v[1:2], v[120:121]
	v_add_f64 v[3:4], v[3:4], v[116:117]
	s_andn2_b32 exec_lo, exec_lo, s5
	s_cbranch_execnz .LBB53_264
; %bb.265:
	s_or_b32 exec_lo, exec_lo, s5
.LBB53_266:
	s_or_b32 exec_lo, exec_lo, s8
	v_mov_b32_e32 v115, 0
	ds_read_b128 v[115:118], v115 offset:320
	s_waitcnt lgkmcnt(0)
	v_mul_f64 v[120:121], v[3:4], v[117:118]
	v_mul_f64 v[117:118], v[1:2], v[117:118]
	v_fma_f64 v[1:2], v[1:2], v[115:116], -v[120:121]
	v_fma_f64 v[3:4], v[3:4], v[115:116], v[117:118]
	buffer_store_dword v2, off, s[0:3], 0 offset:324
	buffer_store_dword v1, off, s[0:3], 0 offset:320
	;; [unrolled: 1-line block ×4, first 2 shown]
.LBB53_267:
	s_or_b32 exec_lo, exec_lo, s6
	v_mov_b32_e32 v4, s43
	v_cmp_lt_u32_e64 s5, 19, v0
	s_clause 0x3
	buffer_load_dword v1, v4, s[0:3], 0 offen
	buffer_load_dword v2, v4, s[0:3], 0 offen offset:4
	buffer_load_dword v3, v4, s[0:3], 0 offen offset:8
	;; [unrolled: 1-line block ×3, first 2 shown]
	s_waitcnt vmcnt(0)
	ds_write_b128 v114, v[1:4]
	s_waitcnt lgkmcnt(0)
	s_waitcnt_vscnt null, 0x0
	s_barrier
	buffer_gl0_inv
	s_and_saveexec_b32 s6, s5
	s_cbranch_execz .LBB53_275
; %bb.268:
	ds_read_b128 v[1:4], v114
	s_andn2_b32 vcc_lo, exec_lo, s62
	s_cbranch_vccnz .LBB53_270
; %bb.269:
	s_clause 0x3
	buffer_load_dword v115, v113, s[0:3], 0 offen offset:8
	buffer_load_dword v116, v113, s[0:3], 0 offen offset:12
	buffer_load_dword v117, v113, s[0:3], 0 offen
	buffer_load_dword v118, v113, s[0:3], 0 offen offset:4
	s_waitcnt vmcnt(2) lgkmcnt(0)
	v_mul_f64 v[120:121], v[3:4], v[115:116]
	v_mul_f64 v[115:116], v[1:2], v[115:116]
	s_waitcnt vmcnt(0)
	v_fma_f64 v[1:2], v[1:2], v[117:118], -v[120:121]
	v_fma_f64 v[3:4], v[3:4], v[117:118], v[115:116]
.LBB53_270:
	s_and_saveexec_b32 s8, s4
	s_cbranch_execz .LBB53_274
; %bb.271:
	v_subrev_nc_u32_e32 v115, 20, v0
	s_movk_i32 s63, 0x4a0
	s_mov_b32 s4, 0
	s_mov_b32 s64, s42
	.p2align	6
.LBB53_272:                             ; =>This Inner Loop Header: Depth=1
	v_mov_b32_e32 v118, s64
	v_add_nc_u32_e32 v115, -1, v115
	s_add_i32 s64, s64, 16
	s_clause 0x3
	buffer_load_dword v116, v118, s[0:3], 0 offen offset:8
	buffer_load_dword v117, v118, s[0:3], 0 offen offset:12
	buffer_load_dword v124, v118, s[0:3], 0 offen
	buffer_load_dword v125, v118, s[0:3], 0 offen offset:4
	v_mov_b32_e32 v118, s63
	v_cmp_eq_u32_e32 vcc_lo, 0, v115
	s_add_i32 s63, s63, 16
	ds_read_b128 v[120:123], v118
	s_or_b32 s4, vcc_lo, s4
	s_waitcnt vmcnt(2) lgkmcnt(0)
	v_mul_f64 v[126:127], v[122:123], v[116:117]
	v_mul_f64 v[116:117], v[120:121], v[116:117]
	s_waitcnt vmcnt(0)
	v_fma_f64 v[120:121], v[120:121], v[124:125], -v[126:127]
	v_fma_f64 v[116:117], v[122:123], v[124:125], v[116:117]
	v_add_f64 v[1:2], v[1:2], v[120:121]
	v_add_f64 v[3:4], v[3:4], v[116:117]
	s_andn2_b32 exec_lo, exec_lo, s4
	s_cbranch_execnz .LBB53_272
; %bb.273:
	s_or_b32 exec_lo, exec_lo, s4
.LBB53_274:
	s_or_b32 exec_lo, exec_lo, s8
	v_mov_b32_e32 v115, 0
	ds_read_b128 v[115:118], v115 offset:304
	s_waitcnt lgkmcnt(0)
	v_mul_f64 v[120:121], v[3:4], v[117:118]
	v_mul_f64 v[117:118], v[1:2], v[117:118]
	v_fma_f64 v[1:2], v[1:2], v[115:116], -v[120:121]
	v_fma_f64 v[3:4], v[3:4], v[115:116], v[117:118]
	buffer_store_dword v2, off, s[0:3], 0 offset:308
	buffer_store_dword v1, off, s[0:3], 0 offset:304
	;; [unrolled: 1-line block ×4, first 2 shown]
.LBB53_275:
	s_or_b32 exec_lo, exec_lo, s6
	v_mov_b32_e32 v4, s44
	v_cmp_lt_u32_e64 s4, 18, v0
	s_clause 0x3
	buffer_load_dword v1, v4, s[0:3], 0 offen
	buffer_load_dword v2, v4, s[0:3], 0 offen offset:4
	buffer_load_dword v3, v4, s[0:3], 0 offen offset:8
	;; [unrolled: 1-line block ×3, first 2 shown]
	s_waitcnt vmcnt(0)
	ds_write_b128 v114, v[1:4]
	s_waitcnt lgkmcnt(0)
	s_waitcnt_vscnt null, 0x0
	s_barrier
	buffer_gl0_inv
	s_and_saveexec_b32 s6, s4
	s_cbranch_execz .LBB53_283
; %bb.276:
	ds_read_b128 v[1:4], v114
	s_andn2_b32 vcc_lo, exec_lo, s62
	s_cbranch_vccnz .LBB53_278
; %bb.277:
	s_clause 0x3
	buffer_load_dword v115, v113, s[0:3], 0 offen offset:8
	buffer_load_dword v116, v113, s[0:3], 0 offen offset:12
	buffer_load_dword v117, v113, s[0:3], 0 offen
	buffer_load_dword v118, v113, s[0:3], 0 offen offset:4
	s_waitcnt vmcnt(2) lgkmcnt(0)
	v_mul_f64 v[120:121], v[3:4], v[115:116]
	v_mul_f64 v[115:116], v[1:2], v[115:116]
	s_waitcnt vmcnt(0)
	v_fma_f64 v[1:2], v[1:2], v[117:118], -v[120:121]
	v_fma_f64 v[3:4], v[3:4], v[117:118], v[115:116]
.LBB53_278:
	s_and_saveexec_b32 s8, s5
	s_cbranch_execz .LBB53_282
; %bb.279:
	v_subrev_nc_u32_e32 v115, 19, v0
	s_movk_i32 s63, 0x490
	s_mov_b32 s5, 0
	s_mov_b32 s64, s43
	.p2align	6
.LBB53_280:                             ; =>This Inner Loop Header: Depth=1
	v_mov_b32_e32 v118, s64
	v_add_nc_u32_e32 v115, -1, v115
	s_add_i32 s64, s64, 16
	s_clause 0x3
	buffer_load_dword v116, v118, s[0:3], 0 offen offset:8
	buffer_load_dword v117, v118, s[0:3], 0 offen offset:12
	buffer_load_dword v124, v118, s[0:3], 0 offen
	buffer_load_dword v125, v118, s[0:3], 0 offen offset:4
	v_mov_b32_e32 v118, s63
	v_cmp_eq_u32_e32 vcc_lo, 0, v115
	s_add_i32 s63, s63, 16
	ds_read_b128 v[120:123], v118
	s_or_b32 s5, vcc_lo, s5
	s_waitcnt vmcnt(2) lgkmcnt(0)
	v_mul_f64 v[126:127], v[122:123], v[116:117]
	v_mul_f64 v[116:117], v[120:121], v[116:117]
	s_waitcnt vmcnt(0)
	v_fma_f64 v[120:121], v[120:121], v[124:125], -v[126:127]
	v_fma_f64 v[116:117], v[122:123], v[124:125], v[116:117]
	v_add_f64 v[1:2], v[1:2], v[120:121]
	v_add_f64 v[3:4], v[3:4], v[116:117]
	s_andn2_b32 exec_lo, exec_lo, s5
	s_cbranch_execnz .LBB53_280
; %bb.281:
	s_or_b32 exec_lo, exec_lo, s5
.LBB53_282:
	s_or_b32 exec_lo, exec_lo, s8
	v_mov_b32_e32 v115, 0
	ds_read_b128 v[115:118], v115 offset:288
	s_waitcnt lgkmcnt(0)
	v_mul_f64 v[120:121], v[3:4], v[117:118]
	v_mul_f64 v[117:118], v[1:2], v[117:118]
	v_fma_f64 v[1:2], v[1:2], v[115:116], -v[120:121]
	v_fma_f64 v[3:4], v[3:4], v[115:116], v[117:118]
	buffer_store_dword v2, off, s[0:3], 0 offset:292
	buffer_store_dword v1, off, s[0:3], 0 offset:288
	;; [unrolled: 1-line block ×4, first 2 shown]
.LBB53_283:
	s_or_b32 exec_lo, exec_lo, s6
	v_mov_b32_e32 v4, s45
	v_cmp_lt_u32_e64 s5, 17, v0
	s_clause 0x3
	buffer_load_dword v1, v4, s[0:3], 0 offen
	buffer_load_dword v2, v4, s[0:3], 0 offen offset:4
	buffer_load_dword v3, v4, s[0:3], 0 offen offset:8
	;; [unrolled: 1-line block ×3, first 2 shown]
	s_waitcnt vmcnt(0)
	ds_write_b128 v114, v[1:4]
	s_waitcnt lgkmcnt(0)
	s_waitcnt_vscnt null, 0x0
	s_barrier
	buffer_gl0_inv
	s_and_saveexec_b32 s6, s5
	s_cbranch_execz .LBB53_291
; %bb.284:
	ds_read_b128 v[1:4], v114
	s_andn2_b32 vcc_lo, exec_lo, s62
	s_cbranch_vccnz .LBB53_286
; %bb.285:
	s_clause 0x3
	buffer_load_dword v115, v113, s[0:3], 0 offen offset:8
	buffer_load_dword v116, v113, s[0:3], 0 offen offset:12
	buffer_load_dword v117, v113, s[0:3], 0 offen
	buffer_load_dword v118, v113, s[0:3], 0 offen offset:4
	s_waitcnt vmcnt(2) lgkmcnt(0)
	v_mul_f64 v[120:121], v[3:4], v[115:116]
	v_mul_f64 v[115:116], v[1:2], v[115:116]
	s_waitcnt vmcnt(0)
	v_fma_f64 v[1:2], v[1:2], v[117:118], -v[120:121]
	v_fma_f64 v[3:4], v[3:4], v[117:118], v[115:116]
.LBB53_286:
	s_and_saveexec_b32 s8, s4
	s_cbranch_execz .LBB53_290
; %bb.287:
	v_subrev_nc_u32_e32 v115, 18, v0
	s_movk_i32 s63, 0x480
	s_mov_b32 s4, 0
	s_mov_b32 s64, s44
	.p2align	6
.LBB53_288:                             ; =>This Inner Loop Header: Depth=1
	v_mov_b32_e32 v118, s64
	v_add_nc_u32_e32 v115, -1, v115
	s_add_i32 s64, s64, 16
	s_clause 0x3
	buffer_load_dword v116, v118, s[0:3], 0 offen offset:8
	buffer_load_dword v117, v118, s[0:3], 0 offen offset:12
	buffer_load_dword v124, v118, s[0:3], 0 offen
	buffer_load_dword v125, v118, s[0:3], 0 offen offset:4
	v_mov_b32_e32 v118, s63
	v_cmp_eq_u32_e32 vcc_lo, 0, v115
	s_add_i32 s63, s63, 16
	ds_read_b128 v[120:123], v118
	s_or_b32 s4, vcc_lo, s4
	s_waitcnt vmcnt(2) lgkmcnt(0)
	v_mul_f64 v[126:127], v[122:123], v[116:117]
	v_mul_f64 v[116:117], v[120:121], v[116:117]
	s_waitcnt vmcnt(0)
	v_fma_f64 v[120:121], v[120:121], v[124:125], -v[126:127]
	v_fma_f64 v[116:117], v[122:123], v[124:125], v[116:117]
	v_add_f64 v[1:2], v[1:2], v[120:121]
	v_add_f64 v[3:4], v[3:4], v[116:117]
	s_andn2_b32 exec_lo, exec_lo, s4
	s_cbranch_execnz .LBB53_288
; %bb.289:
	s_or_b32 exec_lo, exec_lo, s4
.LBB53_290:
	s_or_b32 exec_lo, exec_lo, s8
	v_mov_b32_e32 v115, 0
	ds_read_b128 v[115:118], v115 offset:272
	s_waitcnt lgkmcnt(0)
	v_mul_f64 v[120:121], v[3:4], v[117:118]
	v_mul_f64 v[117:118], v[1:2], v[117:118]
	v_fma_f64 v[1:2], v[1:2], v[115:116], -v[120:121]
	v_fma_f64 v[3:4], v[3:4], v[115:116], v[117:118]
	buffer_store_dword v2, off, s[0:3], 0 offset:276
	buffer_store_dword v1, off, s[0:3], 0 offset:272
	;; [unrolled: 1-line block ×4, first 2 shown]
.LBB53_291:
	s_or_b32 exec_lo, exec_lo, s6
	v_mov_b32_e32 v4, s46
	v_cmp_lt_u32_e64 s4, 16, v0
	s_clause 0x3
	buffer_load_dword v1, v4, s[0:3], 0 offen
	buffer_load_dword v2, v4, s[0:3], 0 offen offset:4
	buffer_load_dword v3, v4, s[0:3], 0 offen offset:8
	;; [unrolled: 1-line block ×3, first 2 shown]
	s_waitcnt vmcnt(0)
	ds_write_b128 v114, v[1:4]
	s_waitcnt lgkmcnt(0)
	s_waitcnt_vscnt null, 0x0
	s_barrier
	buffer_gl0_inv
	s_and_saveexec_b32 s6, s4
	s_cbranch_execz .LBB53_299
; %bb.292:
	ds_read_b128 v[1:4], v114
	s_andn2_b32 vcc_lo, exec_lo, s62
	s_cbranch_vccnz .LBB53_294
; %bb.293:
	s_clause 0x3
	buffer_load_dword v115, v113, s[0:3], 0 offen offset:8
	buffer_load_dword v116, v113, s[0:3], 0 offen offset:12
	buffer_load_dword v117, v113, s[0:3], 0 offen
	buffer_load_dword v118, v113, s[0:3], 0 offen offset:4
	s_waitcnt vmcnt(2) lgkmcnt(0)
	v_mul_f64 v[120:121], v[3:4], v[115:116]
	v_mul_f64 v[115:116], v[1:2], v[115:116]
	s_waitcnt vmcnt(0)
	v_fma_f64 v[1:2], v[1:2], v[117:118], -v[120:121]
	v_fma_f64 v[3:4], v[3:4], v[117:118], v[115:116]
.LBB53_294:
	s_and_saveexec_b32 s8, s5
	s_cbranch_execz .LBB53_298
; %bb.295:
	v_subrev_nc_u32_e32 v115, 17, v0
	s_movk_i32 s63, 0x470
	s_mov_b32 s5, 0
	s_mov_b32 s64, s45
	.p2align	6
.LBB53_296:                             ; =>This Inner Loop Header: Depth=1
	v_mov_b32_e32 v118, s64
	v_add_nc_u32_e32 v115, -1, v115
	s_add_i32 s64, s64, 16
	s_clause 0x3
	buffer_load_dword v116, v118, s[0:3], 0 offen offset:8
	buffer_load_dword v117, v118, s[0:3], 0 offen offset:12
	buffer_load_dword v124, v118, s[0:3], 0 offen
	buffer_load_dword v125, v118, s[0:3], 0 offen offset:4
	v_mov_b32_e32 v118, s63
	v_cmp_eq_u32_e32 vcc_lo, 0, v115
	s_add_i32 s63, s63, 16
	ds_read_b128 v[120:123], v118
	s_or_b32 s5, vcc_lo, s5
	s_waitcnt vmcnt(2) lgkmcnt(0)
	v_mul_f64 v[126:127], v[122:123], v[116:117]
	v_mul_f64 v[116:117], v[120:121], v[116:117]
	s_waitcnt vmcnt(0)
	v_fma_f64 v[120:121], v[120:121], v[124:125], -v[126:127]
	v_fma_f64 v[116:117], v[122:123], v[124:125], v[116:117]
	v_add_f64 v[1:2], v[1:2], v[120:121]
	v_add_f64 v[3:4], v[3:4], v[116:117]
	s_andn2_b32 exec_lo, exec_lo, s5
	s_cbranch_execnz .LBB53_296
; %bb.297:
	s_or_b32 exec_lo, exec_lo, s5
.LBB53_298:
	s_or_b32 exec_lo, exec_lo, s8
	v_mov_b32_e32 v115, 0
	ds_read_b128 v[115:118], v115 offset:256
	s_waitcnt lgkmcnt(0)
	v_mul_f64 v[120:121], v[3:4], v[117:118]
	v_mul_f64 v[117:118], v[1:2], v[117:118]
	v_fma_f64 v[1:2], v[1:2], v[115:116], -v[120:121]
	v_fma_f64 v[3:4], v[3:4], v[115:116], v[117:118]
	buffer_store_dword v2, off, s[0:3], 0 offset:260
	buffer_store_dword v1, off, s[0:3], 0 offset:256
	;; [unrolled: 1-line block ×4, first 2 shown]
.LBB53_299:
	s_or_b32 exec_lo, exec_lo, s6
	v_mov_b32_e32 v4, s47
	v_cmp_lt_u32_e64 s5, 15, v0
	s_clause 0x3
	buffer_load_dword v1, v4, s[0:3], 0 offen
	buffer_load_dword v2, v4, s[0:3], 0 offen offset:4
	buffer_load_dword v3, v4, s[0:3], 0 offen offset:8
	buffer_load_dword v4, v4, s[0:3], 0 offen offset:12
	s_waitcnt vmcnt(0)
	ds_write_b128 v114, v[1:4]
	s_waitcnt lgkmcnt(0)
	s_waitcnt_vscnt null, 0x0
	s_barrier
	buffer_gl0_inv
	s_and_saveexec_b32 s6, s5
	s_cbranch_execz .LBB53_307
; %bb.300:
	ds_read_b128 v[1:4], v114
	s_andn2_b32 vcc_lo, exec_lo, s62
	s_cbranch_vccnz .LBB53_302
; %bb.301:
	s_clause 0x3
	buffer_load_dword v115, v113, s[0:3], 0 offen offset:8
	buffer_load_dword v116, v113, s[0:3], 0 offen offset:12
	buffer_load_dword v117, v113, s[0:3], 0 offen
	buffer_load_dword v118, v113, s[0:3], 0 offen offset:4
	s_waitcnt vmcnt(2) lgkmcnt(0)
	v_mul_f64 v[120:121], v[3:4], v[115:116]
	v_mul_f64 v[115:116], v[1:2], v[115:116]
	s_waitcnt vmcnt(0)
	v_fma_f64 v[1:2], v[1:2], v[117:118], -v[120:121]
	v_fma_f64 v[3:4], v[3:4], v[117:118], v[115:116]
.LBB53_302:
	s_and_saveexec_b32 s8, s4
	s_cbranch_execz .LBB53_306
; %bb.303:
	v_add_nc_u32_e32 v115, -16, v0
	s_movk_i32 s63, 0x460
	s_mov_b32 s4, 0
	s_mov_b32 s64, s46
	.p2align	6
.LBB53_304:                             ; =>This Inner Loop Header: Depth=1
	v_mov_b32_e32 v118, s64
	v_add_nc_u32_e32 v115, -1, v115
	s_add_i32 s64, s64, 16
	s_clause 0x3
	buffer_load_dword v116, v118, s[0:3], 0 offen offset:8
	buffer_load_dword v117, v118, s[0:3], 0 offen offset:12
	buffer_load_dword v124, v118, s[0:3], 0 offen
	buffer_load_dword v125, v118, s[0:3], 0 offen offset:4
	v_mov_b32_e32 v118, s63
	v_cmp_eq_u32_e32 vcc_lo, 0, v115
	s_add_i32 s63, s63, 16
	ds_read_b128 v[120:123], v118
	s_or_b32 s4, vcc_lo, s4
	s_waitcnt vmcnt(2) lgkmcnt(0)
	v_mul_f64 v[126:127], v[122:123], v[116:117]
	v_mul_f64 v[116:117], v[120:121], v[116:117]
	s_waitcnt vmcnt(0)
	v_fma_f64 v[120:121], v[120:121], v[124:125], -v[126:127]
	v_fma_f64 v[116:117], v[122:123], v[124:125], v[116:117]
	v_add_f64 v[1:2], v[1:2], v[120:121]
	v_add_f64 v[3:4], v[3:4], v[116:117]
	s_andn2_b32 exec_lo, exec_lo, s4
	s_cbranch_execnz .LBB53_304
; %bb.305:
	s_or_b32 exec_lo, exec_lo, s4
.LBB53_306:
	s_or_b32 exec_lo, exec_lo, s8
	v_mov_b32_e32 v115, 0
	ds_read_b128 v[115:118], v115 offset:240
	s_waitcnt lgkmcnt(0)
	v_mul_f64 v[120:121], v[3:4], v[117:118]
	v_mul_f64 v[117:118], v[1:2], v[117:118]
	v_fma_f64 v[1:2], v[1:2], v[115:116], -v[120:121]
	v_fma_f64 v[3:4], v[3:4], v[115:116], v[117:118]
	buffer_store_dword v2, off, s[0:3], 0 offset:244
	buffer_store_dword v1, off, s[0:3], 0 offset:240
	;; [unrolled: 1-line block ×4, first 2 shown]
.LBB53_307:
	s_or_b32 exec_lo, exec_lo, s6
	v_mov_b32_e32 v4, s48
	v_cmp_lt_u32_e64 s4, 14, v0
	s_clause 0x3
	buffer_load_dword v1, v4, s[0:3], 0 offen
	buffer_load_dword v2, v4, s[0:3], 0 offen offset:4
	buffer_load_dword v3, v4, s[0:3], 0 offen offset:8
	;; [unrolled: 1-line block ×3, first 2 shown]
	s_waitcnt vmcnt(0)
	ds_write_b128 v114, v[1:4]
	s_waitcnt lgkmcnt(0)
	s_waitcnt_vscnt null, 0x0
	s_barrier
	buffer_gl0_inv
	s_and_saveexec_b32 s6, s4
	s_cbranch_execz .LBB53_315
; %bb.308:
	ds_read_b128 v[1:4], v114
	s_andn2_b32 vcc_lo, exec_lo, s62
	s_cbranch_vccnz .LBB53_310
; %bb.309:
	s_clause 0x3
	buffer_load_dword v115, v113, s[0:3], 0 offen offset:8
	buffer_load_dword v116, v113, s[0:3], 0 offen offset:12
	buffer_load_dword v117, v113, s[0:3], 0 offen
	buffer_load_dword v118, v113, s[0:3], 0 offen offset:4
	s_waitcnt vmcnt(2) lgkmcnt(0)
	v_mul_f64 v[120:121], v[3:4], v[115:116]
	v_mul_f64 v[115:116], v[1:2], v[115:116]
	s_waitcnt vmcnt(0)
	v_fma_f64 v[1:2], v[1:2], v[117:118], -v[120:121]
	v_fma_f64 v[3:4], v[3:4], v[117:118], v[115:116]
.LBB53_310:
	s_and_saveexec_b32 s8, s5
	s_cbranch_execz .LBB53_314
; %bb.311:
	v_add_nc_u32_e32 v115, -15, v0
	s_movk_i32 s63, 0x450
	s_mov_b32 s5, 0
	s_mov_b32 s64, s47
	.p2align	6
.LBB53_312:                             ; =>This Inner Loop Header: Depth=1
	v_mov_b32_e32 v118, s64
	v_add_nc_u32_e32 v115, -1, v115
	s_add_i32 s64, s64, 16
	s_clause 0x3
	buffer_load_dword v116, v118, s[0:3], 0 offen offset:8
	buffer_load_dword v117, v118, s[0:3], 0 offen offset:12
	buffer_load_dword v124, v118, s[0:3], 0 offen
	buffer_load_dword v125, v118, s[0:3], 0 offen offset:4
	v_mov_b32_e32 v118, s63
	v_cmp_eq_u32_e32 vcc_lo, 0, v115
	s_add_i32 s63, s63, 16
	ds_read_b128 v[120:123], v118
	s_or_b32 s5, vcc_lo, s5
	s_waitcnt vmcnt(2) lgkmcnt(0)
	v_mul_f64 v[126:127], v[122:123], v[116:117]
	v_mul_f64 v[116:117], v[120:121], v[116:117]
	s_waitcnt vmcnt(0)
	v_fma_f64 v[120:121], v[120:121], v[124:125], -v[126:127]
	v_fma_f64 v[116:117], v[122:123], v[124:125], v[116:117]
	v_add_f64 v[1:2], v[1:2], v[120:121]
	v_add_f64 v[3:4], v[3:4], v[116:117]
	s_andn2_b32 exec_lo, exec_lo, s5
	s_cbranch_execnz .LBB53_312
; %bb.313:
	s_or_b32 exec_lo, exec_lo, s5
.LBB53_314:
	s_or_b32 exec_lo, exec_lo, s8
	v_mov_b32_e32 v115, 0
	ds_read_b128 v[115:118], v115 offset:224
	s_waitcnt lgkmcnt(0)
	v_mul_f64 v[120:121], v[3:4], v[117:118]
	v_mul_f64 v[117:118], v[1:2], v[117:118]
	v_fma_f64 v[1:2], v[1:2], v[115:116], -v[120:121]
	v_fma_f64 v[3:4], v[3:4], v[115:116], v[117:118]
	buffer_store_dword v2, off, s[0:3], 0 offset:228
	buffer_store_dword v1, off, s[0:3], 0 offset:224
	;; [unrolled: 1-line block ×4, first 2 shown]
.LBB53_315:
	s_or_b32 exec_lo, exec_lo, s6
	v_mov_b32_e32 v4, s49
	v_cmp_lt_u32_e64 s5, 13, v0
	s_clause 0x3
	buffer_load_dword v1, v4, s[0:3], 0 offen
	buffer_load_dword v2, v4, s[0:3], 0 offen offset:4
	buffer_load_dword v3, v4, s[0:3], 0 offen offset:8
	buffer_load_dword v4, v4, s[0:3], 0 offen offset:12
	s_waitcnt vmcnt(0)
	ds_write_b128 v114, v[1:4]
	s_waitcnt lgkmcnt(0)
	s_waitcnt_vscnt null, 0x0
	s_barrier
	buffer_gl0_inv
	s_and_saveexec_b32 s6, s5
	s_cbranch_execz .LBB53_323
; %bb.316:
	ds_read_b128 v[1:4], v114
	s_andn2_b32 vcc_lo, exec_lo, s62
	s_cbranch_vccnz .LBB53_318
; %bb.317:
	s_clause 0x3
	buffer_load_dword v115, v113, s[0:3], 0 offen offset:8
	buffer_load_dword v116, v113, s[0:3], 0 offen offset:12
	buffer_load_dword v117, v113, s[0:3], 0 offen
	buffer_load_dword v118, v113, s[0:3], 0 offen offset:4
	s_waitcnt vmcnt(2) lgkmcnt(0)
	v_mul_f64 v[120:121], v[3:4], v[115:116]
	v_mul_f64 v[115:116], v[1:2], v[115:116]
	s_waitcnt vmcnt(0)
	v_fma_f64 v[1:2], v[1:2], v[117:118], -v[120:121]
	v_fma_f64 v[3:4], v[3:4], v[117:118], v[115:116]
.LBB53_318:
	s_and_saveexec_b32 s8, s4
	s_cbranch_execz .LBB53_322
; %bb.319:
	v_add_nc_u32_e32 v115, -14, v0
	s_movk_i32 s63, 0x440
	s_mov_b32 s4, 0
	s_mov_b32 s64, s48
	.p2align	6
.LBB53_320:                             ; =>This Inner Loop Header: Depth=1
	v_mov_b32_e32 v118, s64
	v_add_nc_u32_e32 v115, -1, v115
	s_add_i32 s64, s64, 16
	s_clause 0x3
	buffer_load_dword v116, v118, s[0:3], 0 offen offset:8
	buffer_load_dword v117, v118, s[0:3], 0 offen offset:12
	buffer_load_dword v124, v118, s[0:3], 0 offen
	buffer_load_dword v125, v118, s[0:3], 0 offen offset:4
	v_mov_b32_e32 v118, s63
	v_cmp_eq_u32_e32 vcc_lo, 0, v115
	s_add_i32 s63, s63, 16
	ds_read_b128 v[120:123], v118
	s_or_b32 s4, vcc_lo, s4
	s_waitcnt vmcnt(2) lgkmcnt(0)
	v_mul_f64 v[126:127], v[122:123], v[116:117]
	v_mul_f64 v[116:117], v[120:121], v[116:117]
	s_waitcnt vmcnt(0)
	v_fma_f64 v[120:121], v[120:121], v[124:125], -v[126:127]
	v_fma_f64 v[116:117], v[122:123], v[124:125], v[116:117]
	v_add_f64 v[1:2], v[1:2], v[120:121]
	v_add_f64 v[3:4], v[3:4], v[116:117]
	s_andn2_b32 exec_lo, exec_lo, s4
	s_cbranch_execnz .LBB53_320
; %bb.321:
	s_or_b32 exec_lo, exec_lo, s4
.LBB53_322:
	s_or_b32 exec_lo, exec_lo, s8
	v_mov_b32_e32 v115, 0
	ds_read_b128 v[115:118], v115 offset:208
	s_waitcnt lgkmcnt(0)
	v_mul_f64 v[120:121], v[3:4], v[117:118]
	v_mul_f64 v[117:118], v[1:2], v[117:118]
	v_fma_f64 v[1:2], v[1:2], v[115:116], -v[120:121]
	v_fma_f64 v[3:4], v[3:4], v[115:116], v[117:118]
	buffer_store_dword v2, off, s[0:3], 0 offset:212
	buffer_store_dword v1, off, s[0:3], 0 offset:208
	;; [unrolled: 1-line block ×4, first 2 shown]
.LBB53_323:
	s_or_b32 exec_lo, exec_lo, s6
	v_mov_b32_e32 v4, s50
	v_cmp_lt_u32_e64 s4, 12, v0
	s_clause 0x3
	buffer_load_dword v1, v4, s[0:3], 0 offen
	buffer_load_dword v2, v4, s[0:3], 0 offen offset:4
	buffer_load_dword v3, v4, s[0:3], 0 offen offset:8
	;; [unrolled: 1-line block ×3, first 2 shown]
	s_waitcnt vmcnt(0)
	ds_write_b128 v114, v[1:4]
	s_waitcnt lgkmcnt(0)
	s_waitcnt_vscnt null, 0x0
	s_barrier
	buffer_gl0_inv
	s_and_saveexec_b32 s6, s4
	s_cbranch_execz .LBB53_331
; %bb.324:
	ds_read_b128 v[1:4], v114
	s_andn2_b32 vcc_lo, exec_lo, s62
	s_cbranch_vccnz .LBB53_326
; %bb.325:
	s_clause 0x3
	buffer_load_dword v115, v113, s[0:3], 0 offen offset:8
	buffer_load_dword v116, v113, s[0:3], 0 offen offset:12
	buffer_load_dword v117, v113, s[0:3], 0 offen
	buffer_load_dword v118, v113, s[0:3], 0 offen offset:4
	s_waitcnt vmcnt(2) lgkmcnt(0)
	v_mul_f64 v[120:121], v[3:4], v[115:116]
	v_mul_f64 v[115:116], v[1:2], v[115:116]
	s_waitcnt vmcnt(0)
	v_fma_f64 v[1:2], v[1:2], v[117:118], -v[120:121]
	v_fma_f64 v[3:4], v[3:4], v[117:118], v[115:116]
.LBB53_326:
	s_and_saveexec_b32 s8, s5
	s_cbranch_execz .LBB53_330
; %bb.327:
	v_add_nc_u32_e32 v115, -13, v0
	s_movk_i32 s63, 0x430
	s_mov_b32 s5, 0
	s_mov_b32 s64, s49
	.p2align	6
.LBB53_328:                             ; =>This Inner Loop Header: Depth=1
	v_mov_b32_e32 v118, s64
	v_add_nc_u32_e32 v115, -1, v115
	s_add_i32 s64, s64, 16
	s_clause 0x3
	buffer_load_dword v116, v118, s[0:3], 0 offen offset:8
	buffer_load_dword v117, v118, s[0:3], 0 offen offset:12
	buffer_load_dword v124, v118, s[0:3], 0 offen
	buffer_load_dword v125, v118, s[0:3], 0 offen offset:4
	v_mov_b32_e32 v118, s63
	v_cmp_eq_u32_e32 vcc_lo, 0, v115
	s_add_i32 s63, s63, 16
	ds_read_b128 v[120:123], v118
	s_or_b32 s5, vcc_lo, s5
	s_waitcnt vmcnt(2) lgkmcnt(0)
	v_mul_f64 v[126:127], v[122:123], v[116:117]
	v_mul_f64 v[116:117], v[120:121], v[116:117]
	s_waitcnt vmcnt(0)
	v_fma_f64 v[120:121], v[120:121], v[124:125], -v[126:127]
	v_fma_f64 v[116:117], v[122:123], v[124:125], v[116:117]
	v_add_f64 v[1:2], v[1:2], v[120:121]
	v_add_f64 v[3:4], v[3:4], v[116:117]
	s_andn2_b32 exec_lo, exec_lo, s5
	s_cbranch_execnz .LBB53_328
; %bb.329:
	s_or_b32 exec_lo, exec_lo, s5
.LBB53_330:
	s_or_b32 exec_lo, exec_lo, s8
	v_mov_b32_e32 v115, 0
	ds_read_b128 v[115:118], v115 offset:192
	s_waitcnt lgkmcnt(0)
	v_mul_f64 v[120:121], v[3:4], v[117:118]
	v_mul_f64 v[117:118], v[1:2], v[117:118]
	v_fma_f64 v[1:2], v[1:2], v[115:116], -v[120:121]
	v_fma_f64 v[3:4], v[3:4], v[115:116], v[117:118]
	buffer_store_dword v2, off, s[0:3], 0 offset:196
	buffer_store_dword v1, off, s[0:3], 0 offset:192
	;; [unrolled: 1-line block ×4, first 2 shown]
.LBB53_331:
	s_or_b32 exec_lo, exec_lo, s6
	v_mov_b32_e32 v4, s51
	v_cmp_lt_u32_e64 s5, 11, v0
	s_clause 0x3
	buffer_load_dword v1, v4, s[0:3], 0 offen
	buffer_load_dword v2, v4, s[0:3], 0 offen offset:4
	buffer_load_dword v3, v4, s[0:3], 0 offen offset:8
	buffer_load_dword v4, v4, s[0:3], 0 offen offset:12
	s_waitcnt vmcnt(0)
	ds_write_b128 v114, v[1:4]
	s_waitcnt lgkmcnt(0)
	s_waitcnt_vscnt null, 0x0
	s_barrier
	buffer_gl0_inv
	s_and_saveexec_b32 s6, s5
	s_cbranch_execz .LBB53_339
; %bb.332:
	ds_read_b128 v[1:4], v114
	s_andn2_b32 vcc_lo, exec_lo, s62
	s_cbranch_vccnz .LBB53_334
; %bb.333:
	s_clause 0x3
	buffer_load_dword v115, v113, s[0:3], 0 offen offset:8
	buffer_load_dword v116, v113, s[0:3], 0 offen offset:12
	buffer_load_dword v117, v113, s[0:3], 0 offen
	buffer_load_dword v118, v113, s[0:3], 0 offen offset:4
	s_waitcnt vmcnt(2) lgkmcnt(0)
	v_mul_f64 v[120:121], v[3:4], v[115:116]
	v_mul_f64 v[115:116], v[1:2], v[115:116]
	s_waitcnt vmcnt(0)
	v_fma_f64 v[1:2], v[1:2], v[117:118], -v[120:121]
	v_fma_f64 v[3:4], v[3:4], v[117:118], v[115:116]
.LBB53_334:
	s_and_saveexec_b32 s8, s4
	s_cbranch_execz .LBB53_338
; %bb.335:
	v_add_nc_u32_e32 v115, -12, v0
	s_movk_i32 s63, 0x420
	s_mov_b32 s4, 0
	s_mov_b32 s64, s50
	.p2align	6
.LBB53_336:                             ; =>This Inner Loop Header: Depth=1
	v_mov_b32_e32 v118, s64
	v_add_nc_u32_e32 v115, -1, v115
	s_add_i32 s64, s64, 16
	s_clause 0x3
	buffer_load_dword v116, v118, s[0:3], 0 offen offset:8
	buffer_load_dword v117, v118, s[0:3], 0 offen offset:12
	buffer_load_dword v124, v118, s[0:3], 0 offen
	buffer_load_dword v125, v118, s[0:3], 0 offen offset:4
	v_mov_b32_e32 v118, s63
	v_cmp_eq_u32_e32 vcc_lo, 0, v115
	s_add_i32 s63, s63, 16
	ds_read_b128 v[120:123], v118
	s_or_b32 s4, vcc_lo, s4
	s_waitcnt vmcnt(2) lgkmcnt(0)
	v_mul_f64 v[126:127], v[122:123], v[116:117]
	v_mul_f64 v[116:117], v[120:121], v[116:117]
	s_waitcnt vmcnt(0)
	v_fma_f64 v[120:121], v[120:121], v[124:125], -v[126:127]
	v_fma_f64 v[116:117], v[122:123], v[124:125], v[116:117]
	v_add_f64 v[1:2], v[1:2], v[120:121]
	v_add_f64 v[3:4], v[3:4], v[116:117]
	s_andn2_b32 exec_lo, exec_lo, s4
	s_cbranch_execnz .LBB53_336
; %bb.337:
	s_or_b32 exec_lo, exec_lo, s4
.LBB53_338:
	s_or_b32 exec_lo, exec_lo, s8
	v_mov_b32_e32 v115, 0
	ds_read_b128 v[115:118], v115 offset:176
	s_waitcnt lgkmcnt(0)
	v_mul_f64 v[120:121], v[3:4], v[117:118]
	v_mul_f64 v[117:118], v[1:2], v[117:118]
	v_fma_f64 v[1:2], v[1:2], v[115:116], -v[120:121]
	v_fma_f64 v[3:4], v[3:4], v[115:116], v[117:118]
	buffer_store_dword v2, off, s[0:3], 0 offset:180
	buffer_store_dword v1, off, s[0:3], 0 offset:176
	;; [unrolled: 1-line block ×4, first 2 shown]
.LBB53_339:
	s_or_b32 exec_lo, exec_lo, s6
	v_mov_b32_e32 v4, s52
	v_cmp_lt_u32_e64 s4, 10, v0
	s_clause 0x3
	buffer_load_dword v1, v4, s[0:3], 0 offen
	buffer_load_dword v2, v4, s[0:3], 0 offen offset:4
	buffer_load_dword v3, v4, s[0:3], 0 offen offset:8
	;; [unrolled: 1-line block ×3, first 2 shown]
	s_waitcnt vmcnt(0)
	ds_write_b128 v114, v[1:4]
	s_waitcnt lgkmcnt(0)
	s_waitcnt_vscnt null, 0x0
	s_barrier
	buffer_gl0_inv
	s_and_saveexec_b32 s6, s4
	s_cbranch_execz .LBB53_347
; %bb.340:
	ds_read_b128 v[1:4], v114
	s_andn2_b32 vcc_lo, exec_lo, s62
	s_cbranch_vccnz .LBB53_342
; %bb.341:
	s_clause 0x3
	buffer_load_dword v115, v113, s[0:3], 0 offen offset:8
	buffer_load_dword v116, v113, s[0:3], 0 offen offset:12
	buffer_load_dword v117, v113, s[0:3], 0 offen
	buffer_load_dword v118, v113, s[0:3], 0 offen offset:4
	s_waitcnt vmcnt(2) lgkmcnt(0)
	v_mul_f64 v[120:121], v[3:4], v[115:116]
	v_mul_f64 v[115:116], v[1:2], v[115:116]
	s_waitcnt vmcnt(0)
	v_fma_f64 v[1:2], v[1:2], v[117:118], -v[120:121]
	v_fma_f64 v[3:4], v[3:4], v[117:118], v[115:116]
.LBB53_342:
	s_and_saveexec_b32 s8, s5
	s_cbranch_execz .LBB53_346
; %bb.343:
	v_add_nc_u32_e32 v115, -11, v0
	s_movk_i32 s63, 0x410
	s_mov_b32 s5, 0
	s_mov_b32 s64, s51
	.p2align	6
.LBB53_344:                             ; =>This Inner Loop Header: Depth=1
	v_mov_b32_e32 v118, s64
	v_add_nc_u32_e32 v115, -1, v115
	s_add_i32 s64, s64, 16
	s_clause 0x3
	buffer_load_dword v116, v118, s[0:3], 0 offen offset:8
	buffer_load_dword v117, v118, s[0:3], 0 offen offset:12
	buffer_load_dword v124, v118, s[0:3], 0 offen
	buffer_load_dword v125, v118, s[0:3], 0 offen offset:4
	v_mov_b32_e32 v118, s63
	v_cmp_eq_u32_e32 vcc_lo, 0, v115
	s_add_i32 s63, s63, 16
	ds_read_b128 v[120:123], v118
	s_or_b32 s5, vcc_lo, s5
	s_waitcnt vmcnt(2) lgkmcnt(0)
	v_mul_f64 v[126:127], v[122:123], v[116:117]
	v_mul_f64 v[116:117], v[120:121], v[116:117]
	s_waitcnt vmcnt(0)
	v_fma_f64 v[120:121], v[120:121], v[124:125], -v[126:127]
	v_fma_f64 v[116:117], v[122:123], v[124:125], v[116:117]
	v_add_f64 v[1:2], v[1:2], v[120:121]
	v_add_f64 v[3:4], v[3:4], v[116:117]
	s_andn2_b32 exec_lo, exec_lo, s5
	s_cbranch_execnz .LBB53_344
; %bb.345:
	s_or_b32 exec_lo, exec_lo, s5
.LBB53_346:
	s_or_b32 exec_lo, exec_lo, s8
	v_mov_b32_e32 v115, 0
	ds_read_b128 v[115:118], v115 offset:160
	s_waitcnt lgkmcnt(0)
	v_mul_f64 v[120:121], v[3:4], v[117:118]
	v_mul_f64 v[117:118], v[1:2], v[117:118]
	v_fma_f64 v[1:2], v[1:2], v[115:116], -v[120:121]
	v_fma_f64 v[3:4], v[3:4], v[115:116], v[117:118]
	buffer_store_dword v2, off, s[0:3], 0 offset:164
	buffer_store_dword v1, off, s[0:3], 0 offset:160
	;; [unrolled: 1-line block ×4, first 2 shown]
.LBB53_347:
	s_or_b32 exec_lo, exec_lo, s6
	v_mov_b32_e32 v4, s53
	v_cmp_lt_u32_e64 s5, 9, v0
	s_clause 0x3
	buffer_load_dword v1, v4, s[0:3], 0 offen
	buffer_load_dword v2, v4, s[0:3], 0 offen offset:4
	buffer_load_dword v3, v4, s[0:3], 0 offen offset:8
	buffer_load_dword v4, v4, s[0:3], 0 offen offset:12
	s_waitcnt vmcnt(0)
	ds_write_b128 v114, v[1:4]
	s_waitcnt lgkmcnt(0)
	s_waitcnt_vscnt null, 0x0
	s_barrier
	buffer_gl0_inv
	s_and_saveexec_b32 s6, s5
	s_cbranch_execz .LBB53_355
; %bb.348:
	ds_read_b128 v[1:4], v114
	s_andn2_b32 vcc_lo, exec_lo, s62
	s_cbranch_vccnz .LBB53_350
; %bb.349:
	s_clause 0x3
	buffer_load_dword v115, v113, s[0:3], 0 offen offset:8
	buffer_load_dword v116, v113, s[0:3], 0 offen offset:12
	buffer_load_dword v117, v113, s[0:3], 0 offen
	buffer_load_dword v118, v113, s[0:3], 0 offen offset:4
	s_waitcnt vmcnt(2) lgkmcnt(0)
	v_mul_f64 v[120:121], v[3:4], v[115:116]
	v_mul_f64 v[115:116], v[1:2], v[115:116]
	s_waitcnt vmcnt(0)
	v_fma_f64 v[1:2], v[1:2], v[117:118], -v[120:121]
	v_fma_f64 v[3:4], v[3:4], v[117:118], v[115:116]
.LBB53_350:
	s_and_saveexec_b32 s8, s4
	s_cbranch_execz .LBB53_354
; %bb.351:
	v_add_nc_u32_e32 v115, -10, v0
	s_movk_i32 s63, 0x400
	s_mov_b32 s4, 0
	s_mov_b32 s64, s52
	.p2align	6
.LBB53_352:                             ; =>This Inner Loop Header: Depth=1
	v_mov_b32_e32 v118, s64
	v_add_nc_u32_e32 v115, -1, v115
	s_add_i32 s64, s64, 16
	s_clause 0x3
	buffer_load_dword v116, v118, s[0:3], 0 offen offset:8
	buffer_load_dword v117, v118, s[0:3], 0 offen offset:12
	buffer_load_dword v124, v118, s[0:3], 0 offen
	buffer_load_dword v125, v118, s[0:3], 0 offen offset:4
	v_mov_b32_e32 v118, s63
	v_cmp_eq_u32_e32 vcc_lo, 0, v115
	s_add_i32 s63, s63, 16
	ds_read_b128 v[120:123], v118
	s_or_b32 s4, vcc_lo, s4
	s_waitcnt vmcnt(2) lgkmcnt(0)
	v_mul_f64 v[126:127], v[122:123], v[116:117]
	v_mul_f64 v[116:117], v[120:121], v[116:117]
	s_waitcnt vmcnt(0)
	v_fma_f64 v[120:121], v[120:121], v[124:125], -v[126:127]
	v_fma_f64 v[116:117], v[122:123], v[124:125], v[116:117]
	v_add_f64 v[1:2], v[1:2], v[120:121]
	v_add_f64 v[3:4], v[3:4], v[116:117]
	s_andn2_b32 exec_lo, exec_lo, s4
	s_cbranch_execnz .LBB53_352
; %bb.353:
	s_or_b32 exec_lo, exec_lo, s4
.LBB53_354:
	s_or_b32 exec_lo, exec_lo, s8
	v_mov_b32_e32 v115, 0
	ds_read_b128 v[115:118], v115 offset:144
	s_waitcnt lgkmcnt(0)
	v_mul_f64 v[120:121], v[3:4], v[117:118]
	v_mul_f64 v[117:118], v[1:2], v[117:118]
	v_fma_f64 v[1:2], v[1:2], v[115:116], -v[120:121]
	v_fma_f64 v[3:4], v[3:4], v[115:116], v[117:118]
	buffer_store_dword v2, off, s[0:3], 0 offset:148
	buffer_store_dword v1, off, s[0:3], 0 offset:144
	;; [unrolled: 1-line block ×4, first 2 shown]
.LBB53_355:
	s_or_b32 exec_lo, exec_lo, s6
	v_mov_b32_e32 v4, s54
	v_cmp_lt_u32_e64 s4, 8, v0
	s_clause 0x3
	buffer_load_dword v1, v4, s[0:3], 0 offen
	buffer_load_dword v2, v4, s[0:3], 0 offen offset:4
	buffer_load_dword v3, v4, s[0:3], 0 offen offset:8
	;; [unrolled: 1-line block ×3, first 2 shown]
	s_waitcnt vmcnt(0)
	ds_write_b128 v114, v[1:4]
	s_waitcnt lgkmcnt(0)
	s_waitcnt_vscnt null, 0x0
	s_barrier
	buffer_gl0_inv
	s_and_saveexec_b32 s6, s4
	s_cbranch_execz .LBB53_363
; %bb.356:
	ds_read_b128 v[1:4], v114
	s_andn2_b32 vcc_lo, exec_lo, s62
	s_cbranch_vccnz .LBB53_358
; %bb.357:
	s_clause 0x3
	buffer_load_dword v115, v113, s[0:3], 0 offen offset:8
	buffer_load_dword v116, v113, s[0:3], 0 offen offset:12
	buffer_load_dword v117, v113, s[0:3], 0 offen
	buffer_load_dword v118, v113, s[0:3], 0 offen offset:4
	s_waitcnt vmcnt(2) lgkmcnt(0)
	v_mul_f64 v[120:121], v[3:4], v[115:116]
	v_mul_f64 v[115:116], v[1:2], v[115:116]
	s_waitcnt vmcnt(0)
	v_fma_f64 v[1:2], v[1:2], v[117:118], -v[120:121]
	v_fma_f64 v[3:4], v[3:4], v[117:118], v[115:116]
.LBB53_358:
	s_and_saveexec_b32 s8, s5
	s_cbranch_execz .LBB53_362
; %bb.359:
	v_add_nc_u32_e32 v115, -9, v0
	s_movk_i32 s63, 0x3f0
	s_mov_b32 s5, 0
	s_mov_b32 s64, s53
	.p2align	6
.LBB53_360:                             ; =>This Inner Loop Header: Depth=1
	v_mov_b32_e32 v118, s64
	v_add_nc_u32_e32 v115, -1, v115
	s_add_i32 s64, s64, 16
	s_clause 0x3
	buffer_load_dword v116, v118, s[0:3], 0 offen offset:8
	buffer_load_dword v117, v118, s[0:3], 0 offen offset:12
	buffer_load_dword v124, v118, s[0:3], 0 offen
	buffer_load_dword v125, v118, s[0:3], 0 offen offset:4
	v_mov_b32_e32 v118, s63
	v_cmp_eq_u32_e32 vcc_lo, 0, v115
	s_add_i32 s63, s63, 16
	ds_read_b128 v[120:123], v118
	s_or_b32 s5, vcc_lo, s5
	s_waitcnt vmcnt(2) lgkmcnt(0)
	v_mul_f64 v[126:127], v[122:123], v[116:117]
	v_mul_f64 v[116:117], v[120:121], v[116:117]
	s_waitcnt vmcnt(0)
	v_fma_f64 v[120:121], v[120:121], v[124:125], -v[126:127]
	v_fma_f64 v[116:117], v[122:123], v[124:125], v[116:117]
	v_add_f64 v[1:2], v[1:2], v[120:121]
	v_add_f64 v[3:4], v[3:4], v[116:117]
	s_andn2_b32 exec_lo, exec_lo, s5
	s_cbranch_execnz .LBB53_360
; %bb.361:
	s_or_b32 exec_lo, exec_lo, s5
.LBB53_362:
	s_or_b32 exec_lo, exec_lo, s8
	v_mov_b32_e32 v115, 0
	ds_read_b128 v[115:118], v115 offset:128
	s_waitcnt lgkmcnt(0)
	v_mul_f64 v[120:121], v[3:4], v[117:118]
	v_mul_f64 v[117:118], v[1:2], v[117:118]
	v_fma_f64 v[1:2], v[1:2], v[115:116], -v[120:121]
	v_fma_f64 v[3:4], v[3:4], v[115:116], v[117:118]
	buffer_store_dword v2, off, s[0:3], 0 offset:132
	buffer_store_dword v1, off, s[0:3], 0 offset:128
	;; [unrolled: 1-line block ×4, first 2 shown]
.LBB53_363:
	s_or_b32 exec_lo, exec_lo, s6
	v_mov_b32_e32 v4, s55
	v_cmp_lt_u32_e64 s5, 7, v0
	s_clause 0x3
	buffer_load_dword v1, v4, s[0:3], 0 offen
	buffer_load_dword v2, v4, s[0:3], 0 offen offset:4
	buffer_load_dword v3, v4, s[0:3], 0 offen offset:8
	;; [unrolled: 1-line block ×3, first 2 shown]
	s_waitcnt vmcnt(0)
	ds_write_b128 v114, v[1:4]
	s_waitcnt lgkmcnt(0)
	s_waitcnt_vscnt null, 0x0
	s_barrier
	buffer_gl0_inv
	s_and_saveexec_b32 s6, s5
	s_cbranch_execz .LBB53_371
; %bb.364:
	ds_read_b128 v[1:4], v114
	s_andn2_b32 vcc_lo, exec_lo, s62
	s_cbranch_vccnz .LBB53_366
; %bb.365:
	s_clause 0x3
	buffer_load_dword v115, v113, s[0:3], 0 offen offset:8
	buffer_load_dword v116, v113, s[0:3], 0 offen offset:12
	buffer_load_dword v117, v113, s[0:3], 0 offen
	buffer_load_dword v118, v113, s[0:3], 0 offen offset:4
	s_waitcnt vmcnt(2) lgkmcnt(0)
	v_mul_f64 v[120:121], v[3:4], v[115:116]
	v_mul_f64 v[115:116], v[1:2], v[115:116]
	s_waitcnt vmcnt(0)
	v_fma_f64 v[1:2], v[1:2], v[117:118], -v[120:121]
	v_fma_f64 v[3:4], v[3:4], v[117:118], v[115:116]
.LBB53_366:
	s_and_saveexec_b32 s8, s4
	s_cbranch_execz .LBB53_370
; %bb.367:
	v_add_nc_u32_e32 v115, -8, v0
	s_movk_i32 s63, 0x3e0
	s_mov_b32 s4, 0
	s_mov_b32 s64, s54
	.p2align	6
.LBB53_368:                             ; =>This Inner Loop Header: Depth=1
	v_mov_b32_e32 v118, s64
	v_add_nc_u32_e32 v115, -1, v115
	s_add_i32 s64, s64, 16
	s_clause 0x3
	buffer_load_dword v116, v118, s[0:3], 0 offen offset:8
	buffer_load_dword v117, v118, s[0:3], 0 offen offset:12
	buffer_load_dword v124, v118, s[0:3], 0 offen
	buffer_load_dword v125, v118, s[0:3], 0 offen offset:4
	v_mov_b32_e32 v118, s63
	v_cmp_eq_u32_e32 vcc_lo, 0, v115
	s_add_i32 s63, s63, 16
	ds_read_b128 v[120:123], v118
	s_or_b32 s4, vcc_lo, s4
	s_waitcnt vmcnt(2) lgkmcnt(0)
	v_mul_f64 v[126:127], v[122:123], v[116:117]
	v_mul_f64 v[116:117], v[120:121], v[116:117]
	s_waitcnt vmcnt(0)
	v_fma_f64 v[120:121], v[120:121], v[124:125], -v[126:127]
	v_fma_f64 v[116:117], v[122:123], v[124:125], v[116:117]
	v_add_f64 v[1:2], v[1:2], v[120:121]
	v_add_f64 v[3:4], v[3:4], v[116:117]
	s_andn2_b32 exec_lo, exec_lo, s4
	s_cbranch_execnz .LBB53_368
; %bb.369:
	s_or_b32 exec_lo, exec_lo, s4
.LBB53_370:
	s_or_b32 exec_lo, exec_lo, s8
	v_mov_b32_e32 v115, 0
	ds_read_b128 v[115:118], v115 offset:112
	s_waitcnt lgkmcnt(0)
	v_mul_f64 v[120:121], v[3:4], v[117:118]
	v_mul_f64 v[117:118], v[1:2], v[117:118]
	v_fma_f64 v[1:2], v[1:2], v[115:116], -v[120:121]
	v_fma_f64 v[3:4], v[3:4], v[115:116], v[117:118]
	buffer_store_dword v2, off, s[0:3], 0 offset:116
	buffer_store_dword v1, off, s[0:3], 0 offset:112
	;; [unrolled: 1-line block ×4, first 2 shown]
.LBB53_371:
	s_or_b32 exec_lo, exec_lo, s6
	v_mov_b32_e32 v4, s56
	v_cmp_lt_u32_e64 s4, 6, v0
	s_clause 0x3
	buffer_load_dword v1, v4, s[0:3], 0 offen
	buffer_load_dword v2, v4, s[0:3], 0 offen offset:4
	buffer_load_dword v3, v4, s[0:3], 0 offen offset:8
	;; [unrolled: 1-line block ×3, first 2 shown]
	s_waitcnt vmcnt(0)
	ds_write_b128 v114, v[1:4]
	s_waitcnt lgkmcnt(0)
	s_waitcnt_vscnt null, 0x0
	s_barrier
	buffer_gl0_inv
	s_and_saveexec_b32 s6, s4
	s_cbranch_execz .LBB53_379
; %bb.372:
	ds_read_b128 v[1:4], v114
	s_andn2_b32 vcc_lo, exec_lo, s62
	s_cbranch_vccnz .LBB53_374
; %bb.373:
	s_clause 0x3
	buffer_load_dword v115, v113, s[0:3], 0 offen offset:8
	buffer_load_dword v116, v113, s[0:3], 0 offen offset:12
	buffer_load_dword v117, v113, s[0:3], 0 offen
	buffer_load_dword v118, v113, s[0:3], 0 offen offset:4
	s_waitcnt vmcnt(2) lgkmcnt(0)
	v_mul_f64 v[120:121], v[3:4], v[115:116]
	v_mul_f64 v[115:116], v[1:2], v[115:116]
	s_waitcnt vmcnt(0)
	v_fma_f64 v[1:2], v[1:2], v[117:118], -v[120:121]
	v_fma_f64 v[3:4], v[3:4], v[117:118], v[115:116]
.LBB53_374:
	s_and_saveexec_b32 s8, s5
	s_cbranch_execz .LBB53_378
; %bb.375:
	v_add_nc_u32_e32 v115, -7, v0
	s_movk_i32 s63, 0x3d0
	s_mov_b32 s5, 0
	s_mov_b32 s64, s55
	.p2align	6
.LBB53_376:                             ; =>This Inner Loop Header: Depth=1
	v_mov_b32_e32 v118, s64
	v_add_nc_u32_e32 v115, -1, v115
	s_add_i32 s64, s64, 16
	s_clause 0x3
	buffer_load_dword v116, v118, s[0:3], 0 offen offset:8
	buffer_load_dword v117, v118, s[0:3], 0 offen offset:12
	buffer_load_dword v124, v118, s[0:3], 0 offen
	buffer_load_dword v125, v118, s[0:3], 0 offen offset:4
	v_mov_b32_e32 v118, s63
	v_cmp_eq_u32_e32 vcc_lo, 0, v115
	s_add_i32 s63, s63, 16
	ds_read_b128 v[120:123], v118
	s_or_b32 s5, vcc_lo, s5
	s_waitcnt vmcnt(2) lgkmcnt(0)
	v_mul_f64 v[126:127], v[122:123], v[116:117]
	v_mul_f64 v[116:117], v[120:121], v[116:117]
	s_waitcnt vmcnt(0)
	v_fma_f64 v[120:121], v[120:121], v[124:125], -v[126:127]
	v_fma_f64 v[116:117], v[122:123], v[124:125], v[116:117]
	v_add_f64 v[1:2], v[1:2], v[120:121]
	v_add_f64 v[3:4], v[3:4], v[116:117]
	s_andn2_b32 exec_lo, exec_lo, s5
	s_cbranch_execnz .LBB53_376
; %bb.377:
	s_or_b32 exec_lo, exec_lo, s5
.LBB53_378:
	s_or_b32 exec_lo, exec_lo, s8
	v_mov_b32_e32 v115, 0
	ds_read_b128 v[115:118], v115 offset:96
	s_waitcnt lgkmcnt(0)
	v_mul_f64 v[120:121], v[3:4], v[117:118]
	v_mul_f64 v[117:118], v[1:2], v[117:118]
	v_fma_f64 v[1:2], v[1:2], v[115:116], -v[120:121]
	v_fma_f64 v[3:4], v[3:4], v[115:116], v[117:118]
	buffer_store_dword v2, off, s[0:3], 0 offset:100
	buffer_store_dword v1, off, s[0:3], 0 offset:96
	buffer_store_dword v4, off, s[0:3], 0 offset:108
	buffer_store_dword v3, off, s[0:3], 0 offset:104
.LBB53_379:
	s_or_b32 exec_lo, exec_lo, s6
	v_mov_b32_e32 v4, s57
	v_cmp_lt_u32_e64 s5, 5, v0
	s_clause 0x3
	buffer_load_dword v1, v4, s[0:3], 0 offen
	buffer_load_dword v2, v4, s[0:3], 0 offen offset:4
	buffer_load_dword v3, v4, s[0:3], 0 offen offset:8
	;; [unrolled: 1-line block ×3, first 2 shown]
	s_waitcnt vmcnt(0)
	ds_write_b128 v114, v[1:4]
	s_waitcnt lgkmcnt(0)
	s_waitcnt_vscnt null, 0x0
	s_barrier
	buffer_gl0_inv
	s_and_saveexec_b32 s6, s5
	s_cbranch_execz .LBB53_387
; %bb.380:
	ds_read_b128 v[1:4], v114
	s_andn2_b32 vcc_lo, exec_lo, s62
	s_cbranch_vccnz .LBB53_382
; %bb.381:
	s_clause 0x3
	buffer_load_dword v115, v113, s[0:3], 0 offen offset:8
	buffer_load_dword v116, v113, s[0:3], 0 offen offset:12
	buffer_load_dword v117, v113, s[0:3], 0 offen
	buffer_load_dword v118, v113, s[0:3], 0 offen offset:4
	s_waitcnt vmcnt(2) lgkmcnt(0)
	v_mul_f64 v[120:121], v[3:4], v[115:116]
	v_mul_f64 v[115:116], v[1:2], v[115:116]
	s_waitcnt vmcnt(0)
	v_fma_f64 v[1:2], v[1:2], v[117:118], -v[120:121]
	v_fma_f64 v[3:4], v[3:4], v[117:118], v[115:116]
.LBB53_382:
	s_and_saveexec_b32 s8, s4
	s_cbranch_execz .LBB53_386
; %bb.383:
	v_add_nc_u32_e32 v115, -6, v0
	s_movk_i32 s63, 0x3c0
	s_mov_b32 s4, 0
	s_mov_b32 s64, s56
	.p2align	6
.LBB53_384:                             ; =>This Inner Loop Header: Depth=1
	v_mov_b32_e32 v118, s64
	v_add_nc_u32_e32 v115, -1, v115
	s_add_i32 s64, s64, 16
	s_clause 0x3
	buffer_load_dword v116, v118, s[0:3], 0 offen offset:8
	buffer_load_dword v117, v118, s[0:3], 0 offen offset:12
	buffer_load_dword v124, v118, s[0:3], 0 offen
	buffer_load_dword v125, v118, s[0:3], 0 offen offset:4
	v_mov_b32_e32 v118, s63
	v_cmp_eq_u32_e32 vcc_lo, 0, v115
	s_add_i32 s63, s63, 16
	ds_read_b128 v[120:123], v118
	s_or_b32 s4, vcc_lo, s4
	s_waitcnt vmcnt(2) lgkmcnt(0)
	v_mul_f64 v[126:127], v[122:123], v[116:117]
	v_mul_f64 v[116:117], v[120:121], v[116:117]
	s_waitcnt vmcnt(0)
	v_fma_f64 v[120:121], v[120:121], v[124:125], -v[126:127]
	v_fma_f64 v[116:117], v[122:123], v[124:125], v[116:117]
	v_add_f64 v[1:2], v[1:2], v[120:121]
	v_add_f64 v[3:4], v[3:4], v[116:117]
	s_andn2_b32 exec_lo, exec_lo, s4
	s_cbranch_execnz .LBB53_384
; %bb.385:
	s_or_b32 exec_lo, exec_lo, s4
.LBB53_386:
	s_or_b32 exec_lo, exec_lo, s8
	v_mov_b32_e32 v115, 0
	ds_read_b128 v[115:118], v115 offset:80
	s_waitcnt lgkmcnt(0)
	v_mul_f64 v[120:121], v[3:4], v[117:118]
	v_mul_f64 v[117:118], v[1:2], v[117:118]
	v_fma_f64 v[1:2], v[1:2], v[115:116], -v[120:121]
	v_fma_f64 v[3:4], v[3:4], v[115:116], v[117:118]
	buffer_store_dword v2, off, s[0:3], 0 offset:84
	buffer_store_dword v1, off, s[0:3], 0 offset:80
	;; [unrolled: 1-line block ×4, first 2 shown]
.LBB53_387:
	s_or_b32 exec_lo, exec_lo, s6
	v_mov_b32_e32 v4, s58
	v_cmp_lt_u32_e64 s4, 4, v0
	s_clause 0x3
	buffer_load_dword v1, v4, s[0:3], 0 offen
	buffer_load_dword v2, v4, s[0:3], 0 offen offset:4
	buffer_load_dword v3, v4, s[0:3], 0 offen offset:8
	;; [unrolled: 1-line block ×3, first 2 shown]
	s_waitcnt vmcnt(0)
	ds_write_b128 v114, v[1:4]
	s_waitcnt lgkmcnt(0)
	s_waitcnt_vscnt null, 0x0
	s_barrier
	buffer_gl0_inv
	s_and_saveexec_b32 s6, s4
	s_cbranch_execz .LBB53_395
; %bb.388:
	ds_read_b128 v[1:4], v114
	s_andn2_b32 vcc_lo, exec_lo, s62
	s_cbranch_vccnz .LBB53_390
; %bb.389:
	s_clause 0x3
	buffer_load_dword v115, v113, s[0:3], 0 offen offset:8
	buffer_load_dword v116, v113, s[0:3], 0 offen offset:12
	buffer_load_dword v117, v113, s[0:3], 0 offen
	buffer_load_dword v118, v113, s[0:3], 0 offen offset:4
	s_waitcnt vmcnt(2) lgkmcnt(0)
	v_mul_f64 v[120:121], v[3:4], v[115:116]
	v_mul_f64 v[115:116], v[1:2], v[115:116]
	s_waitcnt vmcnt(0)
	v_fma_f64 v[1:2], v[1:2], v[117:118], -v[120:121]
	v_fma_f64 v[3:4], v[3:4], v[117:118], v[115:116]
.LBB53_390:
	s_and_saveexec_b32 s8, s5
	s_cbranch_execz .LBB53_394
; %bb.391:
	v_add_nc_u32_e32 v115, -5, v0
	s_movk_i32 s63, 0x3b0
	s_mov_b32 s5, 0
	s_mov_b32 s64, s57
	.p2align	6
.LBB53_392:                             ; =>This Inner Loop Header: Depth=1
	v_mov_b32_e32 v118, s64
	v_add_nc_u32_e32 v115, -1, v115
	s_add_i32 s64, s64, 16
	s_clause 0x3
	buffer_load_dword v116, v118, s[0:3], 0 offen offset:8
	buffer_load_dword v117, v118, s[0:3], 0 offen offset:12
	buffer_load_dword v124, v118, s[0:3], 0 offen
	buffer_load_dword v125, v118, s[0:3], 0 offen offset:4
	v_mov_b32_e32 v118, s63
	v_cmp_eq_u32_e32 vcc_lo, 0, v115
	s_add_i32 s63, s63, 16
	ds_read_b128 v[120:123], v118
	s_or_b32 s5, vcc_lo, s5
	s_waitcnt vmcnt(2) lgkmcnt(0)
	v_mul_f64 v[126:127], v[122:123], v[116:117]
	v_mul_f64 v[116:117], v[120:121], v[116:117]
	s_waitcnt vmcnt(0)
	v_fma_f64 v[120:121], v[120:121], v[124:125], -v[126:127]
	v_fma_f64 v[116:117], v[122:123], v[124:125], v[116:117]
	v_add_f64 v[1:2], v[1:2], v[120:121]
	v_add_f64 v[3:4], v[3:4], v[116:117]
	s_andn2_b32 exec_lo, exec_lo, s5
	s_cbranch_execnz .LBB53_392
; %bb.393:
	s_or_b32 exec_lo, exec_lo, s5
.LBB53_394:
	s_or_b32 exec_lo, exec_lo, s8
	v_mov_b32_e32 v115, 0
	ds_read_b128 v[115:118], v115 offset:64
	s_waitcnt lgkmcnt(0)
	v_mul_f64 v[120:121], v[3:4], v[117:118]
	v_mul_f64 v[117:118], v[1:2], v[117:118]
	v_fma_f64 v[1:2], v[1:2], v[115:116], -v[120:121]
	v_fma_f64 v[3:4], v[3:4], v[115:116], v[117:118]
	buffer_store_dword v2, off, s[0:3], 0 offset:68
	buffer_store_dword v1, off, s[0:3], 0 offset:64
	;; [unrolled: 1-line block ×4, first 2 shown]
.LBB53_395:
	s_or_b32 exec_lo, exec_lo, s6
	v_mov_b32_e32 v4, s59
	v_cmp_lt_u32_e64 s5, 3, v0
	s_clause 0x3
	buffer_load_dword v1, v4, s[0:3], 0 offen
	buffer_load_dword v2, v4, s[0:3], 0 offen offset:4
	buffer_load_dword v3, v4, s[0:3], 0 offen offset:8
	;; [unrolled: 1-line block ×3, first 2 shown]
	s_waitcnt vmcnt(0)
	ds_write_b128 v114, v[1:4]
	s_waitcnt lgkmcnt(0)
	s_waitcnt_vscnt null, 0x0
	s_barrier
	buffer_gl0_inv
	s_and_saveexec_b32 s6, s5
	s_cbranch_execz .LBB53_403
; %bb.396:
	ds_read_b128 v[1:4], v114
	s_andn2_b32 vcc_lo, exec_lo, s62
	s_cbranch_vccnz .LBB53_398
; %bb.397:
	s_clause 0x3
	buffer_load_dword v115, v113, s[0:3], 0 offen offset:8
	buffer_load_dword v116, v113, s[0:3], 0 offen offset:12
	buffer_load_dword v117, v113, s[0:3], 0 offen
	buffer_load_dword v118, v113, s[0:3], 0 offen offset:4
	s_waitcnt vmcnt(2) lgkmcnt(0)
	v_mul_f64 v[120:121], v[3:4], v[115:116]
	v_mul_f64 v[115:116], v[1:2], v[115:116]
	s_waitcnt vmcnt(0)
	v_fma_f64 v[1:2], v[1:2], v[117:118], -v[120:121]
	v_fma_f64 v[3:4], v[3:4], v[117:118], v[115:116]
.LBB53_398:
	s_and_saveexec_b32 s8, s4
	s_cbranch_execz .LBB53_402
; %bb.399:
	v_add_nc_u32_e32 v115, -4, v0
	s_movk_i32 s63, 0x3a0
	s_mov_b32 s4, 0
	s_mov_b32 s64, s58
	.p2align	6
.LBB53_400:                             ; =>This Inner Loop Header: Depth=1
	v_mov_b32_e32 v118, s64
	v_add_nc_u32_e32 v115, -1, v115
	s_add_i32 s64, s64, 16
	s_clause 0x3
	buffer_load_dword v116, v118, s[0:3], 0 offen offset:8
	buffer_load_dword v117, v118, s[0:3], 0 offen offset:12
	buffer_load_dword v124, v118, s[0:3], 0 offen
	buffer_load_dword v125, v118, s[0:3], 0 offen offset:4
	v_mov_b32_e32 v118, s63
	v_cmp_eq_u32_e32 vcc_lo, 0, v115
	s_add_i32 s63, s63, 16
	ds_read_b128 v[120:123], v118
	s_or_b32 s4, vcc_lo, s4
	s_waitcnt vmcnt(2) lgkmcnt(0)
	v_mul_f64 v[126:127], v[122:123], v[116:117]
	v_mul_f64 v[116:117], v[120:121], v[116:117]
	s_waitcnt vmcnt(0)
	v_fma_f64 v[120:121], v[120:121], v[124:125], -v[126:127]
	v_fma_f64 v[116:117], v[122:123], v[124:125], v[116:117]
	v_add_f64 v[1:2], v[1:2], v[120:121]
	v_add_f64 v[3:4], v[3:4], v[116:117]
	s_andn2_b32 exec_lo, exec_lo, s4
	s_cbranch_execnz .LBB53_400
; %bb.401:
	s_or_b32 exec_lo, exec_lo, s4
.LBB53_402:
	s_or_b32 exec_lo, exec_lo, s8
	v_mov_b32_e32 v115, 0
	ds_read_b128 v[115:118], v115 offset:48
	s_waitcnt lgkmcnt(0)
	v_mul_f64 v[120:121], v[3:4], v[117:118]
	v_mul_f64 v[117:118], v[1:2], v[117:118]
	v_fma_f64 v[1:2], v[1:2], v[115:116], -v[120:121]
	v_fma_f64 v[3:4], v[3:4], v[115:116], v[117:118]
	buffer_store_dword v2, off, s[0:3], 0 offset:52
	buffer_store_dword v1, off, s[0:3], 0 offset:48
	;; [unrolled: 1-line block ×4, first 2 shown]
.LBB53_403:
	s_or_b32 exec_lo, exec_lo, s6
	v_mov_b32_e32 v4, s60
	v_cmp_lt_u32_e64 s6, 2, v0
	s_clause 0x3
	buffer_load_dword v1, v4, s[0:3], 0 offen
	buffer_load_dword v2, v4, s[0:3], 0 offen offset:4
	buffer_load_dword v3, v4, s[0:3], 0 offen offset:8
	;; [unrolled: 1-line block ×3, first 2 shown]
	s_waitcnt vmcnt(0)
	ds_write_b128 v114, v[1:4]
	s_waitcnt lgkmcnt(0)
	s_waitcnt_vscnt null, 0x0
	s_barrier
	buffer_gl0_inv
	s_and_saveexec_b32 s4, s6
	s_cbranch_execz .LBB53_411
; %bb.404:
	ds_read_b128 v[1:4], v114
	s_andn2_b32 vcc_lo, exec_lo, s62
	s_cbranch_vccnz .LBB53_406
; %bb.405:
	s_clause 0x3
	buffer_load_dword v115, v113, s[0:3], 0 offen offset:8
	buffer_load_dword v116, v113, s[0:3], 0 offen offset:12
	buffer_load_dword v117, v113, s[0:3], 0 offen
	buffer_load_dword v118, v113, s[0:3], 0 offen offset:4
	s_waitcnt vmcnt(2) lgkmcnt(0)
	v_mul_f64 v[120:121], v[3:4], v[115:116]
	v_mul_f64 v[115:116], v[1:2], v[115:116]
	s_waitcnt vmcnt(0)
	v_fma_f64 v[1:2], v[1:2], v[117:118], -v[120:121]
	v_fma_f64 v[3:4], v[3:4], v[117:118], v[115:116]
.LBB53_406:
	s_and_saveexec_b32 s8, s5
	s_cbranch_execz .LBB53_410
; %bb.407:
	v_add_nc_u32_e32 v115, -3, v0
	s_movk_i32 s63, 0x390
	s_mov_b32 s5, 0
	s_mov_b32 s64, s59
	.p2align	6
.LBB53_408:                             ; =>This Inner Loop Header: Depth=1
	v_mov_b32_e32 v118, s64
	v_add_nc_u32_e32 v115, -1, v115
	s_add_i32 s64, s64, 16
	s_clause 0x3
	buffer_load_dword v116, v118, s[0:3], 0 offen offset:8
	buffer_load_dword v117, v118, s[0:3], 0 offen offset:12
	buffer_load_dword v124, v118, s[0:3], 0 offen
	buffer_load_dword v125, v118, s[0:3], 0 offen offset:4
	v_mov_b32_e32 v118, s63
	v_cmp_eq_u32_e32 vcc_lo, 0, v115
	s_add_i32 s63, s63, 16
	ds_read_b128 v[120:123], v118
	s_or_b32 s5, vcc_lo, s5
	s_waitcnt vmcnt(2) lgkmcnt(0)
	v_mul_f64 v[126:127], v[122:123], v[116:117]
	v_mul_f64 v[116:117], v[120:121], v[116:117]
	s_waitcnt vmcnt(0)
	v_fma_f64 v[120:121], v[120:121], v[124:125], -v[126:127]
	v_fma_f64 v[116:117], v[122:123], v[124:125], v[116:117]
	v_add_f64 v[1:2], v[1:2], v[120:121]
	v_add_f64 v[3:4], v[3:4], v[116:117]
	s_andn2_b32 exec_lo, exec_lo, s5
	s_cbranch_execnz .LBB53_408
; %bb.409:
	s_or_b32 exec_lo, exec_lo, s5
.LBB53_410:
	s_or_b32 exec_lo, exec_lo, s8
	v_mov_b32_e32 v115, 0
	ds_read_b128 v[115:118], v115 offset:32
	s_waitcnt lgkmcnt(0)
	v_mul_f64 v[120:121], v[3:4], v[117:118]
	v_mul_f64 v[117:118], v[1:2], v[117:118]
	v_fma_f64 v[1:2], v[1:2], v[115:116], -v[120:121]
	v_fma_f64 v[3:4], v[3:4], v[115:116], v[117:118]
	buffer_store_dword v2, off, s[0:3], 0 offset:36
	buffer_store_dword v1, off, s[0:3], 0 offset:32
	;; [unrolled: 1-line block ×4, first 2 shown]
.LBB53_411:
	s_or_b32 exec_lo, exec_lo, s4
	v_mov_b32_e32 v4, s61
	v_cmp_lt_u32_e64 s4, 1, v0
	s_clause 0x3
	buffer_load_dword v1, v4, s[0:3], 0 offen
	buffer_load_dword v2, v4, s[0:3], 0 offen offset:4
	buffer_load_dword v3, v4, s[0:3], 0 offen offset:8
	;; [unrolled: 1-line block ×3, first 2 shown]
	s_waitcnt vmcnt(0)
	ds_write_b128 v114, v[1:4]
	s_waitcnt lgkmcnt(0)
	s_waitcnt_vscnt null, 0x0
	s_barrier
	buffer_gl0_inv
	s_and_saveexec_b32 s5, s4
	s_cbranch_execz .LBB53_419
; %bb.412:
	ds_read_b128 v[1:4], v114
	s_andn2_b32 vcc_lo, exec_lo, s62
	s_cbranch_vccnz .LBB53_414
; %bb.413:
	s_clause 0x3
	buffer_load_dword v115, v113, s[0:3], 0 offen offset:8
	buffer_load_dword v116, v113, s[0:3], 0 offen offset:12
	buffer_load_dword v117, v113, s[0:3], 0 offen
	buffer_load_dword v118, v113, s[0:3], 0 offen offset:4
	s_waitcnt vmcnt(2) lgkmcnt(0)
	v_mul_f64 v[120:121], v[3:4], v[115:116]
	v_mul_f64 v[115:116], v[1:2], v[115:116]
	s_waitcnt vmcnt(0)
	v_fma_f64 v[1:2], v[1:2], v[117:118], -v[120:121]
	v_fma_f64 v[3:4], v[3:4], v[117:118], v[115:116]
.LBB53_414:
	s_and_saveexec_b32 s8, s6
	s_cbranch_execz .LBB53_418
; %bb.415:
	v_add_nc_u32_e32 v115, -2, v0
	s_movk_i32 s63, 0x380
	s_mov_b32 s6, 0
	s_mov_b32 s64, s60
	.p2align	6
.LBB53_416:                             ; =>This Inner Loop Header: Depth=1
	v_mov_b32_e32 v118, s64
	v_add_nc_u32_e32 v115, -1, v115
	s_add_i32 s64, s64, 16
	s_clause 0x3
	buffer_load_dword v116, v118, s[0:3], 0 offen offset:8
	buffer_load_dword v117, v118, s[0:3], 0 offen offset:12
	buffer_load_dword v124, v118, s[0:3], 0 offen
	buffer_load_dword v125, v118, s[0:3], 0 offen offset:4
	v_mov_b32_e32 v118, s63
	v_cmp_eq_u32_e32 vcc_lo, 0, v115
	s_add_i32 s63, s63, 16
	ds_read_b128 v[120:123], v118
	s_or_b32 s6, vcc_lo, s6
	s_waitcnt vmcnt(2) lgkmcnt(0)
	v_mul_f64 v[126:127], v[122:123], v[116:117]
	v_mul_f64 v[116:117], v[120:121], v[116:117]
	s_waitcnt vmcnt(0)
	v_fma_f64 v[120:121], v[120:121], v[124:125], -v[126:127]
	v_fma_f64 v[116:117], v[122:123], v[124:125], v[116:117]
	v_add_f64 v[1:2], v[1:2], v[120:121]
	v_add_f64 v[3:4], v[3:4], v[116:117]
	s_andn2_b32 exec_lo, exec_lo, s6
	s_cbranch_execnz .LBB53_416
; %bb.417:
	s_or_b32 exec_lo, exec_lo, s6
.LBB53_418:
	s_or_b32 exec_lo, exec_lo, s8
	v_mov_b32_e32 v115, 0
	ds_read_b128 v[115:118], v115 offset:16
	s_waitcnt lgkmcnt(0)
	v_mul_f64 v[120:121], v[3:4], v[117:118]
	v_mul_f64 v[117:118], v[1:2], v[117:118]
	v_fma_f64 v[1:2], v[1:2], v[115:116], -v[120:121]
	v_fma_f64 v[3:4], v[3:4], v[115:116], v[117:118]
	buffer_store_dword v2, off, s[0:3], 0 offset:20
	buffer_store_dword v1, off, s[0:3], 0 offset:16
	;; [unrolled: 1-line block ×4, first 2 shown]
.LBB53_419:
	s_or_b32 exec_lo, exec_lo, s5
	s_clause 0x3
	buffer_load_dword v1, off, s[0:3], 0
	buffer_load_dword v2, off, s[0:3], 0 offset:4
	buffer_load_dword v3, off, s[0:3], 0 offset:8
	;; [unrolled: 1-line block ×3, first 2 shown]
	s_mov_b32 s6, 0
	s_mov_b32 s5, 0
	s_mov_b32 s8, exec_lo
                                        ; implicit-def: $sgpr63
	s_waitcnt vmcnt(0)
	ds_write_b128 v114, v[1:4]
	s_waitcnt lgkmcnt(0)
	s_waitcnt_vscnt null, 0x0
	s_barrier
	buffer_gl0_inv
                                        ; implicit-def: $vgpr1_vgpr2
	v_cmpx_ne_u32_e32 0, v0
	s_cbranch_execz .LBB53_427
; %bb.420:
	ds_read_b128 v[1:4], v114
	s_andn2_b32 vcc_lo, exec_lo, s62
	s_cbranch_vccnz .LBB53_422
; %bb.421:
	s_clause 0x3
	buffer_load_dword v115, v113, s[0:3], 0 offen offset:8
	buffer_load_dword v116, v113, s[0:3], 0 offen offset:12
	buffer_load_dword v117, v113, s[0:3], 0 offen
	buffer_load_dword v118, v113, s[0:3], 0 offen offset:4
	s_waitcnt vmcnt(2) lgkmcnt(0)
	v_mul_f64 v[120:121], v[3:4], v[115:116]
	v_mul_f64 v[115:116], v[1:2], v[115:116]
	s_waitcnt vmcnt(0)
	v_fma_f64 v[1:2], v[1:2], v[117:118], -v[120:121]
	v_fma_f64 v[3:4], v[3:4], v[117:118], v[115:116]
.LBB53_422:
	s_and_saveexec_b32 s5, s4
	s_cbranch_execz .LBB53_426
; %bb.423:
	v_add_nc_u32_e32 v115, -1, v0
	s_movk_i32 s63, 0x370
	s_mov_b32 s4, 0
	s_mov_b32 s64, s61
	.p2align	6
.LBB53_424:                             ; =>This Inner Loop Header: Depth=1
	v_mov_b32_e32 v118, s64
	v_add_nc_u32_e32 v115, -1, v115
	s_add_i32 s64, s64, 16
	s_clause 0x3
	buffer_load_dword v116, v118, s[0:3], 0 offen offset:8
	buffer_load_dword v117, v118, s[0:3], 0 offen offset:12
	buffer_load_dword v124, v118, s[0:3], 0 offen
	buffer_load_dword v125, v118, s[0:3], 0 offen offset:4
	v_mov_b32_e32 v118, s63
	v_cmp_eq_u32_e32 vcc_lo, 0, v115
	s_add_i32 s63, s63, 16
	ds_read_b128 v[120:123], v118
	s_or_b32 s4, vcc_lo, s4
	s_waitcnt vmcnt(2) lgkmcnt(0)
	v_mul_f64 v[126:127], v[122:123], v[116:117]
	v_mul_f64 v[116:117], v[120:121], v[116:117]
	s_waitcnt vmcnt(0)
	v_fma_f64 v[120:121], v[120:121], v[124:125], -v[126:127]
	v_fma_f64 v[116:117], v[122:123], v[124:125], v[116:117]
	v_add_f64 v[1:2], v[1:2], v[120:121]
	v_add_f64 v[3:4], v[3:4], v[116:117]
	s_andn2_b32 exec_lo, exec_lo, s4
	s_cbranch_execnz .LBB53_424
; %bb.425:
	s_or_b32 exec_lo, exec_lo, s4
.LBB53_426:
	s_or_b32 exec_lo, exec_lo, s5
	v_mov_b32_e32 v115, 0
	s_mov_b32 s5, exec_lo
	s_or_b32 s63, 0, 8
	ds_read_b128 v[115:118], v115
	s_waitcnt lgkmcnt(0)
	v_mul_f64 v[120:121], v[3:4], v[117:118]
	v_mul_f64 v[117:118], v[1:2], v[117:118]
	v_fma_f64 v[120:121], v[1:2], v[115:116], -v[120:121]
	v_fma_f64 v[1:2], v[3:4], v[115:116], v[117:118]
	buffer_store_dword v121, off, s[0:3], 0 offset:4
	buffer_store_dword v120, off, s[0:3], 0
.LBB53_427:
	s_or_b32 exec_lo, exec_lo, s8
	s_and_b32 vcc_lo, exec_lo, s6
	s_cbranch_vccnz .LBB53_429
	s_branch .LBB53_848
.LBB53_428:
	s_mov_b32 s5, 0
                                        ; implicit-def: $vgpr1_vgpr2
                                        ; implicit-def: $sgpr63
	s_cbranch_execz .LBB53_848
.LBB53_429:
	v_mov_b32_e32 v4, s61
	v_cmp_eq_u32_e64 s4, 0, v0
	v_cndmask_b32_e64 v115, 0, 1, s62
	s_clause 0x3
	buffer_load_dword v1, v4, s[0:3], 0 offen
	buffer_load_dword v2, v4, s[0:3], 0 offen offset:4
	buffer_load_dword v3, v4, s[0:3], 0 offen offset:8
	;; [unrolled: 1-line block ×3, first 2 shown]
	s_waitcnt vmcnt(0)
	ds_write_b128 v114, v[1:4]
	s_waitcnt lgkmcnt(0)
	s_waitcnt_vscnt null, 0x0
	s_barrier
	buffer_gl0_inv
	s_and_saveexec_b32 s6, s4
	s_cbranch_execz .LBB53_433
; %bb.430:
	ds_read_b128 v[1:4], v114
	s_andn2_b32 vcc_lo, exec_lo, s62
	s_cbranch_vccnz .LBB53_432
; %bb.431:
	s_clause 0x3
	buffer_load_dword v116, v113, s[0:3], 0 offen offset:8
	buffer_load_dword v117, v113, s[0:3], 0 offen offset:12
	buffer_load_dword v120, v113, s[0:3], 0 offen
	buffer_load_dword v121, v113, s[0:3], 0 offen offset:4
	s_waitcnt vmcnt(2) lgkmcnt(0)
	v_mul_f64 v[122:123], v[3:4], v[116:117]
	v_mul_f64 v[116:117], v[1:2], v[116:117]
	s_waitcnt vmcnt(0)
	v_fma_f64 v[1:2], v[1:2], v[120:121], -v[122:123]
	v_fma_f64 v[3:4], v[3:4], v[120:121], v[116:117]
.LBB53_432:
	v_mov_b32_e32 v116, 0
	ds_read_b128 v[120:123], v116 offset:16
	s_waitcnt lgkmcnt(0)
	v_mul_f64 v[116:117], v[3:4], v[122:123]
	v_mul_f64 v[122:123], v[1:2], v[122:123]
	v_fma_f64 v[1:2], v[1:2], v[120:121], -v[116:117]
	v_fma_f64 v[3:4], v[3:4], v[120:121], v[122:123]
	buffer_store_dword v2, off, s[0:3], 0 offset:20
	buffer_store_dword v1, off, s[0:3], 0 offset:16
	buffer_store_dword v4, off, s[0:3], 0 offset:28
	buffer_store_dword v3, off, s[0:3], 0 offset:24
.LBB53_433:
	s_or_b32 exec_lo, exec_lo, s6
	v_mov_b32_e32 v4, s60
	s_mov_b32 s6, exec_lo
	s_clause 0x3
	buffer_load_dword v1, v4, s[0:3], 0 offen
	buffer_load_dword v2, v4, s[0:3], 0 offen offset:4
	buffer_load_dword v3, v4, s[0:3], 0 offen offset:8
	;; [unrolled: 1-line block ×3, first 2 shown]
	s_waitcnt vmcnt(0)
	ds_write_b128 v114, v[1:4]
	s_waitcnt lgkmcnt(0)
	s_waitcnt_vscnt null, 0x0
	s_barrier
	buffer_gl0_inv
	v_cmpx_gt_u32_e32 2, v0
	s_cbranch_execz .LBB53_439
; %bb.434:
	ds_read_b128 v[1:4], v114
	v_cmp_ne_u32_e32 vcc_lo, 1, v115
	s_cbranch_vccnz .LBB53_436
; %bb.435:
	s_clause 0x3
	buffer_load_dword v116, v113, s[0:3], 0 offen offset:8
	buffer_load_dword v117, v113, s[0:3], 0 offen offset:12
	buffer_load_dword v120, v113, s[0:3], 0 offen
	buffer_load_dword v121, v113, s[0:3], 0 offen offset:4
	s_waitcnt vmcnt(2) lgkmcnt(0)
	v_mul_f64 v[122:123], v[3:4], v[116:117]
	v_mul_f64 v[116:117], v[1:2], v[116:117]
	s_waitcnt vmcnt(0)
	v_fma_f64 v[1:2], v[1:2], v[120:121], -v[122:123]
	v_fma_f64 v[3:4], v[3:4], v[120:121], v[116:117]
.LBB53_436:
	s_and_saveexec_b32 s8, s4
	s_cbranch_execz .LBB53_438
; %bb.437:
	s_clause 0x3
	buffer_load_dword v116, off, s[0:3], 0 offset:24
	buffer_load_dword v117, off, s[0:3], 0 offset:28
	buffer_load_dword v124, off, s[0:3], 0 offset:16
	buffer_load_dword v125, off, s[0:3], 0 offset:20
	v_mov_b32_e32 v118, 0
	ds_read_b128 v[120:123], v118 offset:880
	s_waitcnt vmcnt(2) lgkmcnt(0)
	v_mul_f64 v[126:127], v[122:123], v[116:117]
	v_mul_f64 v[116:117], v[120:121], v[116:117]
	s_waitcnt vmcnt(0)
	v_fma_f64 v[120:121], v[120:121], v[124:125], -v[126:127]
	v_fma_f64 v[116:117], v[122:123], v[124:125], v[116:117]
	v_add_f64 v[1:2], v[1:2], v[120:121]
	v_add_f64 v[3:4], v[3:4], v[116:117]
.LBB53_438:
	s_or_b32 exec_lo, exec_lo, s8
	v_mov_b32_e32 v116, 0
	ds_read_b128 v[120:123], v116 offset:32
	s_waitcnt lgkmcnt(0)
	v_mul_f64 v[116:117], v[3:4], v[122:123]
	v_mul_f64 v[122:123], v[1:2], v[122:123]
	v_fma_f64 v[1:2], v[1:2], v[120:121], -v[116:117]
	v_fma_f64 v[3:4], v[3:4], v[120:121], v[122:123]
	buffer_store_dword v2, off, s[0:3], 0 offset:36
	buffer_store_dword v1, off, s[0:3], 0 offset:32
	;; [unrolled: 1-line block ×4, first 2 shown]
.LBB53_439:
	s_or_b32 exec_lo, exec_lo, s6
	v_mov_b32_e32 v4, s59
	s_mov_b32 s6, exec_lo
	s_clause 0x3
	buffer_load_dword v1, v4, s[0:3], 0 offen
	buffer_load_dword v2, v4, s[0:3], 0 offen offset:4
	buffer_load_dword v3, v4, s[0:3], 0 offen offset:8
	buffer_load_dword v4, v4, s[0:3], 0 offen offset:12
	s_waitcnt vmcnt(0)
	ds_write_b128 v114, v[1:4]
	s_waitcnt lgkmcnt(0)
	s_waitcnt_vscnt null, 0x0
	s_barrier
	buffer_gl0_inv
	v_cmpx_gt_u32_e32 3, v0
	s_cbranch_execz .LBB53_447
; %bb.440:
	ds_read_b128 v[1:4], v114
	v_cmp_ne_u32_e32 vcc_lo, 1, v115
	s_cbranch_vccnz .LBB53_442
; %bb.441:
	s_clause 0x3
	buffer_load_dword v116, v113, s[0:3], 0 offen offset:8
	buffer_load_dword v117, v113, s[0:3], 0 offen offset:12
	buffer_load_dword v120, v113, s[0:3], 0 offen
	buffer_load_dword v121, v113, s[0:3], 0 offen offset:4
	s_waitcnt vmcnt(2) lgkmcnt(0)
	v_mul_f64 v[122:123], v[3:4], v[116:117]
	v_mul_f64 v[116:117], v[1:2], v[116:117]
	s_waitcnt vmcnt(0)
	v_fma_f64 v[1:2], v[1:2], v[120:121], -v[122:123]
	v_fma_f64 v[3:4], v[3:4], v[120:121], v[116:117]
.LBB53_442:
	s_mov_b32 s8, exec_lo
	v_cmpx_ne_u32_e32 2, v0
	s_cbranch_execz .LBB53_446
; %bb.443:
	s_clause 0x3
	buffer_load_dword v116, v113, s[0:3], 0 offen offset:24
	buffer_load_dword v117, v113, s[0:3], 0 offen offset:28
	;; [unrolled: 1-line block ×4, first 2 shown]
	ds_read_b128 v[120:123], v114 offset:16
	s_waitcnt vmcnt(2) lgkmcnt(0)
	v_mul_f64 v[126:127], v[122:123], v[116:117]
	v_mul_f64 v[116:117], v[120:121], v[116:117]
	s_waitcnt vmcnt(0)
	v_fma_f64 v[120:121], v[120:121], v[124:125], -v[126:127]
	v_fma_f64 v[116:117], v[122:123], v[124:125], v[116:117]
	v_add_f64 v[1:2], v[1:2], v[120:121]
	v_add_f64 v[3:4], v[3:4], v[116:117]
	s_and_saveexec_b32 s62, s4
	s_cbranch_execz .LBB53_445
; %bb.444:
	s_clause 0x3
	buffer_load_dword v116, off, s[0:3], 0 offset:40
	buffer_load_dword v117, off, s[0:3], 0 offset:44
	buffer_load_dword v124, off, s[0:3], 0 offset:32
	buffer_load_dword v125, off, s[0:3], 0 offset:36
	v_mov_b32_e32 v118, 0
	ds_read_b128 v[120:123], v118 offset:896
	s_waitcnt vmcnt(2) lgkmcnt(0)
	v_mul_f64 v[126:127], v[120:121], v[116:117]
	v_mul_f64 v[116:117], v[122:123], v[116:117]
	s_waitcnt vmcnt(0)
	v_fma_f64 v[122:123], v[122:123], v[124:125], v[126:127]
	v_fma_f64 v[116:117], v[120:121], v[124:125], -v[116:117]
	v_add_f64 v[3:4], v[3:4], v[122:123]
	v_add_f64 v[1:2], v[1:2], v[116:117]
.LBB53_445:
	s_or_b32 exec_lo, exec_lo, s62
.LBB53_446:
	s_or_b32 exec_lo, exec_lo, s8
	v_mov_b32_e32 v116, 0
	ds_read_b128 v[120:123], v116 offset:48
	s_waitcnt lgkmcnt(0)
	v_mul_f64 v[116:117], v[3:4], v[122:123]
	v_mul_f64 v[122:123], v[1:2], v[122:123]
	v_fma_f64 v[1:2], v[1:2], v[120:121], -v[116:117]
	v_fma_f64 v[3:4], v[3:4], v[120:121], v[122:123]
	buffer_store_dword v2, off, s[0:3], 0 offset:52
	buffer_store_dword v1, off, s[0:3], 0 offset:48
	buffer_store_dword v4, off, s[0:3], 0 offset:60
	buffer_store_dword v3, off, s[0:3], 0 offset:56
.LBB53_447:
	s_or_b32 exec_lo, exec_lo, s6
	v_mov_b32_e32 v4, s58
	s_mov_b32 s4, exec_lo
	s_clause 0x3
	buffer_load_dword v1, v4, s[0:3], 0 offen
	buffer_load_dword v2, v4, s[0:3], 0 offen offset:4
	buffer_load_dword v3, v4, s[0:3], 0 offen offset:8
	;; [unrolled: 1-line block ×3, first 2 shown]
	s_waitcnt vmcnt(0)
	ds_write_b128 v114, v[1:4]
	s_waitcnt lgkmcnt(0)
	s_waitcnt_vscnt null, 0x0
	s_barrier
	buffer_gl0_inv
	v_cmpx_gt_u32_e32 4, v0
	s_cbranch_execz .LBB53_455
; %bb.448:
	ds_read_b128 v[1:4], v114
	v_cmp_ne_u32_e32 vcc_lo, 1, v115
	s_cbranch_vccnz .LBB53_450
; %bb.449:
	s_clause 0x3
	buffer_load_dword v116, v113, s[0:3], 0 offen offset:8
	buffer_load_dword v117, v113, s[0:3], 0 offen offset:12
	buffer_load_dword v120, v113, s[0:3], 0 offen
	buffer_load_dword v121, v113, s[0:3], 0 offen offset:4
	s_waitcnt vmcnt(2) lgkmcnt(0)
	v_mul_f64 v[122:123], v[3:4], v[116:117]
	v_mul_f64 v[116:117], v[1:2], v[116:117]
	s_waitcnt vmcnt(0)
	v_fma_f64 v[1:2], v[1:2], v[120:121], -v[122:123]
	v_fma_f64 v[3:4], v[3:4], v[120:121], v[116:117]
.LBB53_450:
	s_mov_b32 s6, exec_lo
	v_cmpx_ne_u32_e32 3, v0
	s_cbranch_execz .LBB53_454
; %bb.451:
	v_add_nc_u32_e32 v116, 0x370, v119
	v_add3_u32 v117, 0, v119, 16
	v_mov_b32_e32 v118, v0
	s_mov_b32 s8, 0
	.p2align	6
.LBB53_452:                             ; =>This Inner Loop Header: Depth=1
	s_clause 0x3
	buffer_load_dword v124, v117, s[0:3], 0 offen offset:8
	buffer_load_dword v125, v117, s[0:3], 0 offen offset:12
	buffer_load_dword v126, v117, s[0:3], 0 offen
	buffer_load_dword v127, v117, s[0:3], 0 offen offset:4
	ds_read_b128 v[120:123], v116
	v_add_nc_u32_e32 v118, 1, v118
	v_add_nc_u32_e32 v116, 16, v116
	;; [unrolled: 1-line block ×3, first 2 shown]
	v_cmp_lt_u32_e32 vcc_lo, 2, v118
	s_or_b32 s8, vcc_lo, s8
	s_waitcnt vmcnt(2) lgkmcnt(0)
	v_mul_f64 v[128:129], v[122:123], v[124:125]
	v_mul_f64 v[124:125], v[120:121], v[124:125]
	s_waitcnt vmcnt(0)
	v_fma_f64 v[120:121], v[120:121], v[126:127], -v[128:129]
	v_fma_f64 v[122:123], v[122:123], v[126:127], v[124:125]
	v_add_f64 v[1:2], v[1:2], v[120:121]
	v_add_f64 v[3:4], v[3:4], v[122:123]
	s_andn2_b32 exec_lo, exec_lo, s8
	s_cbranch_execnz .LBB53_452
; %bb.453:
	s_or_b32 exec_lo, exec_lo, s8
.LBB53_454:
	s_or_b32 exec_lo, exec_lo, s6
	v_mov_b32_e32 v116, 0
	ds_read_b128 v[120:123], v116 offset:64
	s_waitcnt lgkmcnt(0)
	v_mul_f64 v[116:117], v[3:4], v[122:123]
	v_mul_f64 v[122:123], v[1:2], v[122:123]
	v_fma_f64 v[1:2], v[1:2], v[120:121], -v[116:117]
	v_fma_f64 v[3:4], v[3:4], v[120:121], v[122:123]
	buffer_store_dword v2, off, s[0:3], 0 offset:68
	buffer_store_dword v1, off, s[0:3], 0 offset:64
	;; [unrolled: 1-line block ×4, first 2 shown]
.LBB53_455:
	s_or_b32 exec_lo, exec_lo, s4
	v_mov_b32_e32 v4, s57
	s_mov_b32 s4, exec_lo
	s_clause 0x3
	buffer_load_dword v1, v4, s[0:3], 0 offen
	buffer_load_dword v2, v4, s[0:3], 0 offen offset:4
	buffer_load_dword v3, v4, s[0:3], 0 offen offset:8
	;; [unrolled: 1-line block ×3, first 2 shown]
	s_waitcnt vmcnt(0)
	ds_write_b128 v114, v[1:4]
	s_waitcnt lgkmcnt(0)
	s_waitcnt_vscnt null, 0x0
	s_barrier
	buffer_gl0_inv
	v_cmpx_gt_u32_e32 5, v0
	s_cbranch_execz .LBB53_463
; %bb.456:
	ds_read_b128 v[1:4], v114
	v_cmp_ne_u32_e32 vcc_lo, 1, v115
	s_cbranch_vccnz .LBB53_458
; %bb.457:
	s_clause 0x3
	buffer_load_dword v116, v113, s[0:3], 0 offen offset:8
	buffer_load_dword v117, v113, s[0:3], 0 offen offset:12
	buffer_load_dword v120, v113, s[0:3], 0 offen
	buffer_load_dword v121, v113, s[0:3], 0 offen offset:4
	s_waitcnt vmcnt(2) lgkmcnt(0)
	v_mul_f64 v[122:123], v[3:4], v[116:117]
	v_mul_f64 v[116:117], v[1:2], v[116:117]
	s_waitcnt vmcnt(0)
	v_fma_f64 v[1:2], v[1:2], v[120:121], -v[122:123]
	v_fma_f64 v[3:4], v[3:4], v[120:121], v[116:117]
.LBB53_458:
	s_mov_b32 s6, exec_lo
	v_cmpx_ne_u32_e32 4, v0
	s_cbranch_execz .LBB53_462
; %bb.459:
	v_add_nc_u32_e32 v116, 0x370, v119
	v_add3_u32 v117, 0, v119, 16
	v_mov_b32_e32 v118, v0
	s_mov_b32 s8, 0
	.p2align	6
.LBB53_460:                             ; =>This Inner Loop Header: Depth=1
	s_clause 0x3
	buffer_load_dword v124, v117, s[0:3], 0 offen offset:8
	buffer_load_dword v125, v117, s[0:3], 0 offen offset:12
	buffer_load_dword v126, v117, s[0:3], 0 offen
	buffer_load_dword v127, v117, s[0:3], 0 offen offset:4
	ds_read_b128 v[120:123], v116
	v_add_nc_u32_e32 v118, 1, v118
	v_add_nc_u32_e32 v116, 16, v116
	;; [unrolled: 1-line block ×3, first 2 shown]
	v_cmp_lt_u32_e32 vcc_lo, 3, v118
	s_or_b32 s8, vcc_lo, s8
	s_waitcnt vmcnt(2) lgkmcnt(0)
	v_mul_f64 v[128:129], v[122:123], v[124:125]
	v_mul_f64 v[124:125], v[120:121], v[124:125]
	s_waitcnt vmcnt(0)
	v_fma_f64 v[120:121], v[120:121], v[126:127], -v[128:129]
	v_fma_f64 v[122:123], v[122:123], v[126:127], v[124:125]
	v_add_f64 v[1:2], v[1:2], v[120:121]
	v_add_f64 v[3:4], v[3:4], v[122:123]
	s_andn2_b32 exec_lo, exec_lo, s8
	s_cbranch_execnz .LBB53_460
; %bb.461:
	s_or_b32 exec_lo, exec_lo, s8
.LBB53_462:
	s_or_b32 exec_lo, exec_lo, s6
	v_mov_b32_e32 v116, 0
	ds_read_b128 v[120:123], v116 offset:80
	s_waitcnt lgkmcnt(0)
	v_mul_f64 v[116:117], v[3:4], v[122:123]
	v_mul_f64 v[122:123], v[1:2], v[122:123]
	v_fma_f64 v[1:2], v[1:2], v[120:121], -v[116:117]
	v_fma_f64 v[3:4], v[3:4], v[120:121], v[122:123]
	buffer_store_dword v2, off, s[0:3], 0 offset:84
	buffer_store_dword v1, off, s[0:3], 0 offset:80
	;; [unrolled: 1-line block ×4, first 2 shown]
.LBB53_463:
	s_or_b32 exec_lo, exec_lo, s4
	v_mov_b32_e32 v4, s56
	s_mov_b32 s4, exec_lo
	s_clause 0x3
	buffer_load_dword v1, v4, s[0:3], 0 offen
	buffer_load_dword v2, v4, s[0:3], 0 offen offset:4
	buffer_load_dword v3, v4, s[0:3], 0 offen offset:8
	;; [unrolled: 1-line block ×3, first 2 shown]
	s_waitcnt vmcnt(0)
	ds_write_b128 v114, v[1:4]
	s_waitcnt lgkmcnt(0)
	s_waitcnt_vscnt null, 0x0
	s_barrier
	buffer_gl0_inv
	v_cmpx_gt_u32_e32 6, v0
	s_cbranch_execz .LBB53_471
; %bb.464:
	ds_read_b128 v[1:4], v114
	v_cmp_ne_u32_e32 vcc_lo, 1, v115
	s_cbranch_vccnz .LBB53_466
; %bb.465:
	s_clause 0x3
	buffer_load_dword v116, v113, s[0:3], 0 offen offset:8
	buffer_load_dword v117, v113, s[0:3], 0 offen offset:12
	buffer_load_dword v120, v113, s[0:3], 0 offen
	buffer_load_dword v121, v113, s[0:3], 0 offen offset:4
	s_waitcnt vmcnt(2) lgkmcnt(0)
	v_mul_f64 v[122:123], v[3:4], v[116:117]
	v_mul_f64 v[116:117], v[1:2], v[116:117]
	s_waitcnt vmcnt(0)
	v_fma_f64 v[1:2], v[1:2], v[120:121], -v[122:123]
	v_fma_f64 v[3:4], v[3:4], v[120:121], v[116:117]
.LBB53_466:
	s_mov_b32 s6, exec_lo
	v_cmpx_ne_u32_e32 5, v0
	s_cbranch_execz .LBB53_470
; %bb.467:
	v_add_nc_u32_e32 v116, 0x370, v119
	v_add3_u32 v117, 0, v119, 16
	v_mov_b32_e32 v118, v0
	s_mov_b32 s8, 0
	.p2align	6
.LBB53_468:                             ; =>This Inner Loop Header: Depth=1
	s_clause 0x3
	buffer_load_dword v124, v117, s[0:3], 0 offen offset:8
	buffer_load_dword v125, v117, s[0:3], 0 offen offset:12
	buffer_load_dword v126, v117, s[0:3], 0 offen
	buffer_load_dword v127, v117, s[0:3], 0 offen offset:4
	ds_read_b128 v[120:123], v116
	v_add_nc_u32_e32 v118, 1, v118
	v_add_nc_u32_e32 v116, 16, v116
	v_add_nc_u32_e32 v117, 16, v117
	v_cmp_lt_u32_e32 vcc_lo, 4, v118
	s_or_b32 s8, vcc_lo, s8
	s_waitcnt vmcnt(2) lgkmcnt(0)
	v_mul_f64 v[128:129], v[122:123], v[124:125]
	v_mul_f64 v[124:125], v[120:121], v[124:125]
	s_waitcnt vmcnt(0)
	v_fma_f64 v[120:121], v[120:121], v[126:127], -v[128:129]
	v_fma_f64 v[122:123], v[122:123], v[126:127], v[124:125]
	v_add_f64 v[1:2], v[1:2], v[120:121]
	v_add_f64 v[3:4], v[3:4], v[122:123]
	s_andn2_b32 exec_lo, exec_lo, s8
	s_cbranch_execnz .LBB53_468
; %bb.469:
	s_or_b32 exec_lo, exec_lo, s8
.LBB53_470:
	s_or_b32 exec_lo, exec_lo, s6
	v_mov_b32_e32 v116, 0
	ds_read_b128 v[120:123], v116 offset:96
	s_waitcnt lgkmcnt(0)
	v_mul_f64 v[116:117], v[3:4], v[122:123]
	v_mul_f64 v[122:123], v[1:2], v[122:123]
	v_fma_f64 v[1:2], v[1:2], v[120:121], -v[116:117]
	v_fma_f64 v[3:4], v[3:4], v[120:121], v[122:123]
	buffer_store_dword v2, off, s[0:3], 0 offset:100
	buffer_store_dword v1, off, s[0:3], 0 offset:96
	;; [unrolled: 1-line block ×4, first 2 shown]
.LBB53_471:
	s_or_b32 exec_lo, exec_lo, s4
	v_mov_b32_e32 v4, s55
	s_mov_b32 s4, exec_lo
	s_clause 0x3
	buffer_load_dword v1, v4, s[0:3], 0 offen
	buffer_load_dword v2, v4, s[0:3], 0 offen offset:4
	buffer_load_dword v3, v4, s[0:3], 0 offen offset:8
	;; [unrolled: 1-line block ×3, first 2 shown]
	s_waitcnt vmcnt(0)
	ds_write_b128 v114, v[1:4]
	s_waitcnt lgkmcnt(0)
	s_waitcnt_vscnt null, 0x0
	s_barrier
	buffer_gl0_inv
	v_cmpx_gt_u32_e32 7, v0
	s_cbranch_execz .LBB53_479
; %bb.472:
	ds_read_b128 v[1:4], v114
	v_cmp_ne_u32_e32 vcc_lo, 1, v115
	s_cbranch_vccnz .LBB53_474
; %bb.473:
	s_clause 0x3
	buffer_load_dword v116, v113, s[0:3], 0 offen offset:8
	buffer_load_dword v117, v113, s[0:3], 0 offen offset:12
	buffer_load_dword v120, v113, s[0:3], 0 offen
	buffer_load_dword v121, v113, s[0:3], 0 offen offset:4
	s_waitcnt vmcnt(2) lgkmcnt(0)
	v_mul_f64 v[122:123], v[3:4], v[116:117]
	v_mul_f64 v[116:117], v[1:2], v[116:117]
	s_waitcnt vmcnt(0)
	v_fma_f64 v[1:2], v[1:2], v[120:121], -v[122:123]
	v_fma_f64 v[3:4], v[3:4], v[120:121], v[116:117]
.LBB53_474:
	s_mov_b32 s6, exec_lo
	v_cmpx_ne_u32_e32 6, v0
	s_cbranch_execz .LBB53_478
; %bb.475:
	v_add_nc_u32_e32 v116, 0x370, v119
	v_add3_u32 v117, 0, v119, 16
	v_mov_b32_e32 v118, v0
	s_mov_b32 s8, 0
	.p2align	6
.LBB53_476:                             ; =>This Inner Loop Header: Depth=1
	s_clause 0x3
	buffer_load_dword v124, v117, s[0:3], 0 offen offset:8
	buffer_load_dword v125, v117, s[0:3], 0 offen offset:12
	buffer_load_dword v126, v117, s[0:3], 0 offen
	buffer_load_dword v127, v117, s[0:3], 0 offen offset:4
	ds_read_b128 v[120:123], v116
	v_add_nc_u32_e32 v118, 1, v118
	v_add_nc_u32_e32 v116, 16, v116
	;; [unrolled: 1-line block ×3, first 2 shown]
	v_cmp_lt_u32_e32 vcc_lo, 5, v118
	s_or_b32 s8, vcc_lo, s8
	s_waitcnt vmcnt(2) lgkmcnt(0)
	v_mul_f64 v[128:129], v[122:123], v[124:125]
	v_mul_f64 v[124:125], v[120:121], v[124:125]
	s_waitcnt vmcnt(0)
	v_fma_f64 v[120:121], v[120:121], v[126:127], -v[128:129]
	v_fma_f64 v[122:123], v[122:123], v[126:127], v[124:125]
	v_add_f64 v[1:2], v[1:2], v[120:121]
	v_add_f64 v[3:4], v[3:4], v[122:123]
	s_andn2_b32 exec_lo, exec_lo, s8
	s_cbranch_execnz .LBB53_476
; %bb.477:
	s_or_b32 exec_lo, exec_lo, s8
.LBB53_478:
	s_or_b32 exec_lo, exec_lo, s6
	v_mov_b32_e32 v116, 0
	ds_read_b128 v[120:123], v116 offset:112
	s_waitcnt lgkmcnt(0)
	v_mul_f64 v[116:117], v[3:4], v[122:123]
	v_mul_f64 v[122:123], v[1:2], v[122:123]
	v_fma_f64 v[1:2], v[1:2], v[120:121], -v[116:117]
	v_fma_f64 v[3:4], v[3:4], v[120:121], v[122:123]
	buffer_store_dword v2, off, s[0:3], 0 offset:116
	buffer_store_dword v1, off, s[0:3], 0 offset:112
	;; [unrolled: 1-line block ×4, first 2 shown]
.LBB53_479:
	s_or_b32 exec_lo, exec_lo, s4
	v_mov_b32_e32 v4, s54
	s_mov_b32 s4, exec_lo
	s_clause 0x3
	buffer_load_dword v1, v4, s[0:3], 0 offen
	buffer_load_dword v2, v4, s[0:3], 0 offen offset:4
	buffer_load_dword v3, v4, s[0:3], 0 offen offset:8
	;; [unrolled: 1-line block ×3, first 2 shown]
	s_waitcnt vmcnt(0)
	ds_write_b128 v114, v[1:4]
	s_waitcnt lgkmcnt(0)
	s_waitcnt_vscnt null, 0x0
	s_barrier
	buffer_gl0_inv
	v_cmpx_gt_u32_e32 8, v0
	s_cbranch_execz .LBB53_487
; %bb.480:
	ds_read_b128 v[1:4], v114
	v_cmp_ne_u32_e32 vcc_lo, 1, v115
	s_cbranch_vccnz .LBB53_482
; %bb.481:
	s_clause 0x3
	buffer_load_dword v116, v113, s[0:3], 0 offen offset:8
	buffer_load_dword v117, v113, s[0:3], 0 offen offset:12
	buffer_load_dword v120, v113, s[0:3], 0 offen
	buffer_load_dword v121, v113, s[0:3], 0 offen offset:4
	s_waitcnt vmcnt(2) lgkmcnt(0)
	v_mul_f64 v[122:123], v[3:4], v[116:117]
	v_mul_f64 v[116:117], v[1:2], v[116:117]
	s_waitcnt vmcnt(0)
	v_fma_f64 v[1:2], v[1:2], v[120:121], -v[122:123]
	v_fma_f64 v[3:4], v[3:4], v[120:121], v[116:117]
.LBB53_482:
	s_mov_b32 s6, exec_lo
	v_cmpx_ne_u32_e32 7, v0
	s_cbranch_execz .LBB53_486
; %bb.483:
	v_add_nc_u32_e32 v116, 0x370, v119
	v_add3_u32 v117, 0, v119, 16
	v_mov_b32_e32 v118, v0
	s_mov_b32 s8, 0
	.p2align	6
.LBB53_484:                             ; =>This Inner Loop Header: Depth=1
	s_clause 0x3
	buffer_load_dword v124, v117, s[0:3], 0 offen offset:8
	buffer_load_dword v125, v117, s[0:3], 0 offen offset:12
	buffer_load_dword v126, v117, s[0:3], 0 offen
	buffer_load_dword v127, v117, s[0:3], 0 offen offset:4
	ds_read_b128 v[120:123], v116
	v_add_nc_u32_e32 v118, 1, v118
	v_add_nc_u32_e32 v116, 16, v116
	;; [unrolled: 1-line block ×3, first 2 shown]
	v_cmp_lt_u32_e32 vcc_lo, 6, v118
	s_or_b32 s8, vcc_lo, s8
	s_waitcnt vmcnt(2) lgkmcnt(0)
	v_mul_f64 v[128:129], v[122:123], v[124:125]
	v_mul_f64 v[124:125], v[120:121], v[124:125]
	s_waitcnt vmcnt(0)
	v_fma_f64 v[120:121], v[120:121], v[126:127], -v[128:129]
	v_fma_f64 v[122:123], v[122:123], v[126:127], v[124:125]
	v_add_f64 v[1:2], v[1:2], v[120:121]
	v_add_f64 v[3:4], v[3:4], v[122:123]
	s_andn2_b32 exec_lo, exec_lo, s8
	s_cbranch_execnz .LBB53_484
; %bb.485:
	s_or_b32 exec_lo, exec_lo, s8
.LBB53_486:
	s_or_b32 exec_lo, exec_lo, s6
	v_mov_b32_e32 v116, 0
	ds_read_b128 v[120:123], v116 offset:128
	s_waitcnt lgkmcnt(0)
	v_mul_f64 v[116:117], v[3:4], v[122:123]
	v_mul_f64 v[122:123], v[1:2], v[122:123]
	v_fma_f64 v[1:2], v[1:2], v[120:121], -v[116:117]
	v_fma_f64 v[3:4], v[3:4], v[120:121], v[122:123]
	buffer_store_dword v2, off, s[0:3], 0 offset:132
	buffer_store_dword v1, off, s[0:3], 0 offset:128
	;; [unrolled: 1-line block ×4, first 2 shown]
.LBB53_487:
	s_or_b32 exec_lo, exec_lo, s4
	v_mov_b32_e32 v4, s53
	s_mov_b32 s4, exec_lo
	s_clause 0x3
	buffer_load_dword v1, v4, s[0:3], 0 offen
	buffer_load_dword v2, v4, s[0:3], 0 offen offset:4
	buffer_load_dword v3, v4, s[0:3], 0 offen offset:8
	;; [unrolled: 1-line block ×3, first 2 shown]
	s_waitcnt vmcnt(0)
	ds_write_b128 v114, v[1:4]
	s_waitcnt lgkmcnt(0)
	s_waitcnt_vscnt null, 0x0
	s_barrier
	buffer_gl0_inv
	v_cmpx_gt_u32_e32 9, v0
	s_cbranch_execz .LBB53_495
; %bb.488:
	ds_read_b128 v[1:4], v114
	v_cmp_ne_u32_e32 vcc_lo, 1, v115
	s_cbranch_vccnz .LBB53_490
; %bb.489:
	s_clause 0x3
	buffer_load_dword v116, v113, s[0:3], 0 offen offset:8
	buffer_load_dword v117, v113, s[0:3], 0 offen offset:12
	buffer_load_dword v120, v113, s[0:3], 0 offen
	buffer_load_dword v121, v113, s[0:3], 0 offen offset:4
	s_waitcnt vmcnt(2) lgkmcnt(0)
	v_mul_f64 v[122:123], v[3:4], v[116:117]
	v_mul_f64 v[116:117], v[1:2], v[116:117]
	s_waitcnt vmcnt(0)
	v_fma_f64 v[1:2], v[1:2], v[120:121], -v[122:123]
	v_fma_f64 v[3:4], v[3:4], v[120:121], v[116:117]
.LBB53_490:
	s_mov_b32 s6, exec_lo
	v_cmpx_ne_u32_e32 8, v0
	s_cbranch_execz .LBB53_494
; %bb.491:
	v_add_nc_u32_e32 v116, 0x370, v119
	v_add3_u32 v117, 0, v119, 16
	v_mov_b32_e32 v118, v0
	s_mov_b32 s8, 0
	.p2align	6
.LBB53_492:                             ; =>This Inner Loop Header: Depth=1
	s_clause 0x3
	buffer_load_dword v124, v117, s[0:3], 0 offen offset:8
	buffer_load_dword v125, v117, s[0:3], 0 offen offset:12
	buffer_load_dword v126, v117, s[0:3], 0 offen
	buffer_load_dword v127, v117, s[0:3], 0 offen offset:4
	ds_read_b128 v[120:123], v116
	v_add_nc_u32_e32 v118, 1, v118
	v_add_nc_u32_e32 v116, 16, v116
	;; [unrolled: 1-line block ×3, first 2 shown]
	v_cmp_lt_u32_e32 vcc_lo, 7, v118
	s_or_b32 s8, vcc_lo, s8
	s_waitcnt vmcnt(2) lgkmcnt(0)
	v_mul_f64 v[128:129], v[122:123], v[124:125]
	v_mul_f64 v[124:125], v[120:121], v[124:125]
	s_waitcnt vmcnt(0)
	v_fma_f64 v[120:121], v[120:121], v[126:127], -v[128:129]
	v_fma_f64 v[122:123], v[122:123], v[126:127], v[124:125]
	v_add_f64 v[1:2], v[1:2], v[120:121]
	v_add_f64 v[3:4], v[3:4], v[122:123]
	s_andn2_b32 exec_lo, exec_lo, s8
	s_cbranch_execnz .LBB53_492
; %bb.493:
	s_or_b32 exec_lo, exec_lo, s8
.LBB53_494:
	s_or_b32 exec_lo, exec_lo, s6
	v_mov_b32_e32 v116, 0
	ds_read_b128 v[120:123], v116 offset:144
	s_waitcnt lgkmcnt(0)
	v_mul_f64 v[116:117], v[3:4], v[122:123]
	v_mul_f64 v[122:123], v[1:2], v[122:123]
	v_fma_f64 v[1:2], v[1:2], v[120:121], -v[116:117]
	v_fma_f64 v[3:4], v[3:4], v[120:121], v[122:123]
	buffer_store_dword v2, off, s[0:3], 0 offset:148
	buffer_store_dword v1, off, s[0:3], 0 offset:144
	;; [unrolled: 1-line block ×4, first 2 shown]
.LBB53_495:
	s_or_b32 exec_lo, exec_lo, s4
	v_mov_b32_e32 v4, s52
	s_mov_b32 s4, exec_lo
	s_clause 0x3
	buffer_load_dword v1, v4, s[0:3], 0 offen
	buffer_load_dword v2, v4, s[0:3], 0 offen offset:4
	buffer_load_dword v3, v4, s[0:3], 0 offen offset:8
	;; [unrolled: 1-line block ×3, first 2 shown]
	s_waitcnt vmcnt(0)
	ds_write_b128 v114, v[1:4]
	s_waitcnt lgkmcnt(0)
	s_waitcnt_vscnt null, 0x0
	s_barrier
	buffer_gl0_inv
	v_cmpx_gt_u32_e32 10, v0
	s_cbranch_execz .LBB53_503
; %bb.496:
	ds_read_b128 v[1:4], v114
	v_cmp_ne_u32_e32 vcc_lo, 1, v115
	s_cbranch_vccnz .LBB53_498
; %bb.497:
	s_clause 0x3
	buffer_load_dword v116, v113, s[0:3], 0 offen offset:8
	buffer_load_dword v117, v113, s[0:3], 0 offen offset:12
	buffer_load_dword v120, v113, s[0:3], 0 offen
	buffer_load_dword v121, v113, s[0:3], 0 offen offset:4
	s_waitcnt vmcnt(2) lgkmcnt(0)
	v_mul_f64 v[122:123], v[3:4], v[116:117]
	v_mul_f64 v[116:117], v[1:2], v[116:117]
	s_waitcnt vmcnt(0)
	v_fma_f64 v[1:2], v[1:2], v[120:121], -v[122:123]
	v_fma_f64 v[3:4], v[3:4], v[120:121], v[116:117]
.LBB53_498:
	s_mov_b32 s6, exec_lo
	v_cmpx_ne_u32_e32 9, v0
	s_cbranch_execz .LBB53_502
; %bb.499:
	v_add_nc_u32_e32 v116, 0x370, v119
	v_add3_u32 v117, 0, v119, 16
	v_mov_b32_e32 v118, v0
	s_mov_b32 s8, 0
	.p2align	6
.LBB53_500:                             ; =>This Inner Loop Header: Depth=1
	s_clause 0x3
	buffer_load_dword v124, v117, s[0:3], 0 offen offset:8
	buffer_load_dword v125, v117, s[0:3], 0 offen offset:12
	buffer_load_dword v126, v117, s[0:3], 0 offen
	buffer_load_dword v127, v117, s[0:3], 0 offen offset:4
	ds_read_b128 v[120:123], v116
	v_add_nc_u32_e32 v118, 1, v118
	v_add_nc_u32_e32 v116, 16, v116
	;; [unrolled: 1-line block ×3, first 2 shown]
	v_cmp_lt_u32_e32 vcc_lo, 8, v118
	s_or_b32 s8, vcc_lo, s8
	s_waitcnt vmcnt(2) lgkmcnt(0)
	v_mul_f64 v[128:129], v[122:123], v[124:125]
	v_mul_f64 v[124:125], v[120:121], v[124:125]
	s_waitcnt vmcnt(0)
	v_fma_f64 v[120:121], v[120:121], v[126:127], -v[128:129]
	v_fma_f64 v[122:123], v[122:123], v[126:127], v[124:125]
	v_add_f64 v[1:2], v[1:2], v[120:121]
	v_add_f64 v[3:4], v[3:4], v[122:123]
	s_andn2_b32 exec_lo, exec_lo, s8
	s_cbranch_execnz .LBB53_500
; %bb.501:
	s_or_b32 exec_lo, exec_lo, s8
.LBB53_502:
	s_or_b32 exec_lo, exec_lo, s6
	v_mov_b32_e32 v116, 0
	ds_read_b128 v[120:123], v116 offset:160
	s_waitcnt lgkmcnt(0)
	v_mul_f64 v[116:117], v[3:4], v[122:123]
	v_mul_f64 v[122:123], v[1:2], v[122:123]
	v_fma_f64 v[1:2], v[1:2], v[120:121], -v[116:117]
	v_fma_f64 v[3:4], v[3:4], v[120:121], v[122:123]
	buffer_store_dword v2, off, s[0:3], 0 offset:164
	buffer_store_dword v1, off, s[0:3], 0 offset:160
	;; [unrolled: 1-line block ×4, first 2 shown]
.LBB53_503:
	s_or_b32 exec_lo, exec_lo, s4
	v_mov_b32_e32 v4, s51
	s_mov_b32 s4, exec_lo
	s_clause 0x3
	buffer_load_dword v1, v4, s[0:3], 0 offen
	buffer_load_dword v2, v4, s[0:3], 0 offen offset:4
	buffer_load_dword v3, v4, s[0:3], 0 offen offset:8
	;; [unrolled: 1-line block ×3, first 2 shown]
	s_waitcnt vmcnt(0)
	ds_write_b128 v114, v[1:4]
	s_waitcnt lgkmcnt(0)
	s_waitcnt_vscnt null, 0x0
	s_barrier
	buffer_gl0_inv
	v_cmpx_gt_u32_e32 11, v0
	s_cbranch_execz .LBB53_511
; %bb.504:
	ds_read_b128 v[1:4], v114
	v_cmp_ne_u32_e32 vcc_lo, 1, v115
	s_cbranch_vccnz .LBB53_506
; %bb.505:
	s_clause 0x3
	buffer_load_dword v116, v113, s[0:3], 0 offen offset:8
	buffer_load_dword v117, v113, s[0:3], 0 offen offset:12
	buffer_load_dword v120, v113, s[0:3], 0 offen
	buffer_load_dword v121, v113, s[0:3], 0 offen offset:4
	s_waitcnt vmcnt(2) lgkmcnt(0)
	v_mul_f64 v[122:123], v[3:4], v[116:117]
	v_mul_f64 v[116:117], v[1:2], v[116:117]
	s_waitcnt vmcnt(0)
	v_fma_f64 v[1:2], v[1:2], v[120:121], -v[122:123]
	v_fma_f64 v[3:4], v[3:4], v[120:121], v[116:117]
.LBB53_506:
	s_mov_b32 s6, exec_lo
	v_cmpx_ne_u32_e32 10, v0
	s_cbranch_execz .LBB53_510
; %bb.507:
	v_add_nc_u32_e32 v116, 0x370, v119
	v_add3_u32 v117, 0, v119, 16
	v_mov_b32_e32 v118, v0
	s_mov_b32 s8, 0
	.p2align	6
.LBB53_508:                             ; =>This Inner Loop Header: Depth=1
	s_clause 0x3
	buffer_load_dword v124, v117, s[0:3], 0 offen offset:8
	buffer_load_dword v125, v117, s[0:3], 0 offen offset:12
	buffer_load_dword v126, v117, s[0:3], 0 offen
	buffer_load_dword v127, v117, s[0:3], 0 offen offset:4
	ds_read_b128 v[120:123], v116
	v_add_nc_u32_e32 v118, 1, v118
	v_add_nc_u32_e32 v116, 16, v116
	;; [unrolled: 1-line block ×3, first 2 shown]
	v_cmp_lt_u32_e32 vcc_lo, 9, v118
	s_or_b32 s8, vcc_lo, s8
	s_waitcnt vmcnt(2) lgkmcnt(0)
	v_mul_f64 v[128:129], v[122:123], v[124:125]
	v_mul_f64 v[124:125], v[120:121], v[124:125]
	s_waitcnt vmcnt(0)
	v_fma_f64 v[120:121], v[120:121], v[126:127], -v[128:129]
	v_fma_f64 v[122:123], v[122:123], v[126:127], v[124:125]
	v_add_f64 v[1:2], v[1:2], v[120:121]
	v_add_f64 v[3:4], v[3:4], v[122:123]
	s_andn2_b32 exec_lo, exec_lo, s8
	s_cbranch_execnz .LBB53_508
; %bb.509:
	s_or_b32 exec_lo, exec_lo, s8
.LBB53_510:
	s_or_b32 exec_lo, exec_lo, s6
	v_mov_b32_e32 v116, 0
	ds_read_b128 v[120:123], v116 offset:176
	s_waitcnt lgkmcnt(0)
	v_mul_f64 v[116:117], v[3:4], v[122:123]
	v_mul_f64 v[122:123], v[1:2], v[122:123]
	v_fma_f64 v[1:2], v[1:2], v[120:121], -v[116:117]
	v_fma_f64 v[3:4], v[3:4], v[120:121], v[122:123]
	buffer_store_dword v2, off, s[0:3], 0 offset:180
	buffer_store_dword v1, off, s[0:3], 0 offset:176
	;; [unrolled: 1-line block ×4, first 2 shown]
.LBB53_511:
	s_or_b32 exec_lo, exec_lo, s4
	v_mov_b32_e32 v4, s50
	s_mov_b32 s4, exec_lo
	s_clause 0x3
	buffer_load_dword v1, v4, s[0:3], 0 offen
	buffer_load_dword v2, v4, s[0:3], 0 offen offset:4
	buffer_load_dword v3, v4, s[0:3], 0 offen offset:8
	;; [unrolled: 1-line block ×3, first 2 shown]
	s_waitcnt vmcnt(0)
	ds_write_b128 v114, v[1:4]
	s_waitcnt lgkmcnt(0)
	s_waitcnt_vscnt null, 0x0
	s_barrier
	buffer_gl0_inv
	v_cmpx_gt_u32_e32 12, v0
	s_cbranch_execz .LBB53_519
; %bb.512:
	ds_read_b128 v[1:4], v114
	v_cmp_ne_u32_e32 vcc_lo, 1, v115
	s_cbranch_vccnz .LBB53_514
; %bb.513:
	s_clause 0x3
	buffer_load_dword v116, v113, s[0:3], 0 offen offset:8
	buffer_load_dword v117, v113, s[0:3], 0 offen offset:12
	buffer_load_dword v120, v113, s[0:3], 0 offen
	buffer_load_dword v121, v113, s[0:3], 0 offen offset:4
	s_waitcnt vmcnt(2) lgkmcnt(0)
	v_mul_f64 v[122:123], v[3:4], v[116:117]
	v_mul_f64 v[116:117], v[1:2], v[116:117]
	s_waitcnt vmcnt(0)
	v_fma_f64 v[1:2], v[1:2], v[120:121], -v[122:123]
	v_fma_f64 v[3:4], v[3:4], v[120:121], v[116:117]
.LBB53_514:
	s_mov_b32 s6, exec_lo
	v_cmpx_ne_u32_e32 11, v0
	s_cbranch_execz .LBB53_518
; %bb.515:
	v_add_nc_u32_e32 v116, 0x370, v119
	v_add3_u32 v117, 0, v119, 16
	v_mov_b32_e32 v118, v0
	s_mov_b32 s8, 0
	.p2align	6
.LBB53_516:                             ; =>This Inner Loop Header: Depth=1
	s_clause 0x3
	buffer_load_dword v124, v117, s[0:3], 0 offen offset:8
	buffer_load_dword v125, v117, s[0:3], 0 offen offset:12
	buffer_load_dword v126, v117, s[0:3], 0 offen
	buffer_load_dword v127, v117, s[0:3], 0 offen offset:4
	ds_read_b128 v[120:123], v116
	v_add_nc_u32_e32 v118, 1, v118
	v_add_nc_u32_e32 v116, 16, v116
	v_add_nc_u32_e32 v117, 16, v117
	v_cmp_lt_u32_e32 vcc_lo, 10, v118
	s_or_b32 s8, vcc_lo, s8
	s_waitcnt vmcnt(2) lgkmcnt(0)
	v_mul_f64 v[128:129], v[122:123], v[124:125]
	v_mul_f64 v[124:125], v[120:121], v[124:125]
	s_waitcnt vmcnt(0)
	v_fma_f64 v[120:121], v[120:121], v[126:127], -v[128:129]
	v_fma_f64 v[122:123], v[122:123], v[126:127], v[124:125]
	v_add_f64 v[1:2], v[1:2], v[120:121]
	v_add_f64 v[3:4], v[3:4], v[122:123]
	s_andn2_b32 exec_lo, exec_lo, s8
	s_cbranch_execnz .LBB53_516
; %bb.517:
	s_or_b32 exec_lo, exec_lo, s8
.LBB53_518:
	s_or_b32 exec_lo, exec_lo, s6
	v_mov_b32_e32 v116, 0
	ds_read_b128 v[120:123], v116 offset:192
	s_waitcnt lgkmcnt(0)
	v_mul_f64 v[116:117], v[3:4], v[122:123]
	v_mul_f64 v[122:123], v[1:2], v[122:123]
	v_fma_f64 v[1:2], v[1:2], v[120:121], -v[116:117]
	v_fma_f64 v[3:4], v[3:4], v[120:121], v[122:123]
	buffer_store_dword v2, off, s[0:3], 0 offset:196
	buffer_store_dword v1, off, s[0:3], 0 offset:192
	;; [unrolled: 1-line block ×4, first 2 shown]
.LBB53_519:
	s_or_b32 exec_lo, exec_lo, s4
	v_mov_b32_e32 v4, s49
	s_mov_b32 s4, exec_lo
	s_clause 0x3
	buffer_load_dword v1, v4, s[0:3], 0 offen
	buffer_load_dword v2, v4, s[0:3], 0 offen offset:4
	buffer_load_dword v3, v4, s[0:3], 0 offen offset:8
	;; [unrolled: 1-line block ×3, first 2 shown]
	s_waitcnt vmcnt(0)
	ds_write_b128 v114, v[1:4]
	s_waitcnt lgkmcnt(0)
	s_waitcnt_vscnt null, 0x0
	s_barrier
	buffer_gl0_inv
	v_cmpx_gt_u32_e32 13, v0
	s_cbranch_execz .LBB53_527
; %bb.520:
	ds_read_b128 v[1:4], v114
	v_cmp_ne_u32_e32 vcc_lo, 1, v115
	s_cbranch_vccnz .LBB53_522
; %bb.521:
	s_clause 0x3
	buffer_load_dword v116, v113, s[0:3], 0 offen offset:8
	buffer_load_dword v117, v113, s[0:3], 0 offen offset:12
	buffer_load_dword v120, v113, s[0:3], 0 offen
	buffer_load_dword v121, v113, s[0:3], 0 offen offset:4
	s_waitcnt vmcnt(2) lgkmcnt(0)
	v_mul_f64 v[122:123], v[3:4], v[116:117]
	v_mul_f64 v[116:117], v[1:2], v[116:117]
	s_waitcnt vmcnt(0)
	v_fma_f64 v[1:2], v[1:2], v[120:121], -v[122:123]
	v_fma_f64 v[3:4], v[3:4], v[120:121], v[116:117]
.LBB53_522:
	s_mov_b32 s6, exec_lo
	v_cmpx_ne_u32_e32 12, v0
	s_cbranch_execz .LBB53_526
; %bb.523:
	v_add_nc_u32_e32 v116, 0x370, v119
	v_add3_u32 v117, 0, v119, 16
	v_mov_b32_e32 v118, v0
	s_mov_b32 s8, 0
	.p2align	6
.LBB53_524:                             ; =>This Inner Loop Header: Depth=1
	s_clause 0x3
	buffer_load_dword v124, v117, s[0:3], 0 offen offset:8
	buffer_load_dword v125, v117, s[0:3], 0 offen offset:12
	buffer_load_dword v126, v117, s[0:3], 0 offen
	buffer_load_dword v127, v117, s[0:3], 0 offen offset:4
	ds_read_b128 v[120:123], v116
	v_add_nc_u32_e32 v118, 1, v118
	v_add_nc_u32_e32 v116, 16, v116
	;; [unrolled: 1-line block ×3, first 2 shown]
	v_cmp_lt_u32_e32 vcc_lo, 11, v118
	s_or_b32 s8, vcc_lo, s8
	s_waitcnt vmcnt(2) lgkmcnt(0)
	v_mul_f64 v[128:129], v[122:123], v[124:125]
	v_mul_f64 v[124:125], v[120:121], v[124:125]
	s_waitcnt vmcnt(0)
	v_fma_f64 v[120:121], v[120:121], v[126:127], -v[128:129]
	v_fma_f64 v[122:123], v[122:123], v[126:127], v[124:125]
	v_add_f64 v[1:2], v[1:2], v[120:121]
	v_add_f64 v[3:4], v[3:4], v[122:123]
	s_andn2_b32 exec_lo, exec_lo, s8
	s_cbranch_execnz .LBB53_524
; %bb.525:
	s_or_b32 exec_lo, exec_lo, s8
.LBB53_526:
	s_or_b32 exec_lo, exec_lo, s6
	v_mov_b32_e32 v116, 0
	ds_read_b128 v[120:123], v116 offset:208
	s_waitcnt lgkmcnt(0)
	v_mul_f64 v[116:117], v[3:4], v[122:123]
	v_mul_f64 v[122:123], v[1:2], v[122:123]
	v_fma_f64 v[1:2], v[1:2], v[120:121], -v[116:117]
	v_fma_f64 v[3:4], v[3:4], v[120:121], v[122:123]
	buffer_store_dword v2, off, s[0:3], 0 offset:212
	buffer_store_dword v1, off, s[0:3], 0 offset:208
	buffer_store_dword v4, off, s[0:3], 0 offset:220
	buffer_store_dword v3, off, s[0:3], 0 offset:216
.LBB53_527:
	s_or_b32 exec_lo, exec_lo, s4
	v_mov_b32_e32 v4, s48
	s_mov_b32 s4, exec_lo
	s_clause 0x3
	buffer_load_dword v1, v4, s[0:3], 0 offen
	buffer_load_dword v2, v4, s[0:3], 0 offen offset:4
	buffer_load_dword v3, v4, s[0:3], 0 offen offset:8
	;; [unrolled: 1-line block ×3, first 2 shown]
	s_waitcnt vmcnt(0)
	ds_write_b128 v114, v[1:4]
	s_waitcnt lgkmcnt(0)
	s_waitcnt_vscnt null, 0x0
	s_barrier
	buffer_gl0_inv
	v_cmpx_gt_u32_e32 14, v0
	s_cbranch_execz .LBB53_535
; %bb.528:
	ds_read_b128 v[1:4], v114
	v_cmp_ne_u32_e32 vcc_lo, 1, v115
	s_cbranch_vccnz .LBB53_530
; %bb.529:
	s_clause 0x3
	buffer_load_dword v116, v113, s[0:3], 0 offen offset:8
	buffer_load_dword v117, v113, s[0:3], 0 offen offset:12
	buffer_load_dword v120, v113, s[0:3], 0 offen
	buffer_load_dword v121, v113, s[0:3], 0 offen offset:4
	s_waitcnt vmcnt(2) lgkmcnt(0)
	v_mul_f64 v[122:123], v[3:4], v[116:117]
	v_mul_f64 v[116:117], v[1:2], v[116:117]
	s_waitcnt vmcnt(0)
	v_fma_f64 v[1:2], v[1:2], v[120:121], -v[122:123]
	v_fma_f64 v[3:4], v[3:4], v[120:121], v[116:117]
.LBB53_530:
	s_mov_b32 s6, exec_lo
	v_cmpx_ne_u32_e32 13, v0
	s_cbranch_execz .LBB53_534
; %bb.531:
	v_add_nc_u32_e32 v116, 0x370, v119
	v_add3_u32 v117, 0, v119, 16
	v_mov_b32_e32 v118, v0
	s_mov_b32 s8, 0
	.p2align	6
.LBB53_532:                             ; =>This Inner Loop Header: Depth=1
	s_clause 0x3
	buffer_load_dword v124, v117, s[0:3], 0 offen offset:8
	buffer_load_dword v125, v117, s[0:3], 0 offen offset:12
	buffer_load_dword v126, v117, s[0:3], 0 offen
	buffer_load_dword v127, v117, s[0:3], 0 offen offset:4
	ds_read_b128 v[120:123], v116
	v_add_nc_u32_e32 v118, 1, v118
	v_add_nc_u32_e32 v116, 16, v116
	v_add_nc_u32_e32 v117, 16, v117
	v_cmp_lt_u32_e32 vcc_lo, 12, v118
	s_or_b32 s8, vcc_lo, s8
	s_waitcnt vmcnt(2) lgkmcnt(0)
	v_mul_f64 v[128:129], v[122:123], v[124:125]
	v_mul_f64 v[124:125], v[120:121], v[124:125]
	s_waitcnt vmcnt(0)
	v_fma_f64 v[120:121], v[120:121], v[126:127], -v[128:129]
	v_fma_f64 v[122:123], v[122:123], v[126:127], v[124:125]
	v_add_f64 v[1:2], v[1:2], v[120:121]
	v_add_f64 v[3:4], v[3:4], v[122:123]
	s_andn2_b32 exec_lo, exec_lo, s8
	s_cbranch_execnz .LBB53_532
; %bb.533:
	s_or_b32 exec_lo, exec_lo, s8
.LBB53_534:
	s_or_b32 exec_lo, exec_lo, s6
	v_mov_b32_e32 v116, 0
	ds_read_b128 v[120:123], v116 offset:224
	s_waitcnt lgkmcnt(0)
	v_mul_f64 v[116:117], v[3:4], v[122:123]
	v_mul_f64 v[122:123], v[1:2], v[122:123]
	v_fma_f64 v[1:2], v[1:2], v[120:121], -v[116:117]
	v_fma_f64 v[3:4], v[3:4], v[120:121], v[122:123]
	buffer_store_dword v2, off, s[0:3], 0 offset:228
	buffer_store_dword v1, off, s[0:3], 0 offset:224
	buffer_store_dword v4, off, s[0:3], 0 offset:236
	buffer_store_dword v3, off, s[0:3], 0 offset:232
.LBB53_535:
	s_or_b32 exec_lo, exec_lo, s4
	v_mov_b32_e32 v4, s47
	s_mov_b32 s4, exec_lo
	s_clause 0x3
	buffer_load_dword v1, v4, s[0:3], 0 offen
	buffer_load_dword v2, v4, s[0:3], 0 offen offset:4
	buffer_load_dword v3, v4, s[0:3], 0 offen offset:8
	;; [unrolled: 1-line block ×3, first 2 shown]
	s_waitcnt vmcnt(0)
	ds_write_b128 v114, v[1:4]
	s_waitcnt lgkmcnt(0)
	s_waitcnt_vscnt null, 0x0
	s_barrier
	buffer_gl0_inv
	v_cmpx_gt_u32_e32 15, v0
	s_cbranch_execz .LBB53_543
; %bb.536:
	ds_read_b128 v[1:4], v114
	v_cmp_ne_u32_e32 vcc_lo, 1, v115
	s_cbranch_vccnz .LBB53_538
; %bb.537:
	s_clause 0x3
	buffer_load_dword v116, v113, s[0:3], 0 offen offset:8
	buffer_load_dword v117, v113, s[0:3], 0 offen offset:12
	buffer_load_dword v120, v113, s[0:3], 0 offen
	buffer_load_dword v121, v113, s[0:3], 0 offen offset:4
	s_waitcnt vmcnt(2) lgkmcnt(0)
	v_mul_f64 v[122:123], v[3:4], v[116:117]
	v_mul_f64 v[116:117], v[1:2], v[116:117]
	s_waitcnt vmcnt(0)
	v_fma_f64 v[1:2], v[1:2], v[120:121], -v[122:123]
	v_fma_f64 v[3:4], v[3:4], v[120:121], v[116:117]
.LBB53_538:
	s_mov_b32 s6, exec_lo
	v_cmpx_ne_u32_e32 14, v0
	s_cbranch_execz .LBB53_542
; %bb.539:
	v_add_nc_u32_e32 v116, 0x370, v119
	v_add3_u32 v117, 0, v119, 16
	v_mov_b32_e32 v118, v0
	s_mov_b32 s8, 0
	.p2align	6
.LBB53_540:                             ; =>This Inner Loop Header: Depth=1
	s_clause 0x3
	buffer_load_dword v124, v117, s[0:3], 0 offen offset:8
	buffer_load_dword v125, v117, s[0:3], 0 offen offset:12
	buffer_load_dword v126, v117, s[0:3], 0 offen
	buffer_load_dword v127, v117, s[0:3], 0 offen offset:4
	ds_read_b128 v[120:123], v116
	v_add_nc_u32_e32 v118, 1, v118
	v_add_nc_u32_e32 v116, 16, v116
	;; [unrolled: 1-line block ×3, first 2 shown]
	v_cmp_lt_u32_e32 vcc_lo, 13, v118
	s_or_b32 s8, vcc_lo, s8
	s_waitcnt vmcnt(2) lgkmcnt(0)
	v_mul_f64 v[128:129], v[122:123], v[124:125]
	v_mul_f64 v[124:125], v[120:121], v[124:125]
	s_waitcnt vmcnt(0)
	v_fma_f64 v[120:121], v[120:121], v[126:127], -v[128:129]
	v_fma_f64 v[122:123], v[122:123], v[126:127], v[124:125]
	v_add_f64 v[1:2], v[1:2], v[120:121]
	v_add_f64 v[3:4], v[3:4], v[122:123]
	s_andn2_b32 exec_lo, exec_lo, s8
	s_cbranch_execnz .LBB53_540
; %bb.541:
	s_or_b32 exec_lo, exec_lo, s8
.LBB53_542:
	s_or_b32 exec_lo, exec_lo, s6
	v_mov_b32_e32 v116, 0
	ds_read_b128 v[120:123], v116 offset:240
	s_waitcnt lgkmcnt(0)
	v_mul_f64 v[116:117], v[3:4], v[122:123]
	v_mul_f64 v[122:123], v[1:2], v[122:123]
	v_fma_f64 v[1:2], v[1:2], v[120:121], -v[116:117]
	v_fma_f64 v[3:4], v[3:4], v[120:121], v[122:123]
	buffer_store_dword v2, off, s[0:3], 0 offset:244
	buffer_store_dword v1, off, s[0:3], 0 offset:240
	;; [unrolled: 1-line block ×4, first 2 shown]
.LBB53_543:
	s_or_b32 exec_lo, exec_lo, s4
	v_mov_b32_e32 v4, s46
	s_mov_b32 s4, exec_lo
	s_clause 0x3
	buffer_load_dword v1, v4, s[0:3], 0 offen
	buffer_load_dword v2, v4, s[0:3], 0 offen offset:4
	buffer_load_dword v3, v4, s[0:3], 0 offen offset:8
	;; [unrolled: 1-line block ×3, first 2 shown]
	s_waitcnt vmcnt(0)
	ds_write_b128 v114, v[1:4]
	s_waitcnt lgkmcnt(0)
	s_waitcnt_vscnt null, 0x0
	s_barrier
	buffer_gl0_inv
	v_cmpx_gt_u32_e32 16, v0
	s_cbranch_execz .LBB53_551
; %bb.544:
	ds_read_b128 v[1:4], v114
	v_cmp_ne_u32_e32 vcc_lo, 1, v115
	s_cbranch_vccnz .LBB53_546
; %bb.545:
	s_clause 0x3
	buffer_load_dword v116, v113, s[0:3], 0 offen offset:8
	buffer_load_dword v117, v113, s[0:3], 0 offen offset:12
	buffer_load_dword v120, v113, s[0:3], 0 offen
	buffer_load_dword v121, v113, s[0:3], 0 offen offset:4
	s_waitcnt vmcnt(2) lgkmcnt(0)
	v_mul_f64 v[122:123], v[3:4], v[116:117]
	v_mul_f64 v[116:117], v[1:2], v[116:117]
	s_waitcnt vmcnt(0)
	v_fma_f64 v[1:2], v[1:2], v[120:121], -v[122:123]
	v_fma_f64 v[3:4], v[3:4], v[120:121], v[116:117]
.LBB53_546:
	s_mov_b32 s6, exec_lo
	v_cmpx_ne_u32_e32 15, v0
	s_cbranch_execz .LBB53_550
; %bb.547:
	v_add_nc_u32_e32 v116, 0x370, v119
	v_add3_u32 v117, 0, v119, 16
	v_mov_b32_e32 v118, v0
	s_mov_b32 s8, 0
	.p2align	6
.LBB53_548:                             ; =>This Inner Loop Header: Depth=1
	s_clause 0x3
	buffer_load_dword v124, v117, s[0:3], 0 offen offset:8
	buffer_load_dword v125, v117, s[0:3], 0 offen offset:12
	buffer_load_dword v126, v117, s[0:3], 0 offen
	buffer_load_dword v127, v117, s[0:3], 0 offen offset:4
	ds_read_b128 v[120:123], v116
	v_add_nc_u32_e32 v118, 1, v118
	v_add_nc_u32_e32 v116, 16, v116
	;; [unrolled: 1-line block ×3, first 2 shown]
	v_cmp_lt_u32_e32 vcc_lo, 14, v118
	s_or_b32 s8, vcc_lo, s8
	s_waitcnt vmcnt(2) lgkmcnt(0)
	v_mul_f64 v[128:129], v[122:123], v[124:125]
	v_mul_f64 v[124:125], v[120:121], v[124:125]
	s_waitcnt vmcnt(0)
	v_fma_f64 v[120:121], v[120:121], v[126:127], -v[128:129]
	v_fma_f64 v[122:123], v[122:123], v[126:127], v[124:125]
	v_add_f64 v[1:2], v[1:2], v[120:121]
	v_add_f64 v[3:4], v[3:4], v[122:123]
	s_andn2_b32 exec_lo, exec_lo, s8
	s_cbranch_execnz .LBB53_548
; %bb.549:
	s_or_b32 exec_lo, exec_lo, s8
.LBB53_550:
	s_or_b32 exec_lo, exec_lo, s6
	v_mov_b32_e32 v116, 0
	ds_read_b128 v[120:123], v116 offset:256
	s_waitcnt lgkmcnt(0)
	v_mul_f64 v[116:117], v[3:4], v[122:123]
	v_mul_f64 v[122:123], v[1:2], v[122:123]
	v_fma_f64 v[1:2], v[1:2], v[120:121], -v[116:117]
	v_fma_f64 v[3:4], v[3:4], v[120:121], v[122:123]
	buffer_store_dword v2, off, s[0:3], 0 offset:260
	buffer_store_dword v1, off, s[0:3], 0 offset:256
	;; [unrolled: 1-line block ×4, first 2 shown]
.LBB53_551:
	s_or_b32 exec_lo, exec_lo, s4
	v_mov_b32_e32 v4, s45
	s_mov_b32 s4, exec_lo
	s_clause 0x3
	buffer_load_dword v1, v4, s[0:3], 0 offen
	buffer_load_dword v2, v4, s[0:3], 0 offen offset:4
	buffer_load_dword v3, v4, s[0:3], 0 offen offset:8
	;; [unrolled: 1-line block ×3, first 2 shown]
	s_waitcnt vmcnt(0)
	ds_write_b128 v114, v[1:4]
	s_waitcnt lgkmcnt(0)
	s_waitcnt_vscnt null, 0x0
	s_barrier
	buffer_gl0_inv
	v_cmpx_gt_u32_e32 17, v0
	s_cbranch_execz .LBB53_559
; %bb.552:
	ds_read_b128 v[1:4], v114
	v_cmp_ne_u32_e32 vcc_lo, 1, v115
	s_cbranch_vccnz .LBB53_554
; %bb.553:
	s_clause 0x3
	buffer_load_dword v116, v113, s[0:3], 0 offen offset:8
	buffer_load_dword v117, v113, s[0:3], 0 offen offset:12
	buffer_load_dword v120, v113, s[0:3], 0 offen
	buffer_load_dword v121, v113, s[0:3], 0 offen offset:4
	s_waitcnt vmcnt(2) lgkmcnt(0)
	v_mul_f64 v[122:123], v[3:4], v[116:117]
	v_mul_f64 v[116:117], v[1:2], v[116:117]
	s_waitcnt vmcnt(0)
	v_fma_f64 v[1:2], v[1:2], v[120:121], -v[122:123]
	v_fma_f64 v[3:4], v[3:4], v[120:121], v[116:117]
.LBB53_554:
	s_mov_b32 s6, exec_lo
	v_cmpx_ne_u32_e32 16, v0
	s_cbranch_execz .LBB53_558
; %bb.555:
	v_add_nc_u32_e32 v116, 0x370, v119
	v_add3_u32 v117, 0, v119, 16
	v_mov_b32_e32 v118, v0
	s_mov_b32 s8, 0
	.p2align	6
.LBB53_556:                             ; =>This Inner Loop Header: Depth=1
	s_clause 0x3
	buffer_load_dword v124, v117, s[0:3], 0 offen offset:8
	buffer_load_dword v125, v117, s[0:3], 0 offen offset:12
	buffer_load_dword v126, v117, s[0:3], 0 offen
	buffer_load_dword v127, v117, s[0:3], 0 offen offset:4
	ds_read_b128 v[120:123], v116
	v_add_nc_u32_e32 v118, 1, v118
	v_add_nc_u32_e32 v116, 16, v116
	;; [unrolled: 1-line block ×3, first 2 shown]
	v_cmp_lt_u32_e32 vcc_lo, 15, v118
	s_or_b32 s8, vcc_lo, s8
	s_waitcnt vmcnt(2) lgkmcnt(0)
	v_mul_f64 v[128:129], v[122:123], v[124:125]
	v_mul_f64 v[124:125], v[120:121], v[124:125]
	s_waitcnt vmcnt(0)
	v_fma_f64 v[120:121], v[120:121], v[126:127], -v[128:129]
	v_fma_f64 v[122:123], v[122:123], v[126:127], v[124:125]
	v_add_f64 v[1:2], v[1:2], v[120:121]
	v_add_f64 v[3:4], v[3:4], v[122:123]
	s_andn2_b32 exec_lo, exec_lo, s8
	s_cbranch_execnz .LBB53_556
; %bb.557:
	s_or_b32 exec_lo, exec_lo, s8
.LBB53_558:
	s_or_b32 exec_lo, exec_lo, s6
	v_mov_b32_e32 v116, 0
	ds_read_b128 v[120:123], v116 offset:272
	s_waitcnt lgkmcnt(0)
	v_mul_f64 v[116:117], v[3:4], v[122:123]
	v_mul_f64 v[122:123], v[1:2], v[122:123]
	v_fma_f64 v[1:2], v[1:2], v[120:121], -v[116:117]
	v_fma_f64 v[3:4], v[3:4], v[120:121], v[122:123]
	buffer_store_dword v2, off, s[0:3], 0 offset:276
	buffer_store_dword v1, off, s[0:3], 0 offset:272
	;; [unrolled: 1-line block ×4, first 2 shown]
.LBB53_559:
	s_or_b32 exec_lo, exec_lo, s4
	v_mov_b32_e32 v4, s44
	s_mov_b32 s4, exec_lo
	s_clause 0x3
	buffer_load_dword v1, v4, s[0:3], 0 offen
	buffer_load_dword v2, v4, s[0:3], 0 offen offset:4
	buffer_load_dword v3, v4, s[0:3], 0 offen offset:8
	;; [unrolled: 1-line block ×3, first 2 shown]
	s_waitcnt vmcnt(0)
	ds_write_b128 v114, v[1:4]
	s_waitcnt lgkmcnt(0)
	s_waitcnt_vscnt null, 0x0
	s_barrier
	buffer_gl0_inv
	v_cmpx_gt_u32_e32 18, v0
	s_cbranch_execz .LBB53_567
; %bb.560:
	ds_read_b128 v[1:4], v114
	v_cmp_ne_u32_e32 vcc_lo, 1, v115
	s_cbranch_vccnz .LBB53_562
; %bb.561:
	s_clause 0x3
	buffer_load_dword v116, v113, s[0:3], 0 offen offset:8
	buffer_load_dword v117, v113, s[0:3], 0 offen offset:12
	buffer_load_dword v120, v113, s[0:3], 0 offen
	buffer_load_dword v121, v113, s[0:3], 0 offen offset:4
	s_waitcnt vmcnt(2) lgkmcnt(0)
	v_mul_f64 v[122:123], v[3:4], v[116:117]
	v_mul_f64 v[116:117], v[1:2], v[116:117]
	s_waitcnt vmcnt(0)
	v_fma_f64 v[1:2], v[1:2], v[120:121], -v[122:123]
	v_fma_f64 v[3:4], v[3:4], v[120:121], v[116:117]
.LBB53_562:
	s_mov_b32 s6, exec_lo
	v_cmpx_ne_u32_e32 17, v0
	s_cbranch_execz .LBB53_566
; %bb.563:
	v_add_nc_u32_e32 v116, 0x370, v119
	v_add3_u32 v117, 0, v119, 16
	v_mov_b32_e32 v118, v0
	s_mov_b32 s8, 0
	.p2align	6
.LBB53_564:                             ; =>This Inner Loop Header: Depth=1
	s_clause 0x3
	buffer_load_dword v124, v117, s[0:3], 0 offen offset:8
	buffer_load_dword v125, v117, s[0:3], 0 offen offset:12
	buffer_load_dword v126, v117, s[0:3], 0 offen
	buffer_load_dword v127, v117, s[0:3], 0 offen offset:4
	ds_read_b128 v[120:123], v116
	v_add_nc_u32_e32 v118, 1, v118
	v_add_nc_u32_e32 v116, 16, v116
	;; [unrolled: 1-line block ×3, first 2 shown]
	v_cmp_lt_u32_e32 vcc_lo, 16, v118
	s_or_b32 s8, vcc_lo, s8
	s_waitcnt vmcnt(2) lgkmcnt(0)
	v_mul_f64 v[128:129], v[122:123], v[124:125]
	v_mul_f64 v[124:125], v[120:121], v[124:125]
	s_waitcnt vmcnt(0)
	v_fma_f64 v[120:121], v[120:121], v[126:127], -v[128:129]
	v_fma_f64 v[122:123], v[122:123], v[126:127], v[124:125]
	v_add_f64 v[1:2], v[1:2], v[120:121]
	v_add_f64 v[3:4], v[3:4], v[122:123]
	s_andn2_b32 exec_lo, exec_lo, s8
	s_cbranch_execnz .LBB53_564
; %bb.565:
	s_or_b32 exec_lo, exec_lo, s8
.LBB53_566:
	s_or_b32 exec_lo, exec_lo, s6
	v_mov_b32_e32 v116, 0
	ds_read_b128 v[120:123], v116 offset:288
	s_waitcnt lgkmcnt(0)
	v_mul_f64 v[116:117], v[3:4], v[122:123]
	v_mul_f64 v[122:123], v[1:2], v[122:123]
	v_fma_f64 v[1:2], v[1:2], v[120:121], -v[116:117]
	v_fma_f64 v[3:4], v[3:4], v[120:121], v[122:123]
	buffer_store_dword v2, off, s[0:3], 0 offset:292
	buffer_store_dword v1, off, s[0:3], 0 offset:288
	;; [unrolled: 1-line block ×4, first 2 shown]
.LBB53_567:
	s_or_b32 exec_lo, exec_lo, s4
	v_mov_b32_e32 v4, s43
	s_mov_b32 s4, exec_lo
	s_clause 0x3
	buffer_load_dword v1, v4, s[0:3], 0 offen
	buffer_load_dword v2, v4, s[0:3], 0 offen offset:4
	buffer_load_dword v3, v4, s[0:3], 0 offen offset:8
	;; [unrolled: 1-line block ×3, first 2 shown]
	s_waitcnt vmcnt(0)
	ds_write_b128 v114, v[1:4]
	s_waitcnt lgkmcnt(0)
	s_waitcnt_vscnt null, 0x0
	s_barrier
	buffer_gl0_inv
	v_cmpx_gt_u32_e32 19, v0
	s_cbranch_execz .LBB53_575
; %bb.568:
	ds_read_b128 v[1:4], v114
	v_cmp_ne_u32_e32 vcc_lo, 1, v115
	s_cbranch_vccnz .LBB53_570
; %bb.569:
	s_clause 0x3
	buffer_load_dword v116, v113, s[0:3], 0 offen offset:8
	buffer_load_dword v117, v113, s[0:3], 0 offen offset:12
	buffer_load_dword v120, v113, s[0:3], 0 offen
	buffer_load_dword v121, v113, s[0:3], 0 offen offset:4
	s_waitcnt vmcnt(2) lgkmcnt(0)
	v_mul_f64 v[122:123], v[3:4], v[116:117]
	v_mul_f64 v[116:117], v[1:2], v[116:117]
	s_waitcnt vmcnt(0)
	v_fma_f64 v[1:2], v[1:2], v[120:121], -v[122:123]
	v_fma_f64 v[3:4], v[3:4], v[120:121], v[116:117]
.LBB53_570:
	s_mov_b32 s6, exec_lo
	v_cmpx_ne_u32_e32 18, v0
	s_cbranch_execz .LBB53_574
; %bb.571:
	v_add_nc_u32_e32 v116, 0x370, v119
	v_add3_u32 v117, 0, v119, 16
	v_mov_b32_e32 v118, v0
	s_mov_b32 s8, 0
	.p2align	6
.LBB53_572:                             ; =>This Inner Loop Header: Depth=1
	s_clause 0x3
	buffer_load_dword v124, v117, s[0:3], 0 offen offset:8
	buffer_load_dword v125, v117, s[0:3], 0 offen offset:12
	buffer_load_dword v126, v117, s[0:3], 0 offen
	buffer_load_dword v127, v117, s[0:3], 0 offen offset:4
	ds_read_b128 v[120:123], v116
	v_add_nc_u32_e32 v118, 1, v118
	v_add_nc_u32_e32 v116, 16, v116
	;; [unrolled: 1-line block ×3, first 2 shown]
	v_cmp_lt_u32_e32 vcc_lo, 17, v118
	s_or_b32 s8, vcc_lo, s8
	s_waitcnt vmcnt(2) lgkmcnt(0)
	v_mul_f64 v[128:129], v[122:123], v[124:125]
	v_mul_f64 v[124:125], v[120:121], v[124:125]
	s_waitcnt vmcnt(0)
	v_fma_f64 v[120:121], v[120:121], v[126:127], -v[128:129]
	v_fma_f64 v[122:123], v[122:123], v[126:127], v[124:125]
	v_add_f64 v[1:2], v[1:2], v[120:121]
	v_add_f64 v[3:4], v[3:4], v[122:123]
	s_andn2_b32 exec_lo, exec_lo, s8
	s_cbranch_execnz .LBB53_572
; %bb.573:
	s_or_b32 exec_lo, exec_lo, s8
.LBB53_574:
	s_or_b32 exec_lo, exec_lo, s6
	v_mov_b32_e32 v116, 0
	ds_read_b128 v[120:123], v116 offset:304
	s_waitcnt lgkmcnt(0)
	v_mul_f64 v[116:117], v[3:4], v[122:123]
	v_mul_f64 v[122:123], v[1:2], v[122:123]
	v_fma_f64 v[1:2], v[1:2], v[120:121], -v[116:117]
	v_fma_f64 v[3:4], v[3:4], v[120:121], v[122:123]
	buffer_store_dword v2, off, s[0:3], 0 offset:308
	buffer_store_dword v1, off, s[0:3], 0 offset:304
	;; [unrolled: 1-line block ×4, first 2 shown]
.LBB53_575:
	s_or_b32 exec_lo, exec_lo, s4
	v_mov_b32_e32 v4, s42
	s_mov_b32 s4, exec_lo
	s_clause 0x3
	buffer_load_dword v1, v4, s[0:3], 0 offen
	buffer_load_dword v2, v4, s[0:3], 0 offen offset:4
	buffer_load_dword v3, v4, s[0:3], 0 offen offset:8
	;; [unrolled: 1-line block ×3, first 2 shown]
	s_waitcnt vmcnt(0)
	ds_write_b128 v114, v[1:4]
	s_waitcnt lgkmcnt(0)
	s_waitcnt_vscnt null, 0x0
	s_barrier
	buffer_gl0_inv
	v_cmpx_gt_u32_e32 20, v0
	s_cbranch_execz .LBB53_583
; %bb.576:
	ds_read_b128 v[1:4], v114
	v_cmp_ne_u32_e32 vcc_lo, 1, v115
	s_cbranch_vccnz .LBB53_578
; %bb.577:
	s_clause 0x3
	buffer_load_dword v116, v113, s[0:3], 0 offen offset:8
	buffer_load_dword v117, v113, s[0:3], 0 offen offset:12
	buffer_load_dword v120, v113, s[0:3], 0 offen
	buffer_load_dword v121, v113, s[0:3], 0 offen offset:4
	s_waitcnt vmcnt(2) lgkmcnt(0)
	v_mul_f64 v[122:123], v[3:4], v[116:117]
	v_mul_f64 v[116:117], v[1:2], v[116:117]
	s_waitcnt vmcnt(0)
	v_fma_f64 v[1:2], v[1:2], v[120:121], -v[122:123]
	v_fma_f64 v[3:4], v[3:4], v[120:121], v[116:117]
.LBB53_578:
	s_mov_b32 s6, exec_lo
	v_cmpx_ne_u32_e32 19, v0
	s_cbranch_execz .LBB53_582
; %bb.579:
	v_add_nc_u32_e32 v116, 0x370, v119
	v_add3_u32 v117, 0, v119, 16
	v_mov_b32_e32 v118, v0
	s_mov_b32 s8, 0
	.p2align	6
.LBB53_580:                             ; =>This Inner Loop Header: Depth=1
	s_clause 0x3
	buffer_load_dword v124, v117, s[0:3], 0 offen offset:8
	buffer_load_dword v125, v117, s[0:3], 0 offen offset:12
	buffer_load_dword v126, v117, s[0:3], 0 offen
	buffer_load_dword v127, v117, s[0:3], 0 offen offset:4
	ds_read_b128 v[120:123], v116
	v_add_nc_u32_e32 v118, 1, v118
	v_add_nc_u32_e32 v116, 16, v116
	v_add_nc_u32_e32 v117, 16, v117
	v_cmp_lt_u32_e32 vcc_lo, 18, v118
	s_or_b32 s8, vcc_lo, s8
	s_waitcnt vmcnt(2) lgkmcnt(0)
	v_mul_f64 v[128:129], v[122:123], v[124:125]
	v_mul_f64 v[124:125], v[120:121], v[124:125]
	s_waitcnt vmcnt(0)
	v_fma_f64 v[120:121], v[120:121], v[126:127], -v[128:129]
	v_fma_f64 v[122:123], v[122:123], v[126:127], v[124:125]
	v_add_f64 v[1:2], v[1:2], v[120:121]
	v_add_f64 v[3:4], v[3:4], v[122:123]
	s_andn2_b32 exec_lo, exec_lo, s8
	s_cbranch_execnz .LBB53_580
; %bb.581:
	s_or_b32 exec_lo, exec_lo, s8
.LBB53_582:
	s_or_b32 exec_lo, exec_lo, s6
	v_mov_b32_e32 v116, 0
	ds_read_b128 v[120:123], v116 offset:320
	s_waitcnt lgkmcnt(0)
	v_mul_f64 v[116:117], v[3:4], v[122:123]
	v_mul_f64 v[122:123], v[1:2], v[122:123]
	v_fma_f64 v[1:2], v[1:2], v[120:121], -v[116:117]
	v_fma_f64 v[3:4], v[3:4], v[120:121], v[122:123]
	buffer_store_dword v2, off, s[0:3], 0 offset:324
	buffer_store_dword v1, off, s[0:3], 0 offset:320
	;; [unrolled: 1-line block ×4, first 2 shown]
.LBB53_583:
	s_or_b32 exec_lo, exec_lo, s4
	v_mov_b32_e32 v4, s41
	s_mov_b32 s4, exec_lo
	s_clause 0x3
	buffer_load_dword v1, v4, s[0:3], 0 offen
	buffer_load_dword v2, v4, s[0:3], 0 offen offset:4
	buffer_load_dword v3, v4, s[0:3], 0 offen offset:8
	;; [unrolled: 1-line block ×3, first 2 shown]
	s_waitcnt vmcnt(0)
	ds_write_b128 v114, v[1:4]
	s_waitcnt lgkmcnt(0)
	s_waitcnt_vscnt null, 0x0
	s_barrier
	buffer_gl0_inv
	v_cmpx_gt_u32_e32 21, v0
	s_cbranch_execz .LBB53_591
; %bb.584:
	ds_read_b128 v[1:4], v114
	v_cmp_ne_u32_e32 vcc_lo, 1, v115
	s_cbranch_vccnz .LBB53_586
; %bb.585:
	s_clause 0x3
	buffer_load_dword v116, v113, s[0:3], 0 offen offset:8
	buffer_load_dword v117, v113, s[0:3], 0 offen offset:12
	buffer_load_dword v120, v113, s[0:3], 0 offen
	buffer_load_dword v121, v113, s[0:3], 0 offen offset:4
	s_waitcnt vmcnt(2) lgkmcnt(0)
	v_mul_f64 v[122:123], v[3:4], v[116:117]
	v_mul_f64 v[116:117], v[1:2], v[116:117]
	s_waitcnt vmcnt(0)
	v_fma_f64 v[1:2], v[1:2], v[120:121], -v[122:123]
	v_fma_f64 v[3:4], v[3:4], v[120:121], v[116:117]
.LBB53_586:
	s_mov_b32 s6, exec_lo
	v_cmpx_ne_u32_e32 20, v0
	s_cbranch_execz .LBB53_590
; %bb.587:
	v_add_nc_u32_e32 v116, 0x370, v119
	v_add3_u32 v117, 0, v119, 16
	v_mov_b32_e32 v118, v0
	s_mov_b32 s8, 0
	.p2align	6
.LBB53_588:                             ; =>This Inner Loop Header: Depth=1
	s_clause 0x3
	buffer_load_dword v124, v117, s[0:3], 0 offen offset:8
	buffer_load_dword v125, v117, s[0:3], 0 offen offset:12
	buffer_load_dword v126, v117, s[0:3], 0 offen
	buffer_load_dword v127, v117, s[0:3], 0 offen offset:4
	ds_read_b128 v[120:123], v116
	v_add_nc_u32_e32 v118, 1, v118
	v_add_nc_u32_e32 v116, 16, v116
	;; [unrolled: 1-line block ×3, first 2 shown]
	v_cmp_lt_u32_e32 vcc_lo, 19, v118
	s_or_b32 s8, vcc_lo, s8
	s_waitcnt vmcnt(2) lgkmcnt(0)
	v_mul_f64 v[128:129], v[122:123], v[124:125]
	v_mul_f64 v[124:125], v[120:121], v[124:125]
	s_waitcnt vmcnt(0)
	v_fma_f64 v[120:121], v[120:121], v[126:127], -v[128:129]
	v_fma_f64 v[122:123], v[122:123], v[126:127], v[124:125]
	v_add_f64 v[1:2], v[1:2], v[120:121]
	v_add_f64 v[3:4], v[3:4], v[122:123]
	s_andn2_b32 exec_lo, exec_lo, s8
	s_cbranch_execnz .LBB53_588
; %bb.589:
	s_or_b32 exec_lo, exec_lo, s8
.LBB53_590:
	s_or_b32 exec_lo, exec_lo, s6
	v_mov_b32_e32 v116, 0
	ds_read_b128 v[120:123], v116 offset:336
	s_waitcnt lgkmcnt(0)
	v_mul_f64 v[116:117], v[3:4], v[122:123]
	v_mul_f64 v[122:123], v[1:2], v[122:123]
	v_fma_f64 v[1:2], v[1:2], v[120:121], -v[116:117]
	v_fma_f64 v[3:4], v[3:4], v[120:121], v[122:123]
	buffer_store_dword v2, off, s[0:3], 0 offset:340
	buffer_store_dword v1, off, s[0:3], 0 offset:336
	;; [unrolled: 1-line block ×4, first 2 shown]
.LBB53_591:
	s_or_b32 exec_lo, exec_lo, s4
	v_mov_b32_e32 v4, s40
	s_mov_b32 s4, exec_lo
	s_clause 0x3
	buffer_load_dword v1, v4, s[0:3], 0 offen
	buffer_load_dword v2, v4, s[0:3], 0 offen offset:4
	buffer_load_dword v3, v4, s[0:3], 0 offen offset:8
	;; [unrolled: 1-line block ×3, first 2 shown]
	s_waitcnt vmcnt(0)
	ds_write_b128 v114, v[1:4]
	s_waitcnt lgkmcnt(0)
	s_waitcnt_vscnt null, 0x0
	s_barrier
	buffer_gl0_inv
	v_cmpx_gt_u32_e32 22, v0
	s_cbranch_execz .LBB53_599
; %bb.592:
	ds_read_b128 v[1:4], v114
	v_cmp_ne_u32_e32 vcc_lo, 1, v115
	s_cbranch_vccnz .LBB53_594
; %bb.593:
	s_clause 0x3
	buffer_load_dword v116, v113, s[0:3], 0 offen offset:8
	buffer_load_dword v117, v113, s[0:3], 0 offen offset:12
	buffer_load_dword v120, v113, s[0:3], 0 offen
	buffer_load_dword v121, v113, s[0:3], 0 offen offset:4
	s_waitcnt vmcnt(2) lgkmcnt(0)
	v_mul_f64 v[122:123], v[3:4], v[116:117]
	v_mul_f64 v[116:117], v[1:2], v[116:117]
	s_waitcnt vmcnt(0)
	v_fma_f64 v[1:2], v[1:2], v[120:121], -v[122:123]
	v_fma_f64 v[3:4], v[3:4], v[120:121], v[116:117]
.LBB53_594:
	s_mov_b32 s6, exec_lo
	v_cmpx_ne_u32_e32 21, v0
	s_cbranch_execz .LBB53_598
; %bb.595:
	v_add_nc_u32_e32 v116, 0x370, v119
	v_add3_u32 v117, 0, v119, 16
	v_mov_b32_e32 v118, v0
	s_mov_b32 s8, 0
	.p2align	6
.LBB53_596:                             ; =>This Inner Loop Header: Depth=1
	s_clause 0x3
	buffer_load_dword v124, v117, s[0:3], 0 offen offset:8
	buffer_load_dword v125, v117, s[0:3], 0 offen offset:12
	buffer_load_dword v126, v117, s[0:3], 0 offen
	buffer_load_dword v127, v117, s[0:3], 0 offen offset:4
	ds_read_b128 v[120:123], v116
	v_add_nc_u32_e32 v118, 1, v118
	v_add_nc_u32_e32 v116, 16, v116
	;; [unrolled: 1-line block ×3, first 2 shown]
	v_cmp_lt_u32_e32 vcc_lo, 20, v118
	s_or_b32 s8, vcc_lo, s8
	s_waitcnt vmcnt(2) lgkmcnt(0)
	v_mul_f64 v[128:129], v[122:123], v[124:125]
	v_mul_f64 v[124:125], v[120:121], v[124:125]
	s_waitcnt vmcnt(0)
	v_fma_f64 v[120:121], v[120:121], v[126:127], -v[128:129]
	v_fma_f64 v[122:123], v[122:123], v[126:127], v[124:125]
	v_add_f64 v[1:2], v[1:2], v[120:121]
	v_add_f64 v[3:4], v[3:4], v[122:123]
	s_andn2_b32 exec_lo, exec_lo, s8
	s_cbranch_execnz .LBB53_596
; %bb.597:
	s_or_b32 exec_lo, exec_lo, s8
.LBB53_598:
	s_or_b32 exec_lo, exec_lo, s6
	v_mov_b32_e32 v116, 0
	ds_read_b128 v[120:123], v116 offset:352
	s_waitcnt lgkmcnt(0)
	v_mul_f64 v[116:117], v[3:4], v[122:123]
	v_mul_f64 v[122:123], v[1:2], v[122:123]
	v_fma_f64 v[1:2], v[1:2], v[120:121], -v[116:117]
	v_fma_f64 v[3:4], v[3:4], v[120:121], v[122:123]
	buffer_store_dword v2, off, s[0:3], 0 offset:356
	buffer_store_dword v1, off, s[0:3], 0 offset:352
	;; [unrolled: 1-line block ×4, first 2 shown]
.LBB53_599:
	s_or_b32 exec_lo, exec_lo, s4
	v_mov_b32_e32 v4, s39
	s_mov_b32 s4, exec_lo
	s_clause 0x3
	buffer_load_dword v1, v4, s[0:3], 0 offen
	buffer_load_dword v2, v4, s[0:3], 0 offen offset:4
	buffer_load_dword v3, v4, s[0:3], 0 offen offset:8
	;; [unrolled: 1-line block ×3, first 2 shown]
	s_waitcnt vmcnt(0)
	ds_write_b128 v114, v[1:4]
	s_waitcnt lgkmcnt(0)
	s_waitcnt_vscnt null, 0x0
	s_barrier
	buffer_gl0_inv
	v_cmpx_gt_u32_e32 23, v0
	s_cbranch_execz .LBB53_607
; %bb.600:
	ds_read_b128 v[1:4], v114
	v_cmp_ne_u32_e32 vcc_lo, 1, v115
	s_cbranch_vccnz .LBB53_602
; %bb.601:
	s_clause 0x3
	buffer_load_dword v116, v113, s[0:3], 0 offen offset:8
	buffer_load_dword v117, v113, s[0:3], 0 offen offset:12
	buffer_load_dword v120, v113, s[0:3], 0 offen
	buffer_load_dword v121, v113, s[0:3], 0 offen offset:4
	s_waitcnt vmcnt(2) lgkmcnt(0)
	v_mul_f64 v[122:123], v[3:4], v[116:117]
	v_mul_f64 v[116:117], v[1:2], v[116:117]
	s_waitcnt vmcnt(0)
	v_fma_f64 v[1:2], v[1:2], v[120:121], -v[122:123]
	v_fma_f64 v[3:4], v[3:4], v[120:121], v[116:117]
.LBB53_602:
	s_mov_b32 s6, exec_lo
	v_cmpx_ne_u32_e32 22, v0
	s_cbranch_execz .LBB53_606
; %bb.603:
	v_add_nc_u32_e32 v116, 0x370, v119
	v_add3_u32 v117, 0, v119, 16
	v_mov_b32_e32 v118, v0
	s_mov_b32 s8, 0
	.p2align	6
.LBB53_604:                             ; =>This Inner Loop Header: Depth=1
	s_clause 0x3
	buffer_load_dword v124, v117, s[0:3], 0 offen offset:8
	buffer_load_dword v125, v117, s[0:3], 0 offen offset:12
	buffer_load_dword v126, v117, s[0:3], 0 offen
	buffer_load_dword v127, v117, s[0:3], 0 offen offset:4
	ds_read_b128 v[120:123], v116
	v_add_nc_u32_e32 v118, 1, v118
	v_add_nc_u32_e32 v116, 16, v116
	;; [unrolled: 1-line block ×3, first 2 shown]
	v_cmp_lt_u32_e32 vcc_lo, 21, v118
	s_or_b32 s8, vcc_lo, s8
	s_waitcnt vmcnt(2) lgkmcnt(0)
	v_mul_f64 v[128:129], v[122:123], v[124:125]
	v_mul_f64 v[124:125], v[120:121], v[124:125]
	s_waitcnt vmcnt(0)
	v_fma_f64 v[120:121], v[120:121], v[126:127], -v[128:129]
	v_fma_f64 v[122:123], v[122:123], v[126:127], v[124:125]
	v_add_f64 v[1:2], v[1:2], v[120:121]
	v_add_f64 v[3:4], v[3:4], v[122:123]
	s_andn2_b32 exec_lo, exec_lo, s8
	s_cbranch_execnz .LBB53_604
; %bb.605:
	s_or_b32 exec_lo, exec_lo, s8
.LBB53_606:
	s_or_b32 exec_lo, exec_lo, s6
	v_mov_b32_e32 v116, 0
	ds_read_b128 v[120:123], v116 offset:368
	s_waitcnt lgkmcnt(0)
	v_mul_f64 v[116:117], v[3:4], v[122:123]
	v_mul_f64 v[122:123], v[1:2], v[122:123]
	v_fma_f64 v[1:2], v[1:2], v[120:121], -v[116:117]
	v_fma_f64 v[3:4], v[3:4], v[120:121], v[122:123]
	buffer_store_dword v2, off, s[0:3], 0 offset:372
	buffer_store_dword v1, off, s[0:3], 0 offset:368
	;; [unrolled: 1-line block ×4, first 2 shown]
.LBB53_607:
	s_or_b32 exec_lo, exec_lo, s4
	v_mov_b32_e32 v4, s38
	s_mov_b32 s4, exec_lo
	s_clause 0x3
	buffer_load_dword v1, v4, s[0:3], 0 offen
	buffer_load_dword v2, v4, s[0:3], 0 offen offset:4
	buffer_load_dword v3, v4, s[0:3], 0 offen offset:8
	;; [unrolled: 1-line block ×3, first 2 shown]
	s_waitcnt vmcnt(0)
	ds_write_b128 v114, v[1:4]
	s_waitcnt lgkmcnt(0)
	s_waitcnt_vscnt null, 0x0
	s_barrier
	buffer_gl0_inv
	v_cmpx_gt_u32_e32 24, v0
	s_cbranch_execz .LBB53_615
; %bb.608:
	ds_read_b128 v[1:4], v114
	v_cmp_ne_u32_e32 vcc_lo, 1, v115
	s_cbranch_vccnz .LBB53_610
; %bb.609:
	s_clause 0x3
	buffer_load_dword v116, v113, s[0:3], 0 offen offset:8
	buffer_load_dword v117, v113, s[0:3], 0 offen offset:12
	buffer_load_dword v120, v113, s[0:3], 0 offen
	buffer_load_dword v121, v113, s[0:3], 0 offen offset:4
	s_waitcnt vmcnt(2) lgkmcnt(0)
	v_mul_f64 v[122:123], v[3:4], v[116:117]
	v_mul_f64 v[116:117], v[1:2], v[116:117]
	s_waitcnt vmcnt(0)
	v_fma_f64 v[1:2], v[1:2], v[120:121], -v[122:123]
	v_fma_f64 v[3:4], v[3:4], v[120:121], v[116:117]
.LBB53_610:
	s_mov_b32 s6, exec_lo
	v_cmpx_ne_u32_e32 23, v0
	s_cbranch_execz .LBB53_614
; %bb.611:
	v_add_nc_u32_e32 v116, 0x370, v119
	v_add3_u32 v117, 0, v119, 16
	v_mov_b32_e32 v118, v0
	s_mov_b32 s8, 0
	.p2align	6
.LBB53_612:                             ; =>This Inner Loop Header: Depth=1
	s_clause 0x3
	buffer_load_dword v124, v117, s[0:3], 0 offen offset:8
	buffer_load_dword v125, v117, s[0:3], 0 offen offset:12
	buffer_load_dword v126, v117, s[0:3], 0 offen
	buffer_load_dword v127, v117, s[0:3], 0 offen offset:4
	ds_read_b128 v[120:123], v116
	v_add_nc_u32_e32 v118, 1, v118
	v_add_nc_u32_e32 v116, 16, v116
	;; [unrolled: 1-line block ×3, first 2 shown]
	v_cmp_lt_u32_e32 vcc_lo, 22, v118
	s_or_b32 s8, vcc_lo, s8
	s_waitcnt vmcnt(2) lgkmcnt(0)
	v_mul_f64 v[128:129], v[122:123], v[124:125]
	v_mul_f64 v[124:125], v[120:121], v[124:125]
	s_waitcnt vmcnt(0)
	v_fma_f64 v[120:121], v[120:121], v[126:127], -v[128:129]
	v_fma_f64 v[122:123], v[122:123], v[126:127], v[124:125]
	v_add_f64 v[1:2], v[1:2], v[120:121]
	v_add_f64 v[3:4], v[3:4], v[122:123]
	s_andn2_b32 exec_lo, exec_lo, s8
	s_cbranch_execnz .LBB53_612
; %bb.613:
	s_or_b32 exec_lo, exec_lo, s8
.LBB53_614:
	s_or_b32 exec_lo, exec_lo, s6
	v_mov_b32_e32 v116, 0
	ds_read_b128 v[120:123], v116 offset:384
	s_waitcnt lgkmcnt(0)
	v_mul_f64 v[116:117], v[3:4], v[122:123]
	v_mul_f64 v[122:123], v[1:2], v[122:123]
	v_fma_f64 v[1:2], v[1:2], v[120:121], -v[116:117]
	v_fma_f64 v[3:4], v[3:4], v[120:121], v[122:123]
	buffer_store_dword v2, off, s[0:3], 0 offset:388
	buffer_store_dword v1, off, s[0:3], 0 offset:384
	;; [unrolled: 1-line block ×4, first 2 shown]
.LBB53_615:
	s_or_b32 exec_lo, exec_lo, s4
	v_mov_b32_e32 v4, s37
	s_mov_b32 s4, exec_lo
	s_clause 0x3
	buffer_load_dword v1, v4, s[0:3], 0 offen
	buffer_load_dword v2, v4, s[0:3], 0 offen offset:4
	buffer_load_dword v3, v4, s[0:3], 0 offen offset:8
	;; [unrolled: 1-line block ×3, first 2 shown]
	s_waitcnt vmcnt(0)
	ds_write_b128 v114, v[1:4]
	s_waitcnt lgkmcnt(0)
	s_waitcnt_vscnt null, 0x0
	s_barrier
	buffer_gl0_inv
	v_cmpx_gt_u32_e32 25, v0
	s_cbranch_execz .LBB53_623
; %bb.616:
	ds_read_b128 v[1:4], v114
	v_cmp_ne_u32_e32 vcc_lo, 1, v115
	s_cbranch_vccnz .LBB53_618
; %bb.617:
	s_clause 0x3
	buffer_load_dword v116, v113, s[0:3], 0 offen offset:8
	buffer_load_dword v117, v113, s[0:3], 0 offen offset:12
	buffer_load_dword v120, v113, s[0:3], 0 offen
	buffer_load_dword v121, v113, s[0:3], 0 offen offset:4
	s_waitcnt vmcnt(2) lgkmcnt(0)
	v_mul_f64 v[122:123], v[3:4], v[116:117]
	v_mul_f64 v[116:117], v[1:2], v[116:117]
	s_waitcnt vmcnt(0)
	v_fma_f64 v[1:2], v[1:2], v[120:121], -v[122:123]
	v_fma_f64 v[3:4], v[3:4], v[120:121], v[116:117]
.LBB53_618:
	s_mov_b32 s6, exec_lo
	v_cmpx_ne_u32_e32 24, v0
	s_cbranch_execz .LBB53_622
; %bb.619:
	v_add_nc_u32_e32 v116, 0x370, v119
	v_add3_u32 v117, 0, v119, 16
	v_mov_b32_e32 v118, v0
	s_mov_b32 s8, 0
	.p2align	6
.LBB53_620:                             ; =>This Inner Loop Header: Depth=1
	s_clause 0x3
	buffer_load_dword v124, v117, s[0:3], 0 offen offset:8
	buffer_load_dword v125, v117, s[0:3], 0 offen offset:12
	buffer_load_dword v126, v117, s[0:3], 0 offen
	buffer_load_dword v127, v117, s[0:3], 0 offen offset:4
	ds_read_b128 v[120:123], v116
	v_add_nc_u32_e32 v118, 1, v118
	v_add_nc_u32_e32 v116, 16, v116
	;; [unrolled: 1-line block ×3, first 2 shown]
	v_cmp_lt_u32_e32 vcc_lo, 23, v118
	s_or_b32 s8, vcc_lo, s8
	s_waitcnt vmcnt(2) lgkmcnt(0)
	v_mul_f64 v[128:129], v[122:123], v[124:125]
	v_mul_f64 v[124:125], v[120:121], v[124:125]
	s_waitcnt vmcnt(0)
	v_fma_f64 v[120:121], v[120:121], v[126:127], -v[128:129]
	v_fma_f64 v[122:123], v[122:123], v[126:127], v[124:125]
	v_add_f64 v[1:2], v[1:2], v[120:121]
	v_add_f64 v[3:4], v[3:4], v[122:123]
	s_andn2_b32 exec_lo, exec_lo, s8
	s_cbranch_execnz .LBB53_620
; %bb.621:
	s_or_b32 exec_lo, exec_lo, s8
.LBB53_622:
	s_or_b32 exec_lo, exec_lo, s6
	v_mov_b32_e32 v116, 0
	ds_read_b128 v[120:123], v116 offset:400
	s_waitcnt lgkmcnt(0)
	v_mul_f64 v[116:117], v[3:4], v[122:123]
	v_mul_f64 v[122:123], v[1:2], v[122:123]
	v_fma_f64 v[1:2], v[1:2], v[120:121], -v[116:117]
	v_fma_f64 v[3:4], v[3:4], v[120:121], v[122:123]
	buffer_store_dword v2, off, s[0:3], 0 offset:404
	buffer_store_dword v1, off, s[0:3], 0 offset:400
	;; [unrolled: 1-line block ×4, first 2 shown]
.LBB53_623:
	s_or_b32 exec_lo, exec_lo, s4
	v_mov_b32_e32 v4, s36
	s_mov_b32 s4, exec_lo
	s_clause 0x3
	buffer_load_dword v1, v4, s[0:3], 0 offen
	buffer_load_dword v2, v4, s[0:3], 0 offen offset:4
	buffer_load_dword v3, v4, s[0:3], 0 offen offset:8
	;; [unrolled: 1-line block ×3, first 2 shown]
	s_waitcnt vmcnt(0)
	ds_write_b128 v114, v[1:4]
	s_waitcnt lgkmcnt(0)
	s_waitcnt_vscnt null, 0x0
	s_barrier
	buffer_gl0_inv
	v_cmpx_gt_u32_e32 26, v0
	s_cbranch_execz .LBB53_631
; %bb.624:
	ds_read_b128 v[1:4], v114
	v_cmp_ne_u32_e32 vcc_lo, 1, v115
	s_cbranch_vccnz .LBB53_626
; %bb.625:
	s_clause 0x3
	buffer_load_dword v116, v113, s[0:3], 0 offen offset:8
	buffer_load_dword v117, v113, s[0:3], 0 offen offset:12
	buffer_load_dword v120, v113, s[0:3], 0 offen
	buffer_load_dword v121, v113, s[0:3], 0 offen offset:4
	s_waitcnt vmcnt(2) lgkmcnt(0)
	v_mul_f64 v[122:123], v[3:4], v[116:117]
	v_mul_f64 v[116:117], v[1:2], v[116:117]
	s_waitcnt vmcnt(0)
	v_fma_f64 v[1:2], v[1:2], v[120:121], -v[122:123]
	v_fma_f64 v[3:4], v[3:4], v[120:121], v[116:117]
.LBB53_626:
	s_mov_b32 s6, exec_lo
	v_cmpx_ne_u32_e32 25, v0
	s_cbranch_execz .LBB53_630
; %bb.627:
	v_add_nc_u32_e32 v116, 0x370, v119
	v_add3_u32 v117, 0, v119, 16
	v_mov_b32_e32 v118, v0
	s_mov_b32 s8, 0
	.p2align	6
.LBB53_628:                             ; =>This Inner Loop Header: Depth=1
	s_clause 0x3
	buffer_load_dword v124, v117, s[0:3], 0 offen offset:8
	buffer_load_dword v125, v117, s[0:3], 0 offen offset:12
	buffer_load_dword v126, v117, s[0:3], 0 offen
	buffer_load_dword v127, v117, s[0:3], 0 offen offset:4
	ds_read_b128 v[120:123], v116
	v_add_nc_u32_e32 v118, 1, v118
	v_add_nc_u32_e32 v116, 16, v116
	;; [unrolled: 1-line block ×3, first 2 shown]
	v_cmp_lt_u32_e32 vcc_lo, 24, v118
	s_or_b32 s8, vcc_lo, s8
	s_waitcnt vmcnt(2) lgkmcnt(0)
	v_mul_f64 v[128:129], v[122:123], v[124:125]
	v_mul_f64 v[124:125], v[120:121], v[124:125]
	s_waitcnt vmcnt(0)
	v_fma_f64 v[120:121], v[120:121], v[126:127], -v[128:129]
	v_fma_f64 v[122:123], v[122:123], v[126:127], v[124:125]
	v_add_f64 v[1:2], v[1:2], v[120:121]
	v_add_f64 v[3:4], v[3:4], v[122:123]
	s_andn2_b32 exec_lo, exec_lo, s8
	s_cbranch_execnz .LBB53_628
; %bb.629:
	s_or_b32 exec_lo, exec_lo, s8
.LBB53_630:
	s_or_b32 exec_lo, exec_lo, s6
	v_mov_b32_e32 v116, 0
	ds_read_b128 v[120:123], v116 offset:416
	s_waitcnt lgkmcnt(0)
	v_mul_f64 v[116:117], v[3:4], v[122:123]
	v_mul_f64 v[122:123], v[1:2], v[122:123]
	v_fma_f64 v[1:2], v[1:2], v[120:121], -v[116:117]
	v_fma_f64 v[3:4], v[3:4], v[120:121], v[122:123]
	buffer_store_dword v2, off, s[0:3], 0 offset:420
	buffer_store_dword v1, off, s[0:3], 0 offset:416
	;; [unrolled: 1-line block ×4, first 2 shown]
.LBB53_631:
	s_or_b32 exec_lo, exec_lo, s4
	v_mov_b32_e32 v4, s35
	s_mov_b32 s4, exec_lo
	s_clause 0x3
	buffer_load_dword v1, v4, s[0:3], 0 offen
	buffer_load_dword v2, v4, s[0:3], 0 offen offset:4
	buffer_load_dword v3, v4, s[0:3], 0 offen offset:8
	buffer_load_dword v4, v4, s[0:3], 0 offen offset:12
	s_waitcnt vmcnt(0)
	ds_write_b128 v114, v[1:4]
	s_waitcnt lgkmcnt(0)
	s_waitcnt_vscnt null, 0x0
	s_barrier
	buffer_gl0_inv
	v_cmpx_gt_u32_e32 27, v0
	s_cbranch_execz .LBB53_639
; %bb.632:
	ds_read_b128 v[1:4], v114
	v_cmp_ne_u32_e32 vcc_lo, 1, v115
	s_cbranch_vccnz .LBB53_634
; %bb.633:
	s_clause 0x3
	buffer_load_dword v116, v113, s[0:3], 0 offen offset:8
	buffer_load_dword v117, v113, s[0:3], 0 offen offset:12
	buffer_load_dword v120, v113, s[0:3], 0 offen
	buffer_load_dword v121, v113, s[0:3], 0 offen offset:4
	s_waitcnt vmcnt(2) lgkmcnt(0)
	v_mul_f64 v[122:123], v[3:4], v[116:117]
	v_mul_f64 v[116:117], v[1:2], v[116:117]
	s_waitcnt vmcnt(0)
	v_fma_f64 v[1:2], v[1:2], v[120:121], -v[122:123]
	v_fma_f64 v[3:4], v[3:4], v[120:121], v[116:117]
.LBB53_634:
	s_mov_b32 s6, exec_lo
	v_cmpx_ne_u32_e32 26, v0
	s_cbranch_execz .LBB53_638
; %bb.635:
	v_add_nc_u32_e32 v116, 0x370, v119
	v_add3_u32 v117, 0, v119, 16
	v_mov_b32_e32 v118, v0
	s_mov_b32 s8, 0
	.p2align	6
.LBB53_636:                             ; =>This Inner Loop Header: Depth=1
	s_clause 0x3
	buffer_load_dword v124, v117, s[0:3], 0 offen offset:8
	buffer_load_dword v125, v117, s[0:3], 0 offen offset:12
	buffer_load_dword v126, v117, s[0:3], 0 offen
	buffer_load_dword v127, v117, s[0:3], 0 offen offset:4
	ds_read_b128 v[120:123], v116
	v_add_nc_u32_e32 v118, 1, v118
	v_add_nc_u32_e32 v116, 16, v116
	;; [unrolled: 1-line block ×3, first 2 shown]
	v_cmp_lt_u32_e32 vcc_lo, 25, v118
	s_or_b32 s8, vcc_lo, s8
	s_waitcnt vmcnt(2) lgkmcnt(0)
	v_mul_f64 v[128:129], v[122:123], v[124:125]
	v_mul_f64 v[124:125], v[120:121], v[124:125]
	s_waitcnt vmcnt(0)
	v_fma_f64 v[120:121], v[120:121], v[126:127], -v[128:129]
	v_fma_f64 v[122:123], v[122:123], v[126:127], v[124:125]
	v_add_f64 v[1:2], v[1:2], v[120:121]
	v_add_f64 v[3:4], v[3:4], v[122:123]
	s_andn2_b32 exec_lo, exec_lo, s8
	s_cbranch_execnz .LBB53_636
; %bb.637:
	s_or_b32 exec_lo, exec_lo, s8
.LBB53_638:
	s_or_b32 exec_lo, exec_lo, s6
	v_mov_b32_e32 v116, 0
	ds_read_b128 v[120:123], v116 offset:432
	s_waitcnt lgkmcnt(0)
	v_mul_f64 v[116:117], v[3:4], v[122:123]
	v_mul_f64 v[122:123], v[1:2], v[122:123]
	v_fma_f64 v[1:2], v[1:2], v[120:121], -v[116:117]
	v_fma_f64 v[3:4], v[3:4], v[120:121], v[122:123]
	buffer_store_dword v2, off, s[0:3], 0 offset:436
	buffer_store_dword v1, off, s[0:3], 0 offset:432
	;; [unrolled: 1-line block ×4, first 2 shown]
.LBB53_639:
	s_or_b32 exec_lo, exec_lo, s4
	v_mov_b32_e32 v4, s34
	s_mov_b32 s4, exec_lo
	s_clause 0x3
	buffer_load_dword v1, v4, s[0:3], 0 offen
	buffer_load_dword v2, v4, s[0:3], 0 offen offset:4
	buffer_load_dword v3, v4, s[0:3], 0 offen offset:8
	;; [unrolled: 1-line block ×3, first 2 shown]
	s_waitcnt vmcnt(0)
	ds_write_b128 v114, v[1:4]
	s_waitcnt lgkmcnt(0)
	s_waitcnt_vscnt null, 0x0
	s_barrier
	buffer_gl0_inv
	v_cmpx_gt_u32_e32 28, v0
	s_cbranch_execz .LBB53_647
; %bb.640:
	ds_read_b128 v[1:4], v114
	v_cmp_ne_u32_e32 vcc_lo, 1, v115
	s_cbranch_vccnz .LBB53_642
; %bb.641:
	s_clause 0x3
	buffer_load_dword v116, v113, s[0:3], 0 offen offset:8
	buffer_load_dword v117, v113, s[0:3], 0 offen offset:12
	buffer_load_dword v120, v113, s[0:3], 0 offen
	buffer_load_dword v121, v113, s[0:3], 0 offen offset:4
	s_waitcnt vmcnt(2) lgkmcnt(0)
	v_mul_f64 v[122:123], v[3:4], v[116:117]
	v_mul_f64 v[116:117], v[1:2], v[116:117]
	s_waitcnt vmcnt(0)
	v_fma_f64 v[1:2], v[1:2], v[120:121], -v[122:123]
	v_fma_f64 v[3:4], v[3:4], v[120:121], v[116:117]
.LBB53_642:
	s_mov_b32 s6, exec_lo
	v_cmpx_ne_u32_e32 27, v0
	s_cbranch_execz .LBB53_646
; %bb.643:
	v_add_nc_u32_e32 v116, 0x370, v119
	v_add3_u32 v117, 0, v119, 16
	v_mov_b32_e32 v118, v0
	s_mov_b32 s8, 0
	.p2align	6
.LBB53_644:                             ; =>This Inner Loop Header: Depth=1
	s_clause 0x3
	buffer_load_dword v124, v117, s[0:3], 0 offen offset:8
	buffer_load_dword v125, v117, s[0:3], 0 offen offset:12
	buffer_load_dword v126, v117, s[0:3], 0 offen
	buffer_load_dword v127, v117, s[0:3], 0 offen offset:4
	ds_read_b128 v[120:123], v116
	v_add_nc_u32_e32 v118, 1, v118
	v_add_nc_u32_e32 v116, 16, v116
	;; [unrolled: 1-line block ×3, first 2 shown]
	v_cmp_lt_u32_e32 vcc_lo, 26, v118
	s_or_b32 s8, vcc_lo, s8
	s_waitcnt vmcnt(2) lgkmcnt(0)
	v_mul_f64 v[128:129], v[122:123], v[124:125]
	v_mul_f64 v[124:125], v[120:121], v[124:125]
	s_waitcnt vmcnt(0)
	v_fma_f64 v[120:121], v[120:121], v[126:127], -v[128:129]
	v_fma_f64 v[122:123], v[122:123], v[126:127], v[124:125]
	v_add_f64 v[1:2], v[1:2], v[120:121]
	v_add_f64 v[3:4], v[3:4], v[122:123]
	s_andn2_b32 exec_lo, exec_lo, s8
	s_cbranch_execnz .LBB53_644
; %bb.645:
	s_or_b32 exec_lo, exec_lo, s8
.LBB53_646:
	s_or_b32 exec_lo, exec_lo, s6
	v_mov_b32_e32 v116, 0
	ds_read_b128 v[120:123], v116 offset:448
	s_waitcnt lgkmcnt(0)
	v_mul_f64 v[116:117], v[3:4], v[122:123]
	v_mul_f64 v[122:123], v[1:2], v[122:123]
	v_fma_f64 v[1:2], v[1:2], v[120:121], -v[116:117]
	v_fma_f64 v[3:4], v[3:4], v[120:121], v[122:123]
	buffer_store_dword v2, off, s[0:3], 0 offset:452
	buffer_store_dword v1, off, s[0:3], 0 offset:448
	;; [unrolled: 1-line block ×4, first 2 shown]
.LBB53_647:
	s_or_b32 exec_lo, exec_lo, s4
	v_mov_b32_e32 v4, s33
	s_mov_b32 s4, exec_lo
	s_clause 0x3
	buffer_load_dword v1, v4, s[0:3], 0 offen
	buffer_load_dword v2, v4, s[0:3], 0 offen offset:4
	buffer_load_dword v3, v4, s[0:3], 0 offen offset:8
	;; [unrolled: 1-line block ×3, first 2 shown]
	s_waitcnt vmcnt(0)
	ds_write_b128 v114, v[1:4]
	s_waitcnt lgkmcnt(0)
	s_waitcnt_vscnt null, 0x0
	s_barrier
	buffer_gl0_inv
	v_cmpx_gt_u32_e32 29, v0
	s_cbranch_execz .LBB53_655
; %bb.648:
	ds_read_b128 v[1:4], v114
	v_cmp_ne_u32_e32 vcc_lo, 1, v115
	s_cbranch_vccnz .LBB53_650
; %bb.649:
	s_clause 0x3
	buffer_load_dword v116, v113, s[0:3], 0 offen offset:8
	buffer_load_dword v117, v113, s[0:3], 0 offen offset:12
	buffer_load_dword v120, v113, s[0:3], 0 offen
	buffer_load_dword v121, v113, s[0:3], 0 offen offset:4
	s_waitcnt vmcnt(2) lgkmcnt(0)
	v_mul_f64 v[122:123], v[3:4], v[116:117]
	v_mul_f64 v[116:117], v[1:2], v[116:117]
	s_waitcnt vmcnt(0)
	v_fma_f64 v[1:2], v[1:2], v[120:121], -v[122:123]
	v_fma_f64 v[3:4], v[3:4], v[120:121], v[116:117]
.LBB53_650:
	s_mov_b32 s6, exec_lo
	v_cmpx_ne_u32_e32 28, v0
	s_cbranch_execz .LBB53_654
; %bb.651:
	v_add_nc_u32_e32 v116, 0x370, v119
	v_add3_u32 v117, 0, v119, 16
	v_mov_b32_e32 v118, v0
	s_mov_b32 s8, 0
	.p2align	6
.LBB53_652:                             ; =>This Inner Loop Header: Depth=1
	s_clause 0x3
	buffer_load_dword v124, v117, s[0:3], 0 offen offset:8
	buffer_load_dword v125, v117, s[0:3], 0 offen offset:12
	buffer_load_dword v126, v117, s[0:3], 0 offen
	buffer_load_dword v127, v117, s[0:3], 0 offen offset:4
	ds_read_b128 v[120:123], v116
	v_add_nc_u32_e32 v118, 1, v118
	v_add_nc_u32_e32 v116, 16, v116
	;; [unrolled: 1-line block ×3, first 2 shown]
	v_cmp_lt_u32_e32 vcc_lo, 27, v118
	s_or_b32 s8, vcc_lo, s8
	s_waitcnt vmcnt(2) lgkmcnt(0)
	v_mul_f64 v[128:129], v[122:123], v[124:125]
	v_mul_f64 v[124:125], v[120:121], v[124:125]
	s_waitcnt vmcnt(0)
	v_fma_f64 v[120:121], v[120:121], v[126:127], -v[128:129]
	v_fma_f64 v[122:123], v[122:123], v[126:127], v[124:125]
	v_add_f64 v[1:2], v[1:2], v[120:121]
	v_add_f64 v[3:4], v[3:4], v[122:123]
	s_andn2_b32 exec_lo, exec_lo, s8
	s_cbranch_execnz .LBB53_652
; %bb.653:
	s_or_b32 exec_lo, exec_lo, s8
.LBB53_654:
	s_or_b32 exec_lo, exec_lo, s6
	v_mov_b32_e32 v116, 0
	ds_read_b128 v[120:123], v116 offset:464
	s_waitcnt lgkmcnt(0)
	v_mul_f64 v[116:117], v[3:4], v[122:123]
	v_mul_f64 v[122:123], v[1:2], v[122:123]
	v_fma_f64 v[1:2], v[1:2], v[120:121], -v[116:117]
	v_fma_f64 v[3:4], v[3:4], v[120:121], v[122:123]
	buffer_store_dword v2, off, s[0:3], 0 offset:468
	buffer_store_dword v1, off, s[0:3], 0 offset:464
	;; [unrolled: 1-line block ×4, first 2 shown]
.LBB53_655:
	s_or_b32 exec_lo, exec_lo, s4
	v_mov_b32_e32 v4, s31
	s_mov_b32 s4, exec_lo
	s_clause 0x3
	buffer_load_dword v1, v4, s[0:3], 0 offen
	buffer_load_dword v2, v4, s[0:3], 0 offen offset:4
	buffer_load_dword v3, v4, s[0:3], 0 offen offset:8
	;; [unrolled: 1-line block ×3, first 2 shown]
	s_waitcnt vmcnt(0)
	ds_write_b128 v114, v[1:4]
	s_waitcnt lgkmcnt(0)
	s_waitcnt_vscnt null, 0x0
	s_barrier
	buffer_gl0_inv
	v_cmpx_gt_u32_e32 30, v0
	s_cbranch_execz .LBB53_663
; %bb.656:
	ds_read_b128 v[1:4], v114
	v_cmp_ne_u32_e32 vcc_lo, 1, v115
	s_cbranch_vccnz .LBB53_658
; %bb.657:
	s_clause 0x3
	buffer_load_dword v116, v113, s[0:3], 0 offen offset:8
	buffer_load_dword v117, v113, s[0:3], 0 offen offset:12
	buffer_load_dword v120, v113, s[0:3], 0 offen
	buffer_load_dword v121, v113, s[0:3], 0 offen offset:4
	s_waitcnt vmcnt(2) lgkmcnt(0)
	v_mul_f64 v[122:123], v[3:4], v[116:117]
	v_mul_f64 v[116:117], v[1:2], v[116:117]
	s_waitcnt vmcnt(0)
	v_fma_f64 v[1:2], v[1:2], v[120:121], -v[122:123]
	v_fma_f64 v[3:4], v[3:4], v[120:121], v[116:117]
.LBB53_658:
	s_mov_b32 s6, exec_lo
	v_cmpx_ne_u32_e32 29, v0
	s_cbranch_execz .LBB53_662
; %bb.659:
	v_add_nc_u32_e32 v116, 0x370, v119
	v_add3_u32 v117, 0, v119, 16
	v_mov_b32_e32 v118, v0
	s_mov_b32 s8, 0
	.p2align	6
.LBB53_660:                             ; =>This Inner Loop Header: Depth=1
	s_clause 0x3
	buffer_load_dword v124, v117, s[0:3], 0 offen offset:8
	buffer_load_dword v125, v117, s[0:3], 0 offen offset:12
	buffer_load_dword v126, v117, s[0:3], 0 offen
	buffer_load_dword v127, v117, s[0:3], 0 offen offset:4
	ds_read_b128 v[120:123], v116
	v_add_nc_u32_e32 v118, 1, v118
	v_add_nc_u32_e32 v116, 16, v116
	v_add_nc_u32_e32 v117, 16, v117
	v_cmp_lt_u32_e32 vcc_lo, 28, v118
	s_or_b32 s8, vcc_lo, s8
	s_waitcnt vmcnt(2) lgkmcnt(0)
	v_mul_f64 v[128:129], v[122:123], v[124:125]
	v_mul_f64 v[124:125], v[120:121], v[124:125]
	s_waitcnt vmcnt(0)
	v_fma_f64 v[120:121], v[120:121], v[126:127], -v[128:129]
	v_fma_f64 v[122:123], v[122:123], v[126:127], v[124:125]
	v_add_f64 v[1:2], v[1:2], v[120:121]
	v_add_f64 v[3:4], v[3:4], v[122:123]
	s_andn2_b32 exec_lo, exec_lo, s8
	s_cbranch_execnz .LBB53_660
; %bb.661:
	s_or_b32 exec_lo, exec_lo, s8
.LBB53_662:
	s_or_b32 exec_lo, exec_lo, s6
	v_mov_b32_e32 v116, 0
	ds_read_b128 v[120:123], v116 offset:480
	s_waitcnt lgkmcnt(0)
	v_mul_f64 v[116:117], v[3:4], v[122:123]
	v_mul_f64 v[122:123], v[1:2], v[122:123]
	v_fma_f64 v[1:2], v[1:2], v[120:121], -v[116:117]
	v_fma_f64 v[3:4], v[3:4], v[120:121], v[122:123]
	buffer_store_dword v2, off, s[0:3], 0 offset:484
	buffer_store_dword v1, off, s[0:3], 0 offset:480
	;; [unrolled: 1-line block ×4, first 2 shown]
.LBB53_663:
	s_or_b32 exec_lo, exec_lo, s4
	v_mov_b32_e32 v4, s30
	s_mov_b32 s4, exec_lo
	s_clause 0x3
	buffer_load_dword v1, v4, s[0:3], 0 offen
	buffer_load_dword v2, v4, s[0:3], 0 offen offset:4
	buffer_load_dword v3, v4, s[0:3], 0 offen offset:8
	;; [unrolled: 1-line block ×3, first 2 shown]
	s_waitcnt vmcnt(0)
	ds_write_b128 v114, v[1:4]
	s_waitcnt lgkmcnt(0)
	s_waitcnt_vscnt null, 0x0
	s_barrier
	buffer_gl0_inv
	v_cmpx_gt_u32_e32 31, v0
	s_cbranch_execz .LBB53_671
; %bb.664:
	ds_read_b128 v[1:4], v114
	v_cmp_ne_u32_e32 vcc_lo, 1, v115
	s_cbranch_vccnz .LBB53_666
; %bb.665:
	s_clause 0x3
	buffer_load_dword v116, v113, s[0:3], 0 offen offset:8
	buffer_load_dword v117, v113, s[0:3], 0 offen offset:12
	buffer_load_dword v120, v113, s[0:3], 0 offen
	buffer_load_dword v121, v113, s[0:3], 0 offen offset:4
	s_waitcnt vmcnt(2) lgkmcnt(0)
	v_mul_f64 v[122:123], v[3:4], v[116:117]
	v_mul_f64 v[116:117], v[1:2], v[116:117]
	s_waitcnt vmcnt(0)
	v_fma_f64 v[1:2], v[1:2], v[120:121], -v[122:123]
	v_fma_f64 v[3:4], v[3:4], v[120:121], v[116:117]
.LBB53_666:
	s_mov_b32 s6, exec_lo
	v_cmpx_ne_u32_e32 30, v0
	s_cbranch_execz .LBB53_670
; %bb.667:
	v_add_nc_u32_e32 v116, 0x370, v119
	v_add3_u32 v117, 0, v119, 16
	v_mov_b32_e32 v118, v0
	s_mov_b32 s8, 0
	.p2align	6
.LBB53_668:                             ; =>This Inner Loop Header: Depth=1
	s_clause 0x3
	buffer_load_dword v124, v117, s[0:3], 0 offen offset:8
	buffer_load_dword v125, v117, s[0:3], 0 offen offset:12
	buffer_load_dword v126, v117, s[0:3], 0 offen
	buffer_load_dword v127, v117, s[0:3], 0 offen offset:4
	ds_read_b128 v[120:123], v116
	v_add_nc_u32_e32 v118, 1, v118
	v_add_nc_u32_e32 v116, 16, v116
	;; [unrolled: 1-line block ×3, first 2 shown]
	v_cmp_lt_u32_e32 vcc_lo, 29, v118
	s_or_b32 s8, vcc_lo, s8
	s_waitcnt vmcnt(2) lgkmcnt(0)
	v_mul_f64 v[128:129], v[122:123], v[124:125]
	v_mul_f64 v[124:125], v[120:121], v[124:125]
	s_waitcnt vmcnt(0)
	v_fma_f64 v[120:121], v[120:121], v[126:127], -v[128:129]
	v_fma_f64 v[122:123], v[122:123], v[126:127], v[124:125]
	v_add_f64 v[1:2], v[1:2], v[120:121]
	v_add_f64 v[3:4], v[3:4], v[122:123]
	s_andn2_b32 exec_lo, exec_lo, s8
	s_cbranch_execnz .LBB53_668
; %bb.669:
	s_or_b32 exec_lo, exec_lo, s8
.LBB53_670:
	s_or_b32 exec_lo, exec_lo, s6
	v_mov_b32_e32 v116, 0
	ds_read_b128 v[120:123], v116 offset:496
	s_waitcnt lgkmcnt(0)
	v_mul_f64 v[116:117], v[3:4], v[122:123]
	v_mul_f64 v[122:123], v[1:2], v[122:123]
	v_fma_f64 v[1:2], v[1:2], v[120:121], -v[116:117]
	v_fma_f64 v[3:4], v[3:4], v[120:121], v[122:123]
	buffer_store_dword v2, off, s[0:3], 0 offset:500
	buffer_store_dword v1, off, s[0:3], 0 offset:496
	;; [unrolled: 1-line block ×4, first 2 shown]
.LBB53_671:
	s_or_b32 exec_lo, exec_lo, s4
	v_mov_b32_e32 v4, s29
	s_mov_b32 s4, exec_lo
	s_clause 0x3
	buffer_load_dword v1, v4, s[0:3], 0 offen
	buffer_load_dword v2, v4, s[0:3], 0 offen offset:4
	buffer_load_dword v3, v4, s[0:3], 0 offen offset:8
	buffer_load_dword v4, v4, s[0:3], 0 offen offset:12
	s_waitcnt vmcnt(0)
	ds_write_b128 v114, v[1:4]
	s_waitcnt lgkmcnt(0)
	s_waitcnt_vscnt null, 0x0
	s_barrier
	buffer_gl0_inv
	v_cmpx_gt_u32_e32 32, v0
	s_cbranch_execz .LBB53_679
; %bb.672:
	ds_read_b128 v[1:4], v114
	v_cmp_ne_u32_e32 vcc_lo, 1, v115
	s_cbranch_vccnz .LBB53_674
; %bb.673:
	s_clause 0x3
	buffer_load_dword v116, v113, s[0:3], 0 offen offset:8
	buffer_load_dword v117, v113, s[0:3], 0 offen offset:12
	buffer_load_dword v120, v113, s[0:3], 0 offen
	buffer_load_dword v121, v113, s[0:3], 0 offen offset:4
	s_waitcnt vmcnt(2) lgkmcnt(0)
	v_mul_f64 v[122:123], v[3:4], v[116:117]
	v_mul_f64 v[116:117], v[1:2], v[116:117]
	s_waitcnt vmcnt(0)
	v_fma_f64 v[1:2], v[1:2], v[120:121], -v[122:123]
	v_fma_f64 v[3:4], v[3:4], v[120:121], v[116:117]
.LBB53_674:
	s_mov_b32 s6, exec_lo
	v_cmpx_ne_u32_e32 31, v0
	s_cbranch_execz .LBB53_678
; %bb.675:
	v_add_nc_u32_e32 v116, 0x370, v119
	v_add3_u32 v117, 0, v119, 16
	v_mov_b32_e32 v118, v0
	s_mov_b32 s8, 0
	.p2align	6
.LBB53_676:                             ; =>This Inner Loop Header: Depth=1
	s_clause 0x3
	buffer_load_dword v124, v117, s[0:3], 0 offen offset:8
	buffer_load_dword v125, v117, s[0:3], 0 offen offset:12
	buffer_load_dword v126, v117, s[0:3], 0 offen
	buffer_load_dword v127, v117, s[0:3], 0 offen offset:4
	ds_read_b128 v[120:123], v116
	v_add_nc_u32_e32 v118, 1, v118
	v_add_nc_u32_e32 v116, 16, v116
	v_add_nc_u32_e32 v117, 16, v117
	v_cmp_lt_u32_e32 vcc_lo, 30, v118
	s_or_b32 s8, vcc_lo, s8
	s_waitcnt vmcnt(2) lgkmcnt(0)
	v_mul_f64 v[128:129], v[122:123], v[124:125]
	v_mul_f64 v[124:125], v[120:121], v[124:125]
	s_waitcnt vmcnt(0)
	v_fma_f64 v[120:121], v[120:121], v[126:127], -v[128:129]
	v_fma_f64 v[122:123], v[122:123], v[126:127], v[124:125]
	v_add_f64 v[1:2], v[1:2], v[120:121]
	v_add_f64 v[3:4], v[3:4], v[122:123]
	s_andn2_b32 exec_lo, exec_lo, s8
	s_cbranch_execnz .LBB53_676
; %bb.677:
	s_or_b32 exec_lo, exec_lo, s8
.LBB53_678:
	s_or_b32 exec_lo, exec_lo, s6
	v_mov_b32_e32 v116, 0
	ds_read_b128 v[120:123], v116 offset:512
	s_waitcnt lgkmcnt(0)
	v_mul_f64 v[116:117], v[3:4], v[122:123]
	v_mul_f64 v[122:123], v[1:2], v[122:123]
	v_fma_f64 v[1:2], v[1:2], v[120:121], -v[116:117]
	v_fma_f64 v[3:4], v[3:4], v[120:121], v[122:123]
	buffer_store_dword v2, off, s[0:3], 0 offset:516
	buffer_store_dword v1, off, s[0:3], 0 offset:512
	;; [unrolled: 1-line block ×4, first 2 shown]
.LBB53_679:
	s_or_b32 exec_lo, exec_lo, s4
	v_mov_b32_e32 v4, s28
	s_mov_b32 s4, exec_lo
	s_clause 0x3
	buffer_load_dword v1, v4, s[0:3], 0 offen
	buffer_load_dword v2, v4, s[0:3], 0 offen offset:4
	buffer_load_dword v3, v4, s[0:3], 0 offen offset:8
	buffer_load_dword v4, v4, s[0:3], 0 offen offset:12
	s_waitcnt vmcnt(0)
	ds_write_b128 v114, v[1:4]
	s_waitcnt lgkmcnt(0)
	s_waitcnt_vscnt null, 0x0
	s_barrier
	buffer_gl0_inv
	v_cmpx_gt_u32_e32 33, v0
	s_cbranch_execz .LBB53_687
; %bb.680:
	ds_read_b128 v[1:4], v114
	v_cmp_ne_u32_e32 vcc_lo, 1, v115
	s_cbranch_vccnz .LBB53_682
; %bb.681:
	s_clause 0x3
	buffer_load_dword v116, v113, s[0:3], 0 offen offset:8
	buffer_load_dword v117, v113, s[0:3], 0 offen offset:12
	buffer_load_dword v120, v113, s[0:3], 0 offen
	buffer_load_dword v121, v113, s[0:3], 0 offen offset:4
	s_waitcnt vmcnt(2) lgkmcnt(0)
	v_mul_f64 v[122:123], v[3:4], v[116:117]
	v_mul_f64 v[116:117], v[1:2], v[116:117]
	s_waitcnt vmcnt(0)
	v_fma_f64 v[1:2], v[1:2], v[120:121], -v[122:123]
	v_fma_f64 v[3:4], v[3:4], v[120:121], v[116:117]
.LBB53_682:
	s_mov_b32 s6, exec_lo
	v_cmpx_ne_u32_e32 32, v0
	s_cbranch_execz .LBB53_686
; %bb.683:
	v_add_nc_u32_e32 v116, 0x370, v119
	v_add3_u32 v117, 0, v119, 16
	v_mov_b32_e32 v118, v0
	s_mov_b32 s8, 0
	.p2align	6
.LBB53_684:                             ; =>This Inner Loop Header: Depth=1
	s_clause 0x3
	buffer_load_dword v124, v117, s[0:3], 0 offen offset:8
	buffer_load_dword v125, v117, s[0:3], 0 offen offset:12
	buffer_load_dword v126, v117, s[0:3], 0 offen
	buffer_load_dword v127, v117, s[0:3], 0 offen offset:4
	ds_read_b128 v[120:123], v116
	v_add_nc_u32_e32 v118, 1, v118
	v_add_nc_u32_e32 v116, 16, v116
	;; [unrolled: 1-line block ×3, first 2 shown]
	v_cmp_lt_u32_e32 vcc_lo, 31, v118
	s_or_b32 s8, vcc_lo, s8
	s_waitcnt vmcnt(2) lgkmcnt(0)
	v_mul_f64 v[128:129], v[122:123], v[124:125]
	v_mul_f64 v[124:125], v[120:121], v[124:125]
	s_waitcnt vmcnt(0)
	v_fma_f64 v[120:121], v[120:121], v[126:127], -v[128:129]
	v_fma_f64 v[122:123], v[122:123], v[126:127], v[124:125]
	v_add_f64 v[1:2], v[1:2], v[120:121]
	v_add_f64 v[3:4], v[3:4], v[122:123]
	s_andn2_b32 exec_lo, exec_lo, s8
	s_cbranch_execnz .LBB53_684
; %bb.685:
	s_or_b32 exec_lo, exec_lo, s8
.LBB53_686:
	s_or_b32 exec_lo, exec_lo, s6
	v_mov_b32_e32 v116, 0
	ds_read_b128 v[120:123], v116 offset:528
	s_waitcnt lgkmcnt(0)
	v_mul_f64 v[116:117], v[3:4], v[122:123]
	v_mul_f64 v[122:123], v[1:2], v[122:123]
	v_fma_f64 v[1:2], v[1:2], v[120:121], -v[116:117]
	v_fma_f64 v[3:4], v[3:4], v[120:121], v[122:123]
	buffer_store_dword v2, off, s[0:3], 0 offset:532
	buffer_store_dword v1, off, s[0:3], 0 offset:528
	;; [unrolled: 1-line block ×4, first 2 shown]
.LBB53_687:
	s_or_b32 exec_lo, exec_lo, s4
	v_mov_b32_e32 v4, s27
	s_mov_b32 s4, exec_lo
	s_clause 0x3
	buffer_load_dword v1, v4, s[0:3], 0 offen
	buffer_load_dword v2, v4, s[0:3], 0 offen offset:4
	buffer_load_dword v3, v4, s[0:3], 0 offen offset:8
	;; [unrolled: 1-line block ×3, first 2 shown]
	s_waitcnt vmcnt(0)
	ds_write_b128 v114, v[1:4]
	s_waitcnt lgkmcnt(0)
	s_waitcnt_vscnt null, 0x0
	s_barrier
	buffer_gl0_inv
	v_cmpx_gt_u32_e32 34, v0
	s_cbranch_execz .LBB53_695
; %bb.688:
	ds_read_b128 v[1:4], v114
	v_cmp_ne_u32_e32 vcc_lo, 1, v115
	s_cbranch_vccnz .LBB53_690
; %bb.689:
	s_clause 0x3
	buffer_load_dword v116, v113, s[0:3], 0 offen offset:8
	buffer_load_dword v117, v113, s[0:3], 0 offen offset:12
	buffer_load_dword v120, v113, s[0:3], 0 offen
	buffer_load_dword v121, v113, s[0:3], 0 offen offset:4
	s_waitcnt vmcnt(2) lgkmcnt(0)
	v_mul_f64 v[122:123], v[3:4], v[116:117]
	v_mul_f64 v[116:117], v[1:2], v[116:117]
	s_waitcnt vmcnt(0)
	v_fma_f64 v[1:2], v[1:2], v[120:121], -v[122:123]
	v_fma_f64 v[3:4], v[3:4], v[120:121], v[116:117]
.LBB53_690:
	s_mov_b32 s6, exec_lo
	v_cmpx_ne_u32_e32 33, v0
	s_cbranch_execz .LBB53_694
; %bb.691:
	v_add_nc_u32_e32 v116, 0x370, v119
	v_add3_u32 v117, 0, v119, 16
	v_mov_b32_e32 v118, v0
	s_mov_b32 s8, 0
	.p2align	6
.LBB53_692:                             ; =>This Inner Loop Header: Depth=1
	s_clause 0x3
	buffer_load_dword v124, v117, s[0:3], 0 offen offset:8
	buffer_load_dword v125, v117, s[0:3], 0 offen offset:12
	buffer_load_dword v126, v117, s[0:3], 0 offen
	buffer_load_dword v127, v117, s[0:3], 0 offen offset:4
	ds_read_b128 v[120:123], v116
	v_add_nc_u32_e32 v118, 1, v118
	v_add_nc_u32_e32 v116, 16, v116
	;; [unrolled: 1-line block ×3, first 2 shown]
	v_cmp_lt_u32_e32 vcc_lo, 32, v118
	s_or_b32 s8, vcc_lo, s8
	s_waitcnt vmcnt(2) lgkmcnt(0)
	v_mul_f64 v[128:129], v[122:123], v[124:125]
	v_mul_f64 v[124:125], v[120:121], v[124:125]
	s_waitcnt vmcnt(0)
	v_fma_f64 v[120:121], v[120:121], v[126:127], -v[128:129]
	v_fma_f64 v[122:123], v[122:123], v[126:127], v[124:125]
	v_add_f64 v[1:2], v[1:2], v[120:121]
	v_add_f64 v[3:4], v[3:4], v[122:123]
	s_andn2_b32 exec_lo, exec_lo, s8
	s_cbranch_execnz .LBB53_692
; %bb.693:
	s_or_b32 exec_lo, exec_lo, s8
.LBB53_694:
	s_or_b32 exec_lo, exec_lo, s6
	v_mov_b32_e32 v116, 0
	ds_read_b128 v[120:123], v116 offset:544
	s_waitcnt lgkmcnt(0)
	v_mul_f64 v[116:117], v[3:4], v[122:123]
	v_mul_f64 v[122:123], v[1:2], v[122:123]
	v_fma_f64 v[1:2], v[1:2], v[120:121], -v[116:117]
	v_fma_f64 v[3:4], v[3:4], v[120:121], v[122:123]
	buffer_store_dword v2, off, s[0:3], 0 offset:548
	buffer_store_dword v1, off, s[0:3], 0 offset:544
	;; [unrolled: 1-line block ×4, first 2 shown]
.LBB53_695:
	s_or_b32 exec_lo, exec_lo, s4
	v_mov_b32_e32 v4, s26
	s_mov_b32 s4, exec_lo
	s_clause 0x3
	buffer_load_dword v1, v4, s[0:3], 0 offen
	buffer_load_dword v2, v4, s[0:3], 0 offen offset:4
	buffer_load_dword v3, v4, s[0:3], 0 offen offset:8
	;; [unrolled: 1-line block ×3, first 2 shown]
	s_waitcnt vmcnt(0)
	ds_write_b128 v114, v[1:4]
	s_waitcnt lgkmcnt(0)
	s_waitcnt_vscnt null, 0x0
	s_barrier
	buffer_gl0_inv
	v_cmpx_gt_u32_e32 35, v0
	s_cbranch_execz .LBB53_703
; %bb.696:
	ds_read_b128 v[1:4], v114
	v_cmp_ne_u32_e32 vcc_lo, 1, v115
	s_cbranch_vccnz .LBB53_698
; %bb.697:
	s_clause 0x3
	buffer_load_dword v116, v113, s[0:3], 0 offen offset:8
	buffer_load_dword v117, v113, s[0:3], 0 offen offset:12
	buffer_load_dword v120, v113, s[0:3], 0 offen
	buffer_load_dword v121, v113, s[0:3], 0 offen offset:4
	s_waitcnt vmcnt(2) lgkmcnt(0)
	v_mul_f64 v[122:123], v[3:4], v[116:117]
	v_mul_f64 v[116:117], v[1:2], v[116:117]
	s_waitcnt vmcnt(0)
	v_fma_f64 v[1:2], v[1:2], v[120:121], -v[122:123]
	v_fma_f64 v[3:4], v[3:4], v[120:121], v[116:117]
.LBB53_698:
	s_mov_b32 s6, exec_lo
	v_cmpx_ne_u32_e32 34, v0
	s_cbranch_execz .LBB53_702
; %bb.699:
	v_add_nc_u32_e32 v116, 0x370, v119
	v_add3_u32 v117, 0, v119, 16
	v_mov_b32_e32 v118, v0
	s_mov_b32 s8, 0
	.p2align	6
.LBB53_700:                             ; =>This Inner Loop Header: Depth=1
	s_clause 0x3
	buffer_load_dword v124, v117, s[0:3], 0 offen offset:8
	buffer_load_dword v125, v117, s[0:3], 0 offen offset:12
	buffer_load_dword v126, v117, s[0:3], 0 offen
	buffer_load_dword v127, v117, s[0:3], 0 offen offset:4
	ds_read_b128 v[120:123], v116
	v_add_nc_u32_e32 v118, 1, v118
	v_add_nc_u32_e32 v116, 16, v116
	;; [unrolled: 1-line block ×3, first 2 shown]
	v_cmp_lt_u32_e32 vcc_lo, 33, v118
	s_or_b32 s8, vcc_lo, s8
	s_waitcnt vmcnt(2) lgkmcnt(0)
	v_mul_f64 v[128:129], v[122:123], v[124:125]
	v_mul_f64 v[124:125], v[120:121], v[124:125]
	s_waitcnt vmcnt(0)
	v_fma_f64 v[120:121], v[120:121], v[126:127], -v[128:129]
	v_fma_f64 v[122:123], v[122:123], v[126:127], v[124:125]
	v_add_f64 v[1:2], v[1:2], v[120:121]
	v_add_f64 v[3:4], v[3:4], v[122:123]
	s_andn2_b32 exec_lo, exec_lo, s8
	s_cbranch_execnz .LBB53_700
; %bb.701:
	s_or_b32 exec_lo, exec_lo, s8
.LBB53_702:
	s_or_b32 exec_lo, exec_lo, s6
	v_mov_b32_e32 v116, 0
	ds_read_b128 v[120:123], v116 offset:560
	s_waitcnt lgkmcnt(0)
	v_mul_f64 v[116:117], v[3:4], v[122:123]
	v_mul_f64 v[122:123], v[1:2], v[122:123]
	v_fma_f64 v[1:2], v[1:2], v[120:121], -v[116:117]
	v_fma_f64 v[3:4], v[3:4], v[120:121], v[122:123]
	buffer_store_dword v2, off, s[0:3], 0 offset:564
	buffer_store_dword v1, off, s[0:3], 0 offset:560
	;; [unrolled: 1-line block ×4, first 2 shown]
.LBB53_703:
	s_or_b32 exec_lo, exec_lo, s4
	v_mov_b32_e32 v4, s25
	s_mov_b32 s4, exec_lo
	s_clause 0x3
	buffer_load_dword v1, v4, s[0:3], 0 offen
	buffer_load_dword v2, v4, s[0:3], 0 offen offset:4
	buffer_load_dword v3, v4, s[0:3], 0 offen offset:8
	;; [unrolled: 1-line block ×3, first 2 shown]
	s_waitcnt vmcnt(0)
	ds_write_b128 v114, v[1:4]
	s_waitcnt lgkmcnt(0)
	s_waitcnt_vscnt null, 0x0
	s_barrier
	buffer_gl0_inv
	v_cmpx_gt_u32_e32 36, v0
	s_cbranch_execz .LBB53_711
; %bb.704:
	ds_read_b128 v[1:4], v114
	v_cmp_ne_u32_e32 vcc_lo, 1, v115
	s_cbranch_vccnz .LBB53_706
; %bb.705:
	s_clause 0x3
	buffer_load_dword v116, v113, s[0:3], 0 offen offset:8
	buffer_load_dword v117, v113, s[0:3], 0 offen offset:12
	buffer_load_dword v120, v113, s[0:3], 0 offen
	buffer_load_dword v121, v113, s[0:3], 0 offen offset:4
	s_waitcnt vmcnt(2) lgkmcnt(0)
	v_mul_f64 v[122:123], v[3:4], v[116:117]
	v_mul_f64 v[116:117], v[1:2], v[116:117]
	s_waitcnt vmcnt(0)
	v_fma_f64 v[1:2], v[1:2], v[120:121], -v[122:123]
	v_fma_f64 v[3:4], v[3:4], v[120:121], v[116:117]
.LBB53_706:
	s_mov_b32 s6, exec_lo
	v_cmpx_ne_u32_e32 35, v0
	s_cbranch_execz .LBB53_710
; %bb.707:
	v_add_nc_u32_e32 v116, 0x370, v119
	v_add3_u32 v117, 0, v119, 16
	v_mov_b32_e32 v118, v0
	s_mov_b32 s8, 0
	.p2align	6
.LBB53_708:                             ; =>This Inner Loop Header: Depth=1
	s_clause 0x3
	buffer_load_dword v124, v117, s[0:3], 0 offen offset:8
	buffer_load_dword v125, v117, s[0:3], 0 offen offset:12
	buffer_load_dword v126, v117, s[0:3], 0 offen
	buffer_load_dword v127, v117, s[0:3], 0 offen offset:4
	ds_read_b128 v[120:123], v116
	v_add_nc_u32_e32 v118, 1, v118
	v_add_nc_u32_e32 v116, 16, v116
	;; [unrolled: 1-line block ×3, first 2 shown]
	v_cmp_lt_u32_e32 vcc_lo, 34, v118
	s_or_b32 s8, vcc_lo, s8
	s_waitcnt vmcnt(2) lgkmcnt(0)
	v_mul_f64 v[128:129], v[122:123], v[124:125]
	v_mul_f64 v[124:125], v[120:121], v[124:125]
	s_waitcnt vmcnt(0)
	v_fma_f64 v[120:121], v[120:121], v[126:127], -v[128:129]
	v_fma_f64 v[122:123], v[122:123], v[126:127], v[124:125]
	v_add_f64 v[1:2], v[1:2], v[120:121]
	v_add_f64 v[3:4], v[3:4], v[122:123]
	s_andn2_b32 exec_lo, exec_lo, s8
	s_cbranch_execnz .LBB53_708
; %bb.709:
	s_or_b32 exec_lo, exec_lo, s8
.LBB53_710:
	s_or_b32 exec_lo, exec_lo, s6
	v_mov_b32_e32 v116, 0
	ds_read_b128 v[120:123], v116 offset:576
	s_waitcnt lgkmcnt(0)
	v_mul_f64 v[116:117], v[3:4], v[122:123]
	v_mul_f64 v[122:123], v[1:2], v[122:123]
	v_fma_f64 v[1:2], v[1:2], v[120:121], -v[116:117]
	v_fma_f64 v[3:4], v[3:4], v[120:121], v[122:123]
	buffer_store_dword v2, off, s[0:3], 0 offset:580
	buffer_store_dword v1, off, s[0:3], 0 offset:576
	;; [unrolled: 1-line block ×4, first 2 shown]
.LBB53_711:
	s_or_b32 exec_lo, exec_lo, s4
	v_mov_b32_e32 v4, s24
	s_mov_b32 s4, exec_lo
	s_clause 0x3
	buffer_load_dword v1, v4, s[0:3], 0 offen
	buffer_load_dword v2, v4, s[0:3], 0 offen offset:4
	buffer_load_dword v3, v4, s[0:3], 0 offen offset:8
	;; [unrolled: 1-line block ×3, first 2 shown]
	s_waitcnt vmcnt(0)
	ds_write_b128 v114, v[1:4]
	s_waitcnt lgkmcnt(0)
	s_waitcnt_vscnt null, 0x0
	s_barrier
	buffer_gl0_inv
	v_cmpx_gt_u32_e32 37, v0
	s_cbranch_execz .LBB53_719
; %bb.712:
	ds_read_b128 v[1:4], v114
	v_cmp_ne_u32_e32 vcc_lo, 1, v115
	s_cbranch_vccnz .LBB53_714
; %bb.713:
	s_clause 0x3
	buffer_load_dword v116, v113, s[0:3], 0 offen offset:8
	buffer_load_dword v117, v113, s[0:3], 0 offen offset:12
	buffer_load_dword v120, v113, s[0:3], 0 offen
	buffer_load_dword v121, v113, s[0:3], 0 offen offset:4
	s_waitcnt vmcnt(2) lgkmcnt(0)
	v_mul_f64 v[122:123], v[3:4], v[116:117]
	v_mul_f64 v[116:117], v[1:2], v[116:117]
	s_waitcnt vmcnt(0)
	v_fma_f64 v[1:2], v[1:2], v[120:121], -v[122:123]
	v_fma_f64 v[3:4], v[3:4], v[120:121], v[116:117]
.LBB53_714:
	s_mov_b32 s6, exec_lo
	v_cmpx_ne_u32_e32 36, v0
	s_cbranch_execz .LBB53_718
; %bb.715:
	v_add_nc_u32_e32 v116, 0x370, v119
	v_add3_u32 v117, 0, v119, 16
	v_mov_b32_e32 v118, v0
	s_mov_b32 s8, 0
	.p2align	6
.LBB53_716:                             ; =>This Inner Loop Header: Depth=1
	s_clause 0x3
	buffer_load_dword v124, v117, s[0:3], 0 offen offset:8
	buffer_load_dword v125, v117, s[0:3], 0 offen offset:12
	buffer_load_dword v126, v117, s[0:3], 0 offen
	buffer_load_dword v127, v117, s[0:3], 0 offen offset:4
	ds_read_b128 v[120:123], v116
	v_add_nc_u32_e32 v118, 1, v118
	v_add_nc_u32_e32 v116, 16, v116
	v_add_nc_u32_e32 v117, 16, v117
	v_cmp_lt_u32_e32 vcc_lo, 35, v118
	s_or_b32 s8, vcc_lo, s8
	s_waitcnt vmcnt(2) lgkmcnt(0)
	v_mul_f64 v[128:129], v[122:123], v[124:125]
	v_mul_f64 v[124:125], v[120:121], v[124:125]
	s_waitcnt vmcnt(0)
	v_fma_f64 v[120:121], v[120:121], v[126:127], -v[128:129]
	v_fma_f64 v[122:123], v[122:123], v[126:127], v[124:125]
	v_add_f64 v[1:2], v[1:2], v[120:121]
	v_add_f64 v[3:4], v[3:4], v[122:123]
	s_andn2_b32 exec_lo, exec_lo, s8
	s_cbranch_execnz .LBB53_716
; %bb.717:
	s_or_b32 exec_lo, exec_lo, s8
.LBB53_718:
	s_or_b32 exec_lo, exec_lo, s6
	v_mov_b32_e32 v116, 0
	ds_read_b128 v[120:123], v116 offset:592
	s_waitcnt lgkmcnt(0)
	v_mul_f64 v[116:117], v[3:4], v[122:123]
	v_mul_f64 v[122:123], v[1:2], v[122:123]
	v_fma_f64 v[1:2], v[1:2], v[120:121], -v[116:117]
	v_fma_f64 v[3:4], v[3:4], v[120:121], v[122:123]
	buffer_store_dword v2, off, s[0:3], 0 offset:596
	buffer_store_dword v1, off, s[0:3], 0 offset:592
	buffer_store_dword v4, off, s[0:3], 0 offset:604
	buffer_store_dword v3, off, s[0:3], 0 offset:600
.LBB53_719:
	s_or_b32 exec_lo, exec_lo, s4
	v_mov_b32_e32 v4, s23
	s_mov_b32 s4, exec_lo
	s_clause 0x3
	buffer_load_dword v1, v4, s[0:3], 0 offen
	buffer_load_dword v2, v4, s[0:3], 0 offen offset:4
	buffer_load_dword v3, v4, s[0:3], 0 offen offset:8
	;; [unrolled: 1-line block ×3, first 2 shown]
	s_waitcnt vmcnt(0)
	ds_write_b128 v114, v[1:4]
	s_waitcnt lgkmcnt(0)
	s_waitcnt_vscnt null, 0x0
	s_barrier
	buffer_gl0_inv
	v_cmpx_gt_u32_e32 38, v0
	s_cbranch_execz .LBB53_727
; %bb.720:
	ds_read_b128 v[1:4], v114
	v_cmp_ne_u32_e32 vcc_lo, 1, v115
	s_cbranch_vccnz .LBB53_722
; %bb.721:
	s_clause 0x3
	buffer_load_dword v116, v113, s[0:3], 0 offen offset:8
	buffer_load_dword v117, v113, s[0:3], 0 offen offset:12
	buffer_load_dword v120, v113, s[0:3], 0 offen
	buffer_load_dword v121, v113, s[0:3], 0 offen offset:4
	s_waitcnt vmcnt(2) lgkmcnt(0)
	v_mul_f64 v[122:123], v[3:4], v[116:117]
	v_mul_f64 v[116:117], v[1:2], v[116:117]
	s_waitcnt vmcnt(0)
	v_fma_f64 v[1:2], v[1:2], v[120:121], -v[122:123]
	v_fma_f64 v[3:4], v[3:4], v[120:121], v[116:117]
.LBB53_722:
	s_mov_b32 s6, exec_lo
	v_cmpx_ne_u32_e32 37, v0
	s_cbranch_execz .LBB53_726
; %bb.723:
	v_add_nc_u32_e32 v116, 0x370, v119
	v_add3_u32 v117, 0, v119, 16
	v_mov_b32_e32 v118, v0
	s_mov_b32 s8, 0
	.p2align	6
.LBB53_724:                             ; =>This Inner Loop Header: Depth=1
	s_clause 0x3
	buffer_load_dword v124, v117, s[0:3], 0 offen offset:8
	buffer_load_dword v125, v117, s[0:3], 0 offen offset:12
	buffer_load_dword v126, v117, s[0:3], 0 offen
	buffer_load_dword v127, v117, s[0:3], 0 offen offset:4
	ds_read_b128 v[120:123], v116
	v_add_nc_u32_e32 v118, 1, v118
	v_add_nc_u32_e32 v116, 16, v116
	;; [unrolled: 1-line block ×3, first 2 shown]
	v_cmp_lt_u32_e32 vcc_lo, 36, v118
	s_or_b32 s8, vcc_lo, s8
	s_waitcnt vmcnt(2) lgkmcnt(0)
	v_mul_f64 v[128:129], v[122:123], v[124:125]
	v_mul_f64 v[124:125], v[120:121], v[124:125]
	s_waitcnt vmcnt(0)
	v_fma_f64 v[120:121], v[120:121], v[126:127], -v[128:129]
	v_fma_f64 v[122:123], v[122:123], v[126:127], v[124:125]
	v_add_f64 v[1:2], v[1:2], v[120:121]
	v_add_f64 v[3:4], v[3:4], v[122:123]
	s_andn2_b32 exec_lo, exec_lo, s8
	s_cbranch_execnz .LBB53_724
; %bb.725:
	s_or_b32 exec_lo, exec_lo, s8
.LBB53_726:
	s_or_b32 exec_lo, exec_lo, s6
	v_mov_b32_e32 v116, 0
	ds_read_b128 v[120:123], v116 offset:608
	s_waitcnt lgkmcnt(0)
	v_mul_f64 v[116:117], v[3:4], v[122:123]
	v_mul_f64 v[122:123], v[1:2], v[122:123]
	v_fma_f64 v[1:2], v[1:2], v[120:121], -v[116:117]
	v_fma_f64 v[3:4], v[3:4], v[120:121], v[122:123]
	buffer_store_dword v2, off, s[0:3], 0 offset:612
	buffer_store_dword v1, off, s[0:3], 0 offset:608
	buffer_store_dword v4, off, s[0:3], 0 offset:620
	buffer_store_dword v3, off, s[0:3], 0 offset:616
.LBB53_727:
	s_or_b32 exec_lo, exec_lo, s4
	v_mov_b32_e32 v4, s22
	s_mov_b32 s4, exec_lo
	s_clause 0x3
	buffer_load_dword v1, v4, s[0:3], 0 offen
	buffer_load_dword v2, v4, s[0:3], 0 offen offset:4
	buffer_load_dword v3, v4, s[0:3], 0 offen offset:8
	;; [unrolled: 1-line block ×3, first 2 shown]
	s_waitcnt vmcnt(0)
	ds_write_b128 v114, v[1:4]
	s_waitcnt lgkmcnt(0)
	s_waitcnt_vscnt null, 0x0
	s_barrier
	buffer_gl0_inv
	v_cmpx_gt_u32_e32 39, v0
	s_cbranch_execz .LBB53_735
; %bb.728:
	ds_read_b128 v[1:4], v114
	v_cmp_ne_u32_e32 vcc_lo, 1, v115
	s_cbranch_vccnz .LBB53_730
; %bb.729:
	s_clause 0x3
	buffer_load_dword v116, v113, s[0:3], 0 offen offset:8
	buffer_load_dword v117, v113, s[0:3], 0 offen offset:12
	buffer_load_dword v120, v113, s[0:3], 0 offen
	buffer_load_dword v121, v113, s[0:3], 0 offen offset:4
	s_waitcnt vmcnt(2) lgkmcnt(0)
	v_mul_f64 v[122:123], v[3:4], v[116:117]
	v_mul_f64 v[116:117], v[1:2], v[116:117]
	s_waitcnt vmcnt(0)
	v_fma_f64 v[1:2], v[1:2], v[120:121], -v[122:123]
	v_fma_f64 v[3:4], v[3:4], v[120:121], v[116:117]
.LBB53_730:
	s_mov_b32 s6, exec_lo
	v_cmpx_ne_u32_e32 38, v0
	s_cbranch_execz .LBB53_734
; %bb.731:
	v_add_nc_u32_e32 v116, 0x370, v119
	v_add3_u32 v117, 0, v119, 16
	v_mov_b32_e32 v118, v0
	s_mov_b32 s8, 0
	.p2align	6
.LBB53_732:                             ; =>This Inner Loop Header: Depth=1
	s_clause 0x3
	buffer_load_dword v124, v117, s[0:3], 0 offen offset:8
	buffer_load_dword v125, v117, s[0:3], 0 offen offset:12
	buffer_load_dword v126, v117, s[0:3], 0 offen
	buffer_load_dword v127, v117, s[0:3], 0 offen offset:4
	ds_read_b128 v[120:123], v116
	v_add_nc_u32_e32 v118, 1, v118
	v_add_nc_u32_e32 v116, 16, v116
	;; [unrolled: 1-line block ×3, first 2 shown]
	v_cmp_lt_u32_e32 vcc_lo, 37, v118
	s_or_b32 s8, vcc_lo, s8
	s_waitcnt vmcnt(2) lgkmcnt(0)
	v_mul_f64 v[128:129], v[122:123], v[124:125]
	v_mul_f64 v[124:125], v[120:121], v[124:125]
	s_waitcnt vmcnt(0)
	v_fma_f64 v[120:121], v[120:121], v[126:127], -v[128:129]
	v_fma_f64 v[122:123], v[122:123], v[126:127], v[124:125]
	v_add_f64 v[1:2], v[1:2], v[120:121]
	v_add_f64 v[3:4], v[3:4], v[122:123]
	s_andn2_b32 exec_lo, exec_lo, s8
	s_cbranch_execnz .LBB53_732
; %bb.733:
	s_or_b32 exec_lo, exec_lo, s8
.LBB53_734:
	s_or_b32 exec_lo, exec_lo, s6
	v_mov_b32_e32 v116, 0
	ds_read_b128 v[120:123], v116 offset:624
	s_waitcnt lgkmcnt(0)
	v_mul_f64 v[116:117], v[3:4], v[122:123]
	v_mul_f64 v[122:123], v[1:2], v[122:123]
	v_fma_f64 v[1:2], v[1:2], v[120:121], -v[116:117]
	v_fma_f64 v[3:4], v[3:4], v[120:121], v[122:123]
	buffer_store_dword v2, off, s[0:3], 0 offset:628
	buffer_store_dword v1, off, s[0:3], 0 offset:624
	;; [unrolled: 1-line block ×4, first 2 shown]
.LBB53_735:
	s_or_b32 exec_lo, exec_lo, s4
	v_mov_b32_e32 v4, s21
	s_mov_b32 s4, exec_lo
	s_clause 0x3
	buffer_load_dword v1, v4, s[0:3], 0 offen
	buffer_load_dword v2, v4, s[0:3], 0 offen offset:4
	buffer_load_dword v3, v4, s[0:3], 0 offen offset:8
	;; [unrolled: 1-line block ×3, first 2 shown]
	s_waitcnt vmcnt(0)
	ds_write_b128 v114, v[1:4]
	s_waitcnt lgkmcnt(0)
	s_waitcnt_vscnt null, 0x0
	s_barrier
	buffer_gl0_inv
	v_cmpx_gt_u32_e32 40, v0
	s_cbranch_execz .LBB53_743
; %bb.736:
	ds_read_b128 v[1:4], v114
	v_cmp_ne_u32_e32 vcc_lo, 1, v115
	s_cbranch_vccnz .LBB53_738
; %bb.737:
	s_clause 0x3
	buffer_load_dword v116, v113, s[0:3], 0 offen offset:8
	buffer_load_dword v117, v113, s[0:3], 0 offen offset:12
	buffer_load_dword v120, v113, s[0:3], 0 offen
	buffer_load_dword v121, v113, s[0:3], 0 offen offset:4
	s_waitcnt vmcnt(2) lgkmcnt(0)
	v_mul_f64 v[122:123], v[3:4], v[116:117]
	v_mul_f64 v[116:117], v[1:2], v[116:117]
	s_waitcnt vmcnt(0)
	v_fma_f64 v[1:2], v[1:2], v[120:121], -v[122:123]
	v_fma_f64 v[3:4], v[3:4], v[120:121], v[116:117]
.LBB53_738:
	s_mov_b32 s6, exec_lo
	v_cmpx_ne_u32_e32 39, v0
	s_cbranch_execz .LBB53_742
; %bb.739:
	v_add_nc_u32_e32 v116, 0x370, v119
	v_add3_u32 v117, 0, v119, 16
	v_mov_b32_e32 v118, v0
	s_mov_b32 s8, 0
	.p2align	6
.LBB53_740:                             ; =>This Inner Loop Header: Depth=1
	s_clause 0x3
	buffer_load_dword v124, v117, s[0:3], 0 offen offset:8
	buffer_load_dword v125, v117, s[0:3], 0 offen offset:12
	buffer_load_dword v126, v117, s[0:3], 0 offen
	buffer_load_dword v127, v117, s[0:3], 0 offen offset:4
	ds_read_b128 v[120:123], v116
	v_add_nc_u32_e32 v118, 1, v118
	v_add_nc_u32_e32 v116, 16, v116
	;; [unrolled: 1-line block ×3, first 2 shown]
	v_cmp_lt_u32_e32 vcc_lo, 38, v118
	s_or_b32 s8, vcc_lo, s8
	s_waitcnt vmcnt(2) lgkmcnt(0)
	v_mul_f64 v[128:129], v[122:123], v[124:125]
	v_mul_f64 v[124:125], v[120:121], v[124:125]
	s_waitcnt vmcnt(0)
	v_fma_f64 v[120:121], v[120:121], v[126:127], -v[128:129]
	v_fma_f64 v[122:123], v[122:123], v[126:127], v[124:125]
	v_add_f64 v[1:2], v[1:2], v[120:121]
	v_add_f64 v[3:4], v[3:4], v[122:123]
	s_andn2_b32 exec_lo, exec_lo, s8
	s_cbranch_execnz .LBB53_740
; %bb.741:
	s_or_b32 exec_lo, exec_lo, s8
.LBB53_742:
	s_or_b32 exec_lo, exec_lo, s6
	v_mov_b32_e32 v116, 0
	ds_read_b128 v[120:123], v116 offset:640
	s_waitcnt lgkmcnt(0)
	v_mul_f64 v[116:117], v[3:4], v[122:123]
	v_mul_f64 v[122:123], v[1:2], v[122:123]
	v_fma_f64 v[1:2], v[1:2], v[120:121], -v[116:117]
	v_fma_f64 v[3:4], v[3:4], v[120:121], v[122:123]
	buffer_store_dword v2, off, s[0:3], 0 offset:644
	buffer_store_dword v1, off, s[0:3], 0 offset:640
	;; [unrolled: 1-line block ×4, first 2 shown]
.LBB53_743:
	s_or_b32 exec_lo, exec_lo, s4
	v_mov_b32_e32 v4, s20
	s_mov_b32 s4, exec_lo
	s_clause 0x3
	buffer_load_dword v1, v4, s[0:3], 0 offen
	buffer_load_dword v2, v4, s[0:3], 0 offen offset:4
	buffer_load_dword v3, v4, s[0:3], 0 offen offset:8
	;; [unrolled: 1-line block ×3, first 2 shown]
	s_waitcnt vmcnt(0)
	ds_write_b128 v114, v[1:4]
	s_waitcnt lgkmcnt(0)
	s_waitcnt_vscnt null, 0x0
	s_barrier
	buffer_gl0_inv
	v_cmpx_gt_u32_e32 41, v0
	s_cbranch_execz .LBB53_751
; %bb.744:
	ds_read_b128 v[1:4], v114
	v_cmp_ne_u32_e32 vcc_lo, 1, v115
	s_cbranch_vccnz .LBB53_746
; %bb.745:
	s_clause 0x3
	buffer_load_dword v116, v113, s[0:3], 0 offen offset:8
	buffer_load_dword v117, v113, s[0:3], 0 offen offset:12
	buffer_load_dword v120, v113, s[0:3], 0 offen
	buffer_load_dword v121, v113, s[0:3], 0 offen offset:4
	s_waitcnt vmcnt(2) lgkmcnt(0)
	v_mul_f64 v[122:123], v[3:4], v[116:117]
	v_mul_f64 v[116:117], v[1:2], v[116:117]
	s_waitcnt vmcnt(0)
	v_fma_f64 v[1:2], v[1:2], v[120:121], -v[122:123]
	v_fma_f64 v[3:4], v[3:4], v[120:121], v[116:117]
.LBB53_746:
	s_mov_b32 s6, exec_lo
	v_cmpx_ne_u32_e32 40, v0
	s_cbranch_execz .LBB53_750
; %bb.747:
	v_add_nc_u32_e32 v116, 0x370, v119
	v_add3_u32 v117, 0, v119, 16
	v_mov_b32_e32 v118, v0
	s_mov_b32 s8, 0
	.p2align	6
.LBB53_748:                             ; =>This Inner Loop Header: Depth=1
	s_clause 0x3
	buffer_load_dword v124, v117, s[0:3], 0 offen offset:8
	buffer_load_dword v125, v117, s[0:3], 0 offen offset:12
	buffer_load_dword v126, v117, s[0:3], 0 offen
	buffer_load_dword v127, v117, s[0:3], 0 offen offset:4
	ds_read_b128 v[120:123], v116
	v_add_nc_u32_e32 v118, 1, v118
	v_add_nc_u32_e32 v116, 16, v116
	;; [unrolled: 1-line block ×3, first 2 shown]
	v_cmp_lt_u32_e32 vcc_lo, 39, v118
	s_or_b32 s8, vcc_lo, s8
	s_waitcnt vmcnt(2) lgkmcnt(0)
	v_mul_f64 v[128:129], v[122:123], v[124:125]
	v_mul_f64 v[124:125], v[120:121], v[124:125]
	s_waitcnt vmcnt(0)
	v_fma_f64 v[120:121], v[120:121], v[126:127], -v[128:129]
	v_fma_f64 v[122:123], v[122:123], v[126:127], v[124:125]
	v_add_f64 v[1:2], v[1:2], v[120:121]
	v_add_f64 v[3:4], v[3:4], v[122:123]
	s_andn2_b32 exec_lo, exec_lo, s8
	s_cbranch_execnz .LBB53_748
; %bb.749:
	s_or_b32 exec_lo, exec_lo, s8
.LBB53_750:
	s_or_b32 exec_lo, exec_lo, s6
	v_mov_b32_e32 v116, 0
	ds_read_b128 v[120:123], v116 offset:656
	s_waitcnt lgkmcnt(0)
	v_mul_f64 v[116:117], v[3:4], v[122:123]
	v_mul_f64 v[122:123], v[1:2], v[122:123]
	v_fma_f64 v[1:2], v[1:2], v[120:121], -v[116:117]
	v_fma_f64 v[3:4], v[3:4], v[120:121], v[122:123]
	buffer_store_dword v2, off, s[0:3], 0 offset:660
	buffer_store_dword v1, off, s[0:3], 0 offset:656
	buffer_store_dword v4, off, s[0:3], 0 offset:668
	buffer_store_dword v3, off, s[0:3], 0 offset:664
.LBB53_751:
	s_or_b32 exec_lo, exec_lo, s4
	v_mov_b32_e32 v4, s19
	s_mov_b32 s4, exec_lo
	s_clause 0x3
	buffer_load_dword v1, v4, s[0:3], 0 offen
	buffer_load_dword v2, v4, s[0:3], 0 offen offset:4
	buffer_load_dword v3, v4, s[0:3], 0 offen offset:8
	;; [unrolled: 1-line block ×3, first 2 shown]
	s_waitcnt vmcnt(0)
	ds_write_b128 v114, v[1:4]
	s_waitcnt lgkmcnt(0)
	s_waitcnt_vscnt null, 0x0
	s_barrier
	buffer_gl0_inv
	v_cmpx_gt_u32_e32 42, v0
	s_cbranch_execz .LBB53_759
; %bb.752:
	ds_read_b128 v[1:4], v114
	v_cmp_ne_u32_e32 vcc_lo, 1, v115
	s_cbranch_vccnz .LBB53_754
; %bb.753:
	s_clause 0x3
	buffer_load_dword v116, v113, s[0:3], 0 offen offset:8
	buffer_load_dword v117, v113, s[0:3], 0 offen offset:12
	buffer_load_dword v120, v113, s[0:3], 0 offen
	buffer_load_dword v121, v113, s[0:3], 0 offen offset:4
	s_waitcnt vmcnt(2) lgkmcnt(0)
	v_mul_f64 v[122:123], v[3:4], v[116:117]
	v_mul_f64 v[116:117], v[1:2], v[116:117]
	s_waitcnt vmcnt(0)
	v_fma_f64 v[1:2], v[1:2], v[120:121], -v[122:123]
	v_fma_f64 v[3:4], v[3:4], v[120:121], v[116:117]
.LBB53_754:
	s_mov_b32 s6, exec_lo
	v_cmpx_ne_u32_e32 41, v0
	s_cbranch_execz .LBB53_758
; %bb.755:
	v_add_nc_u32_e32 v116, 0x370, v119
	v_add3_u32 v117, 0, v119, 16
	v_mov_b32_e32 v118, v0
	s_mov_b32 s8, 0
	.p2align	6
.LBB53_756:                             ; =>This Inner Loop Header: Depth=1
	s_clause 0x3
	buffer_load_dword v124, v117, s[0:3], 0 offen offset:8
	buffer_load_dword v125, v117, s[0:3], 0 offen offset:12
	buffer_load_dword v126, v117, s[0:3], 0 offen
	buffer_load_dword v127, v117, s[0:3], 0 offen offset:4
	ds_read_b128 v[120:123], v116
	v_add_nc_u32_e32 v118, 1, v118
	v_add_nc_u32_e32 v116, 16, v116
	v_add_nc_u32_e32 v117, 16, v117
	v_cmp_lt_u32_e32 vcc_lo, 40, v118
	s_or_b32 s8, vcc_lo, s8
	s_waitcnt vmcnt(2) lgkmcnt(0)
	v_mul_f64 v[128:129], v[122:123], v[124:125]
	v_mul_f64 v[124:125], v[120:121], v[124:125]
	s_waitcnt vmcnt(0)
	v_fma_f64 v[120:121], v[120:121], v[126:127], -v[128:129]
	v_fma_f64 v[122:123], v[122:123], v[126:127], v[124:125]
	v_add_f64 v[1:2], v[1:2], v[120:121]
	v_add_f64 v[3:4], v[3:4], v[122:123]
	s_andn2_b32 exec_lo, exec_lo, s8
	s_cbranch_execnz .LBB53_756
; %bb.757:
	s_or_b32 exec_lo, exec_lo, s8
.LBB53_758:
	s_or_b32 exec_lo, exec_lo, s6
	v_mov_b32_e32 v116, 0
	ds_read_b128 v[120:123], v116 offset:672
	s_waitcnt lgkmcnt(0)
	v_mul_f64 v[116:117], v[3:4], v[122:123]
	v_mul_f64 v[122:123], v[1:2], v[122:123]
	v_fma_f64 v[1:2], v[1:2], v[120:121], -v[116:117]
	v_fma_f64 v[3:4], v[3:4], v[120:121], v[122:123]
	buffer_store_dword v2, off, s[0:3], 0 offset:676
	buffer_store_dword v1, off, s[0:3], 0 offset:672
	;; [unrolled: 1-line block ×4, first 2 shown]
.LBB53_759:
	s_or_b32 exec_lo, exec_lo, s4
	v_mov_b32_e32 v4, s18
	s_mov_b32 s4, exec_lo
	s_clause 0x3
	buffer_load_dword v1, v4, s[0:3], 0 offen
	buffer_load_dword v2, v4, s[0:3], 0 offen offset:4
	buffer_load_dword v3, v4, s[0:3], 0 offen offset:8
	;; [unrolled: 1-line block ×3, first 2 shown]
	s_waitcnt vmcnt(0)
	ds_write_b128 v114, v[1:4]
	s_waitcnt lgkmcnt(0)
	s_waitcnt_vscnt null, 0x0
	s_barrier
	buffer_gl0_inv
	v_cmpx_gt_u32_e32 43, v0
	s_cbranch_execz .LBB53_767
; %bb.760:
	ds_read_b128 v[1:4], v114
	v_cmp_ne_u32_e32 vcc_lo, 1, v115
	s_cbranch_vccnz .LBB53_762
; %bb.761:
	s_clause 0x3
	buffer_load_dword v116, v113, s[0:3], 0 offen offset:8
	buffer_load_dword v117, v113, s[0:3], 0 offen offset:12
	buffer_load_dword v120, v113, s[0:3], 0 offen
	buffer_load_dword v121, v113, s[0:3], 0 offen offset:4
	s_waitcnt vmcnt(2) lgkmcnt(0)
	v_mul_f64 v[122:123], v[3:4], v[116:117]
	v_mul_f64 v[116:117], v[1:2], v[116:117]
	s_waitcnt vmcnt(0)
	v_fma_f64 v[1:2], v[1:2], v[120:121], -v[122:123]
	v_fma_f64 v[3:4], v[3:4], v[120:121], v[116:117]
.LBB53_762:
	s_mov_b32 s6, exec_lo
	v_cmpx_ne_u32_e32 42, v0
	s_cbranch_execz .LBB53_766
; %bb.763:
	v_add_nc_u32_e32 v116, 0x370, v119
	v_add3_u32 v117, 0, v119, 16
	v_mov_b32_e32 v118, v0
	s_mov_b32 s8, 0
	.p2align	6
.LBB53_764:                             ; =>This Inner Loop Header: Depth=1
	s_clause 0x3
	buffer_load_dword v124, v117, s[0:3], 0 offen offset:8
	buffer_load_dword v125, v117, s[0:3], 0 offen offset:12
	buffer_load_dword v126, v117, s[0:3], 0 offen
	buffer_load_dword v127, v117, s[0:3], 0 offen offset:4
	ds_read_b128 v[120:123], v116
	v_add_nc_u32_e32 v118, 1, v118
	v_add_nc_u32_e32 v116, 16, v116
	;; [unrolled: 1-line block ×3, first 2 shown]
	v_cmp_lt_u32_e32 vcc_lo, 41, v118
	s_or_b32 s8, vcc_lo, s8
	s_waitcnt vmcnt(2) lgkmcnt(0)
	v_mul_f64 v[128:129], v[122:123], v[124:125]
	v_mul_f64 v[124:125], v[120:121], v[124:125]
	s_waitcnt vmcnt(0)
	v_fma_f64 v[120:121], v[120:121], v[126:127], -v[128:129]
	v_fma_f64 v[122:123], v[122:123], v[126:127], v[124:125]
	v_add_f64 v[1:2], v[1:2], v[120:121]
	v_add_f64 v[3:4], v[3:4], v[122:123]
	s_andn2_b32 exec_lo, exec_lo, s8
	s_cbranch_execnz .LBB53_764
; %bb.765:
	s_or_b32 exec_lo, exec_lo, s8
.LBB53_766:
	s_or_b32 exec_lo, exec_lo, s6
	v_mov_b32_e32 v116, 0
	ds_read_b128 v[120:123], v116 offset:688
	s_waitcnt lgkmcnt(0)
	v_mul_f64 v[116:117], v[3:4], v[122:123]
	v_mul_f64 v[122:123], v[1:2], v[122:123]
	v_fma_f64 v[1:2], v[1:2], v[120:121], -v[116:117]
	v_fma_f64 v[3:4], v[3:4], v[120:121], v[122:123]
	buffer_store_dword v2, off, s[0:3], 0 offset:692
	buffer_store_dword v1, off, s[0:3], 0 offset:688
	;; [unrolled: 1-line block ×4, first 2 shown]
.LBB53_767:
	s_or_b32 exec_lo, exec_lo, s4
	v_mov_b32_e32 v4, s17
	s_mov_b32 s4, exec_lo
	s_clause 0x3
	buffer_load_dword v1, v4, s[0:3], 0 offen
	buffer_load_dword v2, v4, s[0:3], 0 offen offset:4
	buffer_load_dword v3, v4, s[0:3], 0 offen offset:8
	;; [unrolled: 1-line block ×3, first 2 shown]
	s_waitcnt vmcnt(0)
	ds_write_b128 v114, v[1:4]
	s_waitcnt lgkmcnt(0)
	s_waitcnt_vscnt null, 0x0
	s_barrier
	buffer_gl0_inv
	v_cmpx_gt_u32_e32 44, v0
	s_cbranch_execz .LBB53_775
; %bb.768:
	ds_read_b128 v[1:4], v114
	v_cmp_ne_u32_e32 vcc_lo, 1, v115
	s_cbranch_vccnz .LBB53_770
; %bb.769:
	s_clause 0x3
	buffer_load_dword v116, v113, s[0:3], 0 offen offset:8
	buffer_load_dword v117, v113, s[0:3], 0 offen offset:12
	buffer_load_dword v120, v113, s[0:3], 0 offen
	buffer_load_dword v121, v113, s[0:3], 0 offen offset:4
	s_waitcnt vmcnt(2) lgkmcnt(0)
	v_mul_f64 v[122:123], v[3:4], v[116:117]
	v_mul_f64 v[116:117], v[1:2], v[116:117]
	s_waitcnt vmcnt(0)
	v_fma_f64 v[1:2], v[1:2], v[120:121], -v[122:123]
	v_fma_f64 v[3:4], v[3:4], v[120:121], v[116:117]
.LBB53_770:
	s_mov_b32 s6, exec_lo
	v_cmpx_ne_u32_e32 43, v0
	s_cbranch_execz .LBB53_774
; %bb.771:
	v_add_nc_u32_e32 v116, 0x370, v119
	v_add3_u32 v117, 0, v119, 16
	v_mov_b32_e32 v118, v0
	s_mov_b32 s8, 0
	.p2align	6
.LBB53_772:                             ; =>This Inner Loop Header: Depth=1
	s_clause 0x3
	buffer_load_dword v124, v117, s[0:3], 0 offen offset:8
	buffer_load_dword v125, v117, s[0:3], 0 offen offset:12
	buffer_load_dword v126, v117, s[0:3], 0 offen
	buffer_load_dword v127, v117, s[0:3], 0 offen offset:4
	ds_read_b128 v[120:123], v116
	v_add_nc_u32_e32 v118, 1, v118
	v_add_nc_u32_e32 v116, 16, v116
	;; [unrolled: 1-line block ×3, first 2 shown]
	v_cmp_lt_u32_e32 vcc_lo, 42, v118
	s_or_b32 s8, vcc_lo, s8
	s_waitcnt vmcnt(2) lgkmcnt(0)
	v_mul_f64 v[128:129], v[122:123], v[124:125]
	v_mul_f64 v[124:125], v[120:121], v[124:125]
	s_waitcnt vmcnt(0)
	v_fma_f64 v[120:121], v[120:121], v[126:127], -v[128:129]
	v_fma_f64 v[122:123], v[122:123], v[126:127], v[124:125]
	v_add_f64 v[1:2], v[1:2], v[120:121]
	v_add_f64 v[3:4], v[3:4], v[122:123]
	s_andn2_b32 exec_lo, exec_lo, s8
	s_cbranch_execnz .LBB53_772
; %bb.773:
	s_or_b32 exec_lo, exec_lo, s8
.LBB53_774:
	s_or_b32 exec_lo, exec_lo, s6
	v_mov_b32_e32 v116, 0
	ds_read_b128 v[120:123], v116 offset:704
	s_waitcnt lgkmcnt(0)
	v_mul_f64 v[116:117], v[3:4], v[122:123]
	v_mul_f64 v[122:123], v[1:2], v[122:123]
	v_fma_f64 v[1:2], v[1:2], v[120:121], -v[116:117]
	v_fma_f64 v[3:4], v[3:4], v[120:121], v[122:123]
	buffer_store_dword v2, off, s[0:3], 0 offset:708
	buffer_store_dword v1, off, s[0:3], 0 offset:704
	;; [unrolled: 1-line block ×4, first 2 shown]
.LBB53_775:
	s_or_b32 exec_lo, exec_lo, s4
	v_mov_b32_e32 v4, s16
	s_mov_b32 s4, exec_lo
	s_clause 0x3
	buffer_load_dword v1, v4, s[0:3], 0 offen
	buffer_load_dword v2, v4, s[0:3], 0 offen offset:4
	buffer_load_dword v3, v4, s[0:3], 0 offen offset:8
	buffer_load_dword v4, v4, s[0:3], 0 offen offset:12
	s_waitcnt vmcnt(0)
	ds_write_b128 v114, v[1:4]
	s_waitcnt lgkmcnt(0)
	s_waitcnt_vscnt null, 0x0
	s_barrier
	buffer_gl0_inv
	v_cmpx_gt_u32_e32 45, v0
	s_cbranch_execz .LBB53_783
; %bb.776:
	ds_read_b128 v[1:4], v114
	v_cmp_ne_u32_e32 vcc_lo, 1, v115
	s_cbranch_vccnz .LBB53_778
; %bb.777:
	s_clause 0x3
	buffer_load_dword v116, v113, s[0:3], 0 offen offset:8
	buffer_load_dword v117, v113, s[0:3], 0 offen offset:12
	buffer_load_dword v120, v113, s[0:3], 0 offen
	buffer_load_dword v121, v113, s[0:3], 0 offen offset:4
	s_waitcnt vmcnt(2) lgkmcnt(0)
	v_mul_f64 v[122:123], v[3:4], v[116:117]
	v_mul_f64 v[116:117], v[1:2], v[116:117]
	s_waitcnt vmcnt(0)
	v_fma_f64 v[1:2], v[1:2], v[120:121], -v[122:123]
	v_fma_f64 v[3:4], v[3:4], v[120:121], v[116:117]
.LBB53_778:
	s_mov_b32 s6, exec_lo
	v_cmpx_ne_u32_e32 44, v0
	s_cbranch_execz .LBB53_782
; %bb.779:
	v_add_nc_u32_e32 v116, 0x370, v119
	v_add3_u32 v117, 0, v119, 16
	v_mov_b32_e32 v118, v0
	s_mov_b32 s8, 0
	.p2align	6
.LBB53_780:                             ; =>This Inner Loop Header: Depth=1
	s_clause 0x3
	buffer_load_dword v124, v117, s[0:3], 0 offen offset:8
	buffer_load_dword v125, v117, s[0:3], 0 offen offset:12
	buffer_load_dword v126, v117, s[0:3], 0 offen
	buffer_load_dword v127, v117, s[0:3], 0 offen offset:4
	ds_read_b128 v[120:123], v116
	v_add_nc_u32_e32 v118, 1, v118
	v_add_nc_u32_e32 v116, 16, v116
	;; [unrolled: 1-line block ×3, first 2 shown]
	v_cmp_lt_u32_e32 vcc_lo, 43, v118
	s_or_b32 s8, vcc_lo, s8
	s_waitcnt vmcnt(2) lgkmcnt(0)
	v_mul_f64 v[128:129], v[122:123], v[124:125]
	v_mul_f64 v[124:125], v[120:121], v[124:125]
	s_waitcnt vmcnt(0)
	v_fma_f64 v[120:121], v[120:121], v[126:127], -v[128:129]
	v_fma_f64 v[122:123], v[122:123], v[126:127], v[124:125]
	v_add_f64 v[1:2], v[1:2], v[120:121]
	v_add_f64 v[3:4], v[3:4], v[122:123]
	s_andn2_b32 exec_lo, exec_lo, s8
	s_cbranch_execnz .LBB53_780
; %bb.781:
	s_or_b32 exec_lo, exec_lo, s8
.LBB53_782:
	s_or_b32 exec_lo, exec_lo, s6
	v_mov_b32_e32 v116, 0
	ds_read_b128 v[120:123], v116 offset:720
	s_waitcnt lgkmcnt(0)
	v_mul_f64 v[116:117], v[3:4], v[122:123]
	v_mul_f64 v[122:123], v[1:2], v[122:123]
	v_fma_f64 v[1:2], v[1:2], v[120:121], -v[116:117]
	v_fma_f64 v[3:4], v[3:4], v[120:121], v[122:123]
	buffer_store_dword v2, off, s[0:3], 0 offset:724
	buffer_store_dword v1, off, s[0:3], 0 offset:720
	buffer_store_dword v4, off, s[0:3], 0 offset:732
	buffer_store_dword v3, off, s[0:3], 0 offset:728
.LBB53_783:
	s_or_b32 exec_lo, exec_lo, s4
	v_mov_b32_e32 v4, s15
	s_mov_b32 s4, exec_lo
	s_clause 0x3
	buffer_load_dword v1, v4, s[0:3], 0 offen
	buffer_load_dword v2, v4, s[0:3], 0 offen offset:4
	buffer_load_dword v3, v4, s[0:3], 0 offen offset:8
	;; [unrolled: 1-line block ×3, first 2 shown]
	s_waitcnt vmcnt(0)
	ds_write_b128 v114, v[1:4]
	s_waitcnt lgkmcnt(0)
	s_waitcnt_vscnt null, 0x0
	s_barrier
	buffer_gl0_inv
	v_cmpx_gt_u32_e32 46, v0
	s_cbranch_execz .LBB53_791
; %bb.784:
	ds_read_b128 v[1:4], v114
	v_cmp_ne_u32_e32 vcc_lo, 1, v115
	s_cbranch_vccnz .LBB53_786
; %bb.785:
	s_clause 0x3
	buffer_load_dword v116, v113, s[0:3], 0 offen offset:8
	buffer_load_dword v117, v113, s[0:3], 0 offen offset:12
	buffer_load_dword v120, v113, s[0:3], 0 offen
	buffer_load_dword v121, v113, s[0:3], 0 offen offset:4
	s_waitcnt vmcnt(2) lgkmcnt(0)
	v_mul_f64 v[122:123], v[3:4], v[116:117]
	v_mul_f64 v[116:117], v[1:2], v[116:117]
	s_waitcnt vmcnt(0)
	v_fma_f64 v[1:2], v[1:2], v[120:121], -v[122:123]
	v_fma_f64 v[3:4], v[3:4], v[120:121], v[116:117]
.LBB53_786:
	s_mov_b32 s6, exec_lo
	v_cmpx_ne_u32_e32 45, v0
	s_cbranch_execz .LBB53_790
; %bb.787:
	v_add_nc_u32_e32 v116, 0x370, v119
	v_add3_u32 v117, 0, v119, 16
	v_mov_b32_e32 v118, v0
	s_mov_b32 s8, 0
	.p2align	6
.LBB53_788:                             ; =>This Inner Loop Header: Depth=1
	s_clause 0x3
	buffer_load_dword v124, v117, s[0:3], 0 offen offset:8
	buffer_load_dword v125, v117, s[0:3], 0 offen offset:12
	buffer_load_dword v126, v117, s[0:3], 0 offen
	buffer_load_dword v127, v117, s[0:3], 0 offen offset:4
	ds_read_b128 v[120:123], v116
	v_add_nc_u32_e32 v118, 1, v118
	v_add_nc_u32_e32 v116, 16, v116
	;; [unrolled: 1-line block ×3, first 2 shown]
	v_cmp_lt_u32_e32 vcc_lo, 44, v118
	s_or_b32 s8, vcc_lo, s8
	s_waitcnt vmcnt(2) lgkmcnt(0)
	v_mul_f64 v[128:129], v[122:123], v[124:125]
	v_mul_f64 v[124:125], v[120:121], v[124:125]
	s_waitcnt vmcnt(0)
	v_fma_f64 v[120:121], v[120:121], v[126:127], -v[128:129]
	v_fma_f64 v[122:123], v[122:123], v[126:127], v[124:125]
	v_add_f64 v[1:2], v[1:2], v[120:121]
	v_add_f64 v[3:4], v[3:4], v[122:123]
	s_andn2_b32 exec_lo, exec_lo, s8
	s_cbranch_execnz .LBB53_788
; %bb.789:
	s_or_b32 exec_lo, exec_lo, s8
.LBB53_790:
	s_or_b32 exec_lo, exec_lo, s6
	v_mov_b32_e32 v116, 0
	ds_read_b128 v[120:123], v116 offset:736
	s_waitcnt lgkmcnt(0)
	v_mul_f64 v[116:117], v[3:4], v[122:123]
	v_mul_f64 v[122:123], v[1:2], v[122:123]
	v_fma_f64 v[1:2], v[1:2], v[120:121], -v[116:117]
	v_fma_f64 v[3:4], v[3:4], v[120:121], v[122:123]
	buffer_store_dword v2, off, s[0:3], 0 offset:740
	buffer_store_dword v1, off, s[0:3], 0 offset:736
	;; [unrolled: 1-line block ×4, first 2 shown]
.LBB53_791:
	s_or_b32 exec_lo, exec_lo, s4
	v_mov_b32_e32 v4, s14
	s_mov_b32 s4, exec_lo
	s_clause 0x3
	buffer_load_dword v1, v4, s[0:3], 0 offen
	buffer_load_dword v2, v4, s[0:3], 0 offen offset:4
	buffer_load_dword v3, v4, s[0:3], 0 offen offset:8
	;; [unrolled: 1-line block ×3, first 2 shown]
	s_waitcnt vmcnt(0)
	ds_write_b128 v114, v[1:4]
	s_waitcnt lgkmcnt(0)
	s_waitcnt_vscnt null, 0x0
	s_barrier
	buffer_gl0_inv
	v_cmpx_gt_u32_e32 47, v0
	s_cbranch_execz .LBB53_799
; %bb.792:
	ds_read_b128 v[1:4], v114
	v_cmp_ne_u32_e32 vcc_lo, 1, v115
	s_cbranch_vccnz .LBB53_794
; %bb.793:
	s_clause 0x3
	buffer_load_dword v116, v113, s[0:3], 0 offen offset:8
	buffer_load_dword v117, v113, s[0:3], 0 offen offset:12
	buffer_load_dword v120, v113, s[0:3], 0 offen
	buffer_load_dword v121, v113, s[0:3], 0 offen offset:4
	s_waitcnt vmcnt(2) lgkmcnt(0)
	v_mul_f64 v[122:123], v[3:4], v[116:117]
	v_mul_f64 v[116:117], v[1:2], v[116:117]
	s_waitcnt vmcnt(0)
	v_fma_f64 v[1:2], v[1:2], v[120:121], -v[122:123]
	v_fma_f64 v[3:4], v[3:4], v[120:121], v[116:117]
.LBB53_794:
	s_mov_b32 s6, exec_lo
	v_cmpx_ne_u32_e32 46, v0
	s_cbranch_execz .LBB53_798
; %bb.795:
	v_add_nc_u32_e32 v116, 0x370, v119
	v_add3_u32 v117, 0, v119, 16
	v_mov_b32_e32 v118, v0
	s_mov_b32 s8, 0
	.p2align	6
.LBB53_796:                             ; =>This Inner Loop Header: Depth=1
	s_clause 0x3
	buffer_load_dword v124, v117, s[0:3], 0 offen offset:8
	buffer_load_dword v125, v117, s[0:3], 0 offen offset:12
	buffer_load_dword v126, v117, s[0:3], 0 offen
	buffer_load_dword v127, v117, s[0:3], 0 offen offset:4
	ds_read_b128 v[120:123], v116
	v_add_nc_u32_e32 v118, 1, v118
	v_add_nc_u32_e32 v116, 16, v116
	;; [unrolled: 1-line block ×3, first 2 shown]
	v_cmp_lt_u32_e32 vcc_lo, 45, v118
	s_or_b32 s8, vcc_lo, s8
	s_waitcnt vmcnt(2) lgkmcnt(0)
	v_mul_f64 v[128:129], v[122:123], v[124:125]
	v_mul_f64 v[124:125], v[120:121], v[124:125]
	s_waitcnt vmcnt(0)
	v_fma_f64 v[120:121], v[120:121], v[126:127], -v[128:129]
	v_fma_f64 v[122:123], v[122:123], v[126:127], v[124:125]
	v_add_f64 v[1:2], v[1:2], v[120:121]
	v_add_f64 v[3:4], v[3:4], v[122:123]
	s_andn2_b32 exec_lo, exec_lo, s8
	s_cbranch_execnz .LBB53_796
; %bb.797:
	s_or_b32 exec_lo, exec_lo, s8
.LBB53_798:
	s_or_b32 exec_lo, exec_lo, s6
	v_mov_b32_e32 v116, 0
	ds_read_b128 v[120:123], v116 offset:752
	s_waitcnt lgkmcnt(0)
	v_mul_f64 v[116:117], v[3:4], v[122:123]
	v_mul_f64 v[122:123], v[1:2], v[122:123]
	v_fma_f64 v[1:2], v[1:2], v[120:121], -v[116:117]
	v_fma_f64 v[3:4], v[3:4], v[120:121], v[122:123]
	buffer_store_dword v2, off, s[0:3], 0 offset:756
	buffer_store_dword v1, off, s[0:3], 0 offset:752
	;; [unrolled: 1-line block ×4, first 2 shown]
.LBB53_799:
	s_or_b32 exec_lo, exec_lo, s4
	v_mov_b32_e32 v4, s13
	s_mov_b32 s4, exec_lo
	s_clause 0x3
	buffer_load_dword v1, v4, s[0:3], 0 offen
	buffer_load_dword v2, v4, s[0:3], 0 offen offset:4
	buffer_load_dword v3, v4, s[0:3], 0 offen offset:8
	;; [unrolled: 1-line block ×3, first 2 shown]
	s_waitcnt vmcnt(0)
	ds_write_b128 v114, v[1:4]
	s_waitcnt lgkmcnt(0)
	s_waitcnt_vscnt null, 0x0
	s_barrier
	buffer_gl0_inv
	v_cmpx_gt_u32_e32 48, v0
	s_cbranch_execz .LBB53_807
; %bb.800:
	ds_read_b128 v[1:4], v114
	v_cmp_ne_u32_e32 vcc_lo, 1, v115
	s_cbranch_vccnz .LBB53_802
; %bb.801:
	s_clause 0x3
	buffer_load_dword v116, v113, s[0:3], 0 offen offset:8
	buffer_load_dword v117, v113, s[0:3], 0 offen offset:12
	buffer_load_dword v120, v113, s[0:3], 0 offen
	buffer_load_dword v121, v113, s[0:3], 0 offen offset:4
	s_waitcnt vmcnt(2) lgkmcnt(0)
	v_mul_f64 v[122:123], v[3:4], v[116:117]
	v_mul_f64 v[116:117], v[1:2], v[116:117]
	s_waitcnt vmcnt(0)
	v_fma_f64 v[1:2], v[1:2], v[120:121], -v[122:123]
	v_fma_f64 v[3:4], v[3:4], v[120:121], v[116:117]
.LBB53_802:
	s_mov_b32 s6, exec_lo
	v_cmpx_ne_u32_e32 47, v0
	s_cbranch_execz .LBB53_806
; %bb.803:
	v_add_nc_u32_e32 v116, 0x370, v119
	v_add3_u32 v117, 0, v119, 16
	v_mov_b32_e32 v118, v0
	s_mov_b32 s8, 0
	.p2align	6
.LBB53_804:                             ; =>This Inner Loop Header: Depth=1
	s_clause 0x3
	buffer_load_dword v124, v117, s[0:3], 0 offen offset:8
	buffer_load_dword v125, v117, s[0:3], 0 offen offset:12
	buffer_load_dword v126, v117, s[0:3], 0 offen
	buffer_load_dword v127, v117, s[0:3], 0 offen offset:4
	ds_read_b128 v[120:123], v116
	v_add_nc_u32_e32 v118, 1, v118
	v_add_nc_u32_e32 v116, 16, v116
	v_add_nc_u32_e32 v117, 16, v117
	v_cmp_lt_u32_e32 vcc_lo, 46, v118
	s_or_b32 s8, vcc_lo, s8
	s_waitcnt vmcnt(2) lgkmcnt(0)
	v_mul_f64 v[128:129], v[122:123], v[124:125]
	v_mul_f64 v[124:125], v[120:121], v[124:125]
	s_waitcnt vmcnt(0)
	v_fma_f64 v[120:121], v[120:121], v[126:127], -v[128:129]
	v_fma_f64 v[122:123], v[122:123], v[126:127], v[124:125]
	v_add_f64 v[1:2], v[1:2], v[120:121]
	v_add_f64 v[3:4], v[3:4], v[122:123]
	s_andn2_b32 exec_lo, exec_lo, s8
	s_cbranch_execnz .LBB53_804
; %bb.805:
	s_or_b32 exec_lo, exec_lo, s8
.LBB53_806:
	s_or_b32 exec_lo, exec_lo, s6
	v_mov_b32_e32 v116, 0
	ds_read_b128 v[120:123], v116 offset:768
	s_waitcnt lgkmcnt(0)
	v_mul_f64 v[116:117], v[3:4], v[122:123]
	v_mul_f64 v[122:123], v[1:2], v[122:123]
	v_fma_f64 v[1:2], v[1:2], v[120:121], -v[116:117]
	v_fma_f64 v[3:4], v[3:4], v[120:121], v[122:123]
	buffer_store_dword v2, off, s[0:3], 0 offset:772
	buffer_store_dword v1, off, s[0:3], 0 offset:768
	;; [unrolled: 1-line block ×4, first 2 shown]
.LBB53_807:
	s_or_b32 exec_lo, exec_lo, s4
	v_mov_b32_e32 v4, s12
	s_mov_b32 s4, exec_lo
	s_clause 0x3
	buffer_load_dword v1, v4, s[0:3], 0 offen
	buffer_load_dword v2, v4, s[0:3], 0 offen offset:4
	buffer_load_dword v3, v4, s[0:3], 0 offen offset:8
	;; [unrolled: 1-line block ×3, first 2 shown]
	s_waitcnt vmcnt(0)
	ds_write_b128 v114, v[1:4]
	s_waitcnt lgkmcnt(0)
	s_waitcnt_vscnt null, 0x0
	s_barrier
	buffer_gl0_inv
	v_cmpx_gt_u32_e32 49, v0
	s_cbranch_execz .LBB53_815
; %bb.808:
	ds_read_b128 v[1:4], v114
	v_cmp_ne_u32_e32 vcc_lo, 1, v115
	s_cbranch_vccnz .LBB53_810
; %bb.809:
	s_clause 0x3
	buffer_load_dword v116, v113, s[0:3], 0 offen offset:8
	buffer_load_dword v117, v113, s[0:3], 0 offen offset:12
	buffer_load_dword v120, v113, s[0:3], 0 offen
	buffer_load_dword v121, v113, s[0:3], 0 offen offset:4
	s_waitcnt vmcnt(2) lgkmcnt(0)
	v_mul_f64 v[122:123], v[3:4], v[116:117]
	v_mul_f64 v[116:117], v[1:2], v[116:117]
	s_waitcnt vmcnt(0)
	v_fma_f64 v[1:2], v[1:2], v[120:121], -v[122:123]
	v_fma_f64 v[3:4], v[3:4], v[120:121], v[116:117]
.LBB53_810:
	s_mov_b32 s6, exec_lo
	v_cmpx_ne_u32_e32 48, v0
	s_cbranch_execz .LBB53_814
; %bb.811:
	v_add_nc_u32_e32 v116, 0x370, v119
	v_add3_u32 v117, 0, v119, 16
	v_mov_b32_e32 v118, v0
	s_mov_b32 s8, 0
	.p2align	6
.LBB53_812:                             ; =>This Inner Loop Header: Depth=1
	s_clause 0x3
	buffer_load_dword v124, v117, s[0:3], 0 offen offset:8
	buffer_load_dword v125, v117, s[0:3], 0 offen offset:12
	buffer_load_dword v126, v117, s[0:3], 0 offen
	buffer_load_dword v127, v117, s[0:3], 0 offen offset:4
	ds_read_b128 v[120:123], v116
	v_add_nc_u32_e32 v118, 1, v118
	v_add_nc_u32_e32 v116, 16, v116
	v_add_nc_u32_e32 v117, 16, v117
	v_cmp_lt_u32_e32 vcc_lo, 47, v118
	s_or_b32 s8, vcc_lo, s8
	s_waitcnt vmcnt(2) lgkmcnt(0)
	v_mul_f64 v[128:129], v[122:123], v[124:125]
	v_mul_f64 v[124:125], v[120:121], v[124:125]
	s_waitcnt vmcnt(0)
	v_fma_f64 v[120:121], v[120:121], v[126:127], -v[128:129]
	v_fma_f64 v[122:123], v[122:123], v[126:127], v[124:125]
	v_add_f64 v[1:2], v[1:2], v[120:121]
	v_add_f64 v[3:4], v[3:4], v[122:123]
	s_andn2_b32 exec_lo, exec_lo, s8
	s_cbranch_execnz .LBB53_812
; %bb.813:
	s_or_b32 exec_lo, exec_lo, s8
.LBB53_814:
	s_or_b32 exec_lo, exec_lo, s6
	v_mov_b32_e32 v116, 0
	ds_read_b128 v[120:123], v116 offset:784
	s_waitcnt lgkmcnt(0)
	v_mul_f64 v[116:117], v[3:4], v[122:123]
	v_mul_f64 v[122:123], v[1:2], v[122:123]
	v_fma_f64 v[1:2], v[1:2], v[120:121], -v[116:117]
	v_fma_f64 v[3:4], v[3:4], v[120:121], v[122:123]
	buffer_store_dword v2, off, s[0:3], 0 offset:788
	buffer_store_dword v1, off, s[0:3], 0 offset:784
	;; [unrolled: 1-line block ×4, first 2 shown]
.LBB53_815:
	s_or_b32 exec_lo, exec_lo, s4
	v_mov_b32_e32 v4, s11
	s_mov_b32 s4, exec_lo
	s_clause 0x3
	buffer_load_dword v1, v4, s[0:3], 0 offen
	buffer_load_dword v2, v4, s[0:3], 0 offen offset:4
	buffer_load_dword v3, v4, s[0:3], 0 offen offset:8
	;; [unrolled: 1-line block ×3, first 2 shown]
	s_waitcnt vmcnt(0)
	ds_write_b128 v114, v[1:4]
	s_waitcnt lgkmcnt(0)
	s_waitcnt_vscnt null, 0x0
	s_barrier
	buffer_gl0_inv
	v_cmpx_gt_u32_e32 50, v0
	s_cbranch_execz .LBB53_823
; %bb.816:
	ds_read_b128 v[1:4], v114
	v_cmp_ne_u32_e32 vcc_lo, 1, v115
	s_cbranch_vccnz .LBB53_818
; %bb.817:
	s_clause 0x3
	buffer_load_dword v116, v113, s[0:3], 0 offen offset:8
	buffer_load_dword v117, v113, s[0:3], 0 offen offset:12
	buffer_load_dword v120, v113, s[0:3], 0 offen
	buffer_load_dword v121, v113, s[0:3], 0 offen offset:4
	s_waitcnt vmcnt(2) lgkmcnt(0)
	v_mul_f64 v[122:123], v[3:4], v[116:117]
	v_mul_f64 v[116:117], v[1:2], v[116:117]
	s_waitcnt vmcnt(0)
	v_fma_f64 v[1:2], v[1:2], v[120:121], -v[122:123]
	v_fma_f64 v[3:4], v[3:4], v[120:121], v[116:117]
.LBB53_818:
	s_mov_b32 s6, exec_lo
	v_cmpx_ne_u32_e32 49, v0
	s_cbranch_execz .LBB53_822
; %bb.819:
	v_add_nc_u32_e32 v116, 0x370, v119
	v_add3_u32 v117, 0, v119, 16
	v_mov_b32_e32 v118, v0
	s_mov_b32 s8, 0
	.p2align	6
.LBB53_820:                             ; =>This Inner Loop Header: Depth=1
	s_clause 0x3
	buffer_load_dword v124, v117, s[0:3], 0 offen offset:8
	buffer_load_dword v125, v117, s[0:3], 0 offen offset:12
	buffer_load_dword v126, v117, s[0:3], 0 offen
	buffer_load_dword v127, v117, s[0:3], 0 offen offset:4
	ds_read_b128 v[120:123], v116
	v_add_nc_u32_e32 v118, 1, v118
	v_add_nc_u32_e32 v116, 16, v116
	;; [unrolled: 1-line block ×3, first 2 shown]
	v_cmp_lt_u32_e32 vcc_lo, 48, v118
	s_or_b32 s8, vcc_lo, s8
	s_waitcnt vmcnt(2) lgkmcnt(0)
	v_mul_f64 v[128:129], v[122:123], v[124:125]
	v_mul_f64 v[124:125], v[120:121], v[124:125]
	s_waitcnt vmcnt(0)
	v_fma_f64 v[120:121], v[120:121], v[126:127], -v[128:129]
	v_fma_f64 v[122:123], v[122:123], v[126:127], v[124:125]
	v_add_f64 v[1:2], v[1:2], v[120:121]
	v_add_f64 v[3:4], v[3:4], v[122:123]
	s_andn2_b32 exec_lo, exec_lo, s8
	s_cbranch_execnz .LBB53_820
; %bb.821:
	s_or_b32 exec_lo, exec_lo, s8
.LBB53_822:
	s_or_b32 exec_lo, exec_lo, s6
	v_mov_b32_e32 v116, 0
	ds_read_b128 v[120:123], v116 offset:800
	s_waitcnt lgkmcnt(0)
	v_mul_f64 v[116:117], v[3:4], v[122:123]
	v_mul_f64 v[122:123], v[1:2], v[122:123]
	v_fma_f64 v[1:2], v[1:2], v[120:121], -v[116:117]
	v_fma_f64 v[3:4], v[3:4], v[120:121], v[122:123]
	buffer_store_dword v2, off, s[0:3], 0 offset:804
	buffer_store_dword v1, off, s[0:3], 0 offset:800
	;; [unrolled: 1-line block ×4, first 2 shown]
.LBB53_823:
	s_or_b32 exec_lo, exec_lo, s4
	v_mov_b32_e32 v4, s10
	s_mov_b32 s4, exec_lo
	s_clause 0x3
	buffer_load_dword v1, v4, s[0:3], 0 offen
	buffer_load_dword v2, v4, s[0:3], 0 offen offset:4
	buffer_load_dword v3, v4, s[0:3], 0 offen offset:8
	;; [unrolled: 1-line block ×3, first 2 shown]
	s_waitcnt vmcnt(0)
	ds_write_b128 v114, v[1:4]
	s_waitcnt lgkmcnt(0)
	s_waitcnt_vscnt null, 0x0
	s_barrier
	buffer_gl0_inv
	v_cmpx_gt_u32_e32 51, v0
	s_cbranch_execz .LBB53_831
; %bb.824:
	ds_read_b128 v[1:4], v114
	v_cmp_ne_u32_e32 vcc_lo, 1, v115
	s_cbranch_vccnz .LBB53_826
; %bb.825:
	s_clause 0x3
	buffer_load_dword v116, v113, s[0:3], 0 offen offset:8
	buffer_load_dword v117, v113, s[0:3], 0 offen offset:12
	buffer_load_dword v120, v113, s[0:3], 0 offen
	buffer_load_dword v121, v113, s[0:3], 0 offen offset:4
	s_waitcnt vmcnt(2) lgkmcnt(0)
	v_mul_f64 v[122:123], v[3:4], v[116:117]
	v_mul_f64 v[116:117], v[1:2], v[116:117]
	s_waitcnt vmcnt(0)
	v_fma_f64 v[1:2], v[1:2], v[120:121], -v[122:123]
	v_fma_f64 v[3:4], v[3:4], v[120:121], v[116:117]
.LBB53_826:
	s_mov_b32 s6, exec_lo
	v_cmpx_ne_u32_e32 50, v0
	s_cbranch_execz .LBB53_830
; %bb.827:
	v_add_nc_u32_e32 v116, 0x370, v119
	v_add3_u32 v117, 0, v119, 16
	v_mov_b32_e32 v118, v0
	s_mov_b32 s8, 0
	.p2align	6
.LBB53_828:                             ; =>This Inner Loop Header: Depth=1
	s_clause 0x3
	buffer_load_dword v124, v117, s[0:3], 0 offen offset:8
	buffer_load_dword v125, v117, s[0:3], 0 offen offset:12
	buffer_load_dword v126, v117, s[0:3], 0 offen
	buffer_load_dword v127, v117, s[0:3], 0 offen offset:4
	ds_read_b128 v[120:123], v116
	v_add_nc_u32_e32 v118, 1, v118
	v_add_nc_u32_e32 v116, 16, v116
	;; [unrolled: 1-line block ×3, first 2 shown]
	v_cmp_lt_u32_e32 vcc_lo, 49, v118
	s_or_b32 s8, vcc_lo, s8
	s_waitcnt vmcnt(2) lgkmcnt(0)
	v_mul_f64 v[128:129], v[122:123], v[124:125]
	v_mul_f64 v[124:125], v[120:121], v[124:125]
	s_waitcnt vmcnt(0)
	v_fma_f64 v[120:121], v[120:121], v[126:127], -v[128:129]
	v_fma_f64 v[122:123], v[122:123], v[126:127], v[124:125]
	v_add_f64 v[1:2], v[1:2], v[120:121]
	v_add_f64 v[3:4], v[3:4], v[122:123]
	s_andn2_b32 exec_lo, exec_lo, s8
	s_cbranch_execnz .LBB53_828
; %bb.829:
	s_or_b32 exec_lo, exec_lo, s8
.LBB53_830:
	s_or_b32 exec_lo, exec_lo, s6
	v_mov_b32_e32 v116, 0
	ds_read_b128 v[120:123], v116 offset:816
	s_waitcnt lgkmcnt(0)
	v_mul_f64 v[116:117], v[3:4], v[122:123]
	v_mul_f64 v[122:123], v[1:2], v[122:123]
	v_fma_f64 v[1:2], v[1:2], v[120:121], -v[116:117]
	v_fma_f64 v[3:4], v[3:4], v[120:121], v[122:123]
	buffer_store_dword v2, off, s[0:3], 0 offset:820
	buffer_store_dword v1, off, s[0:3], 0 offset:816
	;; [unrolled: 1-line block ×4, first 2 shown]
.LBB53_831:
	s_or_b32 exec_lo, exec_lo, s4
	v_mov_b32_e32 v4, s9
	v_cmp_gt_u32_e64 s4, 52, v0
	s_clause 0x3
	buffer_load_dword v1, v4, s[0:3], 0 offen
	buffer_load_dword v2, v4, s[0:3], 0 offen offset:4
	buffer_load_dword v3, v4, s[0:3], 0 offen offset:8
	;; [unrolled: 1-line block ×3, first 2 shown]
	s_waitcnt vmcnt(0)
	ds_write_b128 v114, v[1:4]
	s_waitcnt lgkmcnt(0)
	s_waitcnt_vscnt null, 0x0
	s_barrier
	buffer_gl0_inv
	s_and_saveexec_b32 s6, s4
	s_cbranch_execz .LBB53_839
; %bb.832:
	ds_read_b128 v[1:4], v114
	v_cmp_ne_u32_e32 vcc_lo, 1, v115
	s_cbranch_vccnz .LBB53_834
; %bb.833:
	s_clause 0x3
	buffer_load_dword v116, v113, s[0:3], 0 offen offset:8
	buffer_load_dword v117, v113, s[0:3], 0 offen offset:12
	buffer_load_dword v120, v113, s[0:3], 0 offen
	buffer_load_dword v121, v113, s[0:3], 0 offen offset:4
	s_waitcnt vmcnt(2) lgkmcnt(0)
	v_mul_f64 v[122:123], v[3:4], v[116:117]
	v_mul_f64 v[116:117], v[1:2], v[116:117]
	s_waitcnt vmcnt(0)
	v_fma_f64 v[1:2], v[1:2], v[120:121], -v[122:123]
	v_fma_f64 v[3:4], v[3:4], v[120:121], v[116:117]
.LBB53_834:
	s_mov_b32 s8, exec_lo
	v_cmpx_ne_u32_e32 51, v0
	s_cbranch_execz .LBB53_838
; %bb.835:
	v_add_nc_u32_e32 v116, 0x370, v119
	v_add3_u32 v117, 0, v119, 16
	v_mov_b32_e32 v118, v0
	s_mov_b32 s62, 0
	.p2align	6
.LBB53_836:                             ; =>This Inner Loop Header: Depth=1
	s_clause 0x3
	buffer_load_dword v124, v117, s[0:3], 0 offen offset:8
	buffer_load_dword v125, v117, s[0:3], 0 offen offset:12
	buffer_load_dword v126, v117, s[0:3], 0 offen
	buffer_load_dword v127, v117, s[0:3], 0 offen offset:4
	ds_read_b128 v[120:123], v116
	v_add_nc_u32_e32 v118, 1, v118
	v_add_nc_u32_e32 v116, 16, v116
	;; [unrolled: 1-line block ×3, first 2 shown]
	v_cmp_lt_u32_e32 vcc_lo, 50, v118
	s_or_b32 s62, vcc_lo, s62
	s_waitcnt vmcnt(2) lgkmcnt(0)
	v_mul_f64 v[128:129], v[122:123], v[124:125]
	v_mul_f64 v[124:125], v[120:121], v[124:125]
	s_waitcnt vmcnt(0)
	v_fma_f64 v[120:121], v[120:121], v[126:127], -v[128:129]
	v_fma_f64 v[122:123], v[122:123], v[126:127], v[124:125]
	v_add_f64 v[1:2], v[1:2], v[120:121]
	v_add_f64 v[3:4], v[3:4], v[122:123]
	s_andn2_b32 exec_lo, exec_lo, s62
	s_cbranch_execnz .LBB53_836
; %bb.837:
	s_or_b32 exec_lo, exec_lo, s62
.LBB53_838:
	s_or_b32 exec_lo, exec_lo, s8
	v_mov_b32_e32 v116, 0
	ds_read_b128 v[120:123], v116 offset:832
	s_waitcnt lgkmcnt(0)
	v_mul_f64 v[116:117], v[3:4], v[122:123]
	v_mul_f64 v[122:123], v[1:2], v[122:123]
	v_fma_f64 v[1:2], v[1:2], v[120:121], -v[116:117]
	v_fma_f64 v[3:4], v[3:4], v[120:121], v[122:123]
	buffer_store_dword v2, off, s[0:3], 0 offset:836
	buffer_store_dword v1, off, s[0:3], 0 offset:832
	;; [unrolled: 1-line block ×4, first 2 shown]
.LBB53_839:
	s_or_b32 exec_lo, exec_lo, s6
	v_mov_b32_e32 v4, s7
	s_mov_b32 s6, exec_lo
                                        ; implicit-def: $sgpr63
	s_clause 0x3
	buffer_load_dword v1, v4, s[0:3], 0 offen
	buffer_load_dword v2, v4, s[0:3], 0 offen offset:4
	buffer_load_dword v3, v4, s[0:3], 0 offen offset:8
	;; [unrolled: 1-line block ×3, first 2 shown]
	s_waitcnt vmcnt(0)
	ds_write_b128 v114, v[1:4]
	s_waitcnt lgkmcnt(0)
	s_waitcnt_vscnt null, 0x0
	s_barrier
	buffer_gl0_inv
                                        ; implicit-def: $vgpr1_vgpr2
	v_cmpx_ne_u32_e32 53, v0
	s_cbranch_execz .LBB53_847
; %bb.840:
	ds_read_b128 v[1:4], v114
	v_cmp_ne_u32_e32 vcc_lo, 1, v115
	s_cbranch_vccnz .LBB53_842
; %bb.841:
	s_clause 0x3
	buffer_load_dword v114, v113, s[0:3], 0 offen offset:8
	buffer_load_dword v115, v113, s[0:3], 0 offen offset:12
	buffer_load_dword v116, v113, s[0:3], 0 offen
	buffer_load_dword v117, v113, s[0:3], 0 offen offset:4
	s_waitcnt vmcnt(2) lgkmcnt(0)
	v_mul_f64 v[120:121], v[3:4], v[114:115]
	v_mul_f64 v[113:114], v[1:2], v[114:115]
	s_waitcnt vmcnt(0)
	v_fma_f64 v[1:2], v[1:2], v[116:117], -v[120:121]
	v_fma_f64 v[3:4], v[3:4], v[116:117], v[113:114]
.LBB53_842:
	s_and_saveexec_b32 s8, s4
	s_cbranch_execz .LBB53_846
; %bb.843:
	v_add_nc_u32_e32 v113, 0x370, v119
	v_add3_u32 v114, 0, v119, 16
	s_mov_b32 s4, 0
	.p2align	6
.LBB53_844:                             ; =>This Inner Loop Header: Depth=1
	s_clause 0x3
	buffer_load_dword v119, v114, s[0:3], 0 offen offset:8
	buffer_load_dword v120, v114, s[0:3], 0 offen offset:12
	buffer_load_dword v121, v114, s[0:3], 0 offen
	buffer_load_dword v122, v114, s[0:3], 0 offen offset:4
	ds_read_b128 v[115:118], v113
	v_add_nc_u32_e32 v0, 1, v0
	v_add_nc_u32_e32 v113, 16, v113
	;; [unrolled: 1-line block ×3, first 2 shown]
	v_cmp_lt_u32_e32 vcc_lo, 51, v0
	s_or_b32 s4, vcc_lo, s4
	s_waitcnt vmcnt(2) lgkmcnt(0)
	v_mul_f64 v[123:124], v[117:118], v[119:120]
	v_mul_f64 v[119:120], v[115:116], v[119:120]
	s_waitcnt vmcnt(0)
	v_fma_f64 v[115:116], v[115:116], v[121:122], -v[123:124]
	v_fma_f64 v[117:118], v[117:118], v[121:122], v[119:120]
	v_add_f64 v[1:2], v[1:2], v[115:116]
	v_add_f64 v[3:4], v[3:4], v[117:118]
	s_andn2_b32 exec_lo, exec_lo, s4
	s_cbranch_execnz .LBB53_844
; %bb.845:
	s_or_b32 exec_lo, exec_lo, s4
.LBB53_846:
	s_or_b32 exec_lo, exec_lo, s8
	v_mov_b32_e32 v0, 0
	s_movk_i32 s63, 0x358
	s_or_b32 s5, s5, exec_lo
	ds_read_b128 v[113:116], v0 offset:848
	s_waitcnt lgkmcnt(0)
	v_mul_f64 v[117:118], v[3:4], v[115:116]
	v_mul_f64 v[115:116], v[1:2], v[115:116]
	v_fma_f64 v[117:118], v[1:2], v[113:114], -v[117:118]
	v_fma_f64 v[1:2], v[3:4], v[113:114], v[115:116]
	buffer_store_dword v118, off, s[0:3], 0 offset:852
	buffer_store_dword v117, off, s[0:3], 0 offset:848
.LBB53_847:
	s_or_b32 exec_lo, exec_lo, s6
.LBB53_848:
	s_and_saveexec_b32 s4, s5
	s_cbranch_execz .LBB53_850
; %bb.849:
	v_mov_b32_e32 v0, s63
	buffer_store_dword v2, v0, s[0:3], 0 offen offset:4
	buffer_store_dword v1, v0, s[0:3], 0 offen
.LBB53_850:
	s_or_b32 exec_lo, exec_lo, s4
	s_clause 0x3
	buffer_load_dword v0, off, s[0:3], 0
	buffer_load_dword v1, off, s[0:3], 0 offset:4
	buffer_load_dword v2, off, s[0:3], 0 offset:8
	;; [unrolled: 1-line block ×3, first 2 shown]
	v_mov_b32_e32 v4, s61
	v_mov_b32_e32 v140, s54
	v_mov_b32_e32 v154, s15
	v_mov_b32_e32 v156, s13
	s_clause 0x3
	buffer_load_dword v113, v4, s[0:3], 0 offen
	buffer_load_dword v114, v4, s[0:3], 0 offen offset:4
	buffer_load_dword v115, v4, s[0:3], 0 offen offset:8
	;; [unrolled: 1-line block ×3, first 2 shown]
	v_mov_b32_e32 v4, s60
	v_mov_b32_e32 v158, s11
	;; [unrolled: 1-line block ×3, first 2 shown]
	s_clause 0x3
	buffer_load_dword v117, v4, s[0:3], 0 offen
	buffer_load_dword v118, v4, s[0:3], 0 offen offset:4
	buffer_load_dword v119, v4, s[0:3], 0 offen offset:8
	;; [unrolled: 1-line block ×3, first 2 shown]
	v_mov_b32_e32 v4, s59
	v_mov_b32_e32 v160, s9
	s_clause 0x3
	buffer_load_dword v121, v4, s[0:3], 0 offen
	buffer_load_dword v122, v4, s[0:3], 0 offen offset:4
	buffer_load_dword v123, v4, s[0:3], 0 offen offset:8
	buffer_load_dword v124, v4, s[0:3], 0 offen offset:12
	v_mov_b32_e32 v4, s58
	s_clause 0x3
	buffer_load_dword v125, v4, s[0:3], 0 offen
	buffer_load_dword v126, v4, s[0:3], 0 offen offset:4
	buffer_load_dword v127, v4, s[0:3], 0 offen offset:8
	buffer_load_dword v128, v4, s[0:3], 0 offen offset:12
	;; [unrolled: 6-line block ×4, first 2 shown]
	v_mov_b32_e32 v4, s55
	v_mov_b32_e32 v155, s14
	;; [unrolled: 1-line block ×5, first 2 shown]
	s_waitcnt vmcnt(24)
	global_store_dwordx4 v[77:78], v[0:3], off
	s_clause 0x7
	buffer_load_dword v0, v4, s[0:3], 0 offen
	buffer_load_dword v1, v4, s[0:3], 0 offen offset:4
	buffer_load_dword v2, v4, s[0:3], 0 offen offset:8
	buffer_load_dword v3, v4, s[0:3], 0 offen offset:12
	buffer_load_dword v137, v140, s[0:3], 0 offen
	buffer_load_dword v138, v140, s[0:3], 0 offen offset:4
	buffer_load_dword v139, v140, s[0:3], 0 offen offset:8
	;; [unrolled: 1-line block ×3, first 2 shown]
	v_mov_b32_e32 v4, s53
	s_waitcnt vmcnt(28)
	global_store_dwordx4 v[65:66], v[113:116], off
	s_clause 0x3
	buffer_load_dword v113, v4, s[0:3], 0 offen
	buffer_load_dword v114, v4, s[0:3], 0 offen offset:4
	buffer_load_dword v115, v4, s[0:3], 0 offen offset:8
	;; [unrolled: 1-line block ×3, first 2 shown]
	v_mov_b32_e32 v4, s52
	s_clause 0x3
	buffer_load_dword v141, v4, s[0:3], 0 offen
	buffer_load_dword v142, v4, s[0:3], 0 offen offset:4
	buffer_load_dword v143, v4, s[0:3], 0 offen offset:8
	;; [unrolled: 1-line block ×3, first 2 shown]
	v_mov_b32_e32 v4, s51
	s_waitcnt vmcnt(32)
	global_store_dwordx4 v[53:54], v[117:120], off
	s_clause 0x3
	buffer_load_dword v117, v4, s[0:3], 0 offen
	buffer_load_dword v118, v4, s[0:3], 0 offen offset:4
	buffer_load_dword v119, v4, s[0:3], 0 offen offset:8
	;; [unrolled: 1-line block ×3, first 2 shown]
	v_mov_b32_e32 v4, s50
	s_waitcnt vmcnt(32)
	global_store_dwordx4 v[47:48], v[121:124], off
	s_clause 0x3
	buffer_load_dword v121, v4, s[0:3], 0 offen
	buffer_load_dword v122, v4, s[0:3], 0 offen offset:4
	buffer_load_dword v123, v4, s[0:3], 0 offen offset:8
	;; [unrolled: 1-line block ×3, first 2 shown]
	v_mov_b32_e32 v4, s49
	s_clause 0x3
	buffer_load_dword v145, v4, s[0:3], 0 offen
	buffer_load_dword v146, v4, s[0:3], 0 offen offset:4
	buffer_load_dword v147, v4, s[0:3], 0 offen offset:8
	;; [unrolled: 1-line block ×3, first 2 shown]
	v_mov_b32_e32 v4, s48
	s_waitcnt vmcnt(36)
	global_store_dwordx4 v[45:46], v[125:128], off
	s_clause 0x3
	buffer_load_dword v45, v4, s[0:3], 0 offen
	buffer_load_dword v46, v4, s[0:3], 0 offen offset:4
	buffer_load_dword v47, v4, s[0:3], 0 offen offset:8
	;; [unrolled: 1-line block ×3, first 2 shown]
	v_mov_b32_e32 v4, s47
	s_waitcnt vmcnt(36)
	global_store_dwordx4 v[87:88], v[129:132], off
	s_clause 0x3
	buffer_load_dword v125, v4, s[0:3], 0 offen
	buffer_load_dword v126, v4, s[0:3], 0 offen offset:4
	buffer_load_dword v127, v4, s[0:3], 0 offen offset:8
	;; [unrolled: 1-line block ×3, first 2 shown]
	v_mov_b32_e32 v4, s46
	v_mov_b32_e32 v53, s45
	s_waitcnt vmcnt(36)
	global_store_dwordx4 v[81:82], v[133:136], off
	s_clause 0x3
	buffer_load_dword v129, v4, s[0:3], 0 offen
	buffer_load_dword v130, v4, s[0:3], 0 offen offset:4
	buffer_load_dword v131, v4, s[0:3], 0 offen offset:8
	;; [unrolled: 1-line block ×3, first 2 shown]
	v_mov_b32_e32 v4, s44
	s_clause 0x3
	buffer_load_dword v133, v53, s[0:3], 0 offen
	buffer_load_dword v134, v53, s[0:3], 0 offen offset:4
	buffer_load_dword v135, v53, s[0:3], 0 offen offset:8
	;; [unrolled: 1-line block ×3, first 2 shown]
	v_mov_b32_e32 v53, s43
	v_mov_b32_e32 v82, s27
	;; [unrolled: 1-line block ×5, first 2 shown]
	s_waitcnt vmcnt(40)
	global_store_dwordx4 v[79:80], v[0:3], off
	s_clause 0x3
	buffer_load_dword v0, v4, s[0:3], 0 offen
	buffer_load_dword v1, v4, s[0:3], 0 offen offset:4
	buffer_load_dword v2, v4, s[0:3], 0 offen offset:8
	buffer_load_dword v3, v4, s[0:3], 0 offen offset:12
	v_mov_b32_e32 v4, s42
	s_waitcnt vmcnt(40)
	global_store_dwordx4 v[71:72], v[137:140], off
	s_clause 0x7
	buffer_load_dword v77, v53, s[0:3], 0 offen
	buffer_load_dword v78, v53, s[0:3], 0 offen offset:4
	buffer_load_dword v79, v53, s[0:3], 0 offen offset:8
	;; [unrolled: 1-line block ×3, first 2 shown]
	buffer_load_dword v137, v4, s[0:3], 0 offen
	buffer_load_dword v138, v4, s[0:3], 0 offen offset:4
	buffer_load_dword v139, v4, s[0:3], 0 offen offset:8
	;; [unrolled: 1-line block ×3, first 2 shown]
	v_mov_b32_e32 v4, s41
	v_mov_b32_e32 v53, s40
	s_waitcnt vmcnt(44)
	global_store_dwordx4 v[57:58], v[113:116], off
	s_clause 0x7
	buffer_load_dword v113, v4, s[0:3], 0 offen
	buffer_load_dword v114, v4, s[0:3], 0 offen offset:4
	buffer_load_dword v115, v4, s[0:3], 0 offen offset:8
	;; [unrolled: 1-line block ×3, first 2 shown]
	buffer_load_dword v149, v53, s[0:3], 0 offen
	buffer_load_dword v150, v53, s[0:3], 0 offen offset:4
	buffer_load_dword v151, v53, s[0:3], 0 offen offset:8
	;; [unrolled: 1-line block ×3, first 2 shown]
	v_mov_b32_e32 v4, s39
	v_mov_b32_e32 v53, s37
	s_waitcnt vmcnt(48)
	global_store_dwordx4 v[61:62], v[141:144], off
	s_clause 0x3
	buffer_load_dword v141, v4, s[0:3], 0 offen
	buffer_load_dword v142, v4, s[0:3], 0 offen offset:4
	buffer_load_dword v143, v4, s[0:3], 0 offen offset:8
	;; [unrolled: 1-line block ×3, first 2 shown]
	v_mov_b32_e32 v4, s38
	s_waitcnt vmcnt(48)
	global_store_dwordx4 v[69:70], v[117:120], off
	s_clause 0x7
	buffer_load_dword v69, v4, s[0:3], 0 offen
	buffer_load_dword v70, v4, s[0:3], 0 offen offset:4
	buffer_load_dword v71, v4, s[0:3], 0 offen offset:8
	;; [unrolled: 1-line block ×3, first 2 shown]
	buffer_load_dword v117, v53, s[0:3], 0 offen
	buffer_load_dword v118, v53, s[0:3], 0 offen offset:4
	buffer_load_dword v119, v53, s[0:3], 0 offen offset:8
	;; [unrolled: 1-line block ×3, first 2 shown]
	v_mov_b32_e32 v4, s36
	v_mov_b32_e32 v53, s34
	s_waitcnt vmcnt(52)
	global_store_dwordx4 v[67:68], v[121:124], off
	s_clause 0x3
	buffer_load_dword v65, v4, s[0:3], 0 offen
	buffer_load_dword v66, v4, s[0:3], 0 offen offset:4
	buffer_load_dword v67, v4, s[0:3], 0 offen offset:8
	;; [unrolled: 1-line block ×3, first 2 shown]
	v_mov_b32_e32 v4, s35
	s_waitcnt vmcnt(52)
	global_store_dwordx4 v[63:64], v[145:148], off
	s_clause 0x7
	buffer_load_dword v61, v4, s[0:3], 0 offen
	buffer_load_dword v62, v4, s[0:3], 0 offen offset:4
	buffer_load_dword v63, v4, s[0:3], 0 offen offset:8
	;; [unrolled: 1-line block ×3, first 2 shown]
	buffer_load_dword v121, v53, s[0:3], 0 offen
	buffer_load_dword v122, v53, s[0:3], 0 offen offset:4
	buffer_load_dword v123, v53, s[0:3], 0 offen offset:8
	;; [unrolled: 1-line block ×3, first 2 shown]
	v_mov_b32_e32 v4, s33
	v_mov_b32_e32 v146, s21
	v_mov_b32_e32 v148, s17
	v_mov_b32_e32 v145, s22
	s_waitcnt vmcnt(56)
	global_store_dwordx4 v[59:60], v[45:48], off
	s_clause 0x3
	buffer_load_dword v45, v4, s[0:3], 0 offen
	buffer_load_dword v46, v4, s[0:3], 0 offen offset:4
	buffer_load_dword v47, v4, s[0:3], 0 offen offset:8
	;; [unrolled: 1-line block ×3, first 2 shown]
	v_mov_b32_e32 v4, s31
	v_mov_b32_e32 v60, s29
	;; [unrolled: 1-line block ×3, first 2 shown]
	s_waitcnt vmcnt(56)
	global_store_dwordx4 v[55:56], v[125:128], off
	s_clause 0x3
	buffer_load_dword v53, v4, s[0:3], 0 offen
	buffer_load_dword v54, v4, s[0:3], 0 offen offset:4
	buffer_load_dword v55, v4, s[0:3], 0 offen offset:8
	buffer_load_dword v56, v4, s[0:3], 0 offen offset:12
	v_mov_b32_e32 v4, s30
	s_waitcnt vmcnt(56)
	global_store_dwordx4 v[43:44], v[129:132], off
	v_mov_b32_e32 v44, s25
	s_waitcnt vmcnt(52)
	global_store_dwordx4 v[39:40], v[133:136], off
	v_mov_b32_e32 v43, s26
	v_mov_b32_e32 v40, s19
	;; [unrolled: 1-line block ×3, first 2 shown]
	s_waitcnt vmcnt(48)
	global_store_dwordx4 v[23:24], v[0:3], off
	s_waitcnt vmcnt(44)
	global_store_dwordx4 v[13:14], v[77:80], off
	s_clause 0x3
	buffer_load_dword v0, v4, s[0:3], 0 offen
	buffer_load_dword v1, v4, s[0:3], 0 offen offset:4
	buffer_load_dword v2, v4, s[0:3], 0 offen offset:8
	buffer_load_dword v3, v4, s[0:3], 0 offen offset:12
	s_waitcnt vmcnt(44)
	global_store_dwordx4 v[7:8], v[137:140], off
	s_clause 0x7
	buffer_load_dword v57, v60, s[0:3], 0 offen
	buffer_load_dword v58, v60, s[0:3], 0 offen offset:4
	buffer_load_dword v59, v60, s[0:3], 0 offen offset:8
	buffer_load_dword v60, v60, s[0:3], 0 offen offset:12
	buffer_load_dword v77, v81, s[0:3], 0 offen
	buffer_load_dword v78, v81, s[0:3], 0 offen offset:4
	buffer_load_dword v79, v81, s[0:3], 0 offen offset:8
	buffer_load_dword v80, v81, s[0:3], 0 offen offset:12
	s_waitcnt vmcnt(48)
	global_store_dwordx4 v[9:10], v[113:116], off
	s_clause 0x7
	buffer_load_dword v7, v82, s[0:3], 0 offen
	buffer_load_dword v8, v82, s[0:3], 0 offen offset:4
	buffer_load_dword v9, v82, s[0:3], 0 offen offset:8
	buffer_load_dword v10, v82, s[0:3], 0 offen offset:12
	;; [unrolled: 11-line block ×7, first 2 shown]
	buffer_load_dword v137, v153, s[0:3], 0 offen
	buffer_load_dword v138, v153, s[0:3], 0 offen offset:4
	buffer_load_dword v139, v153, s[0:3], 0 offen offset:8
	buffer_load_dword v140, v153, s[0:3], 0 offen offset:12
	global_store_dwordx4 v[21:22], v[61:64], off
	s_clause 0x7
	buffer_load_dword v19, v154, s[0:3], 0 offen
	buffer_load_dword v20, v154, s[0:3], 0 offen offset:4
	buffer_load_dword v21, v154, s[0:3], 0 offen offset:8
	buffer_load_dword v22, v154, s[0:3], 0 offen offset:12
	buffer_load_dword v61, v155, s[0:3], 0 offen
	buffer_load_dword v62, v155, s[0:3], 0 offen offset:4
	buffer_load_dword v63, v155, s[0:3], 0 offen offset:8
	buffer_load_dword v64, v155, s[0:3], 0 offen offset:12
	s_waitcnt vmcnt(62)
	global_store_dwordx4 v[27:28], v[121:124], off
	s_clause 0x7
	buffer_load_dword v121, v156, s[0:3], 0 offen
	buffer_load_dword v122, v156, s[0:3], 0 offen offset:4
	buffer_load_dword v123, v156, s[0:3], 0 offen offset:8
	buffer_load_dword v124, v156, s[0:3], 0 offen offset:12
	buffer_load_dword v141, v157, s[0:3], 0 offen
	buffer_load_dword v142, v157, s[0:3], 0 offen offset:4
	buffer_load_dword v143, v157, s[0:3], 0 offen offset:8
	buffer_load_dword v144, v157, s[0:3], 0 offen offset:12
	global_store_dwordx4 v[31:32], v[45:48], off
	s_clause 0x7
	buffer_load_dword v43, v158, s[0:3], 0 offen
	buffer_load_dword v44, v158, s[0:3], 0 offen offset:4
	buffer_load_dword v45, v158, s[0:3], 0 offen offset:8
	buffer_load_dword v46, v158, s[0:3], 0 offen offset:12
	buffer_load_dword v145, v159, s[0:3], 0 offen
	buffer_load_dword v146, v159, s[0:3], 0 offen offset:4
	buffer_load_dword v147, v159, s[0:3], 0 offen offset:8
	buffer_load_dword v148, v159, s[0:3], 0 offen offset:12
	;; [unrolled: 10-line block ×3, first 2 shown]
	global_store_dwordx4 v[33:34], v[0:3], off
	s_waitcnt vmcnt(62)
	global_store_dwordx4 v[35:36], v[57:60], off
	global_store_dwordx4 v[37:38], v[77:80], off
	;; [unrolled: 1-line block ×6, first 2 shown]
	s_waitcnt vmcnt(60)
	global_store_dwordx4 v[75:76], v[129:132], off
	s_waitcnt vmcnt(56)
	global_store_dwordx4 v[83:84], v[133:136], off
	;; [unrolled: 2-line block ×16, first 2 shown]
.LBB53_851:
	s_endpgm
	.section	.rodata,"a",@progbits
	.p2align	6, 0x0
	.amdhsa_kernel _ZN9rocsolver6v33100L18trti2_kernel_smallILi54E19rocblas_complex_numIdEPS3_EEv13rocblas_fill_17rocblas_diagonal_T1_iil
		.amdhsa_group_segment_fixed_size 1728
		.amdhsa_private_segment_fixed_size 880
		.amdhsa_kernarg_size 32
		.amdhsa_user_sgpr_count 6
		.amdhsa_user_sgpr_private_segment_buffer 1
		.amdhsa_user_sgpr_dispatch_ptr 0
		.amdhsa_user_sgpr_queue_ptr 0
		.amdhsa_user_sgpr_kernarg_segment_ptr 1
		.amdhsa_user_sgpr_dispatch_id 0
		.amdhsa_user_sgpr_flat_scratch_init 0
		.amdhsa_user_sgpr_private_segment_size 0
		.amdhsa_wavefront_size32 1
		.amdhsa_uses_dynamic_stack 0
		.amdhsa_system_sgpr_private_segment_wavefront_offset 1
		.amdhsa_system_sgpr_workgroup_id_x 1
		.amdhsa_system_sgpr_workgroup_id_y 0
		.amdhsa_system_sgpr_workgroup_id_z 0
		.amdhsa_system_sgpr_workgroup_info 0
		.amdhsa_system_vgpr_workitem_id 0
		.amdhsa_next_free_vgpr 162
		.amdhsa_next_free_sgpr 86
		.amdhsa_reserve_vcc 1
		.amdhsa_reserve_flat_scratch 0
		.amdhsa_float_round_mode_32 0
		.amdhsa_float_round_mode_16_64 0
		.amdhsa_float_denorm_mode_32 3
		.amdhsa_float_denorm_mode_16_64 3
		.amdhsa_dx10_clamp 1
		.amdhsa_ieee_mode 1
		.amdhsa_fp16_overflow 0
		.amdhsa_workgroup_processor_mode 1
		.amdhsa_memory_ordered 1
		.amdhsa_forward_progress 1
		.amdhsa_shared_vgpr_count 0
		.amdhsa_exception_fp_ieee_invalid_op 0
		.amdhsa_exception_fp_denorm_src 0
		.amdhsa_exception_fp_ieee_div_zero 0
		.amdhsa_exception_fp_ieee_overflow 0
		.amdhsa_exception_fp_ieee_underflow 0
		.amdhsa_exception_fp_ieee_inexact 0
		.amdhsa_exception_int_div_zero 0
	.end_amdhsa_kernel
	.section	.text._ZN9rocsolver6v33100L18trti2_kernel_smallILi54E19rocblas_complex_numIdEPS3_EEv13rocblas_fill_17rocblas_diagonal_T1_iil,"axG",@progbits,_ZN9rocsolver6v33100L18trti2_kernel_smallILi54E19rocblas_complex_numIdEPS3_EEv13rocblas_fill_17rocblas_diagonal_T1_iil,comdat
.Lfunc_end53:
	.size	_ZN9rocsolver6v33100L18trti2_kernel_smallILi54E19rocblas_complex_numIdEPS3_EEv13rocblas_fill_17rocblas_diagonal_T1_iil, .Lfunc_end53-_ZN9rocsolver6v33100L18trti2_kernel_smallILi54E19rocblas_complex_numIdEPS3_EEv13rocblas_fill_17rocblas_diagonal_T1_iil
                                        ; -- End function
	.set _ZN9rocsolver6v33100L18trti2_kernel_smallILi54E19rocblas_complex_numIdEPS3_EEv13rocblas_fill_17rocblas_diagonal_T1_iil.num_vgpr, 162
	.set _ZN9rocsolver6v33100L18trti2_kernel_smallILi54E19rocblas_complex_numIdEPS3_EEv13rocblas_fill_17rocblas_diagonal_T1_iil.num_agpr, 0
	.set _ZN9rocsolver6v33100L18trti2_kernel_smallILi54E19rocblas_complex_numIdEPS3_EEv13rocblas_fill_17rocblas_diagonal_T1_iil.numbered_sgpr, 86
	.set _ZN9rocsolver6v33100L18trti2_kernel_smallILi54E19rocblas_complex_numIdEPS3_EEv13rocblas_fill_17rocblas_diagonal_T1_iil.num_named_barrier, 0
	.set _ZN9rocsolver6v33100L18trti2_kernel_smallILi54E19rocblas_complex_numIdEPS3_EEv13rocblas_fill_17rocblas_diagonal_T1_iil.private_seg_size, 880
	.set _ZN9rocsolver6v33100L18trti2_kernel_smallILi54E19rocblas_complex_numIdEPS3_EEv13rocblas_fill_17rocblas_diagonal_T1_iil.uses_vcc, 1
	.set _ZN9rocsolver6v33100L18trti2_kernel_smallILi54E19rocblas_complex_numIdEPS3_EEv13rocblas_fill_17rocblas_diagonal_T1_iil.uses_flat_scratch, 0
	.set _ZN9rocsolver6v33100L18trti2_kernel_smallILi54E19rocblas_complex_numIdEPS3_EEv13rocblas_fill_17rocblas_diagonal_T1_iil.has_dyn_sized_stack, 0
	.set _ZN9rocsolver6v33100L18trti2_kernel_smallILi54E19rocblas_complex_numIdEPS3_EEv13rocblas_fill_17rocblas_diagonal_T1_iil.has_recursion, 0
	.set _ZN9rocsolver6v33100L18trti2_kernel_smallILi54E19rocblas_complex_numIdEPS3_EEv13rocblas_fill_17rocblas_diagonal_T1_iil.has_indirect_call, 0
	.section	.AMDGPU.csdata,"",@progbits
; Kernel info:
; codeLenInByte = 54984
; TotalNumSgprs: 88
; NumVgprs: 162
; ScratchSize: 880
; MemoryBound: 0
; FloatMode: 240
; IeeeMode: 1
; LDSByteSize: 1728 bytes/workgroup (compile time only)
; SGPRBlocks: 0
; VGPRBlocks: 20
; NumSGPRsForWavesPerEU: 88
; NumVGPRsForWavesPerEU: 162
; Occupancy: 5
; WaveLimiterHint : 0
; COMPUTE_PGM_RSRC2:SCRATCH_EN: 1
; COMPUTE_PGM_RSRC2:USER_SGPR: 6
; COMPUTE_PGM_RSRC2:TRAP_HANDLER: 0
; COMPUTE_PGM_RSRC2:TGID_X_EN: 1
; COMPUTE_PGM_RSRC2:TGID_Y_EN: 0
; COMPUTE_PGM_RSRC2:TGID_Z_EN: 0
; COMPUTE_PGM_RSRC2:TIDIG_COMP_CNT: 0
	.section	.text._ZN9rocsolver6v33100L18trti2_kernel_smallILi55E19rocblas_complex_numIdEPS3_EEv13rocblas_fill_17rocblas_diagonal_T1_iil,"axG",@progbits,_ZN9rocsolver6v33100L18trti2_kernel_smallILi55E19rocblas_complex_numIdEPS3_EEv13rocblas_fill_17rocblas_diagonal_T1_iil,comdat
	.globl	_ZN9rocsolver6v33100L18trti2_kernel_smallILi55E19rocblas_complex_numIdEPS3_EEv13rocblas_fill_17rocblas_diagonal_T1_iil ; -- Begin function _ZN9rocsolver6v33100L18trti2_kernel_smallILi55E19rocblas_complex_numIdEPS3_EEv13rocblas_fill_17rocblas_diagonal_T1_iil
	.p2align	8
	.type	_ZN9rocsolver6v33100L18trti2_kernel_smallILi55E19rocblas_complex_numIdEPS3_EEv13rocblas_fill_17rocblas_diagonal_T1_iil,@function
_ZN9rocsolver6v33100L18trti2_kernel_smallILi55E19rocblas_complex_numIdEPS3_EEv13rocblas_fill_17rocblas_diagonal_T1_iil: ; @_ZN9rocsolver6v33100L18trti2_kernel_smallILi55E19rocblas_complex_numIdEPS3_EEv13rocblas_fill_17rocblas_diagonal_T1_iil
; %bb.0:
	s_add_u32 s0, s0, s7
	s_addc_u32 s1, s1, 0
	s_mov_b32 s7, exec_lo
	v_cmpx_gt_u32_e32 55, v0
	s_cbranch_execz .LBB54_867
; %bb.1:
	s_load_dwordx8 s[8:15], s[4:5], 0x0
	s_ashr_i32 s4, s6, 31
	v_lshlrev_b32_e32 v121, 4, v0
	s_movk_i32 s17, 0x100
	s_movk_i32 s18, 0x110
	;; [unrolled: 1-line block ×17, first 2 shown]
	s_waitcnt lgkmcnt(0)
	v_add3_u32 v1, s13, s13, v0
	s_mul_hi_u32 s5, s14, s6
	s_mul_i32 s16, s14, s4
	s_mul_i32 s15, s15, s6
	s_add_i32 s5, s5, s16
	v_add_nc_u32_e32 v9, s13, v1
	s_mul_i32 s4, s14, s6
	s_add_i32 s5, s5, s15
	s_ashr_i32 s7, s12, 31
	s_lshl_b64 s[4:5], s[4:5], 4
	v_add_nc_u32_e32 v17, s13, v9
	s_mov_b32 s6, s12
	s_add_u32 s10, s10, s4
	v_ashrrev_i32_e32 v2, 31, v1
	s_addc_u32 s11, s11, s5
	s_lshl_b64 s[4:5], s[6:7], 4
	v_ashrrev_i32_e32 v10, 31, v9
	s_add_u32 s4, s10, s4
	v_add_nc_u32_e32 v19, s13, v17
	s_addc_u32 s5, s11, s5
	v_add_co_u32 v15, s6, s4, v121
	v_ashrrev_i32_e32 v18, 31, v17
	s_mov_b32 s14, s13
	s_ashr_i32 s15, s13, 31
	v_lshlrev_b64 v[11:12], 4, v[1:2]
	v_add_co_ci_u32_e64 v16, null, s5, 0, s6
	s_lshl_b64 s[6:7], s[14:15], 4
	v_lshlrev_b64 v[21:22], 4, v[9:10]
	v_add_nc_u32_e32 v23, s13, v19
	v_add_co_u32 v13, vcc_lo, v15, s6
	v_lshlrev_b64 v[17:18], 4, v[17:18]
	v_ashrrev_i32_e32 v20, 31, v19
	v_add_co_ci_u32_e64 v14, null, s7, v16, vcc_lo
	v_add_co_u32 v87, vcc_lo, s4, v11
	v_ashrrev_i32_e32 v24, 31, v23
	v_add_co_ci_u32_e64 v88, null, s5, v12, vcc_lo
	v_add_co_u32 v85, vcc_lo, s4, v21
	v_add_co_ci_u32_e64 v86, null, s5, v22, vcc_lo
	v_lshlrev_b64 v[19:20], 4, v[19:20]
	v_add_co_u32 v83, vcc_lo, s4, v17
	v_add_co_ci_u32_e64 v84, null, s5, v18, vcc_lo
	v_lshlrev_b64 v[17:18], 4, v[23:24]
	v_add_co_u32 v81, vcc_lo, s4, v19
	s_clause 0x1
	global_load_dwordx4 v[1:4], v121, s[4:5]
	global_load_dwordx4 v[5:8], v[13:14], off
	v_add_co_ci_u32_e64 v82, null, s5, v20, vcc_lo
	v_add_co_u32 v79, vcc_lo, s4, v17
	global_load_dwordx4 v[9:12], v[87:88], off
	v_add_co_ci_u32_e64 v80, null, s5, v18, vcc_lo
	s_clause 0x3
	global_load_dwordx4 v[89:92], v[85:86], off
	global_load_dwordx4 v[93:96], v[83:84], off
	;; [unrolled: 1-line block ×4, first 2 shown]
	v_add_nc_u32_e32 v17, s13, v23
	s_cmpk_lg_i32 s9, 0x84
	s_movk_i32 s6, 0x70
	s_movk_i32 s7, 0x80
	;; [unrolled: 1-line block ×3, first 2 shown]
	v_ashrrev_i32_e32 v18, 31, v17
	s_movk_i32 s11, 0xa0
	s_movk_i32 s12, 0xb0
	s_movk_i32 s14, 0xd0
	s_movk_i32 s15, 0xe0
	v_lshlrev_b64 v[18:19], 4, v[17:18]
	v_add_nc_u32_e32 v17, s13, v17
	s_movk_i32 s16, 0xf0
	s_movk_i32 s65, 0x210
	s_movk_i32 s66, 0x220
	s_movk_i32 s67, 0x230
	v_add_co_u32 v77, vcc_lo, s4, v18
	v_add_co_ci_u32_e64 v78, null, s5, v19, vcc_lo
	v_add_nc_u32_e32 v19, s13, v17
	v_ashrrev_i32_e32 v18, 31, v17
	s_movk_i32 s68, 0x240
	global_load_dwordx4 v[105:108], v[77:78], off
	s_movk_i32 s69, 0x250
	v_add_nc_u32_e32 v21, s13, v19
	v_ashrrev_i32_e32 v20, 31, v19
	v_lshlrev_b64 v[17:18], 4, v[17:18]
	s_movk_i32 s70, 0x260
	s_movk_i32 s71, 0x270
	v_ashrrev_i32_e32 v22, 31, v21
	v_add_nc_u32_e32 v23, s13, v21
	v_lshlrev_b64 v[19:20], 4, v[19:20]
	v_add_co_u32 v75, vcc_lo, s4, v17
	v_add_co_ci_u32_e64 v76, null, s5, v18, vcc_lo
	v_lshlrev_b64 v[17:18], 4, v[21:22]
	v_ashrrev_i32_e32 v24, 31, v23
	v_add_nc_u32_e32 v21, s13, v23
	v_add_co_u32 v73, vcc_lo, s4, v19
	v_add_co_ci_u32_e64 v74, null, s5, v20, vcc_lo
	v_lshlrev_b64 v[19:20], 4, v[23:24]
	v_ashrrev_i32_e32 v22, 31, v21
	v_add_nc_u32_e32 v23, s13, v21
	;; [unrolled: 5-line block ×9, first 2 shown]
	v_add_co_u32 v43, vcc_lo, s4, v19
	v_add_co_ci_u32_e64 v44, null, s5, v20, vcc_lo
	v_lshlrev_b64 v[19:20], 4, v[23:24]
	v_add_nc_u32_e32 v23, s13, v21
	v_ashrrev_i32_e32 v22, 31, v21
	global_load_dwordx4 v[109:112], v[75:76], off
	v_add_co_u32 v31, vcc_lo, s4, v17
	v_ashrrev_i32_e32 v24, 31, v23
	s_clause 0x1
	global_load_dwordx4 v[113:116], v[73:74], off
	global_load_dwordx4 v[117:120], v[71:72], off
	v_add_co_ci_u32_e64 v32, null, s5, v18, vcc_lo
	v_lshlrev_b64 v[17:18], 4, v[21:22]
	v_add_co_u32 v21, vcc_lo, s4, v19
	s_clause 0x1
	global_load_dwordx4 v[122:125], v[69:70], off
	global_load_dwordx4 v[126:129], v[63:64], off
	v_add_co_ci_u32_e64 v22, null, s5, v20, vcc_lo
	v_lshlrev_b64 v[19:20], 4, v[23:24]
	s_clause 0x1
	global_load_dwordx4 v[130:133], v[59:60], off
	global_load_dwordx4 v[134:137], v[53:54], off
	v_add_co_u32 v17, vcc_lo, s4, v17
	v_add_co_ci_u32_e64 v18, null, s5, v18, vcc_lo
	v_add_co_u32 v19, vcc_lo, s4, v19
	v_add_co_ci_u32_e64 v20, null, s5, v20, vcc_lo
	v_add_nc_u32_e32 v25, s13, v23
	s_movk_i32 s72, 0x280
	s_movk_i32 s73, 0x290
	s_movk_i32 s74, 0x2a0
	s_movk_i32 s75, 0x2b0
	v_ashrrev_i32_e32 v26, 31, v25
	v_add_nc_u32_e32 v23, s13, v25
	s_movk_i32 s76, 0x2c0
	s_movk_i32 s77, 0x2d0
	;; [unrolled: 1-line block ×3, first 2 shown]
	v_lshlrev_b64 v[25:26], 4, v[25:26]
	v_ashrrev_i32_e32 v24, 31, v23
	v_add_nc_u32_e32 v27, s13, v23
	s_movk_i32 s79, 0x2f0
	s_movk_i32 s80, 0x300
	;; [unrolled: 1-line block ×3, first 2 shown]
	v_lshlrev_b64 v[29:30], 4, v[23:24]
	v_add_co_u32 v23, vcc_lo, s4, v25
	v_add_co_ci_u32_e64 v24, null, s5, v26, vcc_lo
	v_add_nc_u32_e32 v33, s13, v27
	v_add_co_u32 v25, vcc_lo, s4, v29
	v_add_co_ci_u32_e64 v26, null, s5, v30, vcc_lo
	v_ashrrev_i32_e32 v34, 31, v33
	v_add_nc_u32_e32 v35, s13, v33
	v_ashrrev_i32_e32 v28, 31, v27
	s_movk_i32 s82, 0x320
	s_movk_i32 s83, 0x330
	v_lshlrev_b64 v[29:30], 4, v[33:34]
	v_add_nc_u32_e32 v33, s13, v35
	v_ashrrev_i32_e32 v36, 31, v35
	v_lshlrev_b64 v[27:28], 4, v[27:28]
	s_movk_i32 s84, 0x340
	s_movk_i32 s85, 0x350
	v_add_nc_u32_e32 v37, s13, v33
	v_ashrrev_i32_e32 v34, 31, v33
	v_lshlrev_b64 v[35:36], 4, v[35:36]
	v_add_co_u32 v27, vcc_lo, s4, v27
	v_add_nc_u32_e32 v41, s13, v37
	v_lshlrev_b64 v[39:40], 4, v[33:34]
	v_add_co_ci_u32_e64 v28, null, s5, v28, vcc_lo
	v_add_co_u32 v29, vcc_lo, s4, v29
	v_ashrrev_i32_e32 v42, 31, v41
	v_add_nc_u32_e32 v45, s13, v41
	v_add_co_ci_u32_e64 v30, null, s5, v30, vcc_lo
	v_add_co_u32 v33, vcc_lo, s4, v35
	v_add_co_ci_u32_e64 v34, null, s5, v36, vcc_lo
	v_add_co_u32 v35, vcc_lo, s4, v39
	v_add_co_ci_u32_e64 v36, null, s5, v40, vcc_lo
	v_lshlrev_b64 v[39:40], 4, v[41:42]
	v_add_nc_u32_e32 v41, s13, v45
	v_ashrrev_i32_e32 v38, 31, v37
	v_ashrrev_i32_e32 v46, 31, v45
	s_cselect_b32 s62, -1, 0
	s_cmpk_eq_i32 s9, 0x84
	v_add_nc_u32_e32 v47, s13, v41
	v_lshlrev_b64 v[37:38], 4, v[37:38]
	v_ashrrev_i32_e32 v42, 31, v41
	v_lshlrev_b64 v[45:46], 4, v[45:46]
	s_movk_i32 s86, 0x360
	v_add_nc_u32_e32 v57, s13, v47
	v_ashrrev_i32_e32 v48, 31, v47
	v_add_co_u32 v37, vcc_lo, s4, v37
	v_lshlrev_b64 v[49:50], 4, v[41:42]
	v_add_co_ci_u32_e64 v38, null, s5, v38, vcc_lo
	v_add_co_u32 v39, vcc_lo, s4, v39
	v_ashrrev_i32_e32 v58, 31, v57
	v_add_nc_u32_e32 v61, s13, v57
	v_add_co_ci_u32_e64 v40, null, s5, v40, vcc_lo
	v_add_co_u32 v41, vcc_lo, s4, v45
	v_add_co_ci_u32_e64 v42, null, s5, v46, vcc_lo
	v_add_co_u32 v45, vcc_lo, s4, v49
	v_add_co_ci_u32_e64 v46, null, s5, v50, vcc_lo
	v_lshlrev_b64 v[49:50], 4, v[57:58]
	v_add_nc_u32_e32 v57, s13, v61
	v_ashrrev_i32_e32 v62, 31, v61
	v_lshlrev_b64 v[47:48], 4, v[47:48]
	s_waitcnt vmcnt(14)
	buffer_store_dword v4, off, s[0:3], 0 offset:12
	buffer_store_dword v3, off, s[0:3], 0 offset:8
	;; [unrolled: 1-line block ×3, first 2 shown]
	buffer_store_dword v1, off, s[0:3], 0
	global_load_dwordx4 v[1:4], v[55:56], off
	s_waitcnt vmcnt(14)
	buffer_store_dword v8, off, s[0:3], 0 offset:28
	buffer_store_dword v7, off, s[0:3], 0 offset:24
	buffer_store_dword v6, off, s[0:3], 0 offset:20
	buffer_store_dword v5, off, s[0:3], 0 offset:16
	global_load_dwordx4 v[5:8], v[51:52], off
	s_waitcnt vmcnt(14)
	buffer_store_dword v12, off, s[0:3], 0 offset:44
	buffer_store_dword v11, off, s[0:3], 0 offset:40
	buffer_store_dword v10, off, s[0:3], 0 offset:36
	buffer_store_dword v9, off, s[0:3], 0 offset:32
	;; [unrolled: 6-line block ×7, first 2 shown]
	global_load_dwordx4 v[105:108], v[23:24], off
	v_add_nc_u32_e32 v65, s13, v57
	v_ashrrev_i32_e32 v58, 31, v57
	s_waitcnt vmcnt(14)
	buffer_store_dword v112, off, s[0:3], 0 offset:140
	buffer_store_dword v111, off, s[0:3], 0 offset:136
	;; [unrolled: 1-line block ×4, first 2 shown]
	v_ashrrev_i32_e32 v66, 31, v65
	v_lshlrev_b64 v[61:62], 4, v[61:62]
	global_load_dwordx4 v[109:112], v[25:26], off
	s_waitcnt vmcnt(14)
	buffer_store_dword v113, off, s[0:3], 0 offset:144
	buffer_store_dword v114, off, s[0:3], 0 offset:148
	;; [unrolled: 1-line block ×4, first 2 shown]
	global_load_dwordx4 v[113:116], v[27:28], off
	s_waitcnt vmcnt(14)
	buffer_store_dword v117, off, s[0:3], 0 offset:160
	buffer_store_dword v118, off, s[0:3], 0 offset:164
	;; [unrolled: 1-line block ×4, first 2 shown]
	v_add_co_u32 v47, vcc_lo, s4, v47
	v_lshlrev_b64 v[67:68], 4, v[57:58]
	global_load_dwordx4 v[117:120], v[29:30], off
	s_waitcnt vmcnt(14)
	buffer_store_dword v122, off, s[0:3], 0 offset:176
	buffer_store_dword v123, off, s[0:3], 0 offset:180
	;; [unrolled: 1-line block ×4, first 2 shown]
	global_load_dwordx4 v[122:125], v[33:34], off
	s_waitcnt vmcnt(14)
	buffer_store_dword v129, off, s[0:3], 0 offset:204
	buffer_store_dword v128, off, s[0:3], 0 offset:200
	;; [unrolled: 1-line block ×4, first 2 shown]
	v_add_co_ci_u32_e64 v48, null, s5, v48, vcc_lo
	v_add_co_u32 v49, vcc_lo, s4, v49
	v_add_nc_u32_e32 v154, s13, v65
	v_lshlrev_b64 v[65:66], 4, v[65:66]
	global_load_dwordx4 v[126:129], v[35:36], off
	v_add_co_ci_u32_e64 v50, null, s5, v50, vcc_lo
	v_add_co_u32 v57, vcc_lo, s4, v61
	s_waitcnt vmcnt(14)
	buffer_store_dword v133, off, s[0:3], 0 offset:220
	buffer_store_dword v132, off, s[0:3], 0 offset:216
	;; [unrolled: 1-line block ×4, first 2 shown]
	v_add_co_ci_u32_e64 v58, null, s5, v62, vcc_lo
	v_add_co_u32 v61, vcc_lo, s4, v67
	global_load_dwordx4 v[130:133], v[37:38], off
	s_waitcnt vmcnt(14)
	buffer_store_dword v137, off, s[0:3], 0 offset:236
	buffer_store_dword v136, off, s[0:3], 0 offset:232
	buffer_store_dword v135, off, s[0:3], 0 offset:228
	buffer_store_dword v134, off, s[0:3], 0 offset:224
	v_add_co_ci_u32_e64 v62, null, s5, v68, vcc_lo
	v_add_co_u32 v65, vcc_lo, s4, v65
	global_load_dwordx4 v[134:137], v[39:40], off
	v_add_co_ci_u32_e64 v66, null, s5, v66, vcc_lo
	v_ashrrev_i32_e32 v155, 31, v154
	s_waitcnt vmcnt(14)
	buffer_store_dword v4, off, s[0:3], 0 offset:252
	buffer_store_dword v3, off, s[0:3], 0 offset:248
	buffer_store_dword v2, off, s[0:3], 0 offset:244
	buffer_store_dword v1, off, s[0:3], 0 offset:240
	global_load_dwordx4 v[1:4], v[41:42], off
	s_waitcnt vmcnt(14)
	buffer_store_dword v8, off, s[0:3], 0 offset:268
	buffer_store_dword v7, off, s[0:3], 0 offset:264
	buffer_store_dword v6, off, s[0:3], 0 offset:260
	buffer_store_dword v5, off, s[0:3], 0 offset:256
	global_load_dwordx4 v[138:141], v[45:46], off
	s_waitcnt vmcnt(14)
	buffer_store_dword v12, off, s[0:3], 0 offset:284
	buffer_store_dword v11, off, s[0:3], 0 offset:280
	buffer_store_dword v10, off, s[0:3], 0 offset:276
	buffer_store_dword v9, off, s[0:3], 0 offset:272
	global_load_dwordx4 v[142:145], v[47:48], off
	s_waitcnt vmcnt(14)
	buffer_store_dword v92, off, s[0:3], 0 offset:300
	buffer_store_dword v91, off, s[0:3], 0 offset:296
	buffer_store_dword v90, off, s[0:3], 0 offset:292
	buffer_store_dword v89, off, s[0:3], 0 offset:288
	global_load_dwordx4 v[146:149], v[49:50], off
	s_waitcnt vmcnt(14)
	buffer_store_dword v96, off, s[0:3], 0 offset:316
	buffer_store_dword v95, off, s[0:3], 0 offset:312
	buffer_store_dword v94, off, s[0:3], 0 offset:308
	buffer_store_dword v93, off, s[0:3], 0 offset:304
	global_load_dwordx4 v[150:153], v[57:58], off
	s_waitcnt vmcnt(14)
	buffer_store_dword v100, off, s[0:3], 0 offset:332
	buffer_store_dword v99, off, s[0:3], 0 offset:328
	buffer_store_dword v98, off, s[0:3], 0 offset:324
	buffer_store_dword v97, off, s[0:3], 0 offset:320
	global_load_dwordx4 v[97:100], v[61:62], off
	s_waitcnt vmcnt(14)
	buffer_store_dword v104, off, s[0:3], 0 offset:348
	buffer_store_dword v103, off, s[0:3], 0 offset:344
	buffer_store_dword v102, off, s[0:3], 0 offset:340
	buffer_store_dword v101, off, s[0:3], 0 offset:336
	global_load_dwordx4 v[101:104], v[65:66], off
	v_lshlrev_b64 v[67:68], 4, v[154:155]
	s_waitcnt vmcnt(14)
	buffer_store_dword v108, off, s[0:3], 0 offset:364
	buffer_store_dword v107, off, s[0:3], 0 offset:360
	;; [unrolled: 1-line block ×4, first 2 shown]
	v_add_co_u32 v67, vcc_lo, s4, v67
	v_add_co_ci_u32_e64 v68, null, s5, v68, vcc_lo
	v_add_nc_u32_e32 v5, s13, v154
	global_load_dwordx4 v[105:108], v[67:68], off
	s_waitcnt vmcnt(14)
	buffer_store_dword v112, off, s[0:3], 0 offset:380
	buffer_store_dword v111, off, s[0:3], 0 offset:376
	;; [unrolled: 1-line block ×4, first 2 shown]
	v_add_nc_u32_e32 v7, s13, v5
	v_ashrrev_i32_e32 v6, 31, v5
	s_waitcnt vmcnt(13)
	buffer_store_dword v116, off, s[0:3], 0 offset:396
	buffer_store_dword v115, off, s[0:3], 0 offset:392
	;; [unrolled: 1-line block ×4, first 2 shown]
	s_waitcnt vmcnt(12)
	buffer_store_dword v120, off, s[0:3], 0 offset:412
	buffer_store_dword v119, off, s[0:3], 0 offset:408
	;; [unrolled: 1-line block ×4, first 2 shown]
	v_add_nc_u32_e32 v9, s13, v7
	v_ashrrev_i32_e32 v8, 31, v7
	v_lshlrev_b64 v[5:6], 4, v[5:6]
	v_add_nc_u32_e32 v11, s13, v9
	v_ashrrev_i32_e32 v10, 31, v9
	v_lshlrev_b64 v[7:8], 4, v[7:8]
	v_add_co_u32 v5, vcc_lo, s4, v5
	v_add_nc_u32_e32 v89, s13, v11
	v_ashrrev_i32_e32 v12, 31, v11
	v_lshlrev_b64 v[9:10], 4, v[9:10]
	v_add_co_ci_u32_e64 v6, null, s5, v6, vcc_lo
	v_add_nc_u32_e32 v91, s13, v89
	v_ashrrev_i32_e32 v90, 31, v89
	v_lshlrev_b64 v[11:12], 4, v[11:12]
	v_add_co_u32 v7, vcc_lo, s4, v7
	v_add_nc_u32_e32 v93, s13, v91
	v_ashrrev_i32_e32 v92, 31, v91
	v_lshlrev_b64 v[89:90], 4, v[89:90]
	v_add_co_ci_u32_e64 v8, null, s5, v8, vcc_lo
	v_add_nc_u32_e32 v95, s13, v93
	v_ashrrev_i32_e32 v94, 31, v93
	v_add_co_u32 v9, vcc_lo, s4, v9
	v_lshlrev_b64 v[91:92], 4, v[91:92]
	v_ashrrev_i32_e32 v96, 31, v95
	v_add_co_ci_u32_e64 v10, null, s5, v10, vcc_lo
	v_add_co_u32 v11, vcc_lo, s4, v11
	v_lshlrev_b64 v[93:94], 4, v[93:94]
	global_load_dwordx4 v[109:112], v[5:6], off
	s_waitcnt vmcnt(12)
	buffer_store_dword v125, off, s[0:3], 0 offset:428
	buffer_store_dword v124, off, s[0:3], 0 offset:424
	;; [unrolled: 1-line block ×4, first 2 shown]
	v_add_co_ci_u32_e64 v12, null, s5, v12, vcc_lo
	s_waitcnt vmcnt(11)
	buffer_store_dword v129, off, s[0:3], 0 offset:444
	buffer_store_dword v128, off, s[0:3], 0 offset:440
	;; [unrolled: 1-line block ×4, first 2 shown]
	s_waitcnt vmcnt(10)
	buffer_store_dword v133, off, s[0:3], 0 offset:460
	buffer_store_dword v132, off, s[0:3], 0 offset:456
	;; [unrolled: 1-line block ×4, first 2 shown]
	v_add_co_u32 v89, vcc_lo, s4, v89
	v_add_nc_u32_e32 v130, s13, v95
	v_lshlrev_b64 v[95:96], 4, v[95:96]
	v_add_co_ci_u32_e64 v90, null, s5, v90, vcc_lo
	v_add_co_u32 v91, vcc_lo, s4, v91
	v_add_co_ci_u32_e64 v92, null, s5, v92, vcc_lo
	v_add_co_u32 v93, vcc_lo, s4, v93
	;; [unrolled: 2-line block ×3, first 2 shown]
	s_clause 0x1
	global_load_dwordx4 v[113:116], v[7:8], off
	global_load_dwordx4 v[117:120], v[9:10], off
	s_waitcnt vmcnt(11)
	buffer_store_dword v137, off, s[0:3], 0 offset:476
	buffer_store_dword v136, off, s[0:3], 0 offset:472
	;; [unrolled: 1-line block ×4, first 2 shown]
	v_ashrrev_i32_e32 v131, 31, v130
	v_add_co_ci_u32_e64 v96, null, s5, v96, vcc_lo
	s_waitcnt vmcnt(10)
	buffer_store_dword v4, off, s[0:3], 0 offset:492
	buffer_store_dword v3, off, s[0:3], 0 offset:488
	;; [unrolled: 1-line block ×4, first 2 shown]
	s_waitcnt vmcnt(9)
	buffer_store_dword v141, off, s[0:3], 0 offset:508
	buffer_store_dword v140, off, s[0:3], 0 offset:504
	;; [unrolled: 1-line block ×4, first 2 shown]
	s_clause 0x1
	global_load_dwordx4 v[1:4], v[11:12], off
	global_load_dwordx4 v[122:125], v[89:90], off
	s_waitcnt vmcnt(10)
	buffer_store_dword v145, off, s[0:3], 0 offset:524
	buffer_store_dword v144, off, s[0:3], 0 offset:520
	;; [unrolled: 1-line block ×4, first 2 shown]
	s_waitcnt vmcnt(9)
	buffer_store_dword v149, off, s[0:3], 0 offset:540
	buffer_store_dword v148, off, s[0:3], 0 offset:536
	;; [unrolled: 1-line block ×4, first 2 shown]
	global_load_dwordx4 v[126:129], v[91:92], off
	s_waitcnt vmcnt(9)
	buffer_store_dword v153, off, s[0:3], 0 offset:556
	buffer_store_dword v152, off, s[0:3], 0 offset:552
	;; [unrolled: 1-line block ×4, first 2 shown]
	s_waitcnt vmcnt(8)
	buffer_store_dword v100, off, s[0:3], 0 offset:572
	buffer_store_dword v99, off, s[0:3], 0 offset:568
	;; [unrolled: 1-line block ×4, first 2 shown]
	s_waitcnt vmcnt(7)
	buffer_store_dword v104, off, s[0:3], 0 offset:588
	buffer_store_dword v103, off, s[0:3], 0 offset:584
	buffer_store_dword v102, off, s[0:3], 0 offset:580
	v_add_nc_u32_e32 v142, s13, v130
	v_lshlrev_b64 v[134:135], 4, v[130:131]
	global_load_dwordx4 v[130:133], v[93:94], off
	buffer_store_dword v101, off, s[0:3], 0 offset:576
	global_load_dwordx4 v[101:104], v[95:96], off
	v_ashrrev_i32_e32 v143, 31, v142
	v_add_co_u32 v97, vcc_lo, s4, v134
	v_add_co_ci_u32_e64 v98, null, s5, v135, vcc_lo
	v_lshlrev_b64 v[99:100], 4, v[142:143]
	global_load_dwordx4 v[134:137], v[97:98], off
	s_waitcnt vmcnt(9)
	buffer_store_dword v108, off, s[0:3], 0 offset:604
	buffer_store_dword v107, off, s[0:3], 0 offset:600
	;; [unrolled: 1-line block ×4, first 2 shown]
	v_add_co_u32 v99, vcc_lo, s4, v99
	v_add_co_ci_u32_e64 v100, null, s5, v100, vcc_lo
	global_load_dwordx4 v[138:141], v[99:100], off
	s_waitcnt vmcnt(9)
	buffer_store_dword v112, off, s[0:3], 0 offset:620
	buffer_store_dword v111, off, s[0:3], 0 offset:616
	buffer_store_dword v110, off, s[0:3], 0 offset:612
	buffer_store_dword v109, off, s[0:3], 0 offset:608
	s_waitcnt vmcnt(8)
	buffer_store_dword v116, off, s[0:3], 0 offset:636
	buffer_store_dword v115, off, s[0:3], 0 offset:632
	buffer_store_dword v114, off, s[0:3], 0 offset:628
	buffer_store_dword v113, off, s[0:3], 0 offset:624
	;; [unrolled: 5-line block ×6, first 2 shown]
	s_waitcnt vmcnt(3)
	buffer_store_dword v133, off, s[0:3], 0 offset:716
	v_add_nc_u32_e32 v1, s13, v142
	buffer_store_dword v132, off, s[0:3], 0 offset:712
	buffer_store_dword v131, off, s[0:3], 0 offset:708
	;; [unrolled: 1-line block ×3, first 2 shown]
	s_waitcnt vmcnt(2)
	buffer_store_dword v104, off, s[0:3], 0 offset:732
	buffer_store_dword v103, off, s[0:3], 0 offset:728
	;; [unrolled: 1-line block ×4, first 2 shown]
	v_add_nc_u32_e32 v103, s13, v1
	v_ashrrev_i32_e32 v2, 31, v1
	s_waitcnt vmcnt(1)
	buffer_store_dword v137, off, s[0:3], 0 offset:748
	buffer_store_dword v136, off, s[0:3], 0 offset:744
	;; [unrolled: 1-line block ×3, first 2 shown]
	v_add_nc_u32_e32 v105, s13, v103
	v_ashrrev_i32_e32 v104, 31, v103
	v_lshlrev_b64 v[1:2], 4, v[1:2]
	buffer_store_dword v134, off, s[0:3], 0 offset:736
	v_add_nc_u32_e32 v107, s13, v105
	v_ashrrev_i32_e32 v106, 31, v105
	v_lshlrev_b64 v[103:104], 4, v[103:104]
	v_add_co_u32 v101, vcc_lo, s4, v1
	v_add_nc_u32_e32 v109, s13, v107
	v_ashrrev_i32_e32 v108, 31, v107
	v_lshlrev_b64 v[105:106], 4, v[105:106]
	v_add_co_ci_u32_e64 v102, null, s5, v2, vcc_lo
	v_ashrrev_i32_e32 v110, 31, v109
	v_add_nc_u32_e32 v112, s13, v109
	v_lshlrev_b64 v[107:108], 4, v[107:108]
	v_add_co_u32 v103, vcc_lo, s4, v103
	v_lshlrev_b64 v[110:111], 4, v[109:110]
	v_add_nc_u32_e32 v119, s13, v112
	v_add_co_ci_u32_e64 v104, null, s5, v104, vcc_lo
	v_add_co_u32 v105, vcc_lo, s4, v105
	v_ashrrev_i32_e32 v113, 31, v112
	v_add_co_ci_u32_e64 v106, null, s5, v106, vcc_lo
	v_add_co_u32 v107, vcc_lo, s4, v107
	v_ashrrev_i32_e32 v120, 31, v119
	v_add_co_ci_u32_e64 v108, null, s5, v108, vcc_lo
	v_add_co_u32 v109, vcc_lo, s4, v110
	v_add_co_ci_u32_e64 v110, null, s5, v111, vcc_lo
	v_lshlrev_b64 v[111:112], 4, v[112:113]
	v_lshlrev_b64 v[119:120], 4, v[119:120]
	s_waitcnt vmcnt(0)
	buffer_store_dword v141, off, s[0:3], 0 offset:764
	s_clause 0x4
	global_load_dwordx4 v[1:4], v[101:102], off
	global_load_dwordx4 v[115:118], v[103:104], off
	;; [unrolled: 1-line block ×5, first 2 shown]
	v_add_co_u32 v113, vcc_lo, s4, v111
	v_add_co_ci_u32_e64 v114, null, s5, v112, vcc_lo
	v_add_co_u32 v111, vcc_lo, s4, v119
	v_add_co_ci_u32_e64 v112, null, s5, v120, vcc_lo
	global_load_dwordx4 v[134:137], v[113:114], off
	buffer_store_dword v140, off, s[0:3], 0 offset:760
	buffer_store_dword v139, off, s[0:3], 0 offset:756
	;; [unrolled: 1-line block ×3, first 2 shown]
	s_movk_i32 s4, 0x50
	global_load_dwordx4 v[138:141], v[111:112], off
	s_movk_i32 s5, 0x60
	s_movk_i32 s13, 0xc0
	s_waitcnt vmcnt(6)
	buffer_store_dword v4, off, s[0:3], 0 offset:780
	buffer_store_dword v3, off, s[0:3], 0 offset:776
	buffer_store_dword v2, off, s[0:3], 0 offset:772
	buffer_store_dword v1, off, s[0:3], 0 offset:768
	s_waitcnt vmcnt(5)
	buffer_store_dword v118, off, s[0:3], 0 offset:796
	buffer_store_dword v117, off, s[0:3], 0 offset:792
	buffer_store_dword v116, off, s[0:3], 0 offset:788
	buffer_store_dword v115, off, s[0:3], 0 offset:784
	;; [unrolled: 5-line block ×7, first 2 shown]
	s_cbranch_scc1 .LBB54_7
; %bb.2:
	v_lshl_add_u32 v122, v0, 4, 0
                                        ; implicit-def: $vgpr117_vgpr118
                                        ; implicit-def: $vgpr3_vgpr4
	s_clause 0x3
	buffer_load_dword v115, v122, s[0:3], 0 offen
	buffer_load_dword v116, v122, s[0:3], 0 offen offset:4
	buffer_load_dword v119, v122, s[0:3], 0 offen offset:8
	;; [unrolled: 1-line block ×3, first 2 shown]
	s_waitcnt vmcnt(0)
	v_cmp_ngt_f64_e64 s9, |v[115:116]|, |v[119:120]|
	s_and_saveexec_b32 s33, s9
	s_xor_b32 s9, exec_lo, s33
	s_cbranch_execz .LBB54_4
; %bb.3:
	v_div_scale_f64 v[1:2], null, v[119:120], v[119:120], v[115:116]
	v_div_scale_f64 v[123:124], vcc_lo, v[115:116], v[119:120], v[115:116]
	v_rcp_f64_e32 v[3:4], v[1:2]
	v_fma_f64 v[117:118], -v[1:2], v[3:4], 1.0
	v_fma_f64 v[3:4], v[3:4], v[117:118], v[3:4]
	v_fma_f64 v[117:118], -v[1:2], v[3:4], 1.0
	v_fma_f64 v[3:4], v[3:4], v[117:118], v[3:4]
	v_mul_f64 v[117:118], v[123:124], v[3:4]
	v_fma_f64 v[1:2], -v[1:2], v[117:118], v[123:124]
	v_div_fmas_f64 v[1:2], v[1:2], v[3:4], v[117:118]
	v_div_fixup_f64 v[1:2], v[1:2], v[119:120], v[115:116]
	v_fma_f64 v[3:4], v[115:116], v[1:2], v[119:120]
	v_div_scale_f64 v[115:116], null, v[3:4], v[3:4], 1.0
	v_div_scale_f64 v[123:124], vcc_lo, 1.0, v[3:4], 1.0
	v_rcp_f64_e32 v[117:118], v[115:116]
	v_fma_f64 v[119:120], -v[115:116], v[117:118], 1.0
	v_fma_f64 v[117:118], v[117:118], v[119:120], v[117:118]
	v_fma_f64 v[119:120], -v[115:116], v[117:118], 1.0
	v_fma_f64 v[117:118], v[117:118], v[119:120], v[117:118]
	v_mul_f64 v[119:120], v[123:124], v[117:118]
	v_fma_f64 v[115:116], -v[115:116], v[119:120], v[123:124]
	v_div_fmas_f64 v[115:116], v[115:116], v[117:118], v[119:120]
                                        ; implicit-def: $vgpr119_vgpr120
	v_div_fixup_f64 v[3:4], v[115:116], v[3:4], 1.0
                                        ; implicit-def: $vgpr115_vgpr116
	v_mul_f64 v[117:118], v[1:2], v[3:4]
	v_xor_b32_e32 v4, 0x80000000, v4
	v_xor_b32_e32 v2, 0x80000000, v118
	v_mov_b32_e32 v1, v117
.LBB54_4:
	s_andn2_saveexec_b32 s9, s9
	s_cbranch_execz .LBB54_6
; %bb.5:
	v_div_scale_f64 v[1:2], null, v[115:116], v[115:116], v[119:120]
	v_div_scale_f64 v[123:124], vcc_lo, v[119:120], v[115:116], v[119:120]
	v_rcp_f64_e32 v[3:4], v[1:2]
	v_fma_f64 v[117:118], -v[1:2], v[3:4], 1.0
	v_fma_f64 v[3:4], v[3:4], v[117:118], v[3:4]
	v_fma_f64 v[117:118], -v[1:2], v[3:4], 1.0
	v_fma_f64 v[3:4], v[3:4], v[117:118], v[3:4]
	v_mul_f64 v[117:118], v[123:124], v[3:4]
	v_fma_f64 v[1:2], -v[1:2], v[117:118], v[123:124]
	v_div_fmas_f64 v[1:2], v[1:2], v[3:4], v[117:118]
	v_div_fixup_f64 v[1:2], v[1:2], v[115:116], v[119:120]
	v_fma_f64 v[3:4], v[119:120], v[1:2], v[115:116]
	v_div_scale_f64 v[115:116], null, v[3:4], v[3:4], 1.0
	v_rcp_f64_e32 v[117:118], v[115:116]
	v_fma_f64 v[119:120], -v[115:116], v[117:118], 1.0
	v_fma_f64 v[117:118], v[117:118], v[119:120], v[117:118]
	v_fma_f64 v[119:120], -v[115:116], v[117:118], 1.0
	v_fma_f64 v[117:118], v[117:118], v[119:120], v[117:118]
	v_div_scale_f64 v[119:120], vcc_lo, 1.0, v[3:4], 1.0
	v_mul_f64 v[123:124], v[119:120], v[117:118]
	v_fma_f64 v[115:116], -v[115:116], v[123:124], v[119:120]
	v_div_fmas_f64 v[115:116], v[115:116], v[117:118], v[123:124]
	v_div_fixup_f64 v[117:118], v[115:116], v[3:4], 1.0
	v_mul_f64 v[3:4], v[1:2], -v[117:118]
	v_xor_b32_e32 v2, 0x80000000, v118
	v_mov_b32_e32 v1, v117
.LBB54_6:
	s_or_b32 exec_lo, exec_lo, s9
	buffer_store_dword v4, v122, s[0:3], 0 offen offset:12
	v_xor_b32_e32 v4, 0x80000000, v4
	buffer_store_dword v118, v122, s[0:3], 0 offen offset:4
	buffer_store_dword v117, v122, s[0:3], 0 offen
	buffer_store_dword v3, v122, s[0:3], 0 offen offset:8
	s_branch .LBB54_8
.LBB54_7:
	v_mov_b32_e32 v1, 0
	v_mov_b32_e32 v3, 0
	;; [unrolled: 1-line block ×4, first 2 shown]
.LBB54_8:
	v_add_nc_u32_e32 v116, 0x370, v121
	v_mov_b32_e32 v115, v121
	s_mov_b32 s61, 16
	s_mov_b32 s60, 32
	;; [unrolled: 1-line block ×53, first 2 shown]
	s_cmpk_eq_i32 s8, 0x79
	ds_write_b128 v121, v[1:4]
	s_cbranch_scc1 .LBB54_436
; %bb.9:
	v_mov_b32_e32 v4, s7
	v_cmp_eq_u32_e64 s4, 54, v0
	s_clause 0x3
	buffer_load_dword v1, v4, s[0:3], 0 offen
	buffer_load_dword v2, v4, s[0:3], 0 offen offset:4
	buffer_load_dword v3, v4, s[0:3], 0 offen offset:8
	;; [unrolled: 1-line block ×3, first 2 shown]
	s_waitcnt vmcnt(0)
	ds_write_b128 v116, v[1:4]
	s_waitcnt lgkmcnt(0)
	s_waitcnt_vscnt null, 0x0
	s_barrier
	buffer_gl0_inv
	s_and_saveexec_b32 s5, s4
	s_cbranch_execz .LBB54_13
; %bb.10:
	ds_read_b128 v[1:4], v116
	s_andn2_b32 vcc_lo, exec_lo, s62
	s_cbranch_vccnz .LBB54_12
; %bb.11:
	s_clause 0x3
	buffer_load_dword v117, v115, s[0:3], 0 offen offset:8
	buffer_load_dword v118, v115, s[0:3], 0 offen offset:12
	buffer_load_dword v119, v115, s[0:3], 0 offen
	buffer_load_dword v120, v115, s[0:3], 0 offen offset:4
	s_waitcnt vmcnt(2) lgkmcnt(0)
	v_mul_f64 v[122:123], v[3:4], v[117:118]
	v_mul_f64 v[117:118], v[1:2], v[117:118]
	s_waitcnt vmcnt(0)
	v_fma_f64 v[1:2], v[1:2], v[119:120], -v[122:123]
	v_fma_f64 v[3:4], v[3:4], v[119:120], v[117:118]
.LBB54_12:
	v_mov_b32_e32 v117, 0
	ds_read_b128 v[117:120], v117 offset:848
	s_waitcnt lgkmcnt(0)
	v_mul_f64 v[122:123], v[3:4], v[119:120]
	v_mul_f64 v[119:120], v[1:2], v[119:120]
	v_fma_f64 v[1:2], v[1:2], v[117:118], -v[122:123]
	v_fma_f64 v[3:4], v[3:4], v[117:118], v[119:120]
	buffer_store_dword v2, off, s[0:3], 0 offset:852
	buffer_store_dword v1, off, s[0:3], 0 offset:848
	;; [unrolled: 1-line block ×4, first 2 shown]
.LBB54_13:
	s_or_b32 exec_lo, exec_lo, s5
	v_mov_b32_e32 v4, s9
	v_cmp_lt_u32_e64 s5, 52, v0
	s_clause 0x3
	buffer_load_dword v1, v4, s[0:3], 0 offen
	buffer_load_dword v2, v4, s[0:3], 0 offen offset:4
	buffer_load_dword v3, v4, s[0:3], 0 offen offset:8
	;; [unrolled: 1-line block ×3, first 2 shown]
	s_waitcnt vmcnt(0)
	ds_write_b128 v116, v[1:4]
	s_waitcnt lgkmcnt(0)
	s_waitcnt_vscnt null, 0x0
	s_barrier
	buffer_gl0_inv
	s_and_saveexec_b32 s8, s5
	s_cbranch_execz .LBB54_19
; %bb.14:
	ds_read_b128 v[1:4], v116
	s_andn2_b32 vcc_lo, exec_lo, s62
	s_cbranch_vccnz .LBB54_16
; %bb.15:
	s_clause 0x3
	buffer_load_dword v117, v115, s[0:3], 0 offen offset:8
	buffer_load_dword v118, v115, s[0:3], 0 offen offset:12
	buffer_load_dword v119, v115, s[0:3], 0 offen
	buffer_load_dword v120, v115, s[0:3], 0 offen offset:4
	s_waitcnt vmcnt(2) lgkmcnt(0)
	v_mul_f64 v[122:123], v[3:4], v[117:118]
	v_mul_f64 v[117:118], v[1:2], v[117:118]
	s_waitcnt vmcnt(0)
	v_fma_f64 v[1:2], v[1:2], v[119:120], -v[122:123]
	v_fma_f64 v[3:4], v[3:4], v[119:120], v[117:118]
.LBB54_16:
	s_and_saveexec_b32 s63, s4
	s_cbranch_execz .LBB54_18
; %bb.17:
	s_clause 0x3
	buffer_load_dword v122, off, s[0:3], 0 offset:856
	buffer_load_dword v123, off, s[0:3], 0 offset:860
	;; [unrolled: 1-line block ×4, first 2 shown]
	v_mov_b32_e32 v117, 0
	ds_read_b128 v[117:120], v117 offset:1728
	s_waitcnt vmcnt(2) lgkmcnt(0)
	v_mul_f64 v[126:127], v[117:118], v[122:123]
	v_mul_f64 v[122:123], v[119:120], v[122:123]
	s_waitcnt vmcnt(0)
	v_fma_f64 v[119:120], v[119:120], v[124:125], v[126:127]
	v_fma_f64 v[117:118], v[117:118], v[124:125], -v[122:123]
	v_add_f64 v[3:4], v[3:4], v[119:120]
	v_add_f64 v[1:2], v[1:2], v[117:118]
.LBB54_18:
	s_or_b32 exec_lo, exec_lo, s63
	v_mov_b32_e32 v117, 0
	ds_read_b128 v[117:120], v117 offset:832
	s_waitcnt lgkmcnt(0)
	v_mul_f64 v[122:123], v[3:4], v[119:120]
	v_mul_f64 v[119:120], v[1:2], v[119:120]
	v_fma_f64 v[1:2], v[1:2], v[117:118], -v[122:123]
	v_fma_f64 v[3:4], v[3:4], v[117:118], v[119:120]
	buffer_store_dword v2, off, s[0:3], 0 offset:836
	buffer_store_dword v1, off, s[0:3], 0 offset:832
	buffer_store_dword v4, off, s[0:3], 0 offset:844
	buffer_store_dword v3, off, s[0:3], 0 offset:840
.LBB54_19:
	s_or_b32 exec_lo, exec_lo, s8
	v_mov_b32_e32 v4, s10
	v_cmp_lt_u32_e64 s4, 51, v0
	s_clause 0x3
	buffer_load_dword v1, v4, s[0:3], 0 offen
	buffer_load_dword v2, v4, s[0:3], 0 offen offset:4
	buffer_load_dword v3, v4, s[0:3], 0 offen offset:8
	;; [unrolled: 1-line block ×3, first 2 shown]
	s_waitcnt vmcnt(0)
	ds_write_b128 v116, v[1:4]
	s_waitcnt lgkmcnt(0)
	s_waitcnt_vscnt null, 0x0
	s_barrier
	buffer_gl0_inv
	s_and_saveexec_b32 s8, s4
	s_cbranch_execz .LBB54_27
; %bb.20:
	ds_read_b128 v[1:4], v116
	s_andn2_b32 vcc_lo, exec_lo, s62
	s_cbranch_vccnz .LBB54_22
; %bb.21:
	s_clause 0x3
	buffer_load_dword v117, v115, s[0:3], 0 offen offset:8
	buffer_load_dword v118, v115, s[0:3], 0 offen offset:12
	buffer_load_dword v119, v115, s[0:3], 0 offen
	buffer_load_dword v120, v115, s[0:3], 0 offen offset:4
	s_waitcnt vmcnt(2) lgkmcnt(0)
	v_mul_f64 v[122:123], v[3:4], v[117:118]
	v_mul_f64 v[117:118], v[1:2], v[117:118]
	s_waitcnt vmcnt(0)
	v_fma_f64 v[1:2], v[1:2], v[119:120], -v[122:123]
	v_fma_f64 v[3:4], v[3:4], v[119:120], v[117:118]
.LBB54_22:
	s_and_saveexec_b32 s63, s5
	s_cbranch_execz .LBB54_26
; %bb.23:
	v_subrev_nc_u32_e32 v117, 52, v0
	s_movk_i32 s64, 0x6b0
	s_mov_b32 s5, 0
	s_mov_b32 s65, s9
	.p2align	6
.LBB54_24:                              ; =>This Inner Loop Header: Depth=1
	v_mov_b32_e32 v120, s65
	v_add_nc_u32_e32 v117, -1, v117
	s_add_i32 s65, s65, 16
	s_clause 0x3
	buffer_load_dword v118, v120, s[0:3], 0 offen offset:8
	buffer_load_dword v119, v120, s[0:3], 0 offen offset:12
	buffer_load_dword v126, v120, s[0:3], 0 offen
	buffer_load_dword v127, v120, s[0:3], 0 offen offset:4
	v_mov_b32_e32 v120, s64
	v_cmp_eq_u32_e32 vcc_lo, 0, v117
	s_add_i32 s64, s64, 16
	ds_read_b128 v[122:125], v120
	s_or_b32 s5, vcc_lo, s5
	s_waitcnt vmcnt(2) lgkmcnt(0)
	v_mul_f64 v[128:129], v[124:125], v[118:119]
	v_mul_f64 v[118:119], v[122:123], v[118:119]
	s_waitcnt vmcnt(0)
	v_fma_f64 v[122:123], v[122:123], v[126:127], -v[128:129]
	v_fma_f64 v[118:119], v[124:125], v[126:127], v[118:119]
	v_add_f64 v[1:2], v[1:2], v[122:123]
	v_add_f64 v[3:4], v[3:4], v[118:119]
	s_andn2_b32 exec_lo, exec_lo, s5
	s_cbranch_execnz .LBB54_24
; %bb.25:
	s_or_b32 exec_lo, exec_lo, s5
.LBB54_26:
	s_or_b32 exec_lo, exec_lo, s63
	v_mov_b32_e32 v117, 0
	ds_read_b128 v[117:120], v117 offset:816
	s_waitcnt lgkmcnt(0)
	v_mul_f64 v[122:123], v[3:4], v[119:120]
	v_mul_f64 v[119:120], v[1:2], v[119:120]
	v_fma_f64 v[1:2], v[1:2], v[117:118], -v[122:123]
	v_fma_f64 v[3:4], v[3:4], v[117:118], v[119:120]
	buffer_store_dword v2, off, s[0:3], 0 offset:820
	buffer_store_dword v1, off, s[0:3], 0 offset:816
	;; [unrolled: 1-line block ×4, first 2 shown]
.LBB54_27:
	s_or_b32 exec_lo, exec_lo, s8
	v_mov_b32_e32 v4, s11
	v_cmp_lt_u32_e64 s5, 50, v0
	s_clause 0x3
	buffer_load_dword v1, v4, s[0:3], 0 offen
	buffer_load_dword v2, v4, s[0:3], 0 offen offset:4
	buffer_load_dword v3, v4, s[0:3], 0 offen offset:8
	;; [unrolled: 1-line block ×3, first 2 shown]
	s_waitcnt vmcnt(0)
	ds_write_b128 v116, v[1:4]
	s_waitcnt lgkmcnt(0)
	s_waitcnt_vscnt null, 0x0
	s_barrier
	buffer_gl0_inv
	s_and_saveexec_b32 s8, s5
	s_cbranch_execz .LBB54_35
; %bb.28:
	ds_read_b128 v[1:4], v116
	s_andn2_b32 vcc_lo, exec_lo, s62
	s_cbranch_vccnz .LBB54_30
; %bb.29:
	s_clause 0x3
	buffer_load_dword v117, v115, s[0:3], 0 offen offset:8
	buffer_load_dword v118, v115, s[0:3], 0 offen offset:12
	buffer_load_dword v119, v115, s[0:3], 0 offen
	buffer_load_dword v120, v115, s[0:3], 0 offen offset:4
	s_waitcnt vmcnt(2) lgkmcnt(0)
	v_mul_f64 v[122:123], v[3:4], v[117:118]
	v_mul_f64 v[117:118], v[1:2], v[117:118]
	s_waitcnt vmcnt(0)
	v_fma_f64 v[1:2], v[1:2], v[119:120], -v[122:123]
	v_fma_f64 v[3:4], v[3:4], v[119:120], v[117:118]
.LBB54_30:
	s_and_saveexec_b32 s63, s4
	s_cbranch_execz .LBB54_34
; %bb.31:
	v_subrev_nc_u32_e32 v117, 51, v0
	s_movk_i32 s64, 0x6a0
	s_mov_b32 s4, 0
	s_mov_b32 s65, s10
	.p2align	6
.LBB54_32:                              ; =>This Inner Loop Header: Depth=1
	v_mov_b32_e32 v120, s65
	v_add_nc_u32_e32 v117, -1, v117
	s_add_i32 s65, s65, 16
	s_clause 0x3
	buffer_load_dword v118, v120, s[0:3], 0 offen offset:8
	buffer_load_dword v119, v120, s[0:3], 0 offen offset:12
	buffer_load_dword v126, v120, s[0:3], 0 offen
	buffer_load_dword v127, v120, s[0:3], 0 offen offset:4
	v_mov_b32_e32 v120, s64
	v_cmp_eq_u32_e32 vcc_lo, 0, v117
	s_add_i32 s64, s64, 16
	ds_read_b128 v[122:125], v120
	s_or_b32 s4, vcc_lo, s4
	s_waitcnt vmcnt(2) lgkmcnt(0)
	v_mul_f64 v[128:129], v[124:125], v[118:119]
	v_mul_f64 v[118:119], v[122:123], v[118:119]
	s_waitcnt vmcnt(0)
	v_fma_f64 v[122:123], v[122:123], v[126:127], -v[128:129]
	v_fma_f64 v[118:119], v[124:125], v[126:127], v[118:119]
	v_add_f64 v[1:2], v[1:2], v[122:123]
	v_add_f64 v[3:4], v[3:4], v[118:119]
	s_andn2_b32 exec_lo, exec_lo, s4
	s_cbranch_execnz .LBB54_32
; %bb.33:
	s_or_b32 exec_lo, exec_lo, s4
.LBB54_34:
	s_or_b32 exec_lo, exec_lo, s63
	v_mov_b32_e32 v117, 0
	ds_read_b128 v[117:120], v117 offset:800
	s_waitcnt lgkmcnt(0)
	v_mul_f64 v[122:123], v[3:4], v[119:120]
	v_mul_f64 v[119:120], v[1:2], v[119:120]
	v_fma_f64 v[1:2], v[1:2], v[117:118], -v[122:123]
	v_fma_f64 v[3:4], v[3:4], v[117:118], v[119:120]
	buffer_store_dword v2, off, s[0:3], 0 offset:804
	buffer_store_dword v1, off, s[0:3], 0 offset:800
	buffer_store_dword v4, off, s[0:3], 0 offset:812
	buffer_store_dword v3, off, s[0:3], 0 offset:808
.LBB54_35:
	s_or_b32 exec_lo, exec_lo, s8
	v_mov_b32_e32 v4, s12
	v_cmp_lt_u32_e64 s4, 49, v0
	s_clause 0x3
	buffer_load_dword v1, v4, s[0:3], 0 offen
	buffer_load_dword v2, v4, s[0:3], 0 offen offset:4
	buffer_load_dword v3, v4, s[0:3], 0 offen offset:8
	;; [unrolled: 1-line block ×3, first 2 shown]
	s_waitcnt vmcnt(0)
	ds_write_b128 v116, v[1:4]
	s_waitcnt lgkmcnt(0)
	s_waitcnt_vscnt null, 0x0
	s_barrier
	buffer_gl0_inv
	s_and_saveexec_b32 s8, s4
	s_cbranch_execz .LBB54_43
; %bb.36:
	ds_read_b128 v[1:4], v116
	s_andn2_b32 vcc_lo, exec_lo, s62
	s_cbranch_vccnz .LBB54_38
; %bb.37:
	s_clause 0x3
	buffer_load_dword v117, v115, s[0:3], 0 offen offset:8
	buffer_load_dword v118, v115, s[0:3], 0 offen offset:12
	buffer_load_dword v119, v115, s[0:3], 0 offen
	buffer_load_dword v120, v115, s[0:3], 0 offen offset:4
	s_waitcnt vmcnt(2) lgkmcnt(0)
	v_mul_f64 v[122:123], v[3:4], v[117:118]
	v_mul_f64 v[117:118], v[1:2], v[117:118]
	s_waitcnt vmcnt(0)
	v_fma_f64 v[1:2], v[1:2], v[119:120], -v[122:123]
	v_fma_f64 v[3:4], v[3:4], v[119:120], v[117:118]
.LBB54_38:
	s_and_saveexec_b32 s63, s5
	s_cbranch_execz .LBB54_42
; %bb.39:
	v_subrev_nc_u32_e32 v117, 50, v0
	s_movk_i32 s64, 0x690
	s_mov_b32 s5, 0
	s_mov_b32 s65, s11
	.p2align	6
.LBB54_40:                              ; =>This Inner Loop Header: Depth=1
	v_mov_b32_e32 v120, s65
	v_add_nc_u32_e32 v117, -1, v117
	s_add_i32 s65, s65, 16
	s_clause 0x3
	buffer_load_dword v118, v120, s[0:3], 0 offen offset:8
	buffer_load_dword v119, v120, s[0:3], 0 offen offset:12
	buffer_load_dword v126, v120, s[0:3], 0 offen
	buffer_load_dword v127, v120, s[0:3], 0 offen offset:4
	v_mov_b32_e32 v120, s64
	v_cmp_eq_u32_e32 vcc_lo, 0, v117
	s_add_i32 s64, s64, 16
	ds_read_b128 v[122:125], v120
	s_or_b32 s5, vcc_lo, s5
	s_waitcnt vmcnt(2) lgkmcnt(0)
	v_mul_f64 v[128:129], v[124:125], v[118:119]
	v_mul_f64 v[118:119], v[122:123], v[118:119]
	s_waitcnt vmcnt(0)
	v_fma_f64 v[122:123], v[122:123], v[126:127], -v[128:129]
	v_fma_f64 v[118:119], v[124:125], v[126:127], v[118:119]
	v_add_f64 v[1:2], v[1:2], v[122:123]
	v_add_f64 v[3:4], v[3:4], v[118:119]
	s_andn2_b32 exec_lo, exec_lo, s5
	s_cbranch_execnz .LBB54_40
; %bb.41:
	s_or_b32 exec_lo, exec_lo, s5
.LBB54_42:
	s_or_b32 exec_lo, exec_lo, s63
	v_mov_b32_e32 v117, 0
	ds_read_b128 v[117:120], v117 offset:784
	s_waitcnt lgkmcnt(0)
	v_mul_f64 v[122:123], v[3:4], v[119:120]
	v_mul_f64 v[119:120], v[1:2], v[119:120]
	v_fma_f64 v[1:2], v[1:2], v[117:118], -v[122:123]
	v_fma_f64 v[3:4], v[3:4], v[117:118], v[119:120]
	buffer_store_dword v2, off, s[0:3], 0 offset:788
	buffer_store_dword v1, off, s[0:3], 0 offset:784
	;; [unrolled: 1-line block ×4, first 2 shown]
.LBB54_43:
	s_or_b32 exec_lo, exec_lo, s8
	v_mov_b32_e32 v4, s13
	v_cmp_lt_u32_e64 s5, 48, v0
	s_clause 0x3
	buffer_load_dword v1, v4, s[0:3], 0 offen
	buffer_load_dword v2, v4, s[0:3], 0 offen offset:4
	buffer_load_dword v3, v4, s[0:3], 0 offen offset:8
	;; [unrolled: 1-line block ×3, first 2 shown]
	s_waitcnt vmcnt(0)
	ds_write_b128 v116, v[1:4]
	s_waitcnt lgkmcnt(0)
	s_waitcnt_vscnt null, 0x0
	s_barrier
	buffer_gl0_inv
	s_and_saveexec_b32 s8, s5
	s_cbranch_execz .LBB54_51
; %bb.44:
	ds_read_b128 v[1:4], v116
	s_andn2_b32 vcc_lo, exec_lo, s62
	s_cbranch_vccnz .LBB54_46
; %bb.45:
	s_clause 0x3
	buffer_load_dword v117, v115, s[0:3], 0 offen offset:8
	buffer_load_dword v118, v115, s[0:3], 0 offen offset:12
	buffer_load_dword v119, v115, s[0:3], 0 offen
	buffer_load_dword v120, v115, s[0:3], 0 offen offset:4
	s_waitcnt vmcnt(2) lgkmcnt(0)
	v_mul_f64 v[122:123], v[3:4], v[117:118]
	v_mul_f64 v[117:118], v[1:2], v[117:118]
	s_waitcnt vmcnt(0)
	v_fma_f64 v[1:2], v[1:2], v[119:120], -v[122:123]
	v_fma_f64 v[3:4], v[3:4], v[119:120], v[117:118]
.LBB54_46:
	s_and_saveexec_b32 s63, s4
	s_cbranch_execz .LBB54_50
; %bb.47:
	v_subrev_nc_u32_e32 v117, 49, v0
	s_movk_i32 s64, 0x680
	s_mov_b32 s4, 0
	s_mov_b32 s65, s12
	.p2align	6
.LBB54_48:                              ; =>This Inner Loop Header: Depth=1
	v_mov_b32_e32 v120, s65
	v_add_nc_u32_e32 v117, -1, v117
	s_add_i32 s65, s65, 16
	s_clause 0x3
	buffer_load_dword v118, v120, s[0:3], 0 offen offset:8
	buffer_load_dword v119, v120, s[0:3], 0 offen offset:12
	buffer_load_dword v126, v120, s[0:3], 0 offen
	buffer_load_dword v127, v120, s[0:3], 0 offen offset:4
	v_mov_b32_e32 v120, s64
	v_cmp_eq_u32_e32 vcc_lo, 0, v117
	s_add_i32 s64, s64, 16
	ds_read_b128 v[122:125], v120
	s_or_b32 s4, vcc_lo, s4
	s_waitcnt vmcnt(2) lgkmcnt(0)
	v_mul_f64 v[128:129], v[124:125], v[118:119]
	v_mul_f64 v[118:119], v[122:123], v[118:119]
	s_waitcnt vmcnt(0)
	v_fma_f64 v[122:123], v[122:123], v[126:127], -v[128:129]
	v_fma_f64 v[118:119], v[124:125], v[126:127], v[118:119]
	v_add_f64 v[1:2], v[1:2], v[122:123]
	v_add_f64 v[3:4], v[3:4], v[118:119]
	s_andn2_b32 exec_lo, exec_lo, s4
	s_cbranch_execnz .LBB54_48
; %bb.49:
	s_or_b32 exec_lo, exec_lo, s4
.LBB54_50:
	s_or_b32 exec_lo, exec_lo, s63
	v_mov_b32_e32 v117, 0
	ds_read_b128 v[117:120], v117 offset:768
	s_waitcnt lgkmcnt(0)
	v_mul_f64 v[122:123], v[3:4], v[119:120]
	v_mul_f64 v[119:120], v[1:2], v[119:120]
	v_fma_f64 v[1:2], v[1:2], v[117:118], -v[122:123]
	v_fma_f64 v[3:4], v[3:4], v[117:118], v[119:120]
	buffer_store_dword v2, off, s[0:3], 0 offset:772
	buffer_store_dword v1, off, s[0:3], 0 offset:768
	;; [unrolled: 1-line block ×4, first 2 shown]
.LBB54_51:
	s_or_b32 exec_lo, exec_lo, s8
	v_mov_b32_e32 v4, s14
	v_cmp_lt_u32_e64 s4, 47, v0
	s_clause 0x3
	buffer_load_dword v1, v4, s[0:3], 0 offen
	buffer_load_dword v2, v4, s[0:3], 0 offen offset:4
	buffer_load_dword v3, v4, s[0:3], 0 offen offset:8
	;; [unrolled: 1-line block ×3, first 2 shown]
	s_waitcnt vmcnt(0)
	ds_write_b128 v116, v[1:4]
	s_waitcnt lgkmcnt(0)
	s_waitcnt_vscnt null, 0x0
	s_barrier
	buffer_gl0_inv
	s_and_saveexec_b32 s8, s4
	s_cbranch_execz .LBB54_59
; %bb.52:
	ds_read_b128 v[1:4], v116
	s_andn2_b32 vcc_lo, exec_lo, s62
	s_cbranch_vccnz .LBB54_54
; %bb.53:
	s_clause 0x3
	buffer_load_dword v117, v115, s[0:3], 0 offen offset:8
	buffer_load_dword v118, v115, s[0:3], 0 offen offset:12
	buffer_load_dword v119, v115, s[0:3], 0 offen
	buffer_load_dword v120, v115, s[0:3], 0 offen offset:4
	s_waitcnt vmcnt(2) lgkmcnt(0)
	v_mul_f64 v[122:123], v[3:4], v[117:118]
	v_mul_f64 v[117:118], v[1:2], v[117:118]
	s_waitcnt vmcnt(0)
	v_fma_f64 v[1:2], v[1:2], v[119:120], -v[122:123]
	v_fma_f64 v[3:4], v[3:4], v[119:120], v[117:118]
.LBB54_54:
	s_and_saveexec_b32 s63, s5
	s_cbranch_execz .LBB54_58
; %bb.55:
	v_subrev_nc_u32_e32 v117, 48, v0
	s_movk_i32 s64, 0x670
	s_mov_b32 s5, 0
	s_mov_b32 s65, s13
	.p2align	6
.LBB54_56:                              ; =>This Inner Loop Header: Depth=1
	v_mov_b32_e32 v120, s65
	v_add_nc_u32_e32 v117, -1, v117
	s_add_i32 s65, s65, 16
	s_clause 0x3
	buffer_load_dword v118, v120, s[0:3], 0 offen offset:8
	buffer_load_dword v119, v120, s[0:3], 0 offen offset:12
	buffer_load_dword v126, v120, s[0:3], 0 offen
	buffer_load_dword v127, v120, s[0:3], 0 offen offset:4
	v_mov_b32_e32 v120, s64
	v_cmp_eq_u32_e32 vcc_lo, 0, v117
	s_add_i32 s64, s64, 16
	ds_read_b128 v[122:125], v120
	s_or_b32 s5, vcc_lo, s5
	s_waitcnt vmcnt(2) lgkmcnt(0)
	v_mul_f64 v[128:129], v[124:125], v[118:119]
	v_mul_f64 v[118:119], v[122:123], v[118:119]
	s_waitcnt vmcnt(0)
	v_fma_f64 v[122:123], v[122:123], v[126:127], -v[128:129]
	v_fma_f64 v[118:119], v[124:125], v[126:127], v[118:119]
	v_add_f64 v[1:2], v[1:2], v[122:123]
	v_add_f64 v[3:4], v[3:4], v[118:119]
	s_andn2_b32 exec_lo, exec_lo, s5
	s_cbranch_execnz .LBB54_56
; %bb.57:
	s_or_b32 exec_lo, exec_lo, s5
.LBB54_58:
	s_or_b32 exec_lo, exec_lo, s63
	v_mov_b32_e32 v117, 0
	ds_read_b128 v[117:120], v117 offset:752
	s_waitcnt lgkmcnt(0)
	v_mul_f64 v[122:123], v[3:4], v[119:120]
	v_mul_f64 v[119:120], v[1:2], v[119:120]
	v_fma_f64 v[1:2], v[1:2], v[117:118], -v[122:123]
	v_fma_f64 v[3:4], v[3:4], v[117:118], v[119:120]
	buffer_store_dword v2, off, s[0:3], 0 offset:756
	buffer_store_dword v1, off, s[0:3], 0 offset:752
	;; [unrolled: 1-line block ×4, first 2 shown]
.LBB54_59:
	s_or_b32 exec_lo, exec_lo, s8
	v_mov_b32_e32 v4, s15
	v_cmp_lt_u32_e64 s5, 46, v0
	s_clause 0x3
	buffer_load_dword v1, v4, s[0:3], 0 offen
	buffer_load_dword v2, v4, s[0:3], 0 offen offset:4
	buffer_load_dword v3, v4, s[0:3], 0 offen offset:8
	;; [unrolled: 1-line block ×3, first 2 shown]
	s_waitcnt vmcnt(0)
	ds_write_b128 v116, v[1:4]
	s_waitcnt lgkmcnt(0)
	s_waitcnt_vscnt null, 0x0
	s_barrier
	buffer_gl0_inv
	s_and_saveexec_b32 s8, s5
	s_cbranch_execz .LBB54_67
; %bb.60:
	ds_read_b128 v[1:4], v116
	s_andn2_b32 vcc_lo, exec_lo, s62
	s_cbranch_vccnz .LBB54_62
; %bb.61:
	s_clause 0x3
	buffer_load_dword v117, v115, s[0:3], 0 offen offset:8
	buffer_load_dword v118, v115, s[0:3], 0 offen offset:12
	buffer_load_dword v119, v115, s[0:3], 0 offen
	buffer_load_dword v120, v115, s[0:3], 0 offen offset:4
	s_waitcnt vmcnt(2) lgkmcnt(0)
	v_mul_f64 v[122:123], v[3:4], v[117:118]
	v_mul_f64 v[117:118], v[1:2], v[117:118]
	s_waitcnt vmcnt(0)
	v_fma_f64 v[1:2], v[1:2], v[119:120], -v[122:123]
	v_fma_f64 v[3:4], v[3:4], v[119:120], v[117:118]
.LBB54_62:
	s_and_saveexec_b32 s63, s4
	s_cbranch_execz .LBB54_66
; %bb.63:
	v_subrev_nc_u32_e32 v117, 47, v0
	s_movk_i32 s64, 0x660
	s_mov_b32 s4, 0
	s_mov_b32 s65, s14
	.p2align	6
.LBB54_64:                              ; =>This Inner Loop Header: Depth=1
	v_mov_b32_e32 v120, s65
	v_add_nc_u32_e32 v117, -1, v117
	s_add_i32 s65, s65, 16
	s_clause 0x3
	buffer_load_dword v118, v120, s[0:3], 0 offen offset:8
	buffer_load_dword v119, v120, s[0:3], 0 offen offset:12
	buffer_load_dword v126, v120, s[0:3], 0 offen
	buffer_load_dword v127, v120, s[0:3], 0 offen offset:4
	v_mov_b32_e32 v120, s64
	v_cmp_eq_u32_e32 vcc_lo, 0, v117
	s_add_i32 s64, s64, 16
	ds_read_b128 v[122:125], v120
	s_or_b32 s4, vcc_lo, s4
	s_waitcnt vmcnt(2) lgkmcnt(0)
	v_mul_f64 v[128:129], v[124:125], v[118:119]
	v_mul_f64 v[118:119], v[122:123], v[118:119]
	s_waitcnt vmcnt(0)
	v_fma_f64 v[122:123], v[122:123], v[126:127], -v[128:129]
	v_fma_f64 v[118:119], v[124:125], v[126:127], v[118:119]
	v_add_f64 v[1:2], v[1:2], v[122:123]
	v_add_f64 v[3:4], v[3:4], v[118:119]
	s_andn2_b32 exec_lo, exec_lo, s4
	s_cbranch_execnz .LBB54_64
; %bb.65:
	s_or_b32 exec_lo, exec_lo, s4
.LBB54_66:
	s_or_b32 exec_lo, exec_lo, s63
	v_mov_b32_e32 v117, 0
	ds_read_b128 v[117:120], v117 offset:736
	s_waitcnt lgkmcnt(0)
	v_mul_f64 v[122:123], v[3:4], v[119:120]
	v_mul_f64 v[119:120], v[1:2], v[119:120]
	v_fma_f64 v[1:2], v[1:2], v[117:118], -v[122:123]
	v_fma_f64 v[3:4], v[3:4], v[117:118], v[119:120]
	buffer_store_dword v2, off, s[0:3], 0 offset:740
	buffer_store_dword v1, off, s[0:3], 0 offset:736
	buffer_store_dword v4, off, s[0:3], 0 offset:748
	buffer_store_dword v3, off, s[0:3], 0 offset:744
.LBB54_67:
	s_or_b32 exec_lo, exec_lo, s8
	v_mov_b32_e32 v4, s16
	v_cmp_lt_u32_e64 s4, 45, v0
	s_clause 0x3
	buffer_load_dword v1, v4, s[0:3], 0 offen
	buffer_load_dword v2, v4, s[0:3], 0 offen offset:4
	buffer_load_dword v3, v4, s[0:3], 0 offen offset:8
	;; [unrolled: 1-line block ×3, first 2 shown]
	s_waitcnt vmcnt(0)
	ds_write_b128 v116, v[1:4]
	s_waitcnt lgkmcnt(0)
	s_waitcnt_vscnt null, 0x0
	s_barrier
	buffer_gl0_inv
	s_and_saveexec_b32 s8, s4
	s_cbranch_execz .LBB54_75
; %bb.68:
	ds_read_b128 v[1:4], v116
	s_andn2_b32 vcc_lo, exec_lo, s62
	s_cbranch_vccnz .LBB54_70
; %bb.69:
	s_clause 0x3
	buffer_load_dword v117, v115, s[0:3], 0 offen offset:8
	buffer_load_dword v118, v115, s[0:3], 0 offen offset:12
	buffer_load_dword v119, v115, s[0:3], 0 offen
	buffer_load_dword v120, v115, s[0:3], 0 offen offset:4
	s_waitcnt vmcnt(2) lgkmcnt(0)
	v_mul_f64 v[122:123], v[3:4], v[117:118]
	v_mul_f64 v[117:118], v[1:2], v[117:118]
	s_waitcnt vmcnt(0)
	v_fma_f64 v[1:2], v[1:2], v[119:120], -v[122:123]
	v_fma_f64 v[3:4], v[3:4], v[119:120], v[117:118]
.LBB54_70:
	s_and_saveexec_b32 s63, s5
	s_cbranch_execz .LBB54_74
; %bb.71:
	v_subrev_nc_u32_e32 v117, 46, v0
	s_movk_i32 s64, 0x650
	s_mov_b32 s5, 0
	s_mov_b32 s65, s15
	.p2align	6
.LBB54_72:                              ; =>This Inner Loop Header: Depth=1
	v_mov_b32_e32 v120, s65
	v_add_nc_u32_e32 v117, -1, v117
	s_add_i32 s65, s65, 16
	s_clause 0x3
	buffer_load_dword v118, v120, s[0:3], 0 offen offset:8
	buffer_load_dword v119, v120, s[0:3], 0 offen offset:12
	buffer_load_dword v126, v120, s[0:3], 0 offen
	buffer_load_dword v127, v120, s[0:3], 0 offen offset:4
	v_mov_b32_e32 v120, s64
	v_cmp_eq_u32_e32 vcc_lo, 0, v117
	s_add_i32 s64, s64, 16
	ds_read_b128 v[122:125], v120
	s_or_b32 s5, vcc_lo, s5
	s_waitcnt vmcnt(2) lgkmcnt(0)
	v_mul_f64 v[128:129], v[124:125], v[118:119]
	v_mul_f64 v[118:119], v[122:123], v[118:119]
	s_waitcnt vmcnt(0)
	v_fma_f64 v[122:123], v[122:123], v[126:127], -v[128:129]
	v_fma_f64 v[118:119], v[124:125], v[126:127], v[118:119]
	v_add_f64 v[1:2], v[1:2], v[122:123]
	v_add_f64 v[3:4], v[3:4], v[118:119]
	s_andn2_b32 exec_lo, exec_lo, s5
	s_cbranch_execnz .LBB54_72
; %bb.73:
	s_or_b32 exec_lo, exec_lo, s5
.LBB54_74:
	s_or_b32 exec_lo, exec_lo, s63
	v_mov_b32_e32 v117, 0
	ds_read_b128 v[117:120], v117 offset:720
	s_waitcnt lgkmcnt(0)
	v_mul_f64 v[122:123], v[3:4], v[119:120]
	v_mul_f64 v[119:120], v[1:2], v[119:120]
	v_fma_f64 v[1:2], v[1:2], v[117:118], -v[122:123]
	v_fma_f64 v[3:4], v[3:4], v[117:118], v[119:120]
	buffer_store_dword v2, off, s[0:3], 0 offset:724
	buffer_store_dword v1, off, s[0:3], 0 offset:720
	buffer_store_dword v4, off, s[0:3], 0 offset:732
	buffer_store_dword v3, off, s[0:3], 0 offset:728
.LBB54_75:
	s_or_b32 exec_lo, exec_lo, s8
	v_mov_b32_e32 v4, s17
	v_cmp_lt_u32_e64 s5, 44, v0
	s_clause 0x3
	buffer_load_dword v1, v4, s[0:3], 0 offen
	buffer_load_dword v2, v4, s[0:3], 0 offen offset:4
	buffer_load_dword v3, v4, s[0:3], 0 offen offset:8
	;; [unrolled: 1-line block ×3, first 2 shown]
	s_waitcnt vmcnt(0)
	ds_write_b128 v116, v[1:4]
	s_waitcnt lgkmcnt(0)
	s_waitcnt_vscnt null, 0x0
	s_barrier
	buffer_gl0_inv
	s_and_saveexec_b32 s8, s5
	s_cbranch_execz .LBB54_83
; %bb.76:
	ds_read_b128 v[1:4], v116
	s_andn2_b32 vcc_lo, exec_lo, s62
	s_cbranch_vccnz .LBB54_78
; %bb.77:
	s_clause 0x3
	buffer_load_dword v117, v115, s[0:3], 0 offen offset:8
	buffer_load_dword v118, v115, s[0:3], 0 offen offset:12
	buffer_load_dword v119, v115, s[0:3], 0 offen
	buffer_load_dword v120, v115, s[0:3], 0 offen offset:4
	s_waitcnt vmcnt(2) lgkmcnt(0)
	v_mul_f64 v[122:123], v[3:4], v[117:118]
	v_mul_f64 v[117:118], v[1:2], v[117:118]
	s_waitcnt vmcnt(0)
	v_fma_f64 v[1:2], v[1:2], v[119:120], -v[122:123]
	v_fma_f64 v[3:4], v[3:4], v[119:120], v[117:118]
.LBB54_78:
	s_and_saveexec_b32 s63, s4
	s_cbranch_execz .LBB54_82
; %bb.79:
	v_subrev_nc_u32_e32 v117, 45, v0
	s_movk_i32 s64, 0x640
	s_mov_b32 s4, 0
	s_mov_b32 s65, s16
	.p2align	6
.LBB54_80:                              ; =>This Inner Loop Header: Depth=1
	v_mov_b32_e32 v120, s65
	v_add_nc_u32_e32 v117, -1, v117
	s_add_i32 s65, s65, 16
	s_clause 0x3
	buffer_load_dword v118, v120, s[0:3], 0 offen offset:8
	buffer_load_dword v119, v120, s[0:3], 0 offen offset:12
	buffer_load_dword v126, v120, s[0:3], 0 offen
	buffer_load_dword v127, v120, s[0:3], 0 offen offset:4
	v_mov_b32_e32 v120, s64
	v_cmp_eq_u32_e32 vcc_lo, 0, v117
	s_add_i32 s64, s64, 16
	ds_read_b128 v[122:125], v120
	s_or_b32 s4, vcc_lo, s4
	s_waitcnt vmcnt(2) lgkmcnt(0)
	v_mul_f64 v[128:129], v[124:125], v[118:119]
	v_mul_f64 v[118:119], v[122:123], v[118:119]
	s_waitcnt vmcnt(0)
	v_fma_f64 v[122:123], v[122:123], v[126:127], -v[128:129]
	v_fma_f64 v[118:119], v[124:125], v[126:127], v[118:119]
	v_add_f64 v[1:2], v[1:2], v[122:123]
	v_add_f64 v[3:4], v[3:4], v[118:119]
	s_andn2_b32 exec_lo, exec_lo, s4
	s_cbranch_execnz .LBB54_80
; %bb.81:
	s_or_b32 exec_lo, exec_lo, s4
.LBB54_82:
	s_or_b32 exec_lo, exec_lo, s63
	v_mov_b32_e32 v117, 0
	ds_read_b128 v[117:120], v117 offset:704
	s_waitcnt lgkmcnt(0)
	v_mul_f64 v[122:123], v[3:4], v[119:120]
	v_mul_f64 v[119:120], v[1:2], v[119:120]
	v_fma_f64 v[1:2], v[1:2], v[117:118], -v[122:123]
	v_fma_f64 v[3:4], v[3:4], v[117:118], v[119:120]
	buffer_store_dword v2, off, s[0:3], 0 offset:708
	buffer_store_dword v1, off, s[0:3], 0 offset:704
	;; [unrolled: 1-line block ×4, first 2 shown]
.LBB54_83:
	s_or_b32 exec_lo, exec_lo, s8
	v_mov_b32_e32 v4, s18
	v_cmp_lt_u32_e64 s4, 43, v0
	s_clause 0x3
	buffer_load_dword v1, v4, s[0:3], 0 offen
	buffer_load_dword v2, v4, s[0:3], 0 offen offset:4
	buffer_load_dword v3, v4, s[0:3], 0 offen offset:8
	;; [unrolled: 1-line block ×3, first 2 shown]
	s_waitcnt vmcnt(0)
	ds_write_b128 v116, v[1:4]
	s_waitcnt lgkmcnt(0)
	s_waitcnt_vscnt null, 0x0
	s_barrier
	buffer_gl0_inv
	s_and_saveexec_b32 s8, s4
	s_cbranch_execz .LBB54_91
; %bb.84:
	ds_read_b128 v[1:4], v116
	s_andn2_b32 vcc_lo, exec_lo, s62
	s_cbranch_vccnz .LBB54_86
; %bb.85:
	s_clause 0x3
	buffer_load_dword v117, v115, s[0:3], 0 offen offset:8
	buffer_load_dword v118, v115, s[0:3], 0 offen offset:12
	buffer_load_dword v119, v115, s[0:3], 0 offen
	buffer_load_dword v120, v115, s[0:3], 0 offen offset:4
	s_waitcnt vmcnt(2) lgkmcnt(0)
	v_mul_f64 v[122:123], v[3:4], v[117:118]
	v_mul_f64 v[117:118], v[1:2], v[117:118]
	s_waitcnt vmcnt(0)
	v_fma_f64 v[1:2], v[1:2], v[119:120], -v[122:123]
	v_fma_f64 v[3:4], v[3:4], v[119:120], v[117:118]
.LBB54_86:
	s_and_saveexec_b32 s63, s5
	s_cbranch_execz .LBB54_90
; %bb.87:
	v_subrev_nc_u32_e32 v117, 44, v0
	s_movk_i32 s64, 0x630
	s_mov_b32 s5, 0
	s_mov_b32 s65, s17
	.p2align	6
.LBB54_88:                              ; =>This Inner Loop Header: Depth=1
	v_mov_b32_e32 v120, s65
	v_add_nc_u32_e32 v117, -1, v117
	s_add_i32 s65, s65, 16
	s_clause 0x3
	buffer_load_dword v118, v120, s[0:3], 0 offen offset:8
	buffer_load_dword v119, v120, s[0:3], 0 offen offset:12
	buffer_load_dword v126, v120, s[0:3], 0 offen
	buffer_load_dword v127, v120, s[0:3], 0 offen offset:4
	v_mov_b32_e32 v120, s64
	v_cmp_eq_u32_e32 vcc_lo, 0, v117
	s_add_i32 s64, s64, 16
	ds_read_b128 v[122:125], v120
	s_or_b32 s5, vcc_lo, s5
	s_waitcnt vmcnt(2) lgkmcnt(0)
	v_mul_f64 v[128:129], v[124:125], v[118:119]
	v_mul_f64 v[118:119], v[122:123], v[118:119]
	s_waitcnt vmcnt(0)
	v_fma_f64 v[122:123], v[122:123], v[126:127], -v[128:129]
	v_fma_f64 v[118:119], v[124:125], v[126:127], v[118:119]
	v_add_f64 v[1:2], v[1:2], v[122:123]
	v_add_f64 v[3:4], v[3:4], v[118:119]
	s_andn2_b32 exec_lo, exec_lo, s5
	s_cbranch_execnz .LBB54_88
; %bb.89:
	s_or_b32 exec_lo, exec_lo, s5
.LBB54_90:
	s_or_b32 exec_lo, exec_lo, s63
	v_mov_b32_e32 v117, 0
	ds_read_b128 v[117:120], v117 offset:688
	s_waitcnt lgkmcnt(0)
	v_mul_f64 v[122:123], v[3:4], v[119:120]
	v_mul_f64 v[119:120], v[1:2], v[119:120]
	v_fma_f64 v[1:2], v[1:2], v[117:118], -v[122:123]
	v_fma_f64 v[3:4], v[3:4], v[117:118], v[119:120]
	buffer_store_dword v2, off, s[0:3], 0 offset:692
	buffer_store_dword v1, off, s[0:3], 0 offset:688
	buffer_store_dword v4, off, s[0:3], 0 offset:700
	buffer_store_dword v3, off, s[0:3], 0 offset:696
.LBB54_91:
	s_or_b32 exec_lo, exec_lo, s8
	v_mov_b32_e32 v4, s19
	v_cmp_lt_u32_e64 s5, 42, v0
	s_clause 0x3
	buffer_load_dword v1, v4, s[0:3], 0 offen
	buffer_load_dword v2, v4, s[0:3], 0 offen offset:4
	buffer_load_dword v3, v4, s[0:3], 0 offen offset:8
	;; [unrolled: 1-line block ×3, first 2 shown]
	s_waitcnt vmcnt(0)
	ds_write_b128 v116, v[1:4]
	s_waitcnt lgkmcnt(0)
	s_waitcnt_vscnt null, 0x0
	s_barrier
	buffer_gl0_inv
	s_and_saveexec_b32 s8, s5
	s_cbranch_execz .LBB54_99
; %bb.92:
	ds_read_b128 v[1:4], v116
	s_andn2_b32 vcc_lo, exec_lo, s62
	s_cbranch_vccnz .LBB54_94
; %bb.93:
	s_clause 0x3
	buffer_load_dword v117, v115, s[0:3], 0 offen offset:8
	buffer_load_dword v118, v115, s[0:3], 0 offen offset:12
	buffer_load_dword v119, v115, s[0:3], 0 offen
	buffer_load_dword v120, v115, s[0:3], 0 offen offset:4
	s_waitcnt vmcnt(2) lgkmcnt(0)
	v_mul_f64 v[122:123], v[3:4], v[117:118]
	v_mul_f64 v[117:118], v[1:2], v[117:118]
	s_waitcnt vmcnt(0)
	v_fma_f64 v[1:2], v[1:2], v[119:120], -v[122:123]
	v_fma_f64 v[3:4], v[3:4], v[119:120], v[117:118]
.LBB54_94:
	s_and_saveexec_b32 s63, s4
	s_cbranch_execz .LBB54_98
; %bb.95:
	v_subrev_nc_u32_e32 v117, 43, v0
	s_movk_i32 s64, 0x620
	s_mov_b32 s4, 0
	s_mov_b32 s65, s18
	.p2align	6
.LBB54_96:                              ; =>This Inner Loop Header: Depth=1
	v_mov_b32_e32 v120, s65
	v_add_nc_u32_e32 v117, -1, v117
	s_add_i32 s65, s65, 16
	s_clause 0x3
	buffer_load_dword v118, v120, s[0:3], 0 offen offset:8
	buffer_load_dword v119, v120, s[0:3], 0 offen offset:12
	buffer_load_dword v126, v120, s[0:3], 0 offen
	buffer_load_dword v127, v120, s[0:3], 0 offen offset:4
	v_mov_b32_e32 v120, s64
	v_cmp_eq_u32_e32 vcc_lo, 0, v117
	s_add_i32 s64, s64, 16
	ds_read_b128 v[122:125], v120
	s_or_b32 s4, vcc_lo, s4
	s_waitcnt vmcnt(2) lgkmcnt(0)
	v_mul_f64 v[128:129], v[124:125], v[118:119]
	v_mul_f64 v[118:119], v[122:123], v[118:119]
	s_waitcnt vmcnt(0)
	v_fma_f64 v[122:123], v[122:123], v[126:127], -v[128:129]
	v_fma_f64 v[118:119], v[124:125], v[126:127], v[118:119]
	v_add_f64 v[1:2], v[1:2], v[122:123]
	v_add_f64 v[3:4], v[3:4], v[118:119]
	s_andn2_b32 exec_lo, exec_lo, s4
	s_cbranch_execnz .LBB54_96
; %bb.97:
	s_or_b32 exec_lo, exec_lo, s4
.LBB54_98:
	s_or_b32 exec_lo, exec_lo, s63
	v_mov_b32_e32 v117, 0
	ds_read_b128 v[117:120], v117 offset:672
	s_waitcnt lgkmcnt(0)
	v_mul_f64 v[122:123], v[3:4], v[119:120]
	v_mul_f64 v[119:120], v[1:2], v[119:120]
	v_fma_f64 v[1:2], v[1:2], v[117:118], -v[122:123]
	v_fma_f64 v[3:4], v[3:4], v[117:118], v[119:120]
	buffer_store_dword v2, off, s[0:3], 0 offset:676
	buffer_store_dword v1, off, s[0:3], 0 offset:672
	;; [unrolled: 1-line block ×4, first 2 shown]
.LBB54_99:
	s_or_b32 exec_lo, exec_lo, s8
	v_mov_b32_e32 v4, s20
	v_cmp_lt_u32_e64 s4, 41, v0
	s_clause 0x3
	buffer_load_dword v1, v4, s[0:3], 0 offen
	buffer_load_dword v2, v4, s[0:3], 0 offen offset:4
	buffer_load_dword v3, v4, s[0:3], 0 offen offset:8
	buffer_load_dword v4, v4, s[0:3], 0 offen offset:12
	s_waitcnt vmcnt(0)
	ds_write_b128 v116, v[1:4]
	s_waitcnt lgkmcnt(0)
	s_waitcnt_vscnt null, 0x0
	s_barrier
	buffer_gl0_inv
	s_and_saveexec_b32 s8, s4
	s_cbranch_execz .LBB54_107
; %bb.100:
	ds_read_b128 v[1:4], v116
	s_andn2_b32 vcc_lo, exec_lo, s62
	s_cbranch_vccnz .LBB54_102
; %bb.101:
	s_clause 0x3
	buffer_load_dword v117, v115, s[0:3], 0 offen offset:8
	buffer_load_dword v118, v115, s[0:3], 0 offen offset:12
	buffer_load_dword v119, v115, s[0:3], 0 offen
	buffer_load_dword v120, v115, s[0:3], 0 offen offset:4
	s_waitcnt vmcnt(2) lgkmcnt(0)
	v_mul_f64 v[122:123], v[3:4], v[117:118]
	v_mul_f64 v[117:118], v[1:2], v[117:118]
	s_waitcnt vmcnt(0)
	v_fma_f64 v[1:2], v[1:2], v[119:120], -v[122:123]
	v_fma_f64 v[3:4], v[3:4], v[119:120], v[117:118]
.LBB54_102:
	s_and_saveexec_b32 s63, s5
	s_cbranch_execz .LBB54_106
; %bb.103:
	v_subrev_nc_u32_e32 v117, 42, v0
	s_movk_i32 s64, 0x610
	s_mov_b32 s5, 0
	s_mov_b32 s65, s19
	.p2align	6
.LBB54_104:                             ; =>This Inner Loop Header: Depth=1
	v_mov_b32_e32 v120, s65
	v_add_nc_u32_e32 v117, -1, v117
	s_add_i32 s65, s65, 16
	s_clause 0x3
	buffer_load_dword v118, v120, s[0:3], 0 offen offset:8
	buffer_load_dword v119, v120, s[0:3], 0 offen offset:12
	buffer_load_dword v126, v120, s[0:3], 0 offen
	buffer_load_dword v127, v120, s[0:3], 0 offen offset:4
	v_mov_b32_e32 v120, s64
	v_cmp_eq_u32_e32 vcc_lo, 0, v117
	s_add_i32 s64, s64, 16
	ds_read_b128 v[122:125], v120
	s_or_b32 s5, vcc_lo, s5
	s_waitcnt vmcnt(2) lgkmcnt(0)
	v_mul_f64 v[128:129], v[124:125], v[118:119]
	v_mul_f64 v[118:119], v[122:123], v[118:119]
	s_waitcnt vmcnt(0)
	v_fma_f64 v[122:123], v[122:123], v[126:127], -v[128:129]
	v_fma_f64 v[118:119], v[124:125], v[126:127], v[118:119]
	v_add_f64 v[1:2], v[1:2], v[122:123]
	v_add_f64 v[3:4], v[3:4], v[118:119]
	s_andn2_b32 exec_lo, exec_lo, s5
	s_cbranch_execnz .LBB54_104
; %bb.105:
	s_or_b32 exec_lo, exec_lo, s5
.LBB54_106:
	s_or_b32 exec_lo, exec_lo, s63
	v_mov_b32_e32 v117, 0
	ds_read_b128 v[117:120], v117 offset:656
	s_waitcnt lgkmcnt(0)
	v_mul_f64 v[122:123], v[3:4], v[119:120]
	v_mul_f64 v[119:120], v[1:2], v[119:120]
	v_fma_f64 v[1:2], v[1:2], v[117:118], -v[122:123]
	v_fma_f64 v[3:4], v[3:4], v[117:118], v[119:120]
	buffer_store_dword v2, off, s[0:3], 0 offset:660
	buffer_store_dword v1, off, s[0:3], 0 offset:656
	;; [unrolled: 1-line block ×4, first 2 shown]
.LBB54_107:
	s_or_b32 exec_lo, exec_lo, s8
	v_mov_b32_e32 v4, s21
	v_cmp_lt_u32_e64 s5, 40, v0
	s_clause 0x3
	buffer_load_dword v1, v4, s[0:3], 0 offen
	buffer_load_dword v2, v4, s[0:3], 0 offen offset:4
	buffer_load_dword v3, v4, s[0:3], 0 offen offset:8
	buffer_load_dword v4, v4, s[0:3], 0 offen offset:12
	s_waitcnt vmcnt(0)
	ds_write_b128 v116, v[1:4]
	s_waitcnt lgkmcnt(0)
	s_waitcnt_vscnt null, 0x0
	s_barrier
	buffer_gl0_inv
	s_and_saveexec_b32 s8, s5
	s_cbranch_execz .LBB54_115
; %bb.108:
	ds_read_b128 v[1:4], v116
	s_andn2_b32 vcc_lo, exec_lo, s62
	s_cbranch_vccnz .LBB54_110
; %bb.109:
	s_clause 0x3
	buffer_load_dword v117, v115, s[0:3], 0 offen offset:8
	buffer_load_dword v118, v115, s[0:3], 0 offen offset:12
	buffer_load_dword v119, v115, s[0:3], 0 offen
	buffer_load_dword v120, v115, s[0:3], 0 offen offset:4
	s_waitcnt vmcnt(2) lgkmcnt(0)
	v_mul_f64 v[122:123], v[3:4], v[117:118]
	v_mul_f64 v[117:118], v[1:2], v[117:118]
	s_waitcnt vmcnt(0)
	v_fma_f64 v[1:2], v[1:2], v[119:120], -v[122:123]
	v_fma_f64 v[3:4], v[3:4], v[119:120], v[117:118]
.LBB54_110:
	s_and_saveexec_b32 s63, s4
	s_cbranch_execz .LBB54_114
; %bb.111:
	v_subrev_nc_u32_e32 v117, 41, v0
	s_movk_i32 s64, 0x600
	s_mov_b32 s4, 0
	s_mov_b32 s65, s20
	.p2align	6
.LBB54_112:                             ; =>This Inner Loop Header: Depth=1
	v_mov_b32_e32 v120, s65
	v_add_nc_u32_e32 v117, -1, v117
	s_add_i32 s65, s65, 16
	s_clause 0x3
	buffer_load_dword v118, v120, s[0:3], 0 offen offset:8
	buffer_load_dword v119, v120, s[0:3], 0 offen offset:12
	buffer_load_dword v126, v120, s[0:3], 0 offen
	buffer_load_dword v127, v120, s[0:3], 0 offen offset:4
	v_mov_b32_e32 v120, s64
	v_cmp_eq_u32_e32 vcc_lo, 0, v117
	s_add_i32 s64, s64, 16
	ds_read_b128 v[122:125], v120
	s_or_b32 s4, vcc_lo, s4
	s_waitcnt vmcnt(2) lgkmcnt(0)
	v_mul_f64 v[128:129], v[124:125], v[118:119]
	v_mul_f64 v[118:119], v[122:123], v[118:119]
	s_waitcnt vmcnt(0)
	v_fma_f64 v[122:123], v[122:123], v[126:127], -v[128:129]
	v_fma_f64 v[118:119], v[124:125], v[126:127], v[118:119]
	v_add_f64 v[1:2], v[1:2], v[122:123]
	v_add_f64 v[3:4], v[3:4], v[118:119]
	s_andn2_b32 exec_lo, exec_lo, s4
	s_cbranch_execnz .LBB54_112
; %bb.113:
	s_or_b32 exec_lo, exec_lo, s4
.LBB54_114:
	s_or_b32 exec_lo, exec_lo, s63
	v_mov_b32_e32 v117, 0
	ds_read_b128 v[117:120], v117 offset:640
	s_waitcnt lgkmcnt(0)
	v_mul_f64 v[122:123], v[3:4], v[119:120]
	v_mul_f64 v[119:120], v[1:2], v[119:120]
	v_fma_f64 v[1:2], v[1:2], v[117:118], -v[122:123]
	v_fma_f64 v[3:4], v[3:4], v[117:118], v[119:120]
	buffer_store_dword v2, off, s[0:3], 0 offset:644
	buffer_store_dword v1, off, s[0:3], 0 offset:640
	;; [unrolled: 1-line block ×4, first 2 shown]
.LBB54_115:
	s_or_b32 exec_lo, exec_lo, s8
	v_mov_b32_e32 v4, s22
	v_cmp_lt_u32_e64 s4, 39, v0
	s_clause 0x3
	buffer_load_dword v1, v4, s[0:3], 0 offen
	buffer_load_dword v2, v4, s[0:3], 0 offen offset:4
	buffer_load_dword v3, v4, s[0:3], 0 offen offset:8
	buffer_load_dword v4, v4, s[0:3], 0 offen offset:12
	s_waitcnt vmcnt(0)
	ds_write_b128 v116, v[1:4]
	s_waitcnt lgkmcnt(0)
	s_waitcnt_vscnt null, 0x0
	s_barrier
	buffer_gl0_inv
	s_and_saveexec_b32 s8, s4
	s_cbranch_execz .LBB54_123
; %bb.116:
	ds_read_b128 v[1:4], v116
	s_andn2_b32 vcc_lo, exec_lo, s62
	s_cbranch_vccnz .LBB54_118
; %bb.117:
	s_clause 0x3
	buffer_load_dword v117, v115, s[0:3], 0 offen offset:8
	buffer_load_dword v118, v115, s[0:3], 0 offen offset:12
	buffer_load_dword v119, v115, s[0:3], 0 offen
	buffer_load_dword v120, v115, s[0:3], 0 offen offset:4
	s_waitcnt vmcnt(2) lgkmcnt(0)
	v_mul_f64 v[122:123], v[3:4], v[117:118]
	v_mul_f64 v[117:118], v[1:2], v[117:118]
	s_waitcnt vmcnt(0)
	v_fma_f64 v[1:2], v[1:2], v[119:120], -v[122:123]
	v_fma_f64 v[3:4], v[3:4], v[119:120], v[117:118]
.LBB54_118:
	s_and_saveexec_b32 s63, s5
	s_cbranch_execz .LBB54_122
; %bb.119:
	v_subrev_nc_u32_e32 v117, 40, v0
	s_movk_i32 s64, 0x5f0
	s_mov_b32 s5, 0
	s_mov_b32 s65, s21
	.p2align	6
.LBB54_120:                             ; =>This Inner Loop Header: Depth=1
	v_mov_b32_e32 v120, s65
	v_add_nc_u32_e32 v117, -1, v117
	s_add_i32 s65, s65, 16
	s_clause 0x3
	buffer_load_dword v118, v120, s[0:3], 0 offen offset:8
	buffer_load_dword v119, v120, s[0:3], 0 offen offset:12
	buffer_load_dword v126, v120, s[0:3], 0 offen
	buffer_load_dword v127, v120, s[0:3], 0 offen offset:4
	v_mov_b32_e32 v120, s64
	v_cmp_eq_u32_e32 vcc_lo, 0, v117
	s_add_i32 s64, s64, 16
	ds_read_b128 v[122:125], v120
	s_or_b32 s5, vcc_lo, s5
	s_waitcnt vmcnt(2) lgkmcnt(0)
	v_mul_f64 v[128:129], v[124:125], v[118:119]
	v_mul_f64 v[118:119], v[122:123], v[118:119]
	s_waitcnt vmcnt(0)
	v_fma_f64 v[122:123], v[122:123], v[126:127], -v[128:129]
	v_fma_f64 v[118:119], v[124:125], v[126:127], v[118:119]
	v_add_f64 v[1:2], v[1:2], v[122:123]
	v_add_f64 v[3:4], v[3:4], v[118:119]
	s_andn2_b32 exec_lo, exec_lo, s5
	s_cbranch_execnz .LBB54_120
; %bb.121:
	s_or_b32 exec_lo, exec_lo, s5
.LBB54_122:
	s_or_b32 exec_lo, exec_lo, s63
	v_mov_b32_e32 v117, 0
	ds_read_b128 v[117:120], v117 offset:624
	s_waitcnt lgkmcnt(0)
	v_mul_f64 v[122:123], v[3:4], v[119:120]
	v_mul_f64 v[119:120], v[1:2], v[119:120]
	v_fma_f64 v[1:2], v[1:2], v[117:118], -v[122:123]
	v_fma_f64 v[3:4], v[3:4], v[117:118], v[119:120]
	buffer_store_dword v2, off, s[0:3], 0 offset:628
	buffer_store_dword v1, off, s[0:3], 0 offset:624
	;; [unrolled: 1-line block ×4, first 2 shown]
.LBB54_123:
	s_or_b32 exec_lo, exec_lo, s8
	v_mov_b32_e32 v4, s23
	v_cmp_lt_u32_e64 s5, 38, v0
	s_clause 0x3
	buffer_load_dword v1, v4, s[0:3], 0 offen
	buffer_load_dword v2, v4, s[0:3], 0 offen offset:4
	buffer_load_dword v3, v4, s[0:3], 0 offen offset:8
	;; [unrolled: 1-line block ×3, first 2 shown]
	s_waitcnt vmcnt(0)
	ds_write_b128 v116, v[1:4]
	s_waitcnt lgkmcnt(0)
	s_waitcnt_vscnt null, 0x0
	s_barrier
	buffer_gl0_inv
	s_and_saveexec_b32 s8, s5
	s_cbranch_execz .LBB54_131
; %bb.124:
	ds_read_b128 v[1:4], v116
	s_andn2_b32 vcc_lo, exec_lo, s62
	s_cbranch_vccnz .LBB54_126
; %bb.125:
	s_clause 0x3
	buffer_load_dword v117, v115, s[0:3], 0 offen offset:8
	buffer_load_dword v118, v115, s[0:3], 0 offen offset:12
	buffer_load_dword v119, v115, s[0:3], 0 offen
	buffer_load_dword v120, v115, s[0:3], 0 offen offset:4
	s_waitcnt vmcnt(2) lgkmcnt(0)
	v_mul_f64 v[122:123], v[3:4], v[117:118]
	v_mul_f64 v[117:118], v[1:2], v[117:118]
	s_waitcnt vmcnt(0)
	v_fma_f64 v[1:2], v[1:2], v[119:120], -v[122:123]
	v_fma_f64 v[3:4], v[3:4], v[119:120], v[117:118]
.LBB54_126:
	s_and_saveexec_b32 s63, s4
	s_cbranch_execz .LBB54_130
; %bb.127:
	v_subrev_nc_u32_e32 v117, 39, v0
	s_movk_i32 s64, 0x5e0
	s_mov_b32 s4, 0
	s_mov_b32 s65, s22
	.p2align	6
.LBB54_128:                             ; =>This Inner Loop Header: Depth=1
	v_mov_b32_e32 v120, s65
	v_add_nc_u32_e32 v117, -1, v117
	s_add_i32 s65, s65, 16
	s_clause 0x3
	buffer_load_dword v118, v120, s[0:3], 0 offen offset:8
	buffer_load_dword v119, v120, s[0:3], 0 offen offset:12
	buffer_load_dword v126, v120, s[0:3], 0 offen
	buffer_load_dword v127, v120, s[0:3], 0 offen offset:4
	v_mov_b32_e32 v120, s64
	v_cmp_eq_u32_e32 vcc_lo, 0, v117
	s_add_i32 s64, s64, 16
	ds_read_b128 v[122:125], v120
	s_or_b32 s4, vcc_lo, s4
	s_waitcnt vmcnt(2) lgkmcnt(0)
	v_mul_f64 v[128:129], v[124:125], v[118:119]
	v_mul_f64 v[118:119], v[122:123], v[118:119]
	s_waitcnt vmcnt(0)
	v_fma_f64 v[122:123], v[122:123], v[126:127], -v[128:129]
	v_fma_f64 v[118:119], v[124:125], v[126:127], v[118:119]
	v_add_f64 v[1:2], v[1:2], v[122:123]
	v_add_f64 v[3:4], v[3:4], v[118:119]
	s_andn2_b32 exec_lo, exec_lo, s4
	s_cbranch_execnz .LBB54_128
; %bb.129:
	s_or_b32 exec_lo, exec_lo, s4
.LBB54_130:
	s_or_b32 exec_lo, exec_lo, s63
	v_mov_b32_e32 v117, 0
	ds_read_b128 v[117:120], v117 offset:608
	s_waitcnt lgkmcnt(0)
	v_mul_f64 v[122:123], v[3:4], v[119:120]
	v_mul_f64 v[119:120], v[1:2], v[119:120]
	v_fma_f64 v[1:2], v[1:2], v[117:118], -v[122:123]
	v_fma_f64 v[3:4], v[3:4], v[117:118], v[119:120]
	buffer_store_dword v2, off, s[0:3], 0 offset:612
	buffer_store_dword v1, off, s[0:3], 0 offset:608
	buffer_store_dword v4, off, s[0:3], 0 offset:620
	buffer_store_dword v3, off, s[0:3], 0 offset:616
.LBB54_131:
	s_or_b32 exec_lo, exec_lo, s8
	v_mov_b32_e32 v4, s24
	v_cmp_lt_u32_e64 s4, 37, v0
	s_clause 0x3
	buffer_load_dword v1, v4, s[0:3], 0 offen
	buffer_load_dword v2, v4, s[0:3], 0 offen offset:4
	buffer_load_dword v3, v4, s[0:3], 0 offen offset:8
	;; [unrolled: 1-line block ×3, first 2 shown]
	s_waitcnt vmcnt(0)
	ds_write_b128 v116, v[1:4]
	s_waitcnt lgkmcnt(0)
	s_waitcnt_vscnt null, 0x0
	s_barrier
	buffer_gl0_inv
	s_and_saveexec_b32 s8, s4
	s_cbranch_execz .LBB54_139
; %bb.132:
	ds_read_b128 v[1:4], v116
	s_andn2_b32 vcc_lo, exec_lo, s62
	s_cbranch_vccnz .LBB54_134
; %bb.133:
	s_clause 0x3
	buffer_load_dword v117, v115, s[0:3], 0 offen offset:8
	buffer_load_dword v118, v115, s[0:3], 0 offen offset:12
	buffer_load_dword v119, v115, s[0:3], 0 offen
	buffer_load_dword v120, v115, s[0:3], 0 offen offset:4
	s_waitcnt vmcnt(2) lgkmcnt(0)
	v_mul_f64 v[122:123], v[3:4], v[117:118]
	v_mul_f64 v[117:118], v[1:2], v[117:118]
	s_waitcnt vmcnt(0)
	v_fma_f64 v[1:2], v[1:2], v[119:120], -v[122:123]
	v_fma_f64 v[3:4], v[3:4], v[119:120], v[117:118]
.LBB54_134:
	s_and_saveexec_b32 s63, s5
	s_cbranch_execz .LBB54_138
; %bb.135:
	v_subrev_nc_u32_e32 v117, 38, v0
	s_movk_i32 s64, 0x5d0
	s_mov_b32 s5, 0
	s_mov_b32 s65, s23
	.p2align	6
.LBB54_136:                             ; =>This Inner Loop Header: Depth=1
	v_mov_b32_e32 v120, s65
	v_add_nc_u32_e32 v117, -1, v117
	s_add_i32 s65, s65, 16
	s_clause 0x3
	buffer_load_dword v118, v120, s[0:3], 0 offen offset:8
	buffer_load_dword v119, v120, s[0:3], 0 offen offset:12
	buffer_load_dword v126, v120, s[0:3], 0 offen
	buffer_load_dword v127, v120, s[0:3], 0 offen offset:4
	v_mov_b32_e32 v120, s64
	v_cmp_eq_u32_e32 vcc_lo, 0, v117
	s_add_i32 s64, s64, 16
	ds_read_b128 v[122:125], v120
	s_or_b32 s5, vcc_lo, s5
	s_waitcnt vmcnt(2) lgkmcnt(0)
	v_mul_f64 v[128:129], v[124:125], v[118:119]
	v_mul_f64 v[118:119], v[122:123], v[118:119]
	s_waitcnt vmcnt(0)
	v_fma_f64 v[122:123], v[122:123], v[126:127], -v[128:129]
	v_fma_f64 v[118:119], v[124:125], v[126:127], v[118:119]
	v_add_f64 v[1:2], v[1:2], v[122:123]
	v_add_f64 v[3:4], v[3:4], v[118:119]
	s_andn2_b32 exec_lo, exec_lo, s5
	s_cbranch_execnz .LBB54_136
; %bb.137:
	s_or_b32 exec_lo, exec_lo, s5
.LBB54_138:
	s_or_b32 exec_lo, exec_lo, s63
	v_mov_b32_e32 v117, 0
	ds_read_b128 v[117:120], v117 offset:592
	s_waitcnt lgkmcnt(0)
	v_mul_f64 v[122:123], v[3:4], v[119:120]
	v_mul_f64 v[119:120], v[1:2], v[119:120]
	v_fma_f64 v[1:2], v[1:2], v[117:118], -v[122:123]
	v_fma_f64 v[3:4], v[3:4], v[117:118], v[119:120]
	buffer_store_dword v2, off, s[0:3], 0 offset:596
	buffer_store_dword v1, off, s[0:3], 0 offset:592
	;; [unrolled: 1-line block ×4, first 2 shown]
.LBB54_139:
	s_or_b32 exec_lo, exec_lo, s8
	v_mov_b32_e32 v4, s25
	v_cmp_lt_u32_e64 s5, 36, v0
	s_clause 0x3
	buffer_load_dword v1, v4, s[0:3], 0 offen
	buffer_load_dword v2, v4, s[0:3], 0 offen offset:4
	buffer_load_dword v3, v4, s[0:3], 0 offen offset:8
	;; [unrolled: 1-line block ×3, first 2 shown]
	s_waitcnt vmcnt(0)
	ds_write_b128 v116, v[1:4]
	s_waitcnt lgkmcnt(0)
	s_waitcnt_vscnt null, 0x0
	s_barrier
	buffer_gl0_inv
	s_and_saveexec_b32 s8, s5
	s_cbranch_execz .LBB54_147
; %bb.140:
	ds_read_b128 v[1:4], v116
	s_andn2_b32 vcc_lo, exec_lo, s62
	s_cbranch_vccnz .LBB54_142
; %bb.141:
	s_clause 0x3
	buffer_load_dword v117, v115, s[0:3], 0 offen offset:8
	buffer_load_dword v118, v115, s[0:3], 0 offen offset:12
	buffer_load_dword v119, v115, s[0:3], 0 offen
	buffer_load_dword v120, v115, s[0:3], 0 offen offset:4
	s_waitcnt vmcnt(2) lgkmcnt(0)
	v_mul_f64 v[122:123], v[3:4], v[117:118]
	v_mul_f64 v[117:118], v[1:2], v[117:118]
	s_waitcnt vmcnt(0)
	v_fma_f64 v[1:2], v[1:2], v[119:120], -v[122:123]
	v_fma_f64 v[3:4], v[3:4], v[119:120], v[117:118]
.LBB54_142:
	s_and_saveexec_b32 s63, s4
	s_cbranch_execz .LBB54_146
; %bb.143:
	v_subrev_nc_u32_e32 v117, 37, v0
	s_movk_i32 s64, 0x5c0
	s_mov_b32 s4, 0
	s_mov_b32 s65, s24
	.p2align	6
.LBB54_144:                             ; =>This Inner Loop Header: Depth=1
	v_mov_b32_e32 v120, s65
	v_add_nc_u32_e32 v117, -1, v117
	s_add_i32 s65, s65, 16
	s_clause 0x3
	buffer_load_dword v118, v120, s[0:3], 0 offen offset:8
	buffer_load_dword v119, v120, s[0:3], 0 offen offset:12
	buffer_load_dword v126, v120, s[0:3], 0 offen
	buffer_load_dword v127, v120, s[0:3], 0 offen offset:4
	v_mov_b32_e32 v120, s64
	v_cmp_eq_u32_e32 vcc_lo, 0, v117
	s_add_i32 s64, s64, 16
	ds_read_b128 v[122:125], v120
	s_or_b32 s4, vcc_lo, s4
	s_waitcnt vmcnt(2) lgkmcnt(0)
	v_mul_f64 v[128:129], v[124:125], v[118:119]
	v_mul_f64 v[118:119], v[122:123], v[118:119]
	s_waitcnt vmcnt(0)
	v_fma_f64 v[122:123], v[122:123], v[126:127], -v[128:129]
	v_fma_f64 v[118:119], v[124:125], v[126:127], v[118:119]
	v_add_f64 v[1:2], v[1:2], v[122:123]
	v_add_f64 v[3:4], v[3:4], v[118:119]
	s_andn2_b32 exec_lo, exec_lo, s4
	s_cbranch_execnz .LBB54_144
; %bb.145:
	s_or_b32 exec_lo, exec_lo, s4
.LBB54_146:
	s_or_b32 exec_lo, exec_lo, s63
	v_mov_b32_e32 v117, 0
	ds_read_b128 v[117:120], v117 offset:576
	s_waitcnt lgkmcnt(0)
	v_mul_f64 v[122:123], v[3:4], v[119:120]
	v_mul_f64 v[119:120], v[1:2], v[119:120]
	v_fma_f64 v[1:2], v[1:2], v[117:118], -v[122:123]
	v_fma_f64 v[3:4], v[3:4], v[117:118], v[119:120]
	buffer_store_dword v2, off, s[0:3], 0 offset:580
	buffer_store_dword v1, off, s[0:3], 0 offset:576
	;; [unrolled: 1-line block ×4, first 2 shown]
.LBB54_147:
	s_or_b32 exec_lo, exec_lo, s8
	v_mov_b32_e32 v4, s26
	v_cmp_lt_u32_e64 s4, 35, v0
	s_clause 0x3
	buffer_load_dword v1, v4, s[0:3], 0 offen
	buffer_load_dword v2, v4, s[0:3], 0 offen offset:4
	buffer_load_dword v3, v4, s[0:3], 0 offen offset:8
	;; [unrolled: 1-line block ×3, first 2 shown]
	s_waitcnt vmcnt(0)
	ds_write_b128 v116, v[1:4]
	s_waitcnt lgkmcnt(0)
	s_waitcnt_vscnt null, 0x0
	s_barrier
	buffer_gl0_inv
	s_and_saveexec_b32 s8, s4
	s_cbranch_execz .LBB54_155
; %bb.148:
	ds_read_b128 v[1:4], v116
	s_andn2_b32 vcc_lo, exec_lo, s62
	s_cbranch_vccnz .LBB54_150
; %bb.149:
	s_clause 0x3
	buffer_load_dword v117, v115, s[0:3], 0 offen offset:8
	buffer_load_dword v118, v115, s[0:3], 0 offen offset:12
	buffer_load_dword v119, v115, s[0:3], 0 offen
	buffer_load_dword v120, v115, s[0:3], 0 offen offset:4
	s_waitcnt vmcnt(2) lgkmcnt(0)
	v_mul_f64 v[122:123], v[3:4], v[117:118]
	v_mul_f64 v[117:118], v[1:2], v[117:118]
	s_waitcnt vmcnt(0)
	v_fma_f64 v[1:2], v[1:2], v[119:120], -v[122:123]
	v_fma_f64 v[3:4], v[3:4], v[119:120], v[117:118]
.LBB54_150:
	s_and_saveexec_b32 s63, s5
	s_cbranch_execz .LBB54_154
; %bb.151:
	v_subrev_nc_u32_e32 v117, 36, v0
	s_movk_i32 s64, 0x5b0
	s_mov_b32 s5, 0
	s_mov_b32 s65, s25
	.p2align	6
.LBB54_152:                             ; =>This Inner Loop Header: Depth=1
	v_mov_b32_e32 v120, s65
	v_add_nc_u32_e32 v117, -1, v117
	s_add_i32 s65, s65, 16
	s_clause 0x3
	buffer_load_dword v118, v120, s[0:3], 0 offen offset:8
	buffer_load_dword v119, v120, s[0:3], 0 offen offset:12
	buffer_load_dword v126, v120, s[0:3], 0 offen
	buffer_load_dword v127, v120, s[0:3], 0 offen offset:4
	v_mov_b32_e32 v120, s64
	v_cmp_eq_u32_e32 vcc_lo, 0, v117
	s_add_i32 s64, s64, 16
	ds_read_b128 v[122:125], v120
	s_or_b32 s5, vcc_lo, s5
	s_waitcnt vmcnt(2) lgkmcnt(0)
	v_mul_f64 v[128:129], v[124:125], v[118:119]
	v_mul_f64 v[118:119], v[122:123], v[118:119]
	s_waitcnt vmcnt(0)
	v_fma_f64 v[122:123], v[122:123], v[126:127], -v[128:129]
	v_fma_f64 v[118:119], v[124:125], v[126:127], v[118:119]
	v_add_f64 v[1:2], v[1:2], v[122:123]
	v_add_f64 v[3:4], v[3:4], v[118:119]
	s_andn2_b32 exec_lo, exec_lo, s5
	s_cbranch_execnz .LBB54_152
; %bb.153:
	s_or_b32 exec_lo, exec_lo, s5
.LBB54_154:
	s_or_b32 exec_lo, exec_lo, s63
	v_mov_b32_e32 v117, 0
	ds_read_b128 v[117:120], v117 offset:560
	s_waitcnt lgkmcnt(0)
	v_mul_f64 v[122:123], v[3:4], v[119:120]
	v_mul_f64 v[119:120], v[1:2], v[119:120]
	v_fma_f64 v[1:2], v[1:2], v[117:118], -v[122:123]
	v_fma_f64 v[3:4], v[3:4], v[117:118], v[119:120]
	buffer_store_dword v2, off, s[0:3], 0 offset:564
	buffer_store_dword v1, off, s[0:3], 0 offset:560
	;; [unrolled: 1-line block ×4, first 2 shown]
.LBB54_155:
	s_or_b32 exec_lo, exec_lo, s8
	v_mov_b32_e32 v4, s27
	v_cmp_lt_u32_e64 s5, 34, v0
	s_clause 0x3
	buffer_load_dword v1, v4, s[0:3], 0 offen
	buffer_load_dword v2, v4, s[0:3], 0 offen offset:4
	buffer_load_dword v3, v4, s[0:3], 0 offen offset:8
	;; [unrolled: 1-line block ×3, first 2 shown]
	s_waitcnt vmcnt(0)
	ds_write_b128 v116, v[1:4]
	s_waitcnt lgkmcnt(0)
	s_waitcnt_vscnt null, 0x0
	s_barrier
	buffer_gl0_inv
	s_and_saveexec_b32 s8, s5
	s_cbranch_execz .LBB54_163
; %bb.156:
	ds_read_b128 v[1:4], v116
	s_andn2_b32 vcc_lo, exec_lo, s62
	s_cbranch_vccnz .LBB54_158
; %bb.157:
	s_clause 0x3
	buffer_load_dword v117, v115, s[0:3], 0 offen offset:8
	buffer_load_dword v118, v115, s[0:3], 0 offen offset:12
	buffer_load_dword v119, v115, s[0:3], 0 offen
	buffer_load_dword v120, v115, s[0:3], 0 offen offset:4
	s_waitcnt vmcnt(2) lgkmcnt(0)
	v_mul_f64 v[122:123], v[3:4], v[117:118]
	v_mul_f64 v[117:118], v[1:2], v[117:118]
	s_waitcnt vmcnt(0)
	v_fma_f64 v[1:2], v[1:2], v[119:120], -v[122:123]
	v_fma_f64 v[3:4], v[3:4], v[119:120], v[117:118]
.LBB54_158:
	s_and_saveexec_b32 s63, s4
	s_cbranch_execz .LBB54_162
; %bb.159:
	v_subrev_nc_u32_e32 v117, 35, v0
	s_movk_i32 s64, 0x5a0
	s_mov_b32 s4, 0
	s_mov_b32 s65, s26
	.p2align	6
.LBB54_160:                             ; =>This Inner Loop Header: Depth=1
	v_mov_b32_e32 v120, s65
	v_add_nc_u32_e32 v117, -1, v117
	s_add_i32 s65, s65, 16
	s_clause 0x3
	buffer_load_dword v118, v120, s[0:3], 0 offen offset:8
	buffer_load_dword v119, v120, s[0:3], 0 offen offset:12
	buffer_load_dword v126, v120, s[0:3], 0 offen
	buffer_load_dword v127, v120, s[0:3], 0 offen offset:4
	v_mov_b32_e32 v120, s64
	v_cmp_eq_u32_e32 vcc_lo, 0, v117
	s_add_i32 s64, s64, 16
	ds_read_b128 v[122:125], v120
	s_or_b32 s4, vcc_lo, s4
	s_waitcnt vmcnt(2) lgkmcnt(0)
	v_mul_f64 v[128:129], v[124:125], v[118:119]
	v_mul_f64 v[118:119], v[122:123], v[118:119]
	s_waitcnt vmcnt(0)
	v_fma_f64 v[122:123], v[122:123], v[126:127], -v[128:129]
	v_fma_f64 v[118:119], v[124:125], v[126:127], v[118:119]
	v_add_f64 v[1:2], v[1:2], v[122:123]
	v_add_f64 v[3:4], v[3:4], v[118:119]
	s_andn2_b32 exec_lo, exec_lo, s4
	s_cbranch_execnz .LBB54_160
; %bb.161:
	s_or_b32 exec_lo, exec_lo, s4
.LBB54_162:
	s_or_b32 exec_lo, exec_lo, s63
	v_mov_b32_e32 v117, 0
	ds_read_b128 v[117:120], v117 offset:544
	s_waitcnt lgkmcnt(0)
	v_mul_f64 v[122:123], v[3:4], v[119:120]
	v_mul_f64 v[119:120], v[1:2], v[119:120]
	v_fma_f64 v[1:2], v[1:2], v[117:118], -v[122:123]
	v_fma_f64 v[3:4], v[3:4], v[117:118], v[119:120]
	buffer_store_dword v2, off, s[0:3], 0 offset:548
	buffer_store_dword v1, off, s[0:3], 0 offset:544
	;; [unrolled: 1-line block ×4, first 2 shown]
.LBB54_163:
	s_or_b32 exec_lo, exec_lo, s8
	v_mov_b32_e32 v4, s28
	v_cmp_lt_u32_e64 s4, 33, v0
	s_clause 0x3
	buffer_load_dword v1, v4, s[0:3], 0 offen
	buffer_load_dword v2, v4, s[0:3], 0 offen offset:4
	buffer_load_dword v3, v4, s[0:3], 0 offen offset:8
	;; [unrolled: 1-line block ×3, first 2 shown]
	s_waitcnt vmcnt(0)
	ds_write_b128 v116, v[1:4]
	s_waitcnt lgkmcnt(0)
	s_waitcnt_vscnt null, 0x0
	s_barrier
	buffer_gl0_inv
	s_and_saveexec_b32 s8, s4
	s_cbranch_execz .LBB54_171
; %bb.164:
	ds_read_b128 v[1:4], v116
	s_andn2_b32 vcc_lo, exec_lo, s62
	s_cbranch_vccnz .LBB54_166
; %bb.165:
	s_clause 0x3
	buffer_load_dword v117, v115, s[0:3], 0 offen offset:8
	buffer_load_dword v118, v115, s[0:3], 0 offen offset:12
	buffer_load_dword v119, v115, s[0:3], 0 offen
	buffer_load_dword v120, v115, s[0:3], 0 offen offset:4
	s_waitcnt vmcnt(2) lgkmcnt(0)
	v_mul_f64 v[122:123], v[3:4], v[117:118]
	v_mul_f64 v[117:118], v[1:2], v[117:118]
	s_waitcnt vmcnt(0)
	v_fma_f64 v[1:2], v[1:2], v[119:120], -v[122:123]
	v_fma_f64 v[3:4], v[3:4], v[119:120], v[117:118]
.LBB54_166:
	s_and_saveexec_b32 s63, s5
	s_cbranch_execz .LBB54_170
; %bb.167:
	v_subrev_nc_u32_e32 v117, 34, v0
	s_movk_i32 s64, 0x590
	s_mov_b32 s5, 0
	s_mov_b32 s65, s27
	.p2align	6
.LBB54_168:                             ; =>This Inner Loop Header: Depth=1
	v_mov_b32_e32 v120, s65
	v_add_nc_u32_e32 v117, -1, v117
	s_add_i32 s65, s65, 16
	s_clause 0x3
	buffer_load_dword v118, v120, s[0:3], 0 offen offset:8
	buffer_load_dword v119, v120, s[0:3], 0 offen offset:12
	buffer_load_dword v126, v120, s[0:3], 0 offen
	buffer_load_dword v127, v120, s[0:3], 0 offen offset:4
	v_mov_b32_e32 v120, s64
	v_cmp_eq_u32_e32 vcc_lo, 0, v117
	s_add_i32 s64, s64, 16
	ds_read_b128 v[122:125], v120
	s_or_b32 s5, vcc_lo, s5
	s_waitcnt vmcnt(2) lgkmcnt(0)
	v_mul_f64 v[128:129], v[124:125], v[118:119]
	v_mul_f64 v[118:119], v[122:123], v[118:119]
	s_waitcnt vmcnt(0)
	v_fma_f64 v[122:123], v[122:123], v[126:127], -v[128:129]
	v_fma_f64 v[118:119], v[124:125], v[126:127], v[118:119]
	v_add_f64 v[1:2], v[1:2], v[122:123]
	v_add_f64 v[3:4], v[3:4], v[118:119]
	s_andn2_b32 exec_lo, exec_lo, s5
	s_cbranch_execnz .LBB54_168
; %bb.169:
	s_or_b32 exec_lo, exec_lo, s5
.LBB54_170:
	s_or_b32 exec_lo, exec_lo, s63
	v_mov_b32_e32 v117, 0
	ds_read_b128 v[117:120], v117 offset:528
	s_waitcnt lgkmcnt(0)
	v_mul_f64 v[122:123], v[3:4], v[119:120]
	v_mul_f64 v[119:120], v[1:2], v[119:120]
	v_fma_f64 v[1:2], v[1:2], v[117:118], -v[122:123]
	v_fma_f64 v[3:4], v[3:4], v[117:118], v[119:120]
	buffer_store_dword v2, off, s[0:3], 0 offset:532
	buffer_store_dword v1, off, s[0:3], 0 offset:528
	;; [unrolled: 1-line block ×4, first 2 shown]
.LBB54_171:
	s_or_b32 exec_lo, exec_lo, s8
	v_mov_b32_e32 v4, s29
	v_cmp_lt_u32_e64 s5, 32, v0
	s_clause 0x3
	buffer_load_dword v1, v4, s[0:3], 0 offen
	buffer_load_dword v2, v4, s[0:3], 0 offen offset:4
	buffer_load_dword v3, v4, s[0:3], 0 offen offset:8
	;; [unrolled: 1-line block ×3, first 2 shown]
	s_waitcnt vmcnt(0)
	ds_write_b128 v116, v[1:4]
	s_waitcnt lgkmcnt(0)
	s_waitcnt_vscnt null, 0x0
	s_barrier
	buffer_gl0_inv
	s_and_saveexec_b32 s8, s5
	s_cbranch_execz .LBB54_179
; %bb.172:
	ds_read_b128 v[1:4], v116
	s_andn2_b32 vcc_lo, exec_lo, s62
	s_cbranch_vccnz .LBB54_174
; %bb.173:
	s_clause 0x3
	buffer_load_dword v117, v115, s[0:3], 0 offen offset:8
	buffer_load_dword v118, v115, s[0:3], 0 offen offset:12
	buffer_load_dword v119, v115, s[0:3], 0 offen
	buffer_load_dword v120, v115, s[0:3], 0 offen offset:4
	s_waitcnt vmcnt(2) lgkmcnt(0)
	v_mul_f64 v[122:123], v[3:4], v[117:118]
	v_mul_f64 v[117:118], v[1:2], v[117:118]
	s_waitcnt vmcnt(0)
	v_fma_f64 v[1:2], v[1:2], v[119:120], -v[122:123]
	v_fma_f64 v[3:4], v[3:4], v[119:120], v[117:118]
.LBB54_174:
	s_and_saveexec_b32 s63, s4
	s_cbranch_execz .LBB54_178
; %bb.175:
	v_subrev_nc_u32_e32 v117, 33, v0
	s_movk_i32 s64, 0x580
	s_mov_b32 s4, 0
	s_mov_b32 s65, s28
	.p2align	6
.LBB54_176:                             ; =>This Inner Loop Header: Depth=1
	v_mov_b32_e32 v120, s65
	v_add_nc_u32_e32 v117, -1, v117
	s_add_i32 s65, s65, 16
	s_clause 0x3
	buffer_load_dword v118, v120, s[0:3], 0 offen offset:8
	buffer_load_dword v119, v120, s[0:3], 0 offen offset:12
	buffer_load_dword v126, v120, s[0:3], 0 offen
	buffer_load_dword v127, v120, s[0:3], 0 offen offset:4
	v_mov_b32_e32 v120, s64
	v_cmp_eq_u32_e32 vcc_lo, 0, v117
	s_add_i32 s64, s64, 16
	ds_read_b128 v[122:125], v120
	s_or_b32 s4, vcc_lo, s4
	s_waitcnt vmcnt(2) lgkmcnt(0)
	v_mul_f64 v[128:129], v[124:125], v[118:119]
	v_mul_f64 v[118:119], v[122:123], v[118:119]
	s_waitcnt vmcnt(0)
	v_fma_f64 v[122:123], v[122:123], v[126:127], -v[128:129]
	v_fma_f64 v[118:119], v[124:125], v[126:127], v[118:119]
	v_add_f64 v[1:2], v[1:2], v[122:123]
	v_add_f64 v[3:4], v[3:4], v[118:119]
	s_andn2_b32 exec_lo, exec_lo, s4
	s_cbranch_execnz .LBB54_176
; %bb.177:
	s_or_b32 exec_lo, exec_lo, s4
.LBB54_178:
	s_or_b32 exec_lo, exec_lo, s63
	v_mov_b32_e32 v117, 0
	ds_read_b128 v[117:120], v117 offset:512
	s_waitcnt lgkmcnt(0)
	v_mul_f64 v[122:123], v[3:4], v[119:120]
	v_mul_f64 v[119:120], v[1:2], v[119:120]
	v_fma_f64 v[1:2], v[1:2], v[117:118], -v[122:123]
	v_fma_f64 v[3:4], v[3:4], v[117:118], v[119:120]
	buffer_store_dword v2, off, s[0:3], 0 offset:516
	buffer_store_dword v1, off, s[0:3], 0 offset:512
	;; [unrolled: 1-line block ×4, first 2 shown]
.LBB54_179:
	s_or_b32 exec_lo, exec_lo, s8
	v_mov_b32_e32 v4, s30
	v_cmp_lt_u32_e64 s4, 31, v0
	s_clause 0x3
	buffer_load_dword v1, v4, s[0:3], 0 offen
	buffer_load_dword v2, v4, s[0:3], 0 offen offset:4
	buffer_load_dword v3, v4, s[0:3], 0 offen offset:8
	;; [unrolled: 1-line block ×3, first 2 shown]
	s_waitcnt vmcnt(0)
	ds_write_b128 v116, v[1:4]
	s_waitcnt lgkmcnt(0)
	s_waitcnt_vscnt null, 0x0
	s_barrier
	buffer_gl0_inv
	s_and_saveexec_b32 s8, s4
	s_cbranch_execz .LBB54_187
; %bb.180:
	ds_read_b128 v[1:4], v116
	s_andn2_b32 vcc_lo, exec_lo, s62
	s_cbranch_vccnz .LBB54_182
; %bb.181:
	s_clause 0x3
	buffer_load_dword v117, v115, s[0:3], 0 offen offset:8
	buffer_load_dword v118, v115, s[0:3], 0 offen offset:12
	buffer_load_dword v119, v115, s[0:3], 0 offen
	buffer_load_dword v120, v115, s[0:3], 0 offen offset:4
	s_waitcnt vmcnt(2) lgkmcnt(0)
	v_mul_f64 v[122:123], v[3:4], v[117:118]
	v_mul_f64 v[117:118], v[1:2], v[117:118]
	s_waitcnt vmcnt(0)
	v_fma_f64 v[1:2], v[1:2], v[119:120], -v[122:123]
	v_fma_f64 v[3:4], v[3:4], v[119:120], v[117:118]
.LBB54_182:
	s_and_saveexec_b32 s63, s5
	s_cbranch_execz .LBB54_186
; %bb.183:
	v_subrev_nc_u32_e32 v117, 32, v0
	s_movk_i32 s64, 0x570
	s_mov_b32 s5, 0
	s_mov_b32 s65, s29
	.p2align	6
.LBB54_184:                             ; =>This Inner Loop Header: Depth=1
	v_mov_b32_e32 v120, s65
	v_add_nc_u32_e32 v117, -1, v117
	s_add_i32 s65, s65, 16
	s_clause 0x3
	buffer_load_dword v118, v120, s[0:3], 0 offen offset:8
	buffer_load_dword v119, v120, s[0:3], 0 offen offset:12
	buffer_load_dword v126, v120, s[0:3], 0 offen
	buffer_load_dword v127, v120, s[0:3], 0 offen offset:4
	v_mov_b32_e32 v120, s64
	v_cmp_eq_u32_e32 vcc_lo, 0, v117
	s_add_i32 s64, s64, 16
	ds_read_b128 v[122:125], v120
	s_or_b32 s5, vcc_lo, s5
	s_waitcnt vmcnt(2) lgkmcnt(0)
	v_mul_f64 v[128:129], v[124:125], v[118:119]
	v_mul_f64 v[118:119], v[122:123], v[118:119]
	s_waitcnt vmcnt(0)
	v_fma_f64 v[122:123], v[122:123], v[126:127], -v[128:129]
	v_fma_f64 v[118:119], v[124:125], v[126:127], v[118:119]
	v_add_f64 v[1:2], v[1:2], v[122:123]
	v_add_f64 v[3:4], v[3:4], v[118:119]
	s_andn2_b32 exec_lo, exec_lo, s5
	s_cbranch_execnz .LBB54_184
; %bb.185:
	s_or_b32 exec_lo, exec_lo, s5
.LBB54_186:
	s_or_b32 exec_lo, exec_lo, s63
	v_mov_b32_e32 v117, 0
	ds_read_b128 v[117:120], v117 offset:496
	s_waitcnt lgkmcnt(0)
	v_mul_f64 v[122:123], v[3:4], v[119:120]
	v_mul_f64 v[119:120], v[1:2], v[119:120]
	v_fma_f64 v[1:2], v[1:2], v[117:118], -v[122:123]
	v_fma_f64 v[3:4], v[3:4], v[117:118], v[119:120]
	buffer_store_dword v2, off, s[0:3], 0 offset:500
	buffer_store_dword v1, off, s[0:3], 0 offset:496
	;; [unrolled: 1-line block ×4, first 2 shown]
.LBB54_187:
	s_or_b32 exec_lo, exec_lo, s8
	v_mov_b32_e32 v4, s31
	v_cmp_lt_u32_e64 s5, 30, v0
	s_clause 0x3
	buffer_load_dword v1, v4, s[0:3], 0 offen
	buffer_load_dword v2, v4, s[0:3], 0 offen offset:4
	buffer_load_dword v3, v4, s[0:3], 0 offen offset:8
	;; [unrolled: 1-line block ×3, first 2 shown]
	s_waitcnt vmcnt(0)
	ds_write_b128 v116, v[1:4]
	s_waitcnt lgkmcnt(0)
	s_waitcnt_vscnt null, 0x0
	s_barrier
	buffer_gl0_inv
	s_and_saveexec_b32 s8, s5
	s_cbranch_execz .LBB54_195
; %bb.188:
	ds_read_b128 v[1:4], v116
	s_andn2_b32 vcc_lo, exec_lo, s62
	s_cbranch_vccnz .LBB54_190
; %bb.189:
	s_clause 0x3
	buffer_load_dword v117, v115, s[0:3], 0 offen offset:8
	buffer_load_dword v118, v115, s[0:3], 0 offen offset:12
	buffer_load_dword v119, v115, s[0:3], 0 offen
	buffer_load_dword v120, v115, s[0:3], 0 offen offset:4
	s_waitcnt vmcnt(2) lgkmcnt(0)
	v_mul_f64 v[122:123], v[3:4], v[117:118]
	v_mul_f64 v[117:118], v[1:2], v[117:118]
	s_waitcnt vmcnt(0)
	v_fma_f64 v[1:2], v[1:2], v[119:120], -v[122:123]
	v_fma_f64 v[3:4], v[3:4], v[119:120], v[117:118]
.LBB54_190:
	s_and_saveexec_b32 s63, s4
	s_cbranch_execz .LBB54_194
; %bb.191:
	v_subrev_nc_u32_e32 v117, 31, v0
	s_movk_i32 s64, 0x560
	s_mov_b32 s4, 0
	s_mov_b32 s65, s30
	.p2align	6
.LBB54_192:                             ; =>This Inner Loop Header: Depth=1
	v_mov_b32_e32 v120, s65
	v_add_nc_u32_e32 v117, -1, v117
	s_add_i32 s65, s65, 16
	s_clause 0x3
	buffer_load_dword v118, v120, s[0:3], 0 offen offset:8
	buffer_load_dword v119, v120, s[0:3], 0 offen offset:12
	buffer_load_dword v126, v120, s[0:3], 0 offen
	buffer_load_dword v127, v120, s[0:3], 0 offen offset:4
	v_mov_b32_e32 v120, s64
	v_cmp_eq_u32_e32 vcc_lo, 0, v117
	s_add_i32 s64, s64, 16
	ds_read_b128 v[122:125], v120
	s_or_b32 s4, vcc_lo, s4
	s_waitcnt vmcnt(2) lgkmcnt(0)
	v_mul_f64 v[128:129], v[124:125], v[118:119]
	v_mul_f64 v[118:119], v[122:123], v[118:119]
	s_waitcnt vmcnt(0)
	v_fma_f64 v[122:123], v[122:123], v[126:127], -v[128:129]
	v_fma_f64 v[118:119], v[124:125], v[126:127], v[118:119]
	v_add_f64 v[1:2], v[1:2], v[122:123]
	v_add_f64 v[3:4], v[3:4], v[118:119]
	s_andn2_b32 exec_lo, exec_lo, s4
	s_cbranch_execnz .LBB54_192
; %bb.193:
	s_or_b32 exec_lo, exec_lo, s4
.LBB54_194:
	s_or_b32 exec_lo, exec_lo, s63
	v_mov_b32_e32 v117, 0
	ds_read_b128 v[117:120], v117 offset:480
	s_waitcnt lgkmcnt(0)
	v_mul_f64 v[122:123], v[3:4], v[119:120]
	v_mul_f64 v[119:120], v[1:2], v[119:120]
	v_fma_f64 v[1:2], v[1:2], v[117:118], -v[122:123]
	v_fma_f64 v[3:4], v[3:4], v[117:118], v[119:120]
	buffer_store_dword v2, off, s[0:3], 0 offset:484
	buffer_store_dword v1, off, s[0:3], 0 offset:480
	;; [unrolled: 1-line block ×4, first 2 shown]
.LBB54_195:
	s_or_b32 exec_lo, exec_lo, s8
	v_mov_b32_e32 v4, s33
	v_cmp_lt_u32_e64 s4, 29, v0
	s_clause 0x3
	buffer_load_dword v1, v4, s[0:3], 0 offen
	buffer_load_dword v2, v4, s[0:3], 0 offen offset:4
	buffer_load_dword v3, v4, s[0:3], 0 offen offset:8
	;; [unrolled: 1-line block ×3, first 2 shown]
	s_waitcnt vmcnt(0)
	ds_write_b128 v116, v[1:4]
	s_waitcnt lgkmcnt(0)
	s_waitcnt_vscnt null, 0x0
	s_barrier
	buffer_gl0_inv
	s_and_saveexec_b32 s8, s4
	s_cbranch_execz .LBB54_203
; %bb.196:
	ds_read_b128 v[1:4], v116
	s_andn2_b32 vcc_lo, exec_lo, s62
	s_cbranch_vccnz .LBB54_198
; %bb.197:
	s_clause 0x3
	buffer_load_dword v117, v115, s[0:3], 0 offen offset:8
	buffer_load_dword v118, v115, s[0:3], 0 offen offset:12
	buffer_load_dword v119, v115, s[0:3], 0 offen
	buffer_load_dword v120, v115, s[0:3], 0 offen offset:4
	s_waitcnt vmcnt(2) lgkmcnt(0)
	v_mul_f64 v[122:123], v[3:4], v[117:118]
	v_mul_f64 v[117:118], v[1:2], v[117:118]
	s_waitcnt vmcnt(0)
	v_fma_f64 v[1:2], v[1:2], v[119:120], -v[122:123]
	v_fma_f64 v[3:4], v[3:4], v[119:120], v[117:118]
.LBB54_198:
	s_and_saveexec_b32 s63, s5
	s_cbranch_execz .LBB54_202
; %bb.199:
	v_subrev_nc_u32_e32 v117, 30, v0
	s_movk_i32 s64, 0x550
	s_mov_b32 s5, 0
	s_mov_b32 s65, s31
	.p2align	6
.LBB54_200:                             ; =>This Inner Loop Header: Depth=1
	v_mov_b32_e32 v120, s65
	v_add_nc_u32_e32 v117, -1, v117
	s_add_i32 s65, s65, 16
	s_clause 0x3
	buffer_load_dword v118, v120, s[0:3], 0 offen offset:8
	buffer_load_dword v119, v120, s[0:3], 0 offen offset:12
	buffer_load_dword v126, v120, s[0:3], 0 offen
	buffer_load_dword v127, v120, s[0:3], 0 offen offset:4
	v_mov_b32_e32 v120, s64
	v_cmp_eq_u32_e32 vcc_lo, 0, v117
	s_add_i32 s64, s64, 16
	ds_read_b128 v[122:125], v120
	s_or_b32 s5, vcc_lo, s5
	s_waitcnt vmcnt(2) lgkmcnt(0)
	v_mul_f64 v[128:129], v[124:125], v[118:119]
	v_mul_f64 v[118:119], v[122:123], v[118:119]
	s_waitcnt vmcnt(0)
	v_fma_f64 v[122:123], v[122:123], v[126:127], -v[128:129]
	v_fma_f64 v[118:119], v[124:125], v[126:127], v[118:119]
	v_add_f64 v[1:2], v[1:2], v[122:123]
	v_add_f64 v[3:4], v[3:4], v[118:119]
	s_andn2_b32 exec_lo, exec_lo, s5
	s_cbranch_execnz .LBB54_200
; %bb.201:
	s_or_b32 exec_lo, exec_lo, s5
.LBB54_202:
	s_or_b32 exec_lo, exec_lo, s63
	v_mov_b32_e32 v117, 0
	ds_read_b128 v[117:120], v117 offset:464
	s_waitcnt lgkmcnt(0)
	v_mul_f64 v[122:123], v[3:4], v[119:120]
	v_mul_f64 v[119:120], v[1:2], v[119:120]
	v_fma_f64 v[1:2], v[1:2], v[117:118], -v[122:123]
	v_fma_f64 v[3:4], v[3:4], v[117:118], v[119:120]
	buffer_store_dword v2, off, s[0:3], 0 offset:468
	buffer_store_dword v1, off, s[0:3], 0 offset:464
	;; [unrolled: 1-line block ×4, first 2 shown]
.LBB54_203:
	s_or_b32 exec_lo, exec_lo, s8
	v_mov_b32_e32 v4, s34
	v_cmp_lt_u32_e64 s5, 28, v0
	s_clause 0x3
	buffer_load_dword v1, v4, s[0:3], 0 offen
	buffer_load_dword v2, v4, s[0:3], 0 offen offset:4
	buffer_load_dword v3, v4, s[0:3], 0 offen offset:8
	;; [unrolled: 1-line block ×3, first 2 shown]
	s_waitcnt vmcnt(0)
	ds_write_b128 v116, v[1:4]
	s_waitcnt lgkmcnt(0)
	s_waitcnt_vscnt null, 0x0
	s_barrier
	buffer_gl0_inv
	s_and_saveexec_b32 s8, s5
	s_cbranch_execz .LBB54_211
; %bb.204:
	ds_read_b128 v[1:4], v116
	s_andn2_b32 vcc_lo, exec_lo, s62
	s_cbranch_vccnz .LBB54_206
; %bb.205:
	s_clause 0x3
	buffer_load_dword v117, v115, s[0:3], 0 offen offset:8
	buffer_load_dword v118, v115, s[0:3], 0 offen offset:12
	buffer_load_dword v119, v115, s[0:3], 0 offen
	buffer_load_dword v120, v115, s[0:3], 0 offen offset:4
	s_waitcnt vmcnt(2) lgkmcnt(0)
	v_mul_f64 v[122:123], v[3:4], v[117:118]
	v_mul_f64 v[117:118], v[1:2], v[117:118]
	s_waitcnt vmcnt(0)
	v_fma_f64 v[1:2], v[1:2], v[119:120], -v[122:123]
	v_fma_f64 v[3:4], v[3:4], v[119:120], v[117:118]
.LBB54_206:
	s_and_saveexec_b32 s63, s4
	s_cbranch_execz .LBB54_210
; %bb.207:
	v_subrev_nc_u32_e32 v117, 29, v0
	s_movk_i32 s64, 0x540
	s_mov_b32 s4, 0
	s_mov_b32 s65, s33
	.p2align	6
.LBB54_208:                             ; =>This Inner Loop Header: Depth=1
	v_mov_b32_e32 v120, s65
	v_add_nc_u32_e32 v117, -1, v117
	s_add_i32 s65, s65, 16
	s_clause 0x3
	buffer_load_dword v118, v120, s[0:3], 0 offen offset:8
	buffer_load_dword v119, v120, s[0:3], 0 offen offset:12
	buffer_load_dword v126, v120, s[0:3], 0 offen
	buffer_load_dword v127, v120, s[0:3], 0 offen offset:4
	v_mov_b32_e32 v120, s64
	v_cmp_eq_u32_e32 vcc_lo, 0, v117
	s_add_i32 s64, s64, 16
	ds_read_b128 v[122:125], v120
	s_or_b32 s4, vcc_lo, s4
	s_waitcnt vmcnt(2) lgkmcnt(0)
	v_mul_f64 v[128:129], v[124:125], v[118:119]
	v_mul_f64 v[118:119], v[122:123], v[118:119]
	s_waitcnt vmcnt(0)
	v_fma_f64 v[122:123], v[122:123], v[126:127], -v[128:129]
	v_fma_f64 v[118:119], v[124:125], v[126:127], v[118:119]
	v_add_f64 v[1:2], v[1:2], v[122:123]
	v_add_f64 v[3:4], v[3:4], v[118:119]
	s_andn2_b32 exec_lo, exec_lo, s4
	s_cbranch_execnz .LBB54_208
; %bb.209:
	s_or_b32 exec_lo, exec_lo, s4
.LBB54_210:
	s_or_b32 exec_lo, exec_lo, s63
	v_mov_b32_e32 v117, 0
	ds_read_b128 v[117:120], v117 offset:448
	s_waitcnt lgkmcnt(0)
	v_mul_f64 v[122:123], v[3:4], v[119:120]
	v_mul_f64 v[119:120], v[1:2], v[119:120]
	v_fma_f64 v[1:2], v[1:2], v[117:118], -v[122:123]
	v_fma_f64 v[3:4], v[3:4], v[117:118], v[119:120]
	buffer_store_dword v2, off, s[0:3], 0 offset:452
	buffer_store_dword v1, off, s[0:3], 0 offset:448
	;; [unrolled: 1-line block ×4, first 2 shown]
.LBB54_211:
	s_or_b32 exec_lo, exec_lo, s8
	v_mov_b32_e32 v4, s35
	v_cmp_lt_u32_e64 s4, 27, v0
	s_clause 0x3
	buffer_load_dword v1, v4, s[0:3], 0 offen
	buffer_load_dword v2, v4, s[0:3], 0 offen offset:4
	buffer_load_dword v3, v4, s[0:3], 0 offen offset:8
	;; [unrolled: 1-line block ×3, first 2 shown]
	s_waitcnt vmcnt(0)
	ds_write_b128 v116, v[1:4]
	s_waitcnt lgkmcnt(0)
	s_waitcnt_vscnt null, 0x0
	s_barrier
	buffer_gl0_inv
	s_and_saveexec_b32 s8, s4
	s_cbranch_execz .LBB54_219
; %bb.212:
	ds_read_b128 v[1:4], v116
	s_andn2_b32 vcc_lo, exec_lo, s62
	s_cbranch_vccnz .LBB54_214
; %bb.213:
	s_clause 0x3
	buffer_load_dword v117, v115, s[0:3], 0 offen offset:8
	buffer_load_dword v118, v115, s[0:3], 0 offen offset:12
	buffer_load_dword v119, v115, s[0:3], 0 offen
	buffer_load_dword v120, v115, s[0:3], 0 offen offset:4
	s_waitcnt vmcnt(2) lgkmcnt(0)
	v_mul_f64 v[122:123], v[3:4], v[117:118]
	v_mul_f64 v[117:118], v[1:2], v[117:118]
	s_waitcnt vmcnt(0)
	v_fma_f64 v[1:2], v[1:2], v[119:120], -v[122:123]
	v_fma_f64 v[3:4], v[3:4], v[119:120], v[117:118]
.LBB54_214:
	s_and_saveexec_b32 s63, s5
	s_cbranch_execz .LBB54_218
; %bb.215:
	v_subrev_nc_u32_e32 v117, 28, v0
	s_movk_i32 s64, 0x530
	s_mov_b32 s5, 0
	s_mov_b32 s65, s34
	.p2align	6
.LBB54_216:                             ; =>This Inner Loop Header: Depth=1
	v_mov_b32_e32 v120, s65
	v_add_nc_u32_e32 v117, -1, v117
	s_add_i32 s65, s65, 16
	s_clause 0x3
	buffer_load_dword v118, v120, s[0:3], 0 offen offset:8
	buffer_load_dword v119, v120, s[0:3], 0 offen offset:12
	buffer_load_dword v126, v120, s[0:3], 0 offen
	buffer_load_dword v127, v120, s[0:3], 0 offen offset:4
	v_mov_b32_e32 v120, s64
	v_cmp_eq_u32_e32 vcc_lo, 0, v117
	s_add_i32 s64, s64, 16
	ds_read_b128 v[122:125], v120
	s_or_b32 s5, vcc_lo, s5
	s_waitcnt vmcnt(2) lgkmcnt(0)
	v_mul_f64 v[128:129], v[124:125], v[118:119]
	v_mul_f64 v[118:119], v[122:123], v[118:119]
	s_waitcnt vmcnt(0)
	v_fma_f64 v[122:123], v[122:123], v[126:127], -v[128:129]
	v_fma_f64 v[118:119], v[124:125], v[126:127], v[118:119]
	v_add_f64 v[1:2], v[1:2], v[122:123]
	v_add_f64 v[3:4], v[3:4], v[118:119]
	s_andn2_b32 exec_lo, exec_lo, s5
	s_cbranch_execnz .LBB54_216
; %bb.217:
	s_or_b32 exec_lo, exec_lo, s5
.LBB54_218:
	s_or_b32 exec_lo, exec_lo, s63
	v_mov_b32_e32 v117, 0
	ds_read_b128 v[117:120], v117 offset:432
	s_waitcnt lgkmcnt(0)
	v_mul_f64 v[122:123], v[3:4], v[119:120]
	v_mul_f64 v[119:120], v[1:2], v[119:120]
	v_fma_f64 v[1:2], v[1:2], v[117:118], -v[122:123]
	v_fma_f64 v[3:4], v[3:4], v[117:118], v[119:120]
	buffer_store_dword v2, off, s[0:3], 0 offset:436
	buffer_store_dword v1, off, s[0:3], 0 offset:432
	;; [unrolled: 1-line block ×4, first 2 shown]
.LBB54_219:
	s_or_b32 exec_lo, exec_lo, s8
	v_mov_b32_e32 v4, s36
	v_cmp_lt_u32_e64 s5, 26, v0
	s_clause 0x3
	buffer_load_dword v1, v4, s[0:3], 0 offen
	buffer_load_dword v2, v4, s[0:3], 0 offen offset:4
	buffer_load_dword v3, v4, s[0:3], 0 offen offset:8
	;; [unrolled: 1-line block ×3, first 2 shown]
	s_waitcnt vmcnt(0)
	ds_write_b128 v116, v[1:4]
	s_waitcnt lgkmcnt(0)
	s_waitcnt_vscnt null, 0x0
	s_barrier
	buffer_gl0_inv
	s_and_saveexec_b32 s8, s5
	s_cbranch_execz .LBB54_227
; %bb.220:
	ds_read_b128 v[1:4], v116
	s_andn2_b32 vcc_lo, exec_lo, s62
	s_cbranch_vccnz .LBB54_222
; %bb.221:
	s_clause 0x3
	buffer_load_dword v117, v115, s[0:3], 0 offen offset:8
	buffer_load_dword v118, v115, s[0:3], 0 offen offset:12
	buffer_load_dword v119, v115, s[0:3], 0 offen
	buffer_load_dword v120, v115, s[0:3], 0 offen offset:4
	s_waitcnt vmcnt(2) lgkmcnt(0)
	v_mul_f64 v[122:123], v[3:4], v[117:118]
	v_mul_f64 v[117:118], v[1:2], v[117:118]
	s_waitcnt vmcnt(0)
	v_fma_f64 v[1:2], v[1:2], v[119:120], -v[122:123]
	v_fma_f64 v[3:4], v[3:4], v[119:120], v[117:118]
.LBB54_222:
	s_and_saveexec_b32 s63, s4
	s_cbranch_execz .LBB54_226
; %bb.223:
	v_subrev_nc_u32_e32 v117, 27, v0
	s_movk_i32 s64, 0x520
	s_mov_b32 s4, 0
	s_mov_b32 s65, s35
	.p2align	6
.LBB54_224:                             ; =>This Inner Loop Header: Depth=1
	v_mov_b32_e32 v120, s65
	v_add_nc_u32_e32 v117, -1, v117
	s_add_i32 s65, s65, 16
	s_clause 0x3
	buffer_load_dword v118, v120, s[0:3], 0 offen offset:8
	buffer_load_dword v119, v120, s[0:3], 0 offen offset:12
	buffer_load_dword v126, v120, s[0:3], 0 offen
	buffer_load_dword v127, v120, s[0:3], 0 offen offset:4
	v_mov_b32_e32 v120, s64
	v_cmp_eq_u32_e32 vcc_lo, 0, v117
	s_add_i32 s64, s64, 16
	ds_read_b128 v[122:125], v120
	s_or_b32 s4, vcc_lo, s4
	s_waitcnt vmcnt(2) lgkmcnt(0)
	v_mul_f64 v[128:129], v[124:125], v[118:119]
	v_mul_f64 v[118:119], v[122:123], v[118:119]
	s_waitcnt vmcnt(0)
	v_fma_f64 v[122:123], v[122:123], v[126:127], -v[128:129]
	v_fma_f64 v[118:119], v[124:125], v[126:127], v[118:119]
	v_add_f64 v[1:2], v[1:2], v[122:123]
	v_add_f64 v[3:4], v[3:4], v[118:119]
	s_andn2_b32 exec_lo, exec_lo, s4
	s_cbranch_execnz .LBB54_224
; %bb.225:
	s_or_b32 exec_lo, exec_lo, s4
.LBB54_226:
	s_or_b32 exec_lo, exec_lo, s63
	v_mov_b32_e32 v117, 0
	ds_read_b128 v[117:120], v117 offset:416
	s_waitcnt lgkmcnt(0)
	v_mul_f64 v[122:123], v[3:4], v[119:120]
	v_mul_f64 v[119:120], v[1:2], v[119:120]
	v_fma_f64 v[1:2], v[1:2], v[117:118], -v[122:123]
	v_fma_f64 v[3:4], v[3:4], v[117:118], v[119:120]
	buffer_store_dword v2, off, s[0:3], 0 offset:420
	buffer_store_dword v1, off, s[0:3], 0 offset:416
	;; [unrolled: 1-line block ×4, first 2 shown]
.LBB54_227:
	s_or_b32 exec_lo, exec_lo, s8
	v_mov_b32_e32 v4, s37
	v_cmp_lt_u32_e64 s4, 25, v0
	s_clause 0x3
	buffer_load_dword v1, v4, s[0:3], 0 offen
	buffer_load_dword v2, v4, s[0:3], 0 offen offset:4
	buffer_load_dword v3, v4, s[0:3], 0 offen offset:8
	;; [unrolled: 1-line block ×3, first 2 shown]
	s_waitcnt vmcnt(0)
	ds_write_b128 v116, v[1:4]
	s_waitcnt lgkmcnt(0)
	s_waitcnt_vscnt null, 0x0
	s_barrier
	buffer_gl0_inv
	s_and_saveexec_b32 s8, s4
	s_cbranch_execz .LBB54_235
; %bb.228:
	ds_read_b128 v[1:4], v116
	s_andn2_b32 vcc_lo, exec_lo, s62
	s_cbranch_vccnz .LBB54_230
; %bb.229:
	s_clause 0x3
	buffer_load_dword v117, v115, s[0:3], 0 offen offset:8
	buffer_load_dword v118, v115, s[0:3], 0 offen offset:12
	buffer_load_dword v119, v115, s[0:3], 0 offen
	buffer_load_dword v120, v115, s[0:3], 0 offen offset:4
	s_waitcnt vmcnt(2) lgkmcnt(0)
	v_mul_f64 v[122:123], v[3:4], v[117:118]
	v_mul_f64 v[117:118], v[1:2], v[117:118]
	s_waitcnt vmcnt(0)
	v_fma_f64 v[1:2], v[1:2], v[119:120], -v[122:123]
	v_fma_f64 v[3:4], v[3:4], v[119:120], v[117:118]
.LBB54_230:
	s_and_saveexec_b32 s63, s5
	s_cbranch_execz .LBB54_234
; %bb.231:
	v_subrev_nc_u32_e32 v117, 26, v0
	s_movk_i32 s64, 0x510
	s_mov_b32 s5, 0
	s_mov_b32 s65, s36
	.p2align	6
.LBB54_232:                             ; =>This Inner Loop Header: Depth=1
	v_mov_b32_e32 v120, s65
	v_add_nc_u32_e32 v117, -1, v117
	s_add_i32 s65, s65, 16
	s_clause 0x3
	buffer_load_dword v118, v120, s[0:3], 0 offen offset:8
	buffer_load_dword v119, v120, s[0:3], 0 offen offset:12
	buffer_load_dword v126, v120, s[0:3], 0 offen
	buffer_load_dword v127, v120, s[0:3], 0 offen offset:4
	v_mov_b32_e32 v120, s64
	v_cmp_eq_u32_e32 vcc_lo, 0, v117
	s_add_i32 s64, s64, 16
	ds_read_b128 v[122:125], v120
	s_or_b32 s5, vcc_lo, s5
	s_waitcnt vmcnt(2) lgkmcnt(0)
	v_mul_f64 v[128:129], v[124:125], v[118:119]
	v_mul_f64 v[118:119], v[122:123], v[118:119]
	s_waitcnt vmcnt(0)
	v_fma_f64 v[122:123], v[122:123], v[126:127], -v[128:129]
	v_fma_f64 v[118:119], v[124:125], v[126:127], v[118:119]
	v_add_f64 v[1:2], v[1:2], v[122:123]
	v_add_f64 v[3:4], v[3:4], v[118:119]
	s_andn2_b32 exec_lo, exec_lo, s5
	s_cbranch_execnz .LBB54_232
; %bb.233:
	s_or_b32 exec_lo, exec_lo, s5
.LBB54_234:
	s_or_b32 exec_lo, exec_lo, s63
	v_mov_b32_e32 v117, 0
	ds_read_b128 v[117:120], v117 offset:400
	s_waitcnt lgkmcnt(0)
	v_mul_f64 v[122:123], v[3:4], v[119:120]
	v_mul_f64 v[119:120], v[1:2], v[119:120]
	v_fma_f64 v[1:2], v[1:2], v[117:118], -v[122:123]
	v_fma_f64 v[3:4], v[3:4], v[117:118], v[119:120]
	buffer_store_dword v2, off, s[0:3], 0 offset:404
	buffer_store_dword v1, off, s[0:3], 0 offset:400
	;; [unrolled: 1-line block ×4, first 2 shown]
.LBB54_235:
	s_or_b32 exec_lo, exec_lo, s8
	v_mov_b32_e32 v4, s38
	v_cmp_lt_u32_e64 s5, 24, v0
	s_clause 0x3
	buffer_load_dword v1, v4, s[0:3], 0 offen
	buffer_load_dword v2, v4, s[0:3], 0 offen offset:4
	buffer_load_dword v3, v4, s[0:3], 0 offen offset:8
	;; [unrolled: 1-line block ×3, first 2 shown]
	s_waitcnt vmcnt(0)
	ds_write_b128 v116, v[1:4]
	s_waitcnt lgkmcnt(0)
	s_waitcnt_vscnt null, 0x0
	s_barrier
	buffer_gl0_inv
	s_and_saveexec_b32 s8, s5
	s_cbranch_execz .LBB54_243
; %bb.236:
	ds_read_b128 v[1:4], v116
	s_andn2_b32 vcc_lo, exec_lo, s62
	s_cbranch_vccnz .LBB54_238
; %bb.237:
	s_clause 0x3
	buffer_load_dword v117, v115, s[0:3], 0 offen offset:8
	buffer_load_dword v118, v115, s[0:3], 0 offen offset:12
	buffer_load_dword v119, v115, s[0:3], 0 offen
	buffer_load_dword v120, v115, s[0:3], 0 offen offset:4
	s_waitcnt vmcnt(2) lgkmcnt(0)
	v_mul_f64 v[122:123], v[3:4], v[117:118]
	v_mul_f64 v[117:118], v[1:2], v[117:118]
	s_waitcnt vmcnt(0)
	v_fma_f64 v[1:2], v[1:2], v[119:120], -v[122:123]
	v_fma_f64 v[3:4], v[3:4], v[119:120], v[117:118]
.LBB54_238:
	s_and_saveexec_b32 s63, s4
	s_cbranch_execz .LBB54_242
; %bb.239:
	v_subrev_nc_u32_e32 v117, 25, v0
	s_movk_i32 s64, 0x500
	s_mov_b32 s4, 0
	s_mov_b32 s65, s37
	.p2align	6
.LBB54_240:                             ; =>This Inner Loop Header: Depth=1
	v_mov_b32_e32 v120, s65
	v_add_nc_u32_e32 v117, -1, v117
	s_add_i32 s65, s65, 16
	s_clause 0x3
	buffer_load_dword v118, v120, s[0:3], 0 offen offset:8
	buffer_load_dword v119, v120, s[0:3], 0 offen offset:12
	buffer_load_dword v126, v120, s[0:3], 0 offen
	buffer_load_dword v127, v120, s[0:3], 0 offen offset:4
	v_mov_b32_e32 v120, s64
	v_cmp_eq_u32_e32 vcc_lo, 0, v117
	s_add_i32 s64, s64, 16
	ds_read_b128 v[122:125], v120
	s_or_b32 s4, vcc_lo, s4
	s_waitcnt vmcnt(2) lgkmcnt(0)
	v_mul_f64 v[128:129], v[124:125], v[118:119]
	v_mul_f64 v[118:119], v[122:123], v[118:119]
	s_waitcnt vmcnt(0)
	v_fma_f64 v[122:123], v[122:123], v[126:127], -v[128:129]
	v_fma_f64 v[118:119], v[124:125], v[126:127], v[118:119]
	v_add_f64 v[1:2], v[1:2], v[122:123]
	v_add_f64 v[3:4], v[3:4], v[118:119]
	s_andn2_b32 exec_lo, exec_lo, s4
	s_cbranch_execnz .LBB54_240
; %bb.241:
	s_or_b32 exec_lo, exec_lo, s4
.LBB54_242:
	s_or_b32 exec_lo, exec_lo, s63
	v_mov_b32_e32 v117, 0
	ds_read_b128 v[117:120], v117 offset:384
	s_waitcnt lgkmcnt(0)
	v_mul_f64 v[122:123], v[3:4], v[119:120]
	v_mul_f64 v[119:120], v[1:2], v[119:120]
	v_fma_f64 v[1:2], v[1:2], v[117:118], -v[122:123]
	v_fma_f64 v[3:4], v[3:4], v[117:118], v[119:120]
	buffer_store_dword v2, off, s[0:3], 0 offset:388
	buffer_store_dword v1, off, s[0:3], 0 offset:384
	;; [unrolled: 1-line block ×4, first 2 shown]
.LBB54_243:
	s_or_b32 exec_lo, exec_lo, s8
	v_mov_b32_e32 v4, s39
	v_cmp_lt_u32_e64 s4, 23, v0
	s_clause 0x3
	buffer_load_dword v1, v4, s[0:3], 0 offen
	buffer_load_dword v2, v4, s[0:3], 0 offen offset:4
	buffer_load_dword v3, v4, s[0:3], 0 offen offset:8
	;; [unrolled: 1-line block ×3, first 2 shown]
	s_waitcnt vmcnt(0)
	ds_write_b128 v116, v[1:4]
	s_waitcnt lgkmcnt(0)
	s_waitcnt_vscnt null, 0x0
	s_barrier
	buffer_gl0_inv
	s_and_saveexec_b32 s8, s4
	s_cbranch_execz .LBB54_251
; %bb.244:
	ds_read_b128 v[1:4], v116
	s_andn2_b32 vcc_lo, exec_lo, s62
	s_cbranch_vccnz .LBB54_246
; %bb.245:
	s_clause 0x3
	buffer_load_dword v117, v115, s[0:3], 0 offen offset:8
	buffer_load_dword v118, v115, s[0:3], 0 offen offset:12
	buffer_load_dword v119, v115, s[0:3], 0 offen
	buffer_load_dword v120, v115, s[0:3], 0 offen offset:4
	s_waitcnt vmcnt(2) lgkmcnt(0)
	v_mul_f64 v[122:123], v[3:4], v[117:118]
	v_mul_f64 v[117:118], v[1:2], v[117:118]
	s_waitcnt vmcnt(0)
	v_fma_f64 v[1:2], v[1:2], v[119:120], -v[122:123]
	v_fma_f64 v[3:4], v[3:4], v[119:120], v[117:118]
.LBB54_246:
	s_and_saveexec_b32 s63, s5
	s_cbranch_execz .LBB54_250
; %bb.247:
	v_subrev_nc_u32_e32 v117, 24, v0
	s_movk_i32 s64, 0x4f0
	s_mov_b32 s5, 0
	s_mov_b32 s65, s38
	.p2align	6
.LBB54_248:                             ; =>This Inner Loop Header: Depth=1
	v_mov_b32_e32 v120, s65
	v_add_nc_u32_e32 v117, -1, v117
	s_add_i32 s65, s65, 16
	s_clause 0x3
	buffer_load_dword v118, v120, s[0:3], 0 offen offset:8
	buffer_load_dword v119, v120, s[0:3], 0 offen offset:12
	buffer_load_dword v126, v120, s[0:3], 0 offen
	buffer_load_dword v127, v120, s[0:3], 0 offen offset:4
	v_mov_b32_e32 v120, s64
	v_cmp_eq_u32_e32 vcc_lo, 0, v117
	s_add_i32 s64, s64, 16
	ds_read_b128 v[122:125], v120
	s_or_b32 s5, vcc_lo, s5
	s_waitcnt vmcnt(2) lgkmcnt(0)
	v_mul_f64 v[128:129], v[124:125], v[118:119]
	v_mul_f64 v[118:119], v[122:123], v[118:119]
	s_waitcnt vmcnt(0)
	v_fma_f64 v[122:123], v[122:123], v[126:127], -v[128:129]
	v_fma_f64 v[118:119], v[124:125], v[126:127], v[118:119]
	v_add_f64 v[1:2], v[1:2], v[122:123]
	v_add_f64 v[3:4], v[3:4], v[118:119]
	s_andn2_b32 exec_lo, exec_lo, s5
	s_cbranch_execnz .LBB54_248
; %bb.249:
	s_or_b32 exec_lo, exec_lo, s5
.LBB54_250:
	s_or_b32 exec_lo, exec_lo, s63
	v_mov_b32_e32 v117, 0
	ds_read_b128 v[117:120], v117 offset:368
	s_waitcnt lgkmcnt(0)
	v_mul_f64 v[122:123], v[3:4], v[119:120]
	v_mul_f64 v[119:120], v[1:2], v[119:120]
	v_fma_f64 v[1:2], v[1:2], v[117:118], -v[122:123]
	v_fma_f64 v[3:4], v[3:4], v[117:118], v[119:120]
	buffer_store_dword v2, off, s[0:3], 0 offset:372
	buffer_store_dword v1, off, s[0:3], 0 offset:368
	;; [unrolled: 1-line block ×4, first 2 shown]
.LBB54_251:
	s_or_b32 exec_lo, exec_lo, s8
	v_mov_b32_e32 v4, s40
	v_cmp_lt_u32_e64 s5, 22, v0
	s_clause 0x3
	buffer_load_dword v1, v4, s[0:3], 0 offen
	buffer_load_dword v2, v4, s[0:3], 0 offen offset:4
	buffer_load_dword v3, v4, s[0:3], 0 offen offset:8
	;; [unrolled: 1-line block ×3, first 2 shown]
	s_waitcnt vmcnt(0)
	ds_write_b128 v116, v[1:4]
	s_waitcnt lgkmcnt(0)
	s_waitcnt_vscnt null, 0x0
	s_barrier
	buffer_gl0_inv
	s_and_saveexec_b32 s8, s5
	s_cbranch_execz .LBB54_259
; %bb.252:
	ds_read_b128 v[1:4], v116
	s_andn2_b32 vcc_lo, exec_lo, s62
	s_cbranch_vccnz .LBB54_254
; %bb.253:
	s_clause 0x3
	buffer_load_dword v117, v115, s[0:3], 0 offen offset:8
	buffer_load_dword v118, v115, s[0:3], 0 offen offset:12
	buffer_load_dword v119, v115, s[0:3], 0 offen
	buffer_load_dword v120, v115, s[0:3], 0 offen offset:4
	s_waitcnt vmcnt(2) lgkmcnt(0)
	v_mul_f64 v[122:123], v[3:4], v[117:118]
	v_mul_f64 v[117:118], v[1:2], v[117:118]
	s_waitcnt vmcnt(0)
	v_fma_f64 v[1:2], v[1:2], v[119:120], -v[122:123]
	v_fma_f64 v[3:4], v[3:4], v[119:120], v[117:118]
.LBB54_254:
	s_and_saveexec_b32 s63, s4
	s_cbranch_execz .LBB54_258
; %bb.255:
	v_subrev_nc_u32_e32 v117, 23, v0
	s_movk_i32 s64, 0x4e0
	s_mov_b32 s4, 0
	s_mov_b32 s65, s39
	.p2align	6
.LBB54_256:                             ; =>This Inner Loop Header: Depth=1
	v_mov_b32_e32 v120, s65
	v_add_nc_u32_e32 v117, -1, v117
	s_add_i32 s65, s65, 16
	s_clause 0x3
	buffer_load_dword v118, v120, s[0:3], 0 offen offset:8
	buffer_load_dword v119, v120, s[0:3], 0 offen offset:12
	buffer_load_dword v126, v120, s[0:3], 0 offen
	buffer_load_dword v127, v120, s[0:3], 0 offen offset:4
	v_mov_b32_e32 v120, s64
	v_cmp_eq_u32_e32 vcc_lo, 0, v117
	s_add_i32 s64, s64, 16
	ds_read_b128 v[122:125], v120
	s_or_b32 s4, vcc_lo, s4
	s_waitcnt vmcnt(2) lgkmcnt(0)
	v_mul_f64 v[128:129], v[124:125], v[118:119]
	v_mul_f64 v[118:119], v[122:123], v[118:119]
	s_waitcnt vmcnt(0)
	v_fma_f64 v[122:123], v[122:123], v[126:127], -v[128:129]
	v_fma_f64 v[118:119], v[124:125], v[126:127], v[118:119]
	v_add_f64 v[1:2], v[1:2], v[122:123]
	v_add_f64 v[3:4], v[3:4], v[118:119]
	s_andn2_b32 exec_lo, exec_lo, s4
	s_cbranch_execnz .LBB54_256
; %bb.257:
	s_or_b32 exec_lo, exec_lo, s4
.LBB54_258:
	s_or_b32 exec_lo, exec_lo, s63
	v_mov_b32_e32 v117, 0
	ds_read_b128 v[117:120], v117 offset:352
	s_waitcnt lgkmcnt(0)
	v_mul_f64 v[122:123], v[3:4], v[119:120]
	v_mul_f64 v[119:120], v[1:2], v[119:120]
	v_fma_f64 v[1:2], v[1:2], v[117:118], -v[122:123]
	v_fma_f64 v[3:4], v[3:4], v[117:118], v[119:120]
	buffer_store_dword v2, off, s[0:3], 0 offset:356
	buffer_store_dword v1, off, s[0:3], 0 offset:352
	;; [unrolled: 1-line block ×4, first 2 shown]
.LBB54_259:
	s_or_b32 exec_lo, exec_lo, s8
	v_mov_b32_e32 v4, s41
	v_cmp_lt_u32_e64 s4, 21, v0
	s_clause 0x3
	buffer_load_dword v1, v4, s[0:3], 0 offen
	buffer_load_dword v2, v4, s[0:3], 0 offen offset:4
	buffer_load_dword v3, v4, s[0:3], 0 offen offset:8
	;; [unrolled: 1-line block ×3, first 2 shown]
	s_waitcnt vmcnt(0)
	ds_write_b128 v116, v[1:4]
	s_waitcnt lgkmcnt(0)
	s_waitcnt_vscnt null, 0x0
	s_barrier
	buffer_gl0_inv
	s_and_saveexec_b32 s8, s4
	s_cbranch_execz .LBB54_267
; %bb.260:
	ds_read_b128 v[1:4], v116
	s_andn2_b32 vcc_lo, exec_lo, s62
	s_cbranch_vccnz .LBB54_262
; %bb.261:
	s_clause 0x3
	buffer_load_dword v117, v115, s[0:3], 0 offen offset:8
	buffer_load_dword v118, v115, s[0:3], 0 offen offset:12
	buffer_load_dword v119, v115, s[0:3], 0 offen
	buffer_load_dword v120, v115, s[0:3], 0 offen offset:4
	s_waitcnt vmcnt(2) lgkmcnt(0)
	v_mul_f64 v[122:123], v[3:4], v[117:118]
	v_mul_f64 v[117:118], v[1:2], v[117:118]
	s_waitcnt vmcnt(0)
	v_fma_f64 v[1:2], v[1:2], v[119:120], -v[122:123]
	v_fma_f64 v[3:4], v[3:4], v[119:120], v[117:118]
.LBB54_262:
	s_and_saveexec_b32 s63, s5
	s_cbranch_execz .LBB54_266
; %bb.263:
	v_subrev_nc_u32_e32 v117, 22, v0
	s_movk_i32 s64, 0x4d0
	s_mov_b32 s5, 0
	s_mov_b32 s65, s40
	.p2align	6
.LBB54_264:                             ; =>This Inner Loop Header: Depth=1
	v_mov_b32_e32 v120, s65
	v_add_nc_u32_e32 v117, -1, v117
	s_add_i32 s65, s65, 16
	s_clause 0x3
	buffer_load_dword v118, v120, s[0:3], 0 offen offset:8
	buffer_load_dword v119, v120, s[0:3], 0 offen offset:12
	buffer_load_dword v126, v120, s[0:3], 0 offen
	buffer_load_dword v127, v120, s[0:3], 0 offen offset:4
	v_mov_b32_e32 v120, s64
	v_cmp_eq_u32_e32 vcc_lo, 0, v117
	s_add_i32 s64, s64, 16
	ds_read_b128 v[122:125], v120
	s_or_b32 s5, vcc_lo, s5
	s_waitcnt vmcnt(2) lgkmcnt(0)
	v_mul_f64 v[128:129], v[124:125], v[118:119]
	v_mul_f64 v[118:119], v[122:123], v[118:119]
	s_waitcnt vmcnt(0)
	v_fma_f64 v[122:123], v[122:123], v[126:127], -v[128:129]
	v_fma_f64 v[118:119], v[124:125], v[126:127], v[118:119]
	v_add_f64 v[1:2], v[1:2], v[122:123]
	v_add_f64 v[3:4], v[3:4], v[118:119]
	s_andn2_b32 exec_lo, exec_lo, s5
	s_cbranch_execnz .LBB54_264
; %bb.265:
	s_or_b32 exec_lo, exec_lo, s5
.LBB54_266:
	s_or_b32 exec_lo, exec_lo, s63
	v_mov_b32_e32 v117, 0
	ds_read_b128 v[117:120], v117 offset:336
	s_waitcnt lgkmcnt(0)
	v_mul_f64 v[122:123], v[3:4], v[119:120]
	v_mul_f64 v[119:120], v[1:2], v[119:120]
	v_fma_f64 v[1:2], v[1:2], v[117:118], -v[122:123]
	v_fma_f64 v[3:4], v[3:4], v[117:118], v[119:120]
	buffer_store_dword v2, off, s[0:3], 0 offset:340
	buffer_store_dword v1, off, s[0:3], 0 offset:336
	;; [unrolled: 1-line block ×4, first 2 shown]
.LBB54_267:
	s_or_b32 exec_lo, exec_lo, s8
	v_mov_b32_e32 v4, s42
	v_cmp_lt_u32_e64 s5, 20, v0
	s_clause 0x3
	buffer_load_dword v1, v4, s[0:3], 0 offen
	buffer_load_dword v2, v4, s[0:3], 0 offen offset:4
	buffer_load_dword v3, v4, s[0:3], 0 offen offset:8
	;; [unrolled: 1-line block ×3, first 2 shown]
	s_waitcnt vmcnt(0)
	ds_write_b128 v116, v[1:4]
	s_waitcnt lgkmcnt(0)
	s_waitcnt_vscnt null, 0x0
	s_barrier
	buffer_gl0_inv
	s_and_saveexec_b32 s8, s5
	s_cbranch_execz .LBB54_275
; %bb.268:
	ds_read_b128 v[1:4], v116
	s_andn2_b32 vcc_lo, exec_lo, s62
	s_cbranch_vccnz .LBB54_270
; %bb.269:
	s_clause 0x3
	buffer_load_dword v117, v115, s[0:3], 0 offen offset:8
	buffer_load_dword v118, v115, s[0:3], 0 offen offset:12
	buffer_load_dword v119, v115, s[0:3], 0 offen
	buffer_load_dword v120, v115, s[0:3], 0 offen offset:4
	s_waitcnt vmcnt(2) lgkmcnt(0)
	v_mul_f64 v[122:123], v[3:4], v[117:118]
	v_mul_f64 v[117:118], v[1:2], v[117:118]
	s_waitcnt vmcnt(0)
	v_fma_f64 v[1:2], v[1:2], v[119:120], -v[122:123]
	v_fma_f64 v[3:4], v[3:4], v[119:120], v[117:118]
.LBB54_270:
	s_and_saveexec_b32 s63, s4
	s_cbranch_execz .LBB54_274
; %bb.271:
	v_subrev_nc_u32_e32 v117, 21, v0
	s_movk_i32 s64, 0x4c0
	s_mov_b32 s4, 0
	s_mov_b32 s65, s41
	.p2align	6
.LBB54_272:                             ; =>This Inner Loop Header: Depth=1
	v_mov_b32_e32 v120, s65
	v_add_nc_u32_e32 v117, -1, v117
	s_add_i32 s65, s65, 16
	s_clause 0x3
	buffer_load_dword v118, v120, s[0:3], 0 offen offset:8
	buffer_load_dword v119, v120, s[0:3], 0 offen offset:12
	buffer_load_dword v126, v120, s[0:3], 0 offen
	buffer_load_dword v127, v120, s[0:3], 0 offen offset:4
	v_mov_b32_e32 v120, s64
	v_cmp_eq_u32_e32 vcc_lo, 0, v117
	s_add_i32 s64, s64, 16
	ds_read_b128 v[122:125], v120
	s_or_b32 s4, vcc_lo, s4
	s_waitcnt vmcnt(2) lgkmcnt(0)
	v_mul_f64 v[128:129], v[124:125], v[118:119]
	v_mul_f64 v[118:119], v[122:123], v[118:119]
	s_waitcnt vmcnt(0)
	v_fma_f64 v[122:123], v[122:123], v[126:127], -v[128:129]
	v_fma_f64 v[118:119], v[124:125], v[126:127], v[118:119]
	v_add_f64 v[1:2], v[1:2], v[122:123]
	v_add_f64 v[3:4], v[3:4], v[118:119]
	s_andn2_b32 exec_lo, exec_lo, s4
	s_cbranch_execnz .LBB54_272
; %bb.273:
	s_or_b32 exec_lo, exec_lo, s4
.LBB54_274:
	s_or_b32 exec_lo, exec_lo, s63
	v_mov_b32_e32 v117, 0
	ds_read_b128 v[117:120], v117 offset:320
	s_waitcnt lgkmcnt(0)
	v_mul_f64 v[122:123], v[3:4], v[119:120]
	v_mul_f64 v[119:120], v[1:2], v[119:120]
	v_fma_f64 v[1:2], v[1:2], v[117:118], -v[122:123]
	v_fma_f64 v[3:4], v[3:4], v[117:118], v[119:120]
	buffer_store_dword v2, off, s[0:3], 0 offset:324
	buffer_store_dword v1, off, s[0:3], 0 offset:320
	;; [unrolled: 1-line block ×4, first 2 shown]
.LBB54_275:
	s_or_b32 exec_lo, exec_lo, s8
	v_mov_b32_e32 v4, s43
	v_cmp_lt_u32_e64 s4, 19, v0
	s_clause 0x3
	buffer_load_dword v1, v4, s[0:3], 0 offen
	buffer_load_dword v2, v4, s[0:3], 0 offen offset:4
	buffer_load_dword v3, v4, s[0:3], 0 offen offset:8
	;; [unrolled: 1-line block ×3, first 2 shown]
	s_waitcnt vmcnt(0)
	ds_write_b128 v116, v[1:4]
	s_waitcnt lgkmcnt(0)
	s_waitcnt_vscnt null, 0x0
	s_barrier
	buffer_gl0_inv
	s_and_saveexec_b32 s8, s4
	s_cbranch_execz .LBB54_283
; %bb.276:
	ds_read_b128 v[1:4], v116
	s_andn2_b32 vcc_lo, exec_lo, s62
	s_cbranch_vccnz .LBB54_278
; %bb.277:
	s_clause 0x3
	buffer_load_dword v117, v115, s[0:3], 0 offen offset:8
	buffer_load_dword v118, v115, s[0:3], 0 offen offset:12
	buffer_load_dword v119, v115, s[0:3], 0 offen
	buffer_load_dword v120, v115, s[0:3], 0 offen offset:4
	s_waitcnt vmcnt(2) lgkmcnt(0)
	v_mul_f64 v[122:123], v[3:4], v[117:118]
	v_mul_f64 v[117:118], v[1:2], v[117:118]
	s_waitcnt vmcnt(0)
	v_fma_f64 v[1:2], v[1:2], v[119:120], -v[122:123]
	v_fma_f64 v[3:4], v[3:4], v[119:120], v[117:118]
.LBB54_278:
	s_and_saveexec_b32 s63, s5
	s_cbranch_execz .LBB54_282
; %bb.279:
	v_subrev_nc_u32_e32 v117, 20, v0
	s_movk_i32 s64, 0x4b0
	s_mov_b32 s5, 0
	s_mov_b32 s65, s42
	.p2align	6
.LBB54_280:                             ; =>This Inner Loop Header: Depth=1
	v_mov_b32_e32 v120, s65
	v_add_nc_u32_e32 v117, -1, v117
	s_add_i32 s65, s65, 16
	s_clause 0x3
	buffer_load_dword v118, v120, s[0:3], 0 offen offset:8
	buffer_load_dword v119, v120, s[0:3], 0 offen offset:12
	buffer_load_dword v126, v120, s[0:3], 0 offen
	buffer_load_dword v127, v120, s[0:3], 0 offen offset:4
	v_mov_b32_e32 v120, s64
	v_cmp_eq_u32_e32 vcc_lo, 0, v117
	s_add_i32 s64, s64, 16
	ds_read_b128 v[122:125], v120
	s_or_b32 s5, vcc_lo, s5
	s_waitcnt vmcnt(2) lgkmcnt(0)
	v_mul_f64 v[128:129], v[124:125], v[118:119]
	v_mul_f64 v[118:119], v[122:123], v[118:119]
	s_waitcnt vmcnt(0)
	v_fma_f64 v[122:123], v[122:123], v[126:127], -v[128:129]
	v_fma_f64 v[118:119], v[124:125], v[126:127], v[118:119]
	v_add_f64 v[1:2], v[1:2], v[122:123]
	v_add_f64 v[3:4], v[3:4], v[118:119]
	s_andn2_b32 exec_lo, exec_lo, s5
	s_cbranch_execnz .LBB54_280
; %bb.281:
	s_or_b32 exec_lo, exec_lo, s5
.LBB54_282:
	s_or_b32 exec_lo, exec_lo, s63
	v_mov_b32_e32 v117, 0
	ds_read_b128 v[117:120], v117 offset:304
	s_waitcnt lgkmcnt(0)
	v_mul_f64 v[122:123], v[3:4], v[119:120]
	v_mul_f64 v[119:120], v[1:2], v[119:120]
	v_fma_f64 v[1:2], v[1:2], v[117:118], -v[122:123]
	v_fma_f64 v[3:4], v[3:4], v[117:118], v[119:120]
	buffer_store_dword v2, off, s[0:3], 0 offset:308
	buffer_store_dword v1, off, s[0:3], 0 offset:304
	;; [unrolled: 1-line block ×4, first 2 shown]
.LBB54_283:
	s_or_b32 exec_lo, exec_lo, s8
	v_mov_b32_e32 v4, s44
	v_cmp_lt_u32_e64 s5, 18, v0
	s_clause 0x3
	buffer_load_dword v1, v4, s[0:3], 0 offen
	buffer_load_dword v2, v4, s[0:3], 0 offen offset:4
	buffer_load_dword v3, v4, s[0:3], 0 offen offset:8
	;; [unrolled: 1-line block ×3, first 2 shown]
	s_waitcnt vmcnt(0)
	ds_write_b128 v116, v[1:4]
	s_waitcnt lgkmcnt(0)
	s_waitcnt_vscnt null, 0x0
	s_barrier
	buffer_gl0_inv
	s_and_saveexec_b32 s8, s5
	s_cbranch_execz .LBB54_291
; %bb.284:
	ds_read_b128 v[1:4], v116
	s_andn2_b32 vcc_lo, exec_lo, s62
	s_cbranch_vccnz .LBB54_286
; %bb.285:
	s_clause 0x3
	buffer_load_dword v117, v115, s[0:3], 0 offen offset:8
	buffer_load_dword v118, v115, s[0:3], 0 offen offset:12
	buffer_load_dword v119, v115, s[0:3], 0 offen
	buffer_load_dword v120, v115, s[0:3], 0 offen offset:4
	s_waitcnt vmcnt(2) lgkmcnt(0)
	v_mul_f64 v[122:123], v[3:4], v[117:118]
	v_mul_f64 v[117:118], v[1:2], v[117:118]
	s_waitcnt vmcnt(0)
	v_fma_f64 v[1:2], v[1:2], v[119:120], -v[122:123]
	v_fma_f64 v[3:4], v[3:4], v[119:120], v[117:118]
.LBB54_286:
	s_and_saveexec_b32 s63, s4
	s_cbranch_execz .LBB54_290
; %bb.287:
	v_subrev_nc_u32_e32 v117, 19, v0
	s_movk_i32 s64, 0x4a0
	s_mov_b32 s4, 0
	s_mov_b32 s65, s43
	.p2align	6
.LBB54_288:                             ; =>This Inner Loop Header: Depth=1
	v_mov_b32_e32 v120, s65
	v_add_nc_u32_e32 v117, -1, v117
	s_add_i32 s65, s65, 16
	s_clause 0x3
	buffer_load_dword v118, v120, s[0:3], 0 offen offset:8
	buffer_load_dword v119, v120, s[0:3], 0 offen offset:12
	buffer_load_dword v126, v120, s[0:3], 0 offen
	buffer_load_dword v127, v120, s[0:3], 0 offen offset:4
	v_mov_b32_e32 v120, s64
	v_cmp_eq_u32_e32 vcc_lo, 0, v117
	s_add_i32 s64, s64, 16
	ds_read_b128 v[122:125], v120
	s_or_b32 s4, vcc_lo, s4
	s_waitcnt vmcnt(2) lgkmcnt(0)
	v_mul_f64 v[128:129], v[124:125], v[118:119]
	v_mul_f64 v[118:119], v[122:123], v[118:119]
	s_waitcnt vmcnt(0)
	v_fma_f64 v[122:123], v[122:123], v[126:127], -v[128:129]
	v_fma_f64 v[118:119], v[124:125], v[126:127], v[118:119]
	v_add_f64 v[1:2], v[1:2], v[122:123]
	v_add_f64 v[3:4], v[3:4], v[118:119]
	s_andn2_b32 exec_lo, exec_lo, s4
	s_cbranch_execnz .LBB54_288
; %bb.289:
	s_or_b32 exec_lo, exec_lo, s4
.LBB54_290:
	s_or_b32 exec_lo, exec_lo, s63
	v_mov_b32_e32 v117, 0
	ds_read_b128 v[117:120], v117 offset:288
	s_waitcnt lgkmcnt(0)
	v_mul_f64 v[122:123], v[3:4], v[119:120]
	v_mul_f64 v[119:120], v[1:2], v[119:120]
	v_fma_f64 v[1:2], v[1:2], v[117:118], -v[122:123]
	v_fma_f64 v[3:4], v[3:4], v[117:118], v[119:120]
	buffer_store_dword v2, off, s[0:3], 0 offset:292
	buffer_store_dword v1, off, s[0:3], 0 offset:288
	;; [unrolled: 1-line block ×4, first 2 shown]
.LBB54_291:
	s_or_b32 exec_lo, exec_lo, s8
	v_mov_b32_e32 v4, s45
	v_cmp_lt_u32_e64 s4, 17, v0
	s_clause 0x3
	buffer_load_dword v1, v4, s[0:3], 0 offen
	buffer_load_dword v2, v4, s[0:3], 0 offen offset:4
	buffer_load_dword v3, v4, s[0:3], 0 offen offset:8
	;; [unrolled: 1-line block ×3, first 2 shown]
	s_waitcnt vmcnt(0)
	ds_write_b128 v116, v[1:4]
	s_waitcnt lgkmcnt(0)
	s_waitcnt_vscnt null, 0x0
	s_barrier
	buffer_gl0_inv
	s_and_saveexec_b32 s8, s4
	s_cbranch_execz .LBB54_299
; %bb.292:
	ds_read_b128 v[1:4], v116
	s_andn2_b32 vcc_lo, exec_lo, s62
	s_cbranch_vccnz .LBB54_294
; %bb.293:
	s_clause 0x3
	buffer_load_dword v117, v115, s[0:3], 0 offen offset:8
	buffer_load_dword v118, v115, s[0:3], 0 offen offset:12
	buffer_load_dword v119, v115, s[0:3], 0 offen
	buffer_load_dword v120, v115, s[0:3], 0 offen offset:4
	s_waitcnt vmcnt(2) lgkmcnt(0)
	v_mul_f64 v[122:123], v[3:4], v[117:118]
	v_mul_f64 v[117:118], v[1:2], v[117:118]
	s_waitcnt vmcnt(0)
	v_fma_f64 v[1:2], v[1:2], v[119:120], -v[122:123]
	v_fma_f64 v[3:4], v[3:4], v[119:120], v[117:118]
.LBB54_294:
	s_and_saveexec_b32 s63, s5
	s_cbranch_execz .LBB54_298
; %bb.295:
	v_subrev_nc_u32_e32 v117, 18, v0
	s_movk_i32 s64, 0x490
	s_mov_b32 s5, 0
	s_mov_b32 s65, s44
	.p2align	6
.LBB54_296:                             ; =>This Inner Loop Header: Depth=1
	v_mov_b32_e32 v120, s65
	v_add_nc_u32_e32 v117, -1, v117
	s_add_i32 s65, s65, 16
	s_clause 0x3
	buffer_load_dword v118, v120, s[0:3], 0 offen offset:8
	buffer_load_dword v119, v120, s[0:3], 0 offen offset:12
	buffer_load_dword v126, v120, s[0:3], 0 offen
	buffer_load_dword v127, v120, s[0:3], 0 offen offset:4
	v_mov_b32_e32 v120, s64
	v_cmp_eq_u32_e32 vcc_lo, 0, v117
	s_add_i32 s64, s64, 16
	ds_read_b128 v[122:125], v120
	s_or_b32 s5, vcc_lo, s5
	s_waitcnt vmcnt(2) lgkmcnt(0)
	v_mul_f64 v[128:129], v[124:125], v[118:119]
	v_mul_f64 v[118:119], v[122:123], v[118:119]
	s_waitcnt vmcnt(0)
	v_fma_f64 v[122:123], v[122:123], v[126:127], -v[128:129]
	v_fma_f64 v[118:119], v[124:125], v[126:127], v[118:119]
	v_add_f64 v[1:2], v[1:2], v[122:123]
	v_add_f64 v[3:4], v[3:4], v[118:119]
	s_andn2_b32 exec_lo, exec_lo, s5
	s_cbranch_execnz .LBB54_296
; %bb.297:
	s_or_b32 exec_lo, exec_lo, s5
.LBB54_298:
	s_or_b32 exec_lo, exec_lo, s63
	v_mov_b32_e32 v117, 0
	ds_read_b128 v[117:120], v117 offset:272
	s_waitcnt lgkmcnt(0)
	v_mul_f64 v[122:123], v[3:4], v[119:120]
	v_mul_f64 v[119:120], v[1:2], v[119:120]
	v_fma_f64 v[1:2], v[1:2], v[117:118], -v[122:123]
	v_fma_f64 v[3:4], v[3:4], v[117:118], v[119:120]
	buffer_store_dword v2, off, s[0:3], 0 offset:276
	buffer_store_dword v1, off, s[0:3], 0 offset:272
	;; [unrolled: 1-line block ×4, first 2 shown]
.LBB54_299:
	s_or_b32 exec_lo, exec_lo, s8
	v_mov_b32_e32 v4, s46
	v_cmp_lt_u32_e64 s5, 16, v0
	s_clause 0x3
	buffer_load_dword v1, v4, s[0:3], 0 offen
	buffer_load_dword v2, v4, s[0:3], 0 offen offset:4
	buffer_load_dword v3, v4, s[0:3], 0 offen offset:8
	;; [unrolled: 1-line block ×3, first 2 shown]
	s_waitcnt vmcnt(0)
	ds_write_b128 v116, v[1:4]
	s_waitcnt lgkmcnt(0)
	s_waitcnt_vscnt null, 0x0
	s_barrier
	buffer_gl0_inv
	s_and_saveexec_b32 s8, s5
	s_cbranch_execz .LBB54_307
; %bb.300:
	ds_read_b128 v[1:4], v116
	s_andn2_b32 vcc_lo, exec_lo, s62
	s_cbranch_vccnz .LBB54_302
; %bb.301:
	s_clause 0x3
	buffer_load_dword v117, v115, s[0:3], 0 offen offset:8
	buffer_load_dword v118, v115, s[0:3], 0 offen offset:12
	buffer_load_dword v119, v115, s[0:3], 0 offen
	buffer_load_dword v120, v115, s[0:3], 0 offen offset:4
	s_waitcnt vmcnt(2) lgkmcnt(0)
	v_mul_f64 v[122:123], v[3:4], v[117:118]
	v_mul_f64 v[117:118], v[1:2], v[117:118]
	s_waitcnt vmcnt(0)
	v_fma_f64 v[1:2], v[1:2], v[119:120], -v[122:123]
	v_fma_f64 v[3:4], v[3:4], v[119:120], v[117:118]
.LBB54_302:
	s_and_saveexec_b32 s63, s4
	s_cbranch_execz .LBB54_306
; %bb.303:
	v_subrev_nc_u32_e32 v117, 17, v0
	s_movk_i32 s64, 0x480
	s_mov_b32 s4, 0
	s_mov_b32 s65, s45
	.p2align	6
.LBB54_304:                             ; =>This Inner Loop Header: Depth=1
	v_mov_b32_e32 v120, s65
	v_add_nc_u32_e32 v117, -1, v117
	s_add_i32 s65, s65, 16
	s_clause 0x3
	buffer_load_dword v118, v120, s[0:3], 0 offen offset:8
	buffer_load_dword v119, v120, s[0:3], 0 offen offset:12
	buffer_load_dword v126, v120, s[0:3], 0 offen
	buffer_load_dword v127, v120, s[0:3], 0 offen offset:4
	v_mov_b32_e32 v120, s64
	v_cmp_eq_u32_e32 vcc_lo, 0, v117
	s_add_i32 s64, s64, 16
	ds_read_b128 v[122:125], v120
	s_or_b32 s4, vcc_lo, s4
	s_waitcnt vmcnt(2) lgkmcnt(0)
	v_mul_f64 v[128:129], v[124:125], v[118:119]
	v_mul_f64 v[118:119], v[122:123], v[118:119]
	s_waitcnt vmcnt(0)
	v_fma_f64 v[122:123], v[122:123], v[126:127], -v[128:129]
	v_fma_f64 v[118:119], v[124:125], v[126:127], v[118:119]
	v_add_f64 v[1:2], v[1:2], v[122:123]
	v_add_f64 v[3:4], v[3:4], v[118:119]
	s_andn2_b32 exec_lo, exec_lo, s4
	s_cbranch_execnz .LBB54_304
; %bb.305:
	s_or_b32 exec_lo, exec_lo, s4
.LBB54_306:
	s_or_b32 exec_lo, exec_lo, s63
	v_mov_b32_e32 v117, 0
	ds_read_b128 v[117:120], v117 offset:256
	s_waitcnt lgkmcnt(0)
	v_mul_f64 v[122:123], v[3:4], v[119:120]
	v_mul_f64 v[119:120], v[1:2], v[119:120]
	v_fma_f64 v[1:2], v[1:2], v[117:118], -v[122:123]
	v_fma_f64 v[3:4], v[3:4], v[117:118], v[119:120]
	buffer_store_dword v2, off, s[0:3], 0 offset:260
	buffer_store_dword v1, off, s[0:3], 0 offset:256
	;; [unrolled: 1-line block ×4, first 2 shown]
.LBB54_307:
	s_or_b32 exec_lo, exec_lo, s8
	v_mov_b32_e32 v4, s47
	v_cmp_lt_u32_e64 s4, 15, v0
	s_clause 0x3
	buffer_load_dword v1, v4, s[0:3], 0 offen
	buffer_load_dword v2, v4, s[0:3], 0 offen offset:4
	buffer_load_dword v3, v4, s[0:3], 0 offen offset:8
	;; [unrolled: 1-line block ×3, first 2 shown]
	s_waitcnt vmcnt(0)
	ds_write_b128 v116, v[1:4]
	s_waitcnt lgkmcnt(0)
	s_waitcnt_vscnt null, 0x0
	s_barrier
	buffer_gl0_inv
	s_and_saveexec_b32 s8, s4
	s_cbranch_execz .LBB54_315
; %bb.308:
	ds_read_b128 v[1:4], v116
	s_andn2_b32 vcc_lo, exec_lo, s62
	s_cbranch_vccnz .LBB54_310
; %bb.309:
	s_clause 0x3
	buffer_load_dword v117, v115, s[0:3], 0 offen offset:8
	buffer_load_dword v118, v115, s[0:3], 0 offen offset:12
	buffer_load_dword v119, v115, s[0:3], 0 offen
	buffer_load_dword v120, v115, s[0:3], 0 offen offset:4
	s_waitcnt vmcnt(2) lgkmcnt(0)
	v_mul_f64 v[122:123], v[3:4], v[117:118]
	v_mul_f64 v[117:118], v[1:2], v[117:118]
	s_waitcnt vmcnt(0)
	v_fma_f64 v[1:2], v[1:2], v[119:120], -v[122:123]
	v_fma_f64 v[3:4], v[3:4], v[119:120], v[117:118]
.LBB54_310:
	s_and_saveexec_b32 s63, s5
	s_cbranch_execz .LBB54_314
; %bb.311:
	v_add_nc_u32_e32 v117, -16, v0
	s_movk_i32 s64, 0x470
	s_mov_b32 s5, 0
	s_mov_b32 s65, s46
	.p2align	6
.LBB54_312:                             ; =>This Inner Loop Header: Depth=1
	v_mov_b32_e32 v120, s65
	v_add_nc_u32_e32 v117, -1, v117
	s_add_i32 s65, s65, 16
	s_clause 0x3
	buffer_load_dword v118, v120, s[0:3], 0 offen offset:8
	buffer_load_dword v119, v120, s[0:3], 0 offen offset:12
	buffer_load_dword v126, v120, s[0:3], 0 offen
	buffer_load_dword v127, v120, s[0:3], 0 offen offset:4
	v_mov_b32_e32 v120, s64
	v_cmp_eq_u32_e32 vcc_lo, 0, v117
	s_add_i32 s64, s64, 16
	ds_read_b128 v[122:125], v120
	s_or_b32 s5, vcc_lo, s5
	s_waitcnt vmcnt(2) lgkmcnt(0)
	v_mul_f64 v[128:129], v[124:125], v[118:119]
	v_mul_f64 v[118:119], v[122:123], v[118:119]
	s_waitcnt vmcnt(0)
	v_fma_f64 v[122:123], v[122:123], v[126:127], -v[128:129]
	v_fma_f64 v[118:119], v[124:125], v[126:127], v[118:119]
	v_add_f64 v[1:2], v[1:2], v[122:123]
	v_add_f64 v[3:4], v[3:4], v[118:119]
	s_andn2_b32 exec_lo, exec_lo, s5
	s_cbranch_execnz .LBB54_312
; %bb.313:
	s_or_b32 exec_lo, exec_lo, s5
.LBB54_314:
	s_or_b32 exec_lo, exec_lo, s63
	v_mov_b32_e32 v117, 0
	ds_read_b128 v[117:120], v117 offset:240
	s_waitcnt lgkmcnt(0)
	v_mul_f64 v[122:123], v[3:4], v[119:120]
	v_mul_f64 v[119:120], v[1:2], v[119:120]
	v_fma_f64 v[1:2], v[1:2], v[117:118], -v[122:123]
	v_fma_f64 v[3:4], v[3:4], v[117:118], v[119:120]
	buffer_store_dword v2, off, s[0:3], 0 offset:244
	buffer_store_dword v1, off, s[0:3], 0 offset:240
	;; [unrolled: 1-line block ×4, first 2 shown]
.LBB54_315:
	s_or_b32 exec_lo, exec_lo, s8
	v_mov_b32_e32 v4, s48
	v_cmp_lt_u32_e64 s5, 14, v0
	s_clause 0x3
	buffer_load_dword v1, v4, s[0:3], 0 offen
	buffer_load_dword v2, v4, s[0:3], 0 offen offset:4
	buffer_load_dword v3, v4, s[0:3], 0 offen offset:8
	;; [unrolled: 1-line block ×3, first 2 shown]
	s_waitcnt vmcnt(0)
	ds_write_b128 v116, v[1:4]
	s_waitcnt lgkmcnt(0)
	s_waitcnt_vscnt null, 0x0
	s_barrier
	buffer_gl0_inv
	s_and_saveexec_b32 s8, s5
	s_cbranch_execz .LBB54_323
; %bb.316:
	ds_read_b128 v[1:4], v116
	s_andn2_b32 vcc_lo, exec_lo, s62
	s_cbranch_vccnz .LBB54_318
; %bb.317:
	s_clause 0x3
	buffer_load_dword v117, v115, s[0:3], 0 offen offset:8
	buffer_load_dword v118, v115, s[0:3], 0 offen offset:12
	buffer_load_dword v119, v115, s[0:3], 0 offen
	buffer_load_dword v120, v115, s[0:3], 0 offen offset:4
	s_waitcnt vmcnt(2) lgkmcnt(0)
	v_mul_f64 v[122:123], v[3:4], v[117:118]
	v_mul_f64 v[117:118], v[1:2], v[117:118]
	s_waitcnt vmcnt(0)
	v_fma_f64 v[1:2], v[1:2], v[119:120], -v[122:123]
	v_fma_f64 v[3:4], v[3:4], v[119:120], v[117:118]
.LBB54_318:
	s_and_saveexec_b32 s63, s4
	s_cbranch_execz .LBB54_322
; %bb.319:
	v_add_nc_u32_e32 v117, -15, v0
	s_movk_i32 s64, 0x460
	s_mov_b32 s4, 0
	s_mov_b32 s65, s47
	.p2align	6
.LBB54_320:                             ; =>This Inner Loop Header: Depth=1
	v_mov_b32_e32 v120, s65
	v_add_nc_u32_e32 v117, -1, v117
	s_add_i32 s65, s65, 16
	s_clause 0x3
	buffer_load_dword v118, v120, s[0:3], 0 offen offset:8
	buffer_load_dword v119, v120, s[0:3], 0 offen offset:12
	buffer_load_dword v126, v120, s[0:3], 0 offen
	buffer_load_dword v127, v120, s[0:3], 0 offen offset:4
	v_mov_b32_e32 v120, s64
	v_cmp_eq_u32_e32 vcc_lo, 0, v117
	s_add_i32 s64, s64, 16
	ds_read_b128 v[122:125], v120
	s_or_b32 s4, vcc_lo, s4
	s_waitcnt vmcnt(2) lgkmcnt(0)
	v_mul_f64 v[128:129], v[124:125], v[118:119]
	v_mul_f64 v[118:119], v[122:123], v[118:119]
	s_waitcnt vmcnt(0)
	v_fma_f64 v[122:123], v[122:123], v[126:127], -v[128:129]
	v_fma_f64 v[118:119], v[124:125], v[126:127], v[118:119]
	v_add_f64 v[1:2], v[1:2], v[122:123]
	v_add_f64 v[3:4], v[3:4], v[118:119]
	s_andn2_b32 exec_lo, exec_lo, s4
	s_cbranch_execnz .LBB54_320
; %bb.321:
	s_or_b32 exec_lo, exec_lo, s4
.LBB54_322:
	s_or_b32 exec_lo, exec_lo, s63
	v_mov_b32_e32 v117, 0
	ds_read_b128 v[117:120], v117 offset:224
	s_waitcnt lgkmcnt(0)
	v_mul_f64 v[122:123], v[3:4], v[119:120]
	v_mul_f64 v[119:120], v[1:2], v[119:120]
	v_fma_f64 v[1:2], v[1:2], v[117:118], -v[122:123]
	v_fma_f64 v[3:4], v[3:4], v[117:118], v[119:120]
	buffer_store_dword v2, off, s[0:3], 0 offset:228
	buffer_store_dword v1, off, s[0:3], 0 offset:224
	;; [unrolled: 1-line block ×4, first 2 shown]
.LBB54_323:
	s_or_b32 exec_lo, exec_lo, s8
	v_mov_b32_e32 v4, s49
	v_cmp_lt_u32_e64 s4, 13, v0
	s_clause 0x3
	buffer_load_dword v1, v4, s[0:3], 0 offen
	buffer_load_dword v2, v4, s[0:3], 0 offen offset:4
	buffer_load_dword v3, v4, s[0:3], 0 offen offset:8
	;; [unrolled: 1-line block ×3, first 2 shown]
	s_waitcnt vmcnt(0)
	ds_write_b128 v116, v[1:4]
	s_waitcnt lgkmcnt(0)
	s_waitcnt_vscnt null, 0x0
	s_barrier
	buffer_gl0_inv
	s_and_saveexec_b32 s8, s4
	s_cbranch_execz .LBB54_331
; %bb.324:
	ds_read_b128 v[1:4], v116
	s_andn2_b32 vcc_lo, exec_lo, s62
	s_cbranch_vccnz .LBB54_326
; %bb.325:
	s_clause 0x3
	buffer_load_dword v117, v115, s[0:3], 0 offen offset:8
	buffer_load_dword v118, v115, s[0:3], 0 offen offset:12
	buffer_load_dword v119, v115, s[0:3], 0 offen
	buffer_load_dword v120, v115, s[0:3], 0 offen offset:4
	s_waitcnt vmcnt(2) lgkmcnt(0)
	v_mul_f64 v[122:123], v[3:4], v[117:118]
	v_mul_f64 v[117:118], v[1:2], v[117:118]
	s_waitcnt vmcnt(0)
	v_fma_f64 v[1:2], v[1:2], v[119:120], -v[122:123]
	v_fma_f64 v[3:4], v[3:4], v[119:120], v[117:118]
.LBB54_326:
	s_and_saveexec_b32 s63, s5
	s_cbranch_execz .LBB54_330
; %bb.327:
	v_add_nc_u32_e32 v117, -14, v0
	s_movk_i32 s64, 0x450
	s_mov_b32 s5, 0
	s_mov_b32 s65, s48
	.p2align	6
.LBB54_328:                             ; =>This Inner Loop Header: Depth=1
	v_mov_b32_e32 v120, s65
	v_add_nc_u32_e32 v117, -1, v117
	s_add_i32 s65, s65, 16
	s_clause 0x3
	buffer_load_dword v118, v120, s[0:3], 0 offen offset:8
	buffer_load_dword v119, v120, s[0:3], 0 offen offset:12
	buffer_load_dword v126, v120, s[0:3], 0 offen
	buffer_load_dword v127, v120, s[0:3], 0 offen offset:4
	v_mov_b32_e32 v120, s64
	v_cmp_eq_u32_e32 vcc_lo, 0, v117
	s_add_i32 s64, s64, 16
	ds_read_b128 v[122:125], v120
	s_or_b32 s5, vcc_lo, s5
	s_waitcnt vmcnt(2) lgkmcnt(0)
	v_mul_f64 v[128:129], v[124:125], v[118:119]
	v_mul_f64 v[118:119], v[122:123], v[118:119]
	s_waitcnt vmcnt(0)
	v_fma_f64 v[122:123], v[122:123], v[126:127], -v[128:129]
	v_fma_f64 v[118:119], v[124:125], v[126:127], v[118:119]
	v_add_f64 v[1:2], v[1:2], v[122:123]
	v_add_f64 v[3:4], v[3:4], v[118:119]
	s_andn2_b32 exec_lo, exec_lo, s5
	s_cbranch_execnz .LBB54_328
; %bb.329:
	s_or_b32 exec_lo, exec_lo, s5
.LBB54_330:
	s_or_b32 exec_lo, exec_lo, s63
	v_mov_b32_e32 v117, 0
	ds_read_b128 v[117:120], v117 offset:208
	s_waitcnt lgkmcnt(0)
	v_mul_f64 v[122:123], v[3:4], v[119:120]
	v_mul_f64 v[119:120], v[1:2], v[119:120]
	v_fma_f64 v[1:2], v[1:2], v[117:118], -v[122:123]
	v_fma_f64 v[3:4], v[3:4], v[117:118], v[119:120]
	buffer_store_dword v2, off, s[0:3], 0 offset:212
	buffer_store_dword v1, off, s[0:3], 0 offset:208
	;; [unrolled: 1-line block ×4, first 2 shown]
.LBB54_331:
	s_or_b32 exec_lo, exec_lo, s8
	v_mov_b32_e32 v4, s50
	v_cmp_lt_u32_e64 s5, 12, v0
	s_clause 0x3
	buffer_load_dword v1, v4, s[0:3], 0 offen
	buffer_load_dword v2, v4, s[0:3], 0 offen offset:4
	buffer_load_dword v3, v4, s[0:3], 0 offen offset:8
	;; [unrolled: 1-line block ×3, first 2 shown]
	s_waitcnt vmcnt(0)
	ds_write_b128 v116, v[1:4]
	s_waitcnt lgkmcnt(0)
	s_waitcnt_vscnt null, 0x0
	s_barrier
	buffer_gl0_inv
	s_and_saveexec_b32 s8, s5
	s_cbranch_execz .LBB54_339
; %bb.332:
	ds_read_b128 v[1:4], v116
	s_andn2_b32 vcc_lo, exec_lo, s62
	s_cbranch_vccnz .LBB54_334
; %bb.333:
	s_clause 0x3
	buffer_load_dword v117, v115, s[0:3], 0 offen offset:8
	buffer_load_dword v118, v115, s[0:3], 0 offen offset:12
	buffer_load_dword v119, v115, s[0:3], 0 offen
	buffer_load_dword v120, v115, s[0:3], 0 offen offset:4
	s_waitcnt vmcnt(2) lgkmcnt(0)
	v_mul_f64 v[122:123], v[3:4], v[117:118]
	v_mul_f64 v[117:118], v[1:2], v[117:118]
	s_waitcnt vmcnt(0)
	v_fma_f64 v[1:2], v[1:2], v[119:120], -v[122:123]
	v_fma_f64 v[3:4], v[3:4], v[119:120], v[117:118]
.LBB54_334:
	s_and_saveexec_b32 s63, s4
	s_cbranch_execz .LBB54_338
; %bb.335:
	v_add_nc_u32_e32 v117, -13, v0
	s_movk_i32 s64, 0x440
	s_mov_b32 s4, 0
	s_mov_b32 s65, s49
	.p2align	6
.LBB54_336:                             ; =>This Inner Loop Header: Depth=1
	v_mov_b32_e32 v120, s65
	v_add_nc_u32_e32 v117, -1, v117
	s_add_i32 s65, s65, 16
	s_clause 0x3
	buffer_load_dword v118, v120, s[0:3], 0 offen offset:8
	buffer_load_dword v119, v120, s[0:3], 0 offen offset:12
	buffer_load_dword v126, v120, s[0:3], 0 offen
	buffer_load_dword v127, v120, s[0:3], 0 offen offset:4
	v_mov_b32_e32 v120, s64
	v_cmp_eq_u32_e32 vcc_lo, 0, v117
	s_add_i32 s64, s64, 16
	ds_read_b128 v[122:125], v120
	s_or_b32 s4, vcc_lo, s4
	s_waitcnt vmcnt(2) lgkmcnt(0)
	v_mul_f64 v[128:129], v[124:125], v[118:119]
	v_mul_f64 v[118:119], v[122:123], v[118:119]
	s_waitcnt vmcnt(0)
	v_fma_f64 v[122:123], v[122:123], v[126:127], -v[128:129]
	v_fma_f64 v[118:119], v[124:125], v[126:127], v[118:119]
	v_add_f64 v[1:2], v[1:2], v[122:123]
	v_add_f64 v[3:4], v[3:4], v[118:119]
	s_andn2_b32 exec_lo, exec_lo, s4
	s_cbranch_execnz .LBB54_336
; %bb.337:
	s_or_b32 exec_lo, exec_lo, s4
.LBB54_338:
	s_or_b32 exec_lo, exec_lo, s63
	v_mov_b32_e32 v117, 0
	ds_read_b128 v[117:120], v117 offset:192
	s_waitcnt lgkmcnt(0)
	v_mul_f64 v[122:123], v[3:4], v[119:120]
	v_mul_f64 v[119:120], v[1:2], v[119:120]
	v_fma_f64 v[1:2], v[1:2], v[117:118], -v[122:123]
	v_fma_f64 v[3:4], v[3:4], v[117:118], v[119:120]
	buffer_store_dword v2, off, s[0:3], 0 offset:196
	buffer_store_dword v1, off, s[0:3], 0 offset:192
	;; [unrolled: 1-line block ×4, first 2 shown]
.LBB54_339:
	s_or_b32 exec_lo, exec_lo, s8
	v_mov_b32_e32 v4, s51
	v_cmp_lt_u32_e64 s4, 11, v0
	s_clause 0x3
	buffer_load_dword v1, v4, s[0:3], 0 offen
	buffer_load_dword v2, v4, s[0:3], 0 offen offset:4
	buffer_load_dword v3, v4, s[0:3], 0 offen offset:8
	;; [unrolled: 1-line block ×3, first 2 shown]
	s_waitcnt vmcnt(0)
	ds_write_b128 v116, v[1:4]
	s_waitcnt lgkmcnt(0)
	s_waitcnt_vscnt null, 0x0
	s_barrier
	buffer_gl0_inv
	s_and_saveexec_b32 s8, s4
	s_cbranch_execz .LBB54_347
; %bb.340:
	ds_read_b128 v[1:4], v116
	s_andn2_b32 vcc_lo, exec_lo, s62
	s_cbranch_vccnz .LBB54_342
; %bb.341:
	s_clause 0x3
	buffer_load_dword v117, v115, s[0:3], 0 offen offset:8
	buffer_load_dword v118, v115, s[0:3], 0 offen offset:12
	buffer_load_dword v119, v115, s[0:3], 0 offen
	buffer_load_dword v120, v115, s[0:3], 0 offen offset:4
	s_waitcnt vmcnt(2) lgkmcnt(0)
	v_mul_f64 v[122:123], v[3:4], v[117:118]
	v_mul_f64 v[117:118], v[1:2], v[117:118]
	s_waitcnt vmcnt(0)
	v_fma_f64 v[1:2], v[1:2], v[119:120], -v[122:123]
	v_fma_f64 v[3:4], v[3:4], v[119:120], v[117:118]
.LBB54_342:
	s_and_saveexec_b32 s63, s5
	s_cbranch_execz .LBB54_346
; %bb.343:
	v_add_nc_u32_e32 v117, -12, v0
	s_movk_i32 s64, 0x430
	s_mov_b32 s5, 0
	s_mov_b32 s65, s50
	.p2align	6
.LBB54_344:                             ; =>This Inner Loop Header: Depth=1
	v_mov_b32_e32 v120, s65
	v_add_nc_u32_e32 v117, -1, v117
	s_add_i32 s65, s65, 16
	s_clause 0x3
	buffer_load_dword v118, v120, s[0:3], 0 offen offset:8
	buffer_load_dword v119, v120, s[0:3], 0 offen offset:12
	buffer_load_dword v126, v120, s[0:3], 0 offen
	buffer_load_dword v127, v120, s[0:3], 0 offen offset:4
	v_mov_b32_e32 v120, s64
	v_cmp_eq_u32_e32 vcc_lo, 0, v117
	s_add_i32 s64, s64, 16
	ds_read_b128 v[122:125], v120
	s_or_b32 s5, vcc_lo, s5
	s_waitcnt vmcnt(2) lgkmcnt(0)
	v_mul_f64 v[128:129], v[124:125], v[118:119]
	v_mul_f64 v[118:119], v[122:123], v[118:119]
	s_waitcnt vmcnt(0)
	v_fma_f64 v[122:123], v[122:123], v[126:127], -v[128:129]
	v_fma_f64 v[118:119], v[124:125], v[126:127], v[118:119]
	v_add_f64 v[1:2], v[1:2], v[122:123]
	v_add_f64 v[3:4], v[3:4], v[118:119]
	s_andn2_b32 exec_lo, exec_lo, s5
	s_cbranch_execnz .LBB54_344
; %bb.345:
	s_or_b32 exec_lo, exec_lo, s5
.LBB54_346:
	s_or_b32 exec_lo, exec_lo, s63
	v_mov_b32_e32 v117, 0
	ds_read_b128 v[117:120], v117 offset:176
	s_waitcnt lgkmcnt(0)
	v_mul_f64 v[122:123], v[3:4], v[119:120]
	v_mul_f64 v[119:120], v[1:2], v[119:120]
	v_fma_f64 v[1:2], v[1:2], v[117:118], -v[122:123]
	v_fma_f64 v[3:4], v[3:4], v[117:118], v[119:120]
	buffer_store_dword v2, off, s[0:3], 0 offset:180
	buffer_store_dword v1, off, s[0:3], 0 offset:176
	;; [unrolled: 1-line block ×4, first 2 shown]
.LBB54_347:
	s_or_b32 exec_lo, exec_lo, s8
	v_mov_b32_e32 v4, s52
	v_cmp_lt_u32_e64 s5, 10, v0
	s_clause 0x3
	buffer_load_dword v1, v4, s[0:3], 0 offen
	buffer_load_dword v2, v4, s[0:3], 0 offen offset:4
	buffer_load_dword v3, v4, s[0:3], 0 offen offset:8
	buffer_load_dword v4, v4, s[0:3], 0 offen offset:12
	s_waitcnt vmcnt(0)
	ds_write_b128 v116, v[1:4]
	s_waitcnt lgkmcnt(0)
	s_waitcnt_vscnt null, 0x0
	s_barrier
	buffer_gl0_inv
	s_and_saveexec_b32 s8, s5
	s_cbranch_execz .LBB54_355
; %bb.348:
	ds_read_b128 v[1:4], v116
	s_andn2_b32 vcc_lo, exec_lo, s62
	s_cbranch_vccnz .LBB54_350
; %bb.349:
	s_clause 0x3
	buffer_load_dword v117, v115, s[0:3], 0 offen offset:8
	buffer_load_dword v118, v115, s[0:3], 0 offen offset:12
	buffer_load_dword v119, v115, s[0:3], 0 offen
	buffer_load_dword v120, v115, s[0:3], 0 offen offset:4
	s_waitcnt vmcnt(2) lgkmcnt(0)
	v_mul_f64 v[122:123], v[3:4], v[117:118]
	v_mul_f64 v[117:118], v[1:2], v[117:118]
	s_waitcnt vmcnt(0)
	v_fma_f64 v[1:2], v[1:2], v[119:120], -v[122:123]
	v_fma_f64 v[3:4], v[3:4], v[119:120], v[117:118]
.LBB54_350:
	s_and_saveexec_b32 s63, s4
	s_cbranch_execz .LBB54_354
; %bb.351:
	v_add_nc_u32_e32 v117, -11, v0
	s_movk_i32 s64, 0x420
	s_mov_b32 s4, 0
	s_mov_b32 s65, s51
	.p2align	6
.LBB54_352:                             ; =>This Inner Loop Header: Depth=1
	v_mov_b32_e32 v120, s65
	v_add_nc_u32_e32 v117, -1, v117
	s_add_i32 s65, s65, 16
	s_clause 0x3
	buffer_load_dword v118, v120, s[0:3], 0 offen offset:8
	buffer_load_dword v119, v120, s[0:3], 0 offen offset:12
	buffer_load_dword v126, v120, s[0:3], 0 offen
	buffer_load_dword v127, v120, s[0:3], 0 offen offset:4
	v_mov_b32_e32 v120, s64
	v_cmp_eq_u32_e32 vcc_lo, 0, v117
	s_add_i32 s64, s64, 16
	ds_read_b128 v[122:125], v120
	s_or_b32 s4, vcc_lo, s4
	s_waitcnt vmcnt(2) lgkmcnt(0)
	v_mul_f64 v[128:129], v[124:125], v[118:119]
	v_mul_f64 v[118:119], v[122:123], v[118:119]
	s_waitcnt vmcnt(0)
	v_fma_f64 v[122:123], v[122:123], v[126:127], -v[128:129]
	v_fma_f64 v[118:119], v[124:125], v[126:127], v[118:119]
	v_add_f64 v[1:2], v[1:2], v[122:123]
	v_add_f64 v[3:4], v[3:4], v[118:119]
	s_andn2_b32 exec_lo, exec_lo, s4
	s_cbranch_execnz .LBB54_352
; %bb.353:
	s_or_b32 exec_lo, exec_lo, s4
.LBB54_354:
	s_or_b32 exec_lo, exec_lo, s63
	v_mov_b32_e32 v117, 0
	ds_read_b128 v[117:120], v117 offset:160
	s_waitcnt lgkmcnt(0)
	v_mul_f64 v[122:123], v[3:4], v[119:120]
	v_mul_f64 v[119:120], v[1:2], v[119:120]
	v_fma_f64 v[1:2], v[1:2], v[117:118], -v[122:123]
	v_fma_f64 v[3:4], v[3:4], v[117:118], v[119:120]
	buffer_store_dword v2, off, s[0:3], 0 offset:164
	buffer_store_dword v1, off, s[0:3], 0 offset:160
	;; [unrolled: 1-line block ×4, first 2 shown]
.LBB54_355:
	s_or_b32 exec_lo, exec_lo, s8
	v_mov_b32_e32 v4, s53
	v_cmp_lt_u32_e64 s4, 9, v0
	s_clause 0x3
	buffer_load_dword v1, v4, s[0:3], 0 offen
	buffer_load_dword v2, v4, s[0:3], 0 offen offset:4
	buffer_load_dword v3, v4, s[0:3], 0 offen offset:8
	;; [unrolled: 1-line block ×3, first 2 shown]
	s_waitcnt vmcnt(0)
	ds_write_b128 v116, v[1:4]
	s_waitcnt lgkmcnt(0)
	s_waitcnt_vscnt null, 0x0
	s_barrier
	buffer_gl0_inv
	s_and_saveexec_b32 s8, s4
	s_cbranch_execz .LBB54_363
; %bb.356:
	ds_read_b128 v[1:4], v116
	s_andn2_b32 vcc_lo, exec_lo, s62
	s_cbranch_vccnz .LBB54_358
; %bb.357:
	s_clause 0x3
	buffer_load_dword v117, v115, s[0:3], 0 offen offset:8
	buffer_load_dword v118, v115, s[0:3], 0 offen offset:12
	buffer_load_dword v119, v115, s[0:3], 0 offen
	buffer_load_dword v120, v115, s[0:3], 0 offen offset:4
	s_waitcnt vmcnt(2) lgkmcnt(0)
	v_mul_f64 v[122:123], v[3:4], v[117:118]
	v_mul_f64 v[117:118], v[1:2], v[117:118]
	s_waitcnt vmcnt(0)
	v_fma_f64 v[1:2], v[1:2], v[119:120], -v[122:123]
	v_fma_f64 v[3:4], v[3:4], v[119:120], v[117:118]
.LBB54_358:
	s_and_saveexec_b32 s63, s5
	s_cbranch_execz .LBB54_362
; %bb.359:
	v_add_nc_u32_e32 v117, -10, v0
	s_movk_i32 s64, 0x410
	s_mov_b32 s5, 0
	s_mov_b32 s65, s52
	.p2align	6
.LBB54_360:                             ; =>This Inner Loop Header: Depth=1
	v_mov_b32_e32 v120, s65
	v_add_nc_u32_e32 v117, -1, v117
	s_add_i32 s65, s65, 16
	s_clause 0x3
	buffer_load_dword v118, v120, s[0:3], 0 offen offset:8
	buffer_load_dword v119, v120, s[0:3], 0 offen offset:12
	buffer_load_dword v126, v120, s[0:3], 0 offen
	buffer_load_dword v127, v120, s[0:3], 0 offen offset:4
	v_mov_b32_e32 v120, s64
	v_cmp_eq_u32_e32 vcc_lo, 0, v117
	s_add_i32 s64, s64, 16
	ds_read_b128 v[122:125], v120
	s_or_b32 s5, vcc_lo, s5
	s_waitcnt vmcnt(2) lgkmcnt(0)
	v_mul_f64 v[128:129], v[124:125], v[118:119]
	v_mul_f64 v[118:119], v[122:123], v[118:119]
	s_waitcnt vmcnt(0)
	v_fma_f64 v[122:123], v[122:123], v[126:127], -v[128:129]
	v_fma_f64 v[118:119], v[124:125], v[126:127], v[118:119]
	v_add_f64 v[1:2], v[1:2], v[122:123]
	v_add_f64 v[3:4], v[3:4], v[118:119]
	s_andn2_b32 exec_lo, exec_lo, s5
	s_cbranch_execnz .LBB54_360
; %bb.361:
	s_or_b32 exec_lo, exec_lo, s5
.LBB54_362:
	s_or_b32 exec_lo, exec_lo, s63
	v_mov_b32_e32 v117, 0
	ds_read_b128 v[117:120], v117 offset:144
	s_waitcnt lgkmcnt(0)
	v_mul_f64 v[122:123], v[3:4], v[119:120]
	v_mul_f64 v[119:120], v[1:2], v[119:120]
	v_fma_f64 v[1:2], v[1:2], v[117:118], -v[122:123]
	v_fma_f64 v[3:4], v[3:4], v[117:118], v[119:120]
	buffer_store_dword v2, off, s[0:3], 0 offset:148
	buffer_store_dword v1, off, s[0:3], 0 offset:144
	;; [unrolled: 1-line block ×4, first 2 shown]
.LBB54_363:
	s_or_b32 exec_lo, exec_lo, s8
	v_mov_b32_e32 v4, s54
	v_cmp_lt_u32_e64 s5, 8, v0
	s_clause 0x3
	buffer_load_dword v1, v4, s[0:3], 0 offen
	buffer_load_dword v2, v4, s[0:3], 0 offen offset:4
	buffer_load_dword v3, v4, s[0:3], 0 offen offset:8
	;; [unrolled: 1-line block ×3, first 2 shown]
	s_waitcnt vmcnt(0)
	ds_write_b128 v116, v[1:4]
	s_waitcnt lgkmcnt(0)
	s_waitcnt_vscnt null, 0x0
	s_barrier
	buffer_gl0_inv
	s_and_saveexec_b32 s8, s5
	s_cbranch_execz .LBB54_371
; %bb.364:
	ds_read_b128 v[1:4], v116
	s_andn2_b32 vcc_lo, exec_lo, s62
	s_cbranch_vccnz .LBB54_366
; %bb.365:
	s_clause 0x3
	buffer_load_dword v117, v115, s[0:3], 0 offen offset:8
	buffer_load_dword v118, v115, s[0:3], 0 offen offset:12
	buffer_load_dword v119, v115, s[0:3], 0 offen
	buffer_load_dword v120, v115, s[0:3], 0 offen offset:4
	s_waitcnt vmcnt(2) lgkmcnt(0)
	v_mul_f64 v[122:123], v[3:4], v[117:118]
	v_mul_f64 v[117:118], v[1:2], v[117:118]
	s_waitcnt vmcnt(0)
	v_fma_f64 v[1:2], v[1:2], v[119:120], -v[122:123]
	v_fma_f64 v[3:4], v[3:4], v[119:120], v[117:118]
.LBB54_366:
	s_and_saveexec_b32 s63, s4
	s_cbranch_execz .LBB54_370
; %bb.367:
	v_add_nc_u32_e32 v117, -9, v0
	s_movk_i32 s64, 0x400
	s_mov_b32 s4, 0
	s_mov_b32 s65, s53
	.p2align	6
.LBB54_368:                             ; =>This Inner Loop Header: Depth=1
	v_mov_b32_e32 v120, s65
	v_add_nc_u32_e32 v117, -1, v117
	s_add_i32 s65, s65, 16
	s_clause 0x3
	buffer_load_dword v118, v120, s[0:3], 0 offen offset:8
	buffer_load_dword v119, v120, s[0:3], 0 offen offset:12
	buffer_load_dword v126, v120, s[0:3], 0 offen
	buffer_load_dword v127, v120, s[0:3], 0 offen offset:4
	v_mov_b32_e32 v120, s64
	v_cmp_eq_u32_e32 vcc_lo, 0, v117
	s_add_i32 s64, s64, 16
	ds_read_b128 v[122:125], v120
	s_or_b32 s4, vcc_lo, s4
	s_waitcnt vmcnt(2) lgkmcnt(0)
	v_mul_f64 v[128:129], v[124:125], v[118:119]
	v_mul_f64 v[118:119], v[122:123], v[118:119]
	s_waitcnt vmcnt(0)
	v_fma_f64 v[122:123], v[122:123], v[126:127], -v[128:129]
	v_fma_f64 v[118:119], v[124:125], v[126:127], v[118:119]
	v_add_f64 v[1:2], v[1:2], v[122:123]
	v_add_f64 v[3:4], v[3:4], v[118:119]
	s_andn2_b32 exec_lo, exec_lo, s4
	s_cbranch_execnz .LBB54_368
; %bb.369:
	s_or_b32 exec_lo, exec_lo, s4
.LBB54_370:
	s_or_b32 exec_lo, exec_lo, s63
	v_mov_b32_e32 v117, 0
	ds_read_b128 v[117:120], v117 offset:128
	s_waitcnt lgkmcnt(0)
	v_mul_f64 v[122:123], v[3:4], v[119:120]
	v_mul_f64 v[119:120], v[1:2], v[119:120]
	v_fma_f64 v[1:2], v[1:2], v[117:118], -v[122:123]
	v_fma_f64 v[3:4], v[3:4], v[117:118], v[119:120]
	buffer_store_dword v2, off, s[0:3], 0 offset:132
	buffer_store_dword v1, off, s[0:3], 0 offset:128
	buffer_store_dword v4, off, s[0:3], 0 offset:140
	buffer_store_dword v3, off, s[0:3], 0 offset:136
.LBB54_371:
	s_or_b32 exec_lo, exec_lo, s8
	v_mov_b32_e32 v4, s55
	v_cmp_lt_u32_e64 s4, 7, v0
	s_clause 0x3
	buffer_load_dword v1, v4, s[0:3], 0 offen
	buffer_load_dword v2, v4, s[0:3], 0 offen offset:4
	buffer_load_dword v3, v4, s[0:3], 0 offen offset:8
	;; [unrolled: 1-line block ×3, first 2 shown]
	s_waitcnt vmcnt(0)
	ds_write_b128 v116, v[1:4]
	s_waitcnt lgkmcnt(0)
	s_waitcnt_vscnt null, 0x0
	s_barrier
	buffer_gl0_inv
	s_and_saveexec_b32 s8, s4
	s_cbranch_execz .LBB54_379
; %bb.372:
	ds_read_b128 v[1:4], v116
	s_andn2_b32 vcc_lo, exec_lo, s62
	s_cbranch_vccnz .LBB54_374
; %bb.373:
	s_clause 0x3
	buffer_load_dword v117, v115, s[0:3], 0 offen offset:8
	buffer_load_dword v118, v115, s[0:3], 0 offen offset:12
	buffer_load_dword v119, v115, s[0:3], 0 offen
	buffer_load_dword v120, v115, s[0:3], 0 offen offset:4
	s_waitcnt vmcnt(2) lgkmcnt(0)
	v_mul_f64 v[122:123], v[3:4], v[117:118]
	v_mul_f64 v[117:118], v[1:2], v[117:118]
	s_waitcnt vmcnt(0)
	v_fma_f64 v[1:2], v[1:2], v[119:120], -v[122:123]
	v_fma_f64 v[3:4], v[3:4], v[119:120], v[117:118]
.LBB54_374:
	s_and_saveexec_b32 s63, s5
	s_cbranch_execz .LBB54_378
; %bb.375:
	v_add_nc_u32_e32 v117, -8, v0
	s_movk_i32 s64, 0x3f0
	s_mov_b32 s5, 0
	s_mov_b32 s65, s54
	.p2align	6
.LBB54_376:                             ; =>This Inner Loop Header: Depth=1
	v_mov_b32_e32 v120, s65
	v_add_nc_u32_e32 v117, -1, v117
	s_add_i32 s65, s65, 16
	s_clause 0x3
	buffer_load_dword v118, v120, s[0:3], 0 offen offset:8
	buffer_load_dword v119, v120, s[0:3], 0 offen offset:12
	buffer_load_dword v126, v120, s[0:3], 0 offen
	buffer_load_dword v127, v120, s[0:3], 0 offen offset:4
	v_mov_b32_e32 v120, s64
	v_cmp_eq_u32_e32 vcc_lo, 0, v117
	s_add_i32 s64, s64, 16
	ds_read_b128 v[122:125], v120
	s_or_b32 s5, vcc_lo, s5
	s_waitcnt vmcnt(2) lgkmcnt(0)
	v_mul_f64 v[128:129], v[124:125], v[118:119]
	v_mul_f64 v[118:119], v[122:123], v[118:119]
	s_waitcnt vmcnt(0)
	v_fma_f64 v[122:123], v[122:123], v[126:127], -v[128:129]
	v_fma_f64 v[118:119], v[124:125], v[126:127], v[118:119]
	v_add_f64 v[1:2], v[1:2], v[122:123]
	v_add_f64 v[3:4], v[3:4], v[118:119]
	s_andn2_b32 exec_lo, exec_lo, s5
	s_cbranch_execnz .LBB54_376
; %bb.377:
	s_or_b32 exec_lo, exec_lo, s5
.LBB54_378:
	s_or_b32 exec_lo, exec_lo, s63
	v_mov_b32_e32 v117, 0
	ds_read_b128 v[117:120], v117 offset:112
	s_waitcnt lgkmcnt(0)
	v_mul_f64 v[122:123], v[3:4], v[119:120]
	v_mul_f64 v[119:120], v[1:2], v[119:120]
	v_fma_f64 v[1:2], v[1:2], v[117:118], -v[122:123]
	v_fma_f64 v[3:4], v[3:4], v[117:118], v[119:120]
	buffer_store_dword v2, off, s[0:3], 0 offset:116
	buffer_store_dword v1, off, s[0:3], 0 offset:112
	;; [unrolled: 1-line block ×4, first 2 shown]
.LBB54_379:
	s_or_b32 exec_lo, exec_lo, s8
	v_mov_b32_e32 v4, s56
	v_cmp_lt_u32_e64 s5, 6, v0
	s_clause 0x3
	buffer_load_dword v1, v4, s[0:3], 0 offen
	buffer_load_dword v2, v4, s[0:3], 0 offen offset:4
	buffer_load_dword v3, v4, s[0:3], 0 offen offset:8
	;; [unrolled: 1-line block ×3, first 2 shown]
	s_waitcnt vmcnt(0)
	ds_write_b128 v116, v[1:4]
	s_waitcnt lgkmcnt(0)
	s_waitcnt_vscnt null, 0x0
	s_barrier
	buffer_gl0_inv
	s_and_saveexec_b32 s8, s5
	s_cbranch_execz .LBB54_387
; %bb.380:
	ds_read_b128 v[1:4], v116
	s_andn2_b32 vcc_lo, exec_lo, s62
	s_cbranch_vccnz .LBB54_382
; %bb.381:
	s_clause 0x3
	buffer_load_dword v117, v115, s[0:3], 0 offen offset:8
	buffer_load_dword v118, v115, s[0:3], 0 offen offset:12
	buffer_load_dword v119, v115, s[0:3], 0 offen
	buffer_load_dword v120, v115, s[0:3], 0 offen offset:4
	s_waitcnt vmcnt(2) lgkmcnt(0)
	v_mul_f64 v[122:123], v[3:4], v[117:118]
	v_mul_f64 v[117:118], v[1:2], v[117:118]
	s_waitcnt vmcnt(0)
	v_fma_f64 v[1:2], v[1:2], v[119:120], -v[122:123]
	v_fma_f64 v[3:4], v[3:4], v[119:120], v[117:118]
.LBB54_382:
	s_and_saveexec_b32 s63, s4
	s_cbranch_execz .LBB54_386
; %bb.383:
	v_add_nc_u32_e32 v117, -7, v0
	s_movk_i32 s64, 0x3e0
	s_mov_b32 s4, 0
	s_mov_b32 s65, s55
	.p2align	6
.LBB54_384:                             ; =>This Inner Loop Header: Depth=1
	v_mov_b32_e32 v120, s65
	v_add_nc_u32_e32 v117, -1, v117
	s_add_i32 s65, s65, 16
	s_clause 0x3
	buffer_load_dword v118, v120, s[0:3], 0 offen offset:8
	buffer_load_dword v119, v120, s[0:3], 0 offen offset:12
	buffer_load_dword v126, v120, s[0:3], 0 offen
	buffer_load_dword v127, v120, s[0:3], 0 offen offset:4
	v_mov_b32_e32 v120, s64
	v_cmp_eq_u32_e32 vcc_lo, 0, v117
	s_add_i32 s64, s64, 16
	ds_read_b128 v[122:125], v120
	s_or_b32 s4, vcc_lo, s4
	s_waitcnt vmcnt(2) lgkmcnt(0)
	v_mul_f64 v[128:129], v[124:125], v[118:119]
	v_mul_f64 v[118:119], v[122:123], v[118:119]
	s_waitcnt vmcnt(0)
	v_fma_f64 v[122:123], v[122:123], v[126:127], -v[128:129]
	v_fma_f64 v[118:119], v[124:125], v[126:127], v[118:119]
	v_add_f64 v[1:2], v[1:2], v[122:123]
	v_add_f64 v[3:4], v[3:4], v[118:119]
	s_andn2_b32 exec_lo, exec_lo, s4
	s_cbranch_execnz .LBB54_384
; %bb.385:
	s_or_b32 exec_lo, exec_lo, s4
.LBB54_386:
	s_or_b32 exec_lo, exec_lo, s63
	v_mov_b32_e32 v117, 0
	ds_read_b128 v[117:120], v117 offset:96
	s_waitcnt lgkmcnt(0)
	v_mul_f64 v[122:123], v[3:4], v[119:120]
	v_mul_f64 v[119:120], v[1:2], v[119:120]
	v_fma_f64 v[1:2], v[1:2], v[117:118], -v[122:123]
	v_fma_f64 v[3:4], v[3:4], v[117:118], v[119:120]
	buffer_store_dword v2, off, s[0:3], 0 offset:100
	buffer_store_dword v1, off, s[0:3], 0 offset:96
	;; [unrolled: 1-line block ×4, first 2 shown]
.LBB54_387:
	s_or_b32 exec_lo, exec_lo, s8
	v_mov_b32_e32 v4, s57
	v_cmp_lt_u32_e64 s4, 5, v0
	s_clause 0x3
	buffer_load_dword v1, v4, s[0:3], 0 offen
	buffer_load_dword v2, v4, s[0:3], 0 offen offset:4
	buffer_load_dword v3, v4, s[0:3], 0 offen offset:8
	;; [unrolled: 1-line block ×3, first 2 shown]
	s_waitcnt vmcnt(0)
	ds_write_b128 v116, v[1:4]
	s_waitcnt lgkmcnt(0)
	s_waitcnt_vscnt null, 0x0
	s_barrier
	buffer_gl0_inv
	s_and_saveexec_b32 s8, s4
	s_cbranch_execz .LBB54_395
; %bb.388:
	ds_read_b128 v[1:4], v116
	s_andn2_b32 vcc_lo, exec_lo, s62
	s_cbranch_vccnz .LBB54_390
; %bb.389:
	s_clause 0x3
	buffer_load_dword v117, v115, s[0:3], 0 offen offset:8
	buffer_load_dword v118, v115, s[0:3], 0 offen offset:12
	buffer_load_dword v119, v115, s[0:3], 0 offen
	buffer_load_dword v120, v115, s[0:3], 0 offen offset:4
	s_waitcnt vmcnt(2) lgkmcnt(0)
	v_mul_f64 v[122:123], v[3:4], v[117:118]
	v_mul_f64 v[117:118], v[1:2], v[117:118]
	s_waitcnt vmcnt(0)
	v_fma_f64 v[1:2], v[1:2], v[119:120], -v[122:123]
	v_fma_f64 v[3:4], v[3:4], v[119:120], v[117:118]
.LBB54_390:
	s_and_saveexec_b32 s63, s5
	s_cbranch_execz .LBB54_394
; %bb.391:
	v_add_nc_u32_e32 v117, -6, v0
	s_movk_i32 s64, 0x3d0
	s_mov_b32 s5, 0
	s_mov_b32 s65, s56
	.p2align	6
.LBB54_392:                             ; =>This Inner Loop Header: Depth=1
	v_mov_b32_e32 v120, s65
	v_add_nc_u32_e32 v117, -1, v117
	s_add_i32 s65, s65, 16
	s_clause 0x3
	buffer_load_dword v118, v120, s[0:3], 0 offen offset:8
	buffer_load_dword v119, v120, s[0:3], 0 offen offset:12
	buffer_load_dword v126, v120, s[0:3], 0 offen
	buffer_load_dword v127, v120, s[0:3], 0 offen offset:4
	v_mov_b32_e32 v120, s64
	v_cmp_eq_u32_e32 vcc_lo, 0, v117
	s_add_i32 s64, s64, 16
	ds_read_b128 v[122:125], v120
	s_or_b32 s5, vcc_lo, s5
	s_waitcnt vmcnt(2) lgkmcnt(0)
	v_mul_f64 v[128:129], v[124:125], v[118:119]
	v_mul_f64 v[118:119], v[122:123], v[118:119]
	s_waitcnt vmcnt(0)
	v_fma_f64 v[122:123], v[122:123], v[126:127], -v[128:129]
	v_fma_f64 v[118:119], v[124:125], v[126:127], v[118:119]
	v_add_f64 v[1:2], v[1:2], v[122:123]
	v_add_f64 v[3:4], v[3:4], v[118:119]
	s_andn2_b32 exec_lo, exec_lo, s5
	s_cbranch_execnz .LBB54_392
; %bb.393:
	s_or_b32 exec_lo, exec_lo, s5
.LBB54_394:
	s_or_b32 exec_lo, exec_lo, s63
	v_mov_b32_e32 v117, 0
	ds_read_b128 v[117:120], v117 offset:80
	s_waitcnt lgkmcnt(0)
	v_mul_f64 v[122:123], v[3:4], v[119:120]
	v_mul_f64 v[119:120], v[1:2], v[119:120]
	v_fma_f64 v[1:2], v[1:2], v[117:118], -v[122:123]
	v_fma_f64 v[3:4], v[3:4], v[117:118], v[119:120]
	buffer_store_dword v2, off, s[0:3], 0 offset:84
	buffer_store_dword v1, off, s[0:3], 0 offset:80
	;; [unrolled: 1-line block ×4, first 2 shown]
.LBB54_395:
	s_or_b32 exec_lo, exec_lo, s8
	v_mov_b32_e32 v4, s58
	v_cmp_lt_u32_e64 s5, 4, v0
	s_clause 0x3
	buffer_load_dword v1, v4, s[0:3], 0 offen
	buffer_load_dword v2, v4, s[0:3], 0 offen offset:4
	buffer_load_dword v3, v4, s[0:3], 0 offen offset:8
	;; [unrolled: 1-line block ×3, first 2 shown]
	s_waitcnt vmcnt(0)
	ds_write_b128 v116, v[1:4]
	s_waitcnt lgkmcnt(0)
	s_waitcnt_vscnt null, 0x0
	s_barrier
	buffer_gl0_inv
	s_and_saveexec_b32 s8, s5
	s_cbranch_execz .LBB54_403
; %bb.396:
	ds_read_b128 v[1:4], v116
	s_andn2_b32 vcc_lo, exec_lo, s62
	s_cbranch_vccnz .LBB54_398
; %bb.397:
	s_clause 0x3
	buffer_load_dword v117, v115, s[0:3], 0 offen offset:8
	buffer_load_dword v118, v115, s[0:3], 0 offen offset:12
	buffer_load_dword v119, v115, s[0:3], 0 offen
	buffer_load_dword v120, v115, s[0:3], 0 offen offset:4
	s_waitcnt vmcnt(2) lgkmcnt(0)
	v_mul_f64 v[122:123], v[3:4], v[117:118]
	v_mul_f64 v[117:118], v[1:2], v[117:118]
	s_waitcnt vmcnt(0)
	v_fma_f64 v[1:2], v[1:2], v[119:120], -v[122:123]
	v_fma_f64 v[3:4], v[3:4], v[119:120], v[117:118]
.LBB54_398:
	s_and_saveexec_b32 s63, s4
	s_cbranch_execz .LBB54_402
; %bb.399:
	v_add_nc_u32_e32 v117, -5, v0
	s_movk_i32 s64, 0x3c0
	s_mov_b32 s4, 0
	s_mov_b32 s65, s57
	.p2align	6
.LBB54_400:                             ; =>This Inner Loop Header: Depth=1
	v_mov_b32_e32 v120, s65
	v_add_nc_u32_e32 v117, -1, v117
	s_add_i32 s65, s65, 16
	s_clause 0x3
	buffer_load_dword v118, v120, s[0:3], 0 offen offset:8
	buffer_load_dword v119, v120, s[0:3], 0 offen offset:12
	buffer_load_dword v126, v120, s[0:3], 0 offen
	buffer_load_dword v127, v120, s[0:3], 0 offen offset:4
	v_mov_b32_e32 v120, s64
	v_cmp_eq_u32_e32 vcc_lo, 0, v117
	s_add_i32 s64, s64, 16
	ds_read_b128 v[122:125], v120
	s_or_b32 s4, vcc_lo, s4
	s_waitcnt vmcnt(2) lgkmcnt(0)
	v_mul_f64 v[128:129], v[124:125], v[118:119]
	v_mul_f64 v[118:119], v[122:123], v[118:119]
	s_waitcnt vmcnt(0)
	v_fma_f64 v[122:123], v[122:123], v[126:127], -v[128:129]
	v_fma_f64 v[118:119], v[124:125], v[126:127], v[118:119]
	v_add_f64 v[1:2], v[1:2], v[122:123]
	v_add_f64 v[3:4], v[3:4], v[118:119]
	s_andn2_b32 exec_lo, exec_lo, s4
	s_cbranch_execnz .LBB54_400
; %bb.401:
	s_or_b32 exec_lo, exec_lo, s4
.LBB54_402:
	s_or_b32 exec_lo, exec_lo, s63
	v_mov_b32_e32 v117, 0
	ds_read_b128 v[117:120], v117 offset:64
	s_waitcnt lgkmcnt(0)
	v_mul_f64 v[122:123], v[3:4], v[119:120]
	v_mul_f64 v[119:120], v[1:2], v[119:120]
	v_fma_f64 v[1:2], v[1:2], v[117:118], -v[122:123]
	v_fma_f64 v[3:4], v[3:4], v[117:118], v[119:120]
	buffer_store_dword v2, off, s[0:3], 0 offset:68
	buffer_store_dword v1, off, s[0:3], 0 offset:64
	;; [unrolled: 1-line block ×4, first 2 shown]
.LBB54_403:
	s_or_b32 exec_lo, exec_lo, s8
	v_mov_b32_e32 v4, s59
	v_cmp_lt_u32_e64 s4, 3, v0
	s_clause 0x3
	buffer_load_dword v1, v4, s[0:3], 0 offen
	buffer_load_dword v2, v4, s[0:3], 0 offen offset:4
	buffer_load_dword v3, v4, s[0:3], 0 offen offset:8
	;; [unrolled: 1-line block ×3, first 2 shown]
	s_waitcnt vmcnt(0)
	ds_write_b128 v116, v[1:4]
	s_waitcnt lgkmcnt(0)
	s_waitcnt_vscnt null, 0x0
	s_barrier
	buffer_gl0_inv
	s_and_saveexec_b32 s8, s4
	s_cbranch_execz .LBB54_411
; %bb.404:
	ds_read_b128 v[1:4], v116
	s_andn2_b32 vcc_lo, exec_lo, s62
	s_cbranch_vccnz .LBB54_406
; %bb.405:
	s_clause 0x3
	buffer_load_dword v117, v115, s[0:3], 0 offen offset:8
	buffer_load_dword v118, v115, s[0:3], 0 offen offset:12
	buffer_load_dword v119, v115, s[0:3], 0 offen
	buffer_load_dword v120, v115, s[0:3], 0 offen offset:4
	s_waitcnt vmcnt(2) lgkmcnt(0)
	v_mul_f64 v[122:123], v[3:4], v[117:118]
	v_mul_f64 v[117:118], v[1:2], v[117:118]
	s_waitcnt vmcnt(0)
	v_fma_f64 v[1:2], v[1:2], v[119:120], -v[122:123]
	v_fma_f64 v[3:4], v[3:4], v[119:120], v[117:118]
.LBB54_406:
	s_and_saveexec_b32 s63, s5
	s_cbranch_execz .LBB54_410
; %bb.407:
	v_add_nc_u32_e32 v117, -4, v0
	s_movk_i32 s64, 0x3b0
	s_mov_b32 s5, 0
	s_mov_b32 s65, s58
	.p2align	6
.LBB54_408:                             ; =>This Inner Loop Header: Depth=1
	v_mov_b32_e32 v120, s65
	v_add_nc_u32_e32 v117, -1, v117
	s_add_i32 s65, s65, 16
	s_clause 0x3
	buffer_load_dword v118, v120, s[0:3], 0 offen offset:8
	buffer_load_dword v119, v120, s[0:3], 0 offen offset:12
	buffer_load_dword v126, v120, s[0:3], 0 offen
	buffer_load_dword v127, v120, s[0:3], 0 offen offset:4
	v_mov_b32_e32 v120, s64
	v_cmp_eq_u32_e32 vcc_lo, 0, v117
	s_add_i32 s64, s64, 16
	ds_read_b128 v[122:125], v120
	s_or_b32 s5, vcc_lo, s5
	s_waitcnt vmcnt(2) lgkmcnt(0)
	v_mul_f64 v[128:129], v[124:125], v[118:119]
	v_mul_f64 v[118:119], v[122:123], v[118:119]
	s_waitcnt vmcnt(0)
	v_fma_f64 v[122:123], v[122:123], v[126:127], -v[128:129]
	v_fma_f64 v[118:119], v[124:125], v[126:127], v[118:119]
	v_add_f64 v[1:2], v[1:2], v[122:123]
	v_add_f64 v[3:4], v[3:4], v[118:119]
	s_andn2_b32 exec_lo, exec_lo, s5
	s_cbranch_execnz .LBB54_408
; %bb.409:
	s_or_b32 exec_lo, exec_lo, s5
.LBB54_410:
	s_or_b32 exec_lo, exec_lo, s63
	v_mov_b32_e32 v117, 0
	ds_read_b128 v[117:120], v117 offset:48
	s_waitcnt lgkmcnt(0)
	v_mul_f64 v[122:123], v[3:4], v[119:120]
	v_mul_f64 v[119:120], v[1:2], v[119:120]
	v_fma_f64 v[1:2], v[1:2], v[117:118], -v[122:123]
	v_fma_f64 v[3:4], v[3:4], v[117:118], v[119:120]
	buffer_store_dword v2, off, s[0:3], 0 offset:52
	buffer_store_dword v1, off, s[0:3], 0 offset:48
	;; [unrolled: 1-line block ×4, first 2 shown]
.LBB54_411:
	s_or_b32 exec_lo, exec_lo, s8
	v_mov_b32_e32 v4, s60
	v_cmp_lt_u32_e64 s5, 2, v0
	s_clause 0x3
	buffer_load_dword v1, v4, s[0:3], 0 offen
	buffer_load_dword v2, v4, s[0:3], 0 offen offset:4
	buffer_load_dword v3, v4, s[0:3], 0 offen offset:8
	;; [unrolled: 1-line block ×3, first 2 shown]
	s_waitcnt vmcnt(0)
	ds_write_b128 v116, v[1:4]
	s_waitcnt lgkmcnt(0)
	s_waitcnt_vscnt null, 0x0
	s_barrier
	buffer_gl0_inv
	s_and_saveexec_b32 s8, s5
	s_cbranch_execz .LBB54_419
; %bb.412:
	ds_read_b128 v[1:4], v116
	s_andn2_b32 vcc_lo, exec_lo, s62
	s_cbranch_vccnz .LBB54_414
; %bb.413:
	s_clause 0x3
	buffer_load_dword v117, v115, s[0:3], 0 offen offset:8
	buffer_load_dword v118, v115, s[0:3], 0 offen offset:12
	buffer_load_dword v119, v115, s[0:3], 0 offen
	buffer_load_dword v120, v115, s[0:3], 0 offen offset:4
	s_waitcnt vmcnt(2) lgkmcnt(0)
	v_mul_f64 v[122:123], v[3:4], v[117:118]
	v_mul_f64 v[117:118], v[1:2], v[117:118]
	s_waitcnt vmcnt(0)
	v_fma_f64 v[1:2], v[1:2], v[119:120], -v[122:123]
	v_fma_f64 v[3:4], v[3:4], v[119:120], v[117:118]
.LBB54_414:
	s_and_saveexec_b32 s63, s4
	s_cbranch_execz .LBB54_418
; %bb.415:
	v_add_nc_u32_e32 v117, -3, v0
	s_movk_i32 s64, 0x3a0
	s_mov_b32 s4, 0
	s_mov_b32 s65, s59
	.p2align	6
.LBB54_416:                             ; =>This Inner Loop Header: Depth=1
	v_mov_b32_e32 v120, s65
	v_add_nc_u32_e32 v117, -1, v117
	s_add_i32 s65, s65, 16
	s_clause 0x3
	buffer_load_dword v118, v120, s[0:3], 0 offen offset:8
	buffer_load_dword v119, v120, s[0:3], 0 offen offset:12
	buffer_load_dword v126, v120, s[0:3], 0 offen
	buffer_load_dword v127, v120, s[0:3], 0 offen offset:4
	v_mov_b32_e32 v120, s64
	v_cmp_eq_u32_e32 vcc_lo, 0, v117
	s_add_i32 s64, s64, 16
	ds_read_b128 v[122:125], v120
	s_or_b32 s4, vcc_lo, s4
	s_waitcnt vmcnt(2) lgkmcnt(0)
	v_mul_f64 v[128:129], v[124:125], v[118:119]
	v_mul_f64 v[118:119], v[122:123], v[118:119]
	s_waitcnt vmcnt(0)
	v_fma_f64 v[122:123], v[122:123], v[126:127], -v[128:129]
	v_fma_f64 v[118:119], v[124:125], v[126:127], v[118:119]
	v_add_f64 v[1:2], v[1:2], v[122:123]
	v_add_f64 v[3:4], v[3:4], v[118:119]
	s_andn2_b32 exec_lo, exec_lo, s4
	s_cbranch_execnz .LBB54_416
; %bb.417:
	s_or_b32 exec_lo, exec_lo, s4
.LBB54_418:
	s_or_b32 exec_lo, exec_lo, s63
	v_mov_b32_e32 v117, 0
	ds_read_b128 v[117:120], v117 offset:32
	s_waitcnt lgkmcnt(0)
	v_mul_f64 v[122:123], v[3:4], v[119:120]
	v_mul_f64 v[119:120], v[1:2], v[119:120]
	v_fma_f64 v[1:2], v[1:2], v[117:118], -v[122:123]
	v_fma_f64 v[3:4], v[3:4], v[117:118], v[119:120]
	buffer_store_dword v2, off, s[0:3], 0 offset:36
	buffer_store_dword v1, off, s[0:3], 0 offset:32
	;; [unrolled: 1-line block ×4, first 2 shown]
.LBB54_419:
	s_or_b32 exec_lo, exec_lo, s8
	v_mov_b32_e32 v4, s61
	v_cmp_lt_u32_e64 s4, 1, v0
	s_clause 0x3
	buffer_load_dword v1, v4, s[0:3], 0 offen
	buffer_load_dword v2, v4, s[0:3], 0 offen offset:4
	buffer_load_dword v3, v4, s[0:3], 0 offen offset:8
	;; [unrolled: 1-line block ×3, first 2 shown]
	s_waitcnt vmcnt(0)
	ds_write_b128 v116, v[1:4]
	s_waitcnt lgkmcnt(0)
	s_waitcnt_vscnt null, 0x0
	s_barrier
	buffer_gl0_inv
	s_and_saveexec_b32 s8, s4
	s_cbranch_execz .LBB54_427
; %bb.420:
	ds_read_b128 v[1:4], v116
	s_andn2_b32 vcc_lo, exec_lo, s62
	s_cbranch_vccnz .LBB54_422
; %bb.421:
	s_clause 0x3
	buffer_load_dword v117, v115, s[0:3], 0 offen offset:8
	buffer_load_dword v118, v115, s[0:3], 0 offen offset:12
	buffer_load_dword v119, v115, s[0:3], 0 offen
	buffer_load_dword v120, v115, s[0:3], 0 offen offset:4
	s_waitcnt vmcnt(2) lgkmcnt(0)
	v_mul_f64 v[122:123], v[3:4], v[117:118]
	v_mul_f64 v[117:118], v[1:2], v[117:118]
	s_waitcnt vmcnt(0)
	v_fma_f64 v[1:2], v[1:2], v[119:120], -v[122:123]
	v_fma_f64 v[3:4], v[3:4], v[119:120], v[117:118]
.LBB54_422:
	s_and_saveexec_b32 s63, s5
	s_cbranch_execz .LBB54_426
; %bb.423:
	v_add_nc_u32_e32 v117, -2, v0
	s_movk_i32 s64, 0x390
	s_mov_b32 s5, 0
	s_mov_b32 s65, s60
	.p2align	6
.LBB54_424:                             ; =>This Inner Loop Header: Depth=1
	v_mov_b32_e32 v120, s65
	v_add_nc_u32_e32 v117, -1, v117
	s_add_i32 s65, s65, 16
	s_clause 0x3
	buffer_load_dword v118, v120, s[0:3], 0 offen offset:8
	buffer_load_dword v119, v120, s[0:3], 0 offen offset:12
	buffer_load_dword v126, v120, s[0:3], 0 offen
	buffer_load_dword v127, v120, s[0:3], 0 offen offset:4
	v_mov_b32_e32 v120, s64
	v_cmp_eq_u32_e32 vcc_lo, 0, v117
	s_add_i32 s64, s64, 16
	ds_read_b128 v[122:125], v120
	s_or_b32 s5, vcc_lo, s5
	s_waitcnt vmcnt(2) lgkmcnt(0)
	v_mul_f64 v[128:129], v[124:125], v[118:119]
	v_mul_f64 v[118:119], v[122:123], v[118:119]
	s_waitcnt vmcnt(0)
	v_fma_f64 v[122:123], v[122:123], v[126:127], -v[128:129]
	v_fma_f64 v[118:119], v[124:125], v[126:127], v[118:119]
	v_add_f64 v[1:2], v[1:2], v[122:123]
	v_add_f64 v[3:4], v[3:4], v[118:119]
	s_andn2_b32 exec_lo, exec_lo, s5
	s_cbranch_execnz .LBB54_424
; %bb.425:
	s_or_b32 exec_lo, exec_lo, s5
.LBB54_426:
	s_or_b32 exec_lo, exec_lo, s63
	v_mov_b32_e32 v117, 0
	ds_read_b128 v[117:120], v117 offset:16
	s_waitcnt lgkmcnt(0)
	v_mul_f64 v[122:123], v[3:4], v[119:120]
	v_mul_f64 v[119:120], v[1:2], v[119:120]
	v_fma_f64 v[1:2], v[1:2], v[117:118], -v[122:123]
	v_fma_f64 v[3:4], v[3:4], v[117:118], v[119:120]
	buffer_store_dword v2, off, s[0:3], 0 offset:20
	buffer_store_dword v1, off, s[0:3], 0 offset:16
	;; [unrolled: 1-line block ×4, first 2 shown]
.LBB54_427:
	s_or_b32 exec_lo, exec_lo, s8
	s_clause 0x3
	buffer_load_dword v1, off, s[0:3], 0
	buffer_load_dword v2, off, s[0:3], 0 offset:4
	buffer_load_dword v3, off, s[0:3], 0 offset:8
	;; [unrolled: 1-line block ×3, first 2 shown]
	s_mov_b32 s8, 0
	s_mov_b32 s5, 0
	s_mov_b32 s63, exec_lo
                                        ; implicit-def: $sgpr64
	s_waitcnt vmcnt(0)
	ds_write_b128 v116, v[1:4]
	s_waitcnt lgkmcnt(0)
	s_waitcnt_vscnt null, 0x0
	s_barrier
	buffer_gl0_inv
                                        ; implicit-def: $vgpr1_vgpr2
	v_cmpx_ne_u32_e32 0, v0
	s_cbranch_execz .LBB54_435
; %bb.428:
	ds_read_b128 v[1:4], v116
	s_andn2_b32 vcc_lo, exec_lo, s62
	s_cbranch_vccnz .LBB54_430
; %bb.429:
	s_clause 0x3
	buffer_load_dword v117, v115, s[0:3], 0 offen offset:8
	buffer_load_dword v118, v115, s[0:3], 0 offen offset:12
	buffer_load_dword v119, v115, s[0:3], 0 offen
	buffer_load_dword v120, v115, s[0:3], 0 offen offset:4
	s_waitcnt vmcnt(2) lgkmcnt(0)
	v_mul_f64 v[122:123], v[3:4], v[117:118]
	v_mul_f64 v[117:118], v[1:2], v[117:118]
	s_waitcnt vmcnt(0)
	v_fma_f64 v[1:2], v[1:2], v[119:120], -v[122:123]
	v_fma_f64 v[3:4], v[3:4], v[119:120], v[117:118]
.LBB54_430:
	s_and_saveexec_b32 s5, s4
	s_cbranch_execz .LBB54_434
; %bb.431:
	v_add_nc_u32_e32 v117, -1, v0
	s_movk_i32 s64, 0x380
	s_mov_b32 s4, 0
	s_mov_b32 s65, s61
	.p2align	6
.LBB54_432:                             ; =>This Inner Loop Header: Depth=1
	v_mov_b32_e32 v120, s65
	v_add_nc_u32_e32 v117, -1, v117
	s_add_i32 s65, s65, 16
	s_clause 0x3
	buffer_load_dword v118, v120, s[0:3], 0 offen offset:8
	buffer_load_dword v119, v120, s[0:3], 0 offen offset:12
	buffer_load_dword v126, v120, s[0:3], 0 offen
	buffer_load_dword v127, v120, s[0:3], 0 offen offset:4
	v_mov_b32_e32 v120, s64
	v_cmp_eq_u32_e32 vcc_lo, 0, v117
	s_add_i32 s64, s64, 16
	ds_read_b128 v[122:125], v120
	s_or_b32 s4, vcc_lo, s4
	s_waitcnt vmcnt(2) lgkmcnt(0)
	v_mul_f64 v[128:129], v[124:125], v[118:119]
	v_mul_f64 v[118:119], v[122:123], v[118:119]
	s_waitcnt vmcnt(0)
	v_fma_f64 v[122:123], v[122:123], v[126:127], -v[128:129]
	v_fma_f64 v[118:119], v[124:125], v[126:127], v[118:119]
	v_add_f64 v[1:2], v[1:2], v[122:123]
	v_add_f64 v[3:4], v[3:4], v[118:119]
	s_andn2_b32 exec_lo, exec_lo, s4
	s_cbranch_execnz .LBB54_432
; %bb.433:
	s_or_b32 exec_lo, exec_lo, s4
.LBB54_434:
	s_or_b32 exec_lo, exec_lo, s5
	v_mov_b32_e32 v117, 0
	s_mov_b32 s5, exec_lo
	s_or_b32 s64, 0, 8
	ds_read_b128 v[117:120], v117
	s_waitcnt lgkmcnt(0)
	v_mul_f64 v[122:123], v[3:4], v[119:120]
	v_mul_f64 v[119:120], v[1:2], v[119:120]
	v_fma_f64 v[122:123], v[1:2], v[117:118], -v[122:123]
	v_fma_f64 v[1:2], v[3:4], v[117:118], v[119:120]
	buffer_store_dword v123, off, s[0:3], 0 offset:4
	buffer_store_dword v122, off, s[0:3], 0
.LBB54_435:
	s_or_b32 exec_lo, exec_lo, s63
	s_and_b32 vcc_lo, exec_lo, s8
	s_cbranch_vccnz .LBB54_437
	s_branch .LBB54_864
.LBB54_436:
	s_mov_b32 s5, 0
                                        ; implicit-def: $vgpr1_vgpr2
                                        ; implicit-def: $sgpr64
	s_cbranch_execz .LBB54_864
.LBB54_437:
	v_mov_b32_e32 v4, s61
	v_cmp_eq_u32_e64 s4, 0, v0
	v_cndmask_b32_e64 v117, 0, 1, s62
	s_clause 0x3
	buffer_load_dword v1, v4, s[0:3], 0 offen
	buffer_load_dword v2, v4, s[0:3], 0 offen offset:4
	buffer_load_dword v3, v4, s[0:3], 0 offen offset:8
	;; [unrolled: 1-line block ×3, first 2 shown]
	s_waitcnt vmcnt(0)
	ds_write_b128 v116, v[1:4]
	s_waitcnt lgkmcnt(0)
	s_waitcnt_vscnt null, 0x0
	s_barrier
	buffer_gl0_inv
	s_and_saveexec_b32 s8, s4
	s_cbranch_execz .LBB54_441
; %bb.438:
	ds_read_b128 v[1:4], v116
	s_andn2_b32 vcc_lo, exec_lo, s62
	s_cbranch_vccnz .LBB54_440
; %bb.439:
	s_clause 0x3
	buffer_load_dword v118, v115, s[0:3], 0 offen offset:8
	buffer_load_dword v119, v115, s[0:3], 0 offen offset:12
	buffer_load_dword v122, v115, s[0:3], 0 offen
	buffer_load_dword v123, v115, s[0:3], 0 offen offset:4
	s_waitcnt vmcnt(2) lgkmcnt(0)
	v_mul_f64 v[124:125], v[3:4], v[118:119]
	v_mul_f64 v[118:119], v[1:2], v[118:119]
	s_waitcnt vmcnt(0)
	v_fma_f64 v[1:2], v[1:2], v[122:123], -v[124:125]
	v_fma_f64 v[3:4], v[3:4], v[122:123], v[118:119]
.LBB54_440:
	v_mov_b32_e32 v118, 0
	ds_read_b128 v[122:125], v118 offset:16
	s_waitcnt lgkmcnt(0)
	v_mul_f64 v[118:119], v[3:4], v[124:125]
	v_mul_f64 v[124:125], v[1:2], v[124:125]
	v_fma_f64 v[1:2], v[1:2], v[122:123], -v[118:119]
	v_fma_f64 v[3:4], v[3:4], v[122:123], v[124:125]
	buffer_store_dword v2, off, s[0:3], 0 offset:20
	buffer_store_dword v1, off, s[0:3], 0 offset:16
	;; [unrolled: 1-line block ×4, first 2 shown]
.LBB54_441:
	s_or_b32 exec_lo, exec_lo, s8
	v_mov_b32_e32 v4, s60
	s_mov_b32 s8, exec_lo
	s_clause 0x3
	buffer_load_dword v1, v4, s[0:3], 0 offen
	buffer_load_dword v2, v4, s[0:3], 0 offen offset:4
	buffer_load_dword v3, v4, s[0:3], 0 offen offset:8
	;; [unrolled: 1-line block ×3, first 2 shown]
	s_waitcnt vmcnt(0)
	ds_write_b128 v116, v[1:4]
	s_waitcnt lgkmcnt(0)
	s_waitcnt_vscnt null, 0x0
	s_barrier
	buffer_gl0_inv
	v_cmpx_gt_u32_e32 2, v0
	s_cbranch_execz .LBB54_447
; %bb.442:
	ds_read_b128 v[1:4], v116
	v_cmp_ne_u32_e32 vcc_lo, 1, v117
	s_cbranch_vccnz .LBB54_444
; %bb.443:
	s_clause 0x3
	buffer_load_dword v118, v115, s[0:3], 0 offen offset:8
	buffer_load_dword v119, v115, s[0:3], 0 offen offset:12
	buffer_load_dword v122, v115, s[0:3], 0 offen
	buffer_load_dword v123, v115, s[0:3], 0 offen offset:4
	s_waitcnt vmcnt(2) lgkmcnt(0)
	v_mul_f64 v[124:125], v[3:4], v[118:119]
	v_mul_f64 v[118:119], v[1:2], v[118:119]
	s_waitcnt vmcnt(0)
	v_fma_f64 v[1:2], v[1:2], v[122:123], -v[124:125]
	v_fma_f64 v[3:4], v[3:4], v[122:123], v[118:119]
.LBB54_444:
	s_and_saveexec_b32 s62, s4
	s_cbranch_execz .LBB54_446
; %bb.445:
	s_clause 0x3
	buffer_load_dword v118, off, s[0:3], 0 offset:24
	buffer_load_dword v119, off, s[0:3], 0 offset:28
	;; [unrolled: 1-line block ×4, first 2 shown]
	v_mov_b32_e32 v120, 0
	ds_read_b128 v[122:125], v120 offset:896
	s_waitcnt vmcnt(2) lgkmcnt(0)
	v_mul_f64 v[128:129], v[124:125], v[118:119]
	v_mul_f64 v[118:119], v[122:123], v[118:119]
	s_waitcnt vmcnt(0)
	v_fma_f64 v[122:123], v[122:123], v[126:127], -v[128:129]
	v_fma_f64 v[118:119], v[124:125], v[126:127], v[118:119]
	v_add_f64 v[1:2], v[1:2], v[122:123]
	v_add_f64 v[3:4], v[3:4], v[118:119]
.LBB54_446:
	s_or_b32 exec_lo, exec_lo, s62
	v_mov_b32_e32 v118, 0
	ds_read_b128 v[122:125], v118 offset:32
	s_waitcnt lgkmcnt(0)
	v_mul_f64 v[118:119], v[3:4], v[124:125]
	v_mul_f64 v[124:125], v[1:2], v[124:125]
	v_fma_f64 v[1:2], v[1:2], v[122:123], -v[118:119]
	v_fma_f64 v[3:4], v[3:4], v[122:123], v[124:125]
	buffer_store_dword v2, off, s[0:3], 0 offset:36
	buffer_store_dword v1, off, s[0:3], 0 offset:32
	;; [unrolled: 1-line block ×4, first 2 shown]
.LBB54_447:
	s_or_b32 exec_lo, exec_lo, s8
	v_mov_b32_e32 v4, s59
	s_mov_b32 s8, exec_lo
	s_clause 0x3
	buffer_load_dword v1, v4, s[0:3], 0 offen
	buffer_load_dword v2, v4, s[0:3], 0 offen offset:4
	buffer_load_dword v3, v4, s[0:3], 0 offen offset:8
	;; [unrolled: 1-line block ×3, first 2 shown]
	s_waitcnt vmcnt(0)
	ds_write_b128 v116, v[1:4]
	s_waitcnt lgkmcnt(0)
	s_waitcnt_vscnt null, 0x0
	s_barrier
	buffer_gl0_inv
	v_cmpx_gt_u32_e32 3, v0
	s_cbranch_execz .LBB54_455
; %bb.448:
	ds_read_b128 v[1:4], v116
	v_cmp_ne_u32_e32 vcc_lo, 1, v117
	s_cbranch_vccnz .LBB54_450
; %bb.449:
	s_clause 0x3
	buffer_load_dword v118, v115, s[0:3], 0 offen offset:8
	buffer_load_dword v119, v115, s[0:3], 0 offen offset:12
	buffer_load_dword v122, v115, s[0:3], 0 offen
	buffer_load_dword v123, v115, s[0:3], 0 offen offset:4
	s_waitcnt vmcnt(2) lgkmcnt(0)
	v_mul_f64 v[124:125], v[3:4], v[118:119]
	v_mul_f64 v[118:119], v[1:2], v[118:119]
	s_waitcnt vmcnt(0)
	v_fma_f64 v[1:2], v[1:2], v[122:123], -v[124:125]
	v_fma_f64 v[3:4], v[3:4], v[122:123], v[118:119]
.LBB54_450:
	s_mov_b32 s62, exec_lo
	v_cmpx_ne_u32_e32 2, v0
	s_cbranch_execz .LBB54_454
; %bb.451:
	s_clause 0x3
	buffer_load_dword v118, v115, s[0:3], 0 offen offset:24
	buffer_load_dword v119, v115, s[0:3], 0 offen offset:28
	;; [unrolled: 1-line block ×4, first 2 shown]
	ds_read_b128 v[122:125], v116 offset:16
	s_waitcnt vmcnt(2) lgkmcnt(0)
	v_mul_f64 v[128:129], v[124:125], v[118:119]
	v_mul_f64 v[118:119], v[122:123], v[118:119]
	s_waitcnt vmcnt(0)
	v_fma_f64 v[122:123], v[122:123], v[126:127], -v[128:129]
	v_fma_f64 v[118:119], v[124:125], v[126:127], v[118:119]
	v_add_f64 v[1:2], v[1:2], v[122:123]
	v_add_f64 v[3:4], v[3:4], v[118:119]
	s_and_saveexec_b32 s63, s4
	s_cbranch_execz .LBB54_453
; %bb.452:
	s_clause 0x3
	buffer_load_dword v118, off, s[0:3], 0 offset:40
	buffer_load_dword v119, off, s[0:3], 0 offset:44
	;; [unrolled: 1-line block ×4, first 2 shown]
	v_mov_b32_e32 v120, 0
	ds_read_b128 v[122:125], v120 offset:912
	s_waitcnt vmcnt(2) lgkmcnt(0)
	v_mul_f64 v[128:129], v[122:123], v[118:119]
	v_mul_f64 v[118:119], v[124:125], v[118:119]
	s_waitcnt vmcnt(0)
	v_fma_f64 v[124:125], v[124:125], v[126:127], v[128:129]
	v_fma_f64 v[118:119], v[122:123], v[126:127], -v[118:119]
	v_add_f64 v[3:4], v[3:4], v[124:125]
	v_add_f64 v[1:2], v[1:2], v[118:119]
.LBB54_453:
	s_or_b32 exec_lo, exec_lo, s63
.LBB54_454:
	s_or_b32 exec_lo, exec_lo, s62
	v_mov_b32_e32 v118, 0
	ds_read_b128 v[122:125], v118 offset:48
	s_waitcnt lgkmcnt(0)
	v_mul_f64 v[118:119], v[3:4], v[124:125]
	v_mul_f64 v[124:125], v[1:2], v[124:125]
	v_fma_f64 v[1:2], v[1:2], v[122:123], -v[118:119]
	v_fma_f64 v[3:4], v[3:4], v[122:123], v[124:125]
	buffer_store_dword v2, off, s[0:3], 0 offset:52
	buffer_store_dword v1, off, s[0:3], 0 offset:48
	;; [unrolled: 1-line block ×4, first 2 shown]
.LBB54_455:
	s_or_b32 exec_lo, exec_lo, s8
	v_mov_b32_e32 v4, s58
	s_mov_b32 s4, exec_lo
	s_clause 0x3
	buffer_load_dword v1, v4, s[0:3], 0 offen
	buffer_load_dword v2, v4, s[0:3], 0 offen offset:4
	buffer_load_dword v3, v4, s[0:3], 0 offen offset:8
	;; [unrolled: 1-line block ×3, first 2 shown]
	s_waitcnt vmcnt(0)
	ds_write_b128 v116, v[1:4]
	s_waitcnt lgkmcnt(0)
	s_waitcnt_vscnt null, 0x0
	s_barrier
	buffer_gl0_inv
	v_cmpx_gt_u32_e32 4, v0
	s_cbranch_execz .LBB54_463
; %bb.456:
	ds_read_b128 v[1:4], v116
	v_cmp_ne_u32_e32 vcc_lo, 1, v117
	s_cbranch_vccnz .LBB54_458
; %bb.457:
	s_clause 0x3
	buffer_load_dword v118, v115, s[0:3], 0 offen offset:8
	buffer_load_dword v119, v115, s[0:3], 0 offen offset:12
	buffer_load_dword v122, v115, s[0:3], 0 offen
	buffer_load_dword v123, v115, s[0:3], 0 offen offset:4
	s_waitcnt vmcnt(2) lgkmcnt(0)
	v_mul_f64 v[124:125], v[3:4], v[118:119]
	v_mul_f64 v[118:119], v[1:2], v[118:119]
	s_waitcnt vmcnt(0)
	v_fma_f64 v[1:2], v[1:2], v[122:123], -v[124:125]
	v_fma_f64 v[3:4], v[3:4], v[122:123], v[118:119]
.LBB54_458:
	s_mov_b32 s8, exec_lo
	v_cmpx_ne_u32_e32 3, v0
	s_cbranch_execz .LBB54_462
; %bb.459:
	v_add_nc_u32_e32 v118, 0x380, v121
	v_add3_u32 v119, 0, v121, 16
	v_mov_b32_e32 v120, v0
	s_mov_b32 s62, 0
	.p2align	6
.LBB54_460:                             ; =>This Inner Loop Header: Depth=1
	s_clause 0x3
	buffer_load_dword v126, v119, s[0:3], 0 offen offset:8
	buffer_load_dword v127, v119, s[0:3], 0 offen offset:12
	buffer_load_dword v128, v119, s[0:3], 0 offen
	buffer_load_dword v129, v119, s[0:3], 0 offen offset:4
	ds_read_b128 v[122:125], v118
	v_add_nc_u32_e32 v120, 1, v120
	v_add_nc_u32_e32 v118, 16, v118
	;; [unrolled: 1-line block ×3, first 2 shown]
	v_cmp_lt_u32_e32 vcc_lo, 2, v120
	s_or_b32 s62, vcc_lo, s62
	s_waitcnt vmcnt(2) lgkmcnt(0)
	v_mul_f64 v[130:131], v[124:125], v[126:127]
	v_mul_f64 v[126:127], v[122:123], v[126:127]
	s_waitcnt vmcnt(0)
	v_fma_f64 v[122:123], v[122:123], v[128:129], -v[130:131]
	v_fma_f64 v[124:125], v[124:125], v[128:129], v[126:127]
	v_add_f64 v[1:2], v[1:2], v[122:123]
	v_add_f64 v[3:4], v[3:4], v[124:125]
	s_andn2_b32 exec_lo, exec_lo, s62
	s_cbranch_execnz .LBB54_460
; %bb.461:
	s_or_b32 exec_lo, exec_lo, s62
.LBB54_462:
	s_or_b32 exec_lo, exec_lo, s8
	v_mov_b32_e32 v118, 0
	ds_read_b128 v[122:125], v118 offset:64
	s_waitcnt lgkmcnt(0)
	v_mul_f64 v[118:119], v[3:4], v[124:125]
	v_mul_f64 v[124:125], v[1:2], v[124:125]
	v_fma_f64 v[1:2], v[1:2], v[122:123], -v[118:119]
	v_fma_f64 v[3:4], v[3:4], v[122:123], v[124:125]
	buffer_store_dword v2, off, s[0:3], 0 offset:68
	buffer_store_dword v1, off, s[0:3], 0 offset:64
	;; [unrolled: 1-line block ×4, first 2 shown]
.LBB54_463:
	s_or_b32 exec_lo, exec_lo, s4
	v_mov_b32_e32 v4, s57
	s_mov_b32 s4, exec_lo
	s_clause 0x3
	buffer_load_dword v1, v4, s[0:3], 0 offen
	buffer_load_dword v2, v4, s[0:3], 0 offen offset:4
	buffer_load_dword v3, v4, s[0:3], 0 offen offset:8
	;; [unrolled: 1-line block ×3, first 2 shown]
	s_waitcnt vmcnt(0)
	ds_write_b128 v116, v[1:4]
	s_waitcnt lgkmcnt(0)
	s_waitcnt_vscnt null, 0x0
	s_barrier
	buffer_gl0_inv
	v_cmpx_gt_u32_e32 5, v0
	s_cbranch_execz .LBB54_471
; %bb.464:
	ds_read_b128 v[1:4], v116
	v_cmp_ne_u32_e32 vcc_lo, 1, v117
	s_cbranch_vccnz .LBB54_466
; %bb.465:
	s_clause 0x3
	buffer_load_dword v118, v115, s[0:3], 0 offen offset:8
	buffer_load_dword v119, v115, s[0:3], 0 offen offset:12
	buffer_load_dword v122, v115, s[0:3], 0 offen
	buffer_load_dword v123, v115, s[0:3], 0 offen offset:4
	s_waitcnt vmcnt(2) lgkmcnt(0)
	v_mul_f64 v[124:125], v[3:4], v[118:119]
	v_mul_f64 v[118:119], v[1:2], v[118:119]
	s_waitcnt vmcnt(0)
	v_fma_f64 v[1:2], v[1:2], v[122:123], -v[124:125]
	v_fma_f64 v[3:4], v[3:4], v[122:123], v[118:119]
.LBB54_466:
	s_mov_b32 s8, exec_lo
	v_cmpx_ne_u32_e32 4, v0
	s_cbranch_execz .LBB54_470
; %bb.467:
	v_add_nc_u32_e32 v118, 0x380, v121
	v_add3_u32 v119, 0, v121, 16
	v_mov_b32_e32 v120, v0
	s_mov_b32 s62, 0
	.p2align	6
.LBB54_468:                             ; =>This Inner Loop Header: Depth=1
	s_clause 0x3
	buffer_load_dword v126, v119, s[0:3], 0 offen offset:8
	buffer_load_dword v127, v119, s[0:3], 0 offen offset:12
	buffer_load_dword v128, v119, s[0:3], 0 offen
	buffer_load_dword v129, v119, s[0:3], 0 offen offset:4
	ds_read_b128 v[122:125], v118
	v_add_nc_u32_e32 v120, 1, v120
	v_add_nc_u32_e32 v118, 16, v118
	;; [unrolled: 1-line block ×3, first 2 shown]
	v_cmp_lt_u32_e32 vcc_lo, 3, v120
	s_or_b32 s62, vcc_lo, s62
	s_waitcnt vmcnt(2) lgkmcnt(0)
	v_mul_f64 v[130:131], v[124:125], v[126:127]
	v_mul_f64 v[126:127], v[122:123], v[126:127]
	s_waitcnt vmcnt(0)
	v_fma_f64 v[122:123], v[122:123], v[128:129], -v[130:131]
	v_fma_f64 v[124:125], v[124:125], v[128:129], v[126:127]
	v_add_f64 v[1:2], v[1:2], v[122:123]
	v_add_f64 v[3:4], v[3:4], v[124:125]
	s_andn2_b32 exec_lo, exec_lo, s62
	s_cbranch_execnz .LBB54_468
; %bb.469:
	s_or_b32 exec_lo, exec_lo, s62
.LBB54_470:
	s_or_b32 exec_lo, exec_lo, s8
	v_mov_b32_e32 v118, 0
	ds_read_b128 v[122:125], v118 offset:80
	s_waitcnt lgkmcnt(0)
	v_mul_f64 v[118:119], v[3:4], v[124:125]
	v_mul_f64 v[124:125], v[1:2], v[124:125]
	v_fma_f64 v[1:2], v[1:2], v[122:123], -v[118:119]
	v_fma_f64 v[3:4], v[3:4], v[122:123], v[124:125]
	buffer_store_dword v2, off, s[0:3], 0 offset:84
	buffer_store_dword v1, off, s[0:3], 0 offset:80
	;; [unrolled: 1-line block ×4, first 2 shown]
.LBB54_471:
	s_or_b32 exec_lo, exec_lo, s4
	v_mov_b32_e32 v4, s56
	s_mov_b32 s4, exec_lo
	s_clause 0x3
	buffer_load_dword v1, v4, s[0:3], 0 offen
	buffer_load_dword v2, v4, s[0:3], 0 offen offset:4
	buffer_load_dword v3, v4, s[0:3], 0 offen offset:8
	;; [unrolled: 1-line block ×3, first 2 shown]
	s_waitcnt vmcnt(0)
	ds_write_b128 v116, v[1:4]
	s_waitcnt lgkmcnt(0)
	s_waitcnt_vscnt null, 0x0
	s_barrier
	buffer_gl0_inv
	v_cmpx_gt_u32_e32 6, v0
	s_cbranch_execz .LBB54_479
; %bb.472:
	ds_read_b128 v[1:4], v116
	v_cmp_ne_u32_e32 vcc_lo, 1, v117
	s_cbranch_vccnz .LBB54_474
; %bb.473:
	s_clause 0x3
	buffer_load_dword v118, v115, s[0:3], 0 offen offset:8
	buffer_load_dword v119, v115, s[0:3], 0 offen offset:12
	buffer_load_dword v122, v115, s[0:3], 0 offen
	buffer_load_dword v123, v115, s[0:3], 0 offen offset:4
	s_waitcnt vmcnt(2) lgkmcnt(0)
	v_mul_f64 v[124:125], v[3:4], v[118:119]
	v_mul_f64 v[118:119], v[1:2], v[118:119]
	s_waitcnt vmcnt(0)
	v_fma_f64 v[1:2], v[1:2], v[122:123], -v[124:125]
	v_fma_f64 v[3:4], v[3:4], v[122:123], v[118:119]
.LBB54_474:
	s_mov_b32 s8, exec_lo
	v_cmpx_ne_u32_e32 5, v0
	s_cbranch_execz .LBB54_478
; %bb.475:
	v_add_nc_u32_e32 v118, 0x380, v121
	v_add3_u32 v119, 0, v121, 16
	v_mov_b32_e32 v120, v0
	s_mov_b32 s62, 0
	.p2align	6
.LBB54_476:                             ; =>This Inner Loop Header: Depth=1
	s_clause 0x3
	buffer_load_dword v126, v119, s[0:3], 0 offen offset:8
	buffer_load_dword v127, v119, s[0:3], 0 offen offset:12
	buffer_load_dword v128, v119, s[0:3], 0 offen
	buffer_load_dword v129, v119, s[0:3], 0 offen offset:4
	ds_read_b128 v[122:125], v118
	v_add_nc_u32_e32 v120, 1, v120
	v_add_nc_u32_e32 v118, 16, v118
	;; [unrolled: 1-line block ×3, first 2 shown]
	v_cmp_lt_u32_e32 vcc_lo, 4, v120
	s_or_b32 s62, vcc_lo, s62
	s_waitcnt vmcnt(2) lgkmcnt(0)
	v_mul_f64 v[130:131], v[124:125], v[126:127]
	v_mul_f64 v[126:127], v[122:123], v[126:127]
	s_waitcnt vmcnt(0)
	v_fma_f64 v[122:123], v[122:123], v[128:129], -v[130:131]
	v_fma_f64 v[124:125], v[124:125], v[128:129], v[126:127]
	v_add_f64 v[1:2], v[1:2], v[122:123]
	v_add_f64 v[3:4], v[3:4], v[124:125]
	s_andn2_b32 exec_lo, exec_lo, s62
	s_cbranch_execnz .LBB54_476
; %bb.477:
	s_or_b32 exec_lo, exec_lo, s62
.LBB54_478:
	s_or_b32 exec_lo, exec_lo, s8
	v_mov_b32_e32 v118, 0
	ds_read_b128 v[122:125], v118 offset:96
	s_waitcnt lgkmcnt(0)
	v_mul_f64 v[118:119], v[3:4], v[124:125]
	v_mul_f64 v[124:125], v[1:2], v[124:125]
	v_fma_f64 v[1:2], v[1:2], v[122:123], -v[118:119]
	v_fma_f64 v[3:4], v[3:4], v[122:123], v[124:125]
	buffer_store_dword v2, off, s[0:3], 0 offset:100
	buffer_store_dword v1, off, s[0:3], 0 offset:96
	buffer_store_dword v4, off, s[0:3], 0 offset:108
	buffer_store_dword v3, off, s[0:3], 0 offset:104
.LBB54_479:
	s_or_b32 exec_lo, exec_lo, s4
	v_mov_b32_e32 v4, s55
	s_mov_b32 s4, exec_lo
	s_clause 0x3
	buffer_load_dword v1, v4, s[0:3], 0 offen
	buffer_load_dword v2, v4, s[0:3], 0 offen offset:4
	buffer_load_dword v3, v4, s[0:3], 0 offen offset:8
	;; [unrolled: 1-line block ×3, first 2 shown]
	s_waitcnt vmcnt(0)
	ds_write_b128 v116, v[1:4]
	s_waitcnt lgkmcnt(0)
	s_waitcnt_vscnt null, 0x0
	s_barrier
	buffer_gl0_inv
	v_cmpx_gt_u32_e32 7, v0
	s_cbranch_execz .LBB54_487
; %bb.480:
	ds_read_b128 v[1:4], v116
	v_cmp_ne_u32_e32 vcc_lo, 1, v117
	s_cbranch_vccnz .LBB54_482
; %bb.481:
	s_clause 0x3
	buffer_load_dword v118, v115, s[0:3], 0 offen offset:8
	buffer_load_dword v119, v115, s[0:3], 0 offen offset:12
	buffer_load_dword v122, v115, s[0:3], 0 offen
	buffer_load_dword v123, v115, s[0:3], 0 offen offset:4
	s_waitcnt vmcnt(2) lgkmcnt(0)
	v_mul_f64 v[124:125], v[3:4], v[118:119]
	v_mul_f64 v[118:119], v[1:2], v[118:119]
	s_waitcnt vmcnt(0)
	v_fma_f64 v[1:2], v[1:2], v[122:123], -v[124:125]
	v_fma_f64 v[3:4], v[3:4], v[122:123], v[118:119]
.LBB54_482:
	s_mov_b32 s8, exec_lo
	v_cmpx_ne_u32_e32 6, v0
	s_cbranch_execz .LBB54_486
; %bb.483:
	v_add_nc_u32_e32 v118, 0x380, v121
	v_add3_u32 v119, 0, v121, 16
	v_mov_b32_e32 v120, v0
	s_mov_b32 s62, 0
	.p2align	6
.LBB54_484:                             ; =>This Inner Loop Header: Depth=1
	s_clause 0x3
	buffer_load_dword v126, v119, s[0:3], 0 offen offset:8
	buffer_load_dword v127, v119, s[0:3], 0 offen offset:12
	buffer_load_dword v128, v119, s[0:3], 0 offen
	buffer_load_dword v129, v119, s[0:3], 0 offen offset:4
	ds_read_b128 v[122:125], v118
	v_add_nc_u32_e32 v120, 1, v120
	v_add_nc_u32_e32 v118, 16, v118
	v_add_nc_u32_e32 v119, 16, v119
	v_cmp_lt_u32_e32 vcc_lo, 5, v120
	s_or_b32 s62, vcc_lo, s62
	s_waitcnt vmcnt(2) lgkmcnt(0)
	v_mul_f64 v[130:131], v[124:125], v[126:127]
	v_mul_f64 v[126:127], v[122:123], v[126:127]
	s_waitcnt vmcnt(0)
	v_fma_f64 v[122:123], v[122:123], v[128:129], -v[130:131]
	v_fma_f64 v[124:125], v[124:125], v[128:129], v[126:127]
	v_add_f64 v[1:2], v[1:2], v[122:123]
	v_add_f64 v[3:4], v[3:4], v[124:125]
	s_andn2_b32 exec_lo, exec_lo, s62
	s_cbranch_execnz .LBB54_484
; %bb.485:
	s_or_b32 exec_lo, exec_lo, s62
.LBB54_486:
	s_or_b32 exec_lo, exec_lo, s8
	v_mov_b32_e32 v118, 0
	ds_read_b128 v[122:125], v118 offset:112
	s_waitcnt lgkmcnt(0)
	v_mul_f64 v[118:119], v[3:4], v[124:125]
	v_mul_f64 v[124:125], v[1:2], v[124:125]
	v_fma_f64 v[1:2], v[1:2], v[122:123], -v[118:119]
	v_fma_f64 v[3:4], v[3:4], v[122:123], v[124:125]
	buffer_store_dword v2, off, s[0:3], 0 offset:116
	buffer_store_dword v1, off, s[0:3], 0 offset:112
	;; [unrolled: 1-line block ×4, first 2 shown]
.LBB54_487:
	s_or_b32 exec_lo, exec_lo, s4
	v_mov_b32_e32 v4, s54
	s_mov_b32 s4, exec_lo
	s_clause 0x3
	buffer_load_dword v1, v4, s[0:3], 0 offen
	buffer_load_dword v2, v4, s[0:3], 0 offen offset:4
	buffer_load_dword v3, v4, s[0:3], 0 offen offset:8
	;; [unrolled: 1-line block ×3, first 2 shown]
	s_waitcnt vmcnt(0)
	ds_write_b128 v116, v[1:4]
	s_waitcnt lgkmcnt(0)
	s_waitcnt_vscnt null, 0x0
	s_barrier
	buffer_gl0_inv
	v_cmpx_gt_u32_e32 8, v0
	s_cbranch_execz .LBB54_495
; %bb.488:
	ds_read_b128 v[1:4], v116
	v_cmp_ne_u32_e32 vcc_lo, 1, v117
	s_cbranch_vccnz .LBB54_490
; %bb.489:
	s_clause 0x3
	buffer_load_dword v118, v115, s[0:3], 0 offen offset:8
	buffer_load_dword v119, v115, s[0:3], 0 offen offset:12
	buffer_load_dword v122, v115, s[0:3], 0 offen
	buffer_load_dword v123, v115, s[0:3], 0 offen offset:4
	s_waitcnt vmcnt(2) lgkmcnt(0)
	v_mul_f64 v[124:125], v[3:4], v[118:119]
	v_mul_f64 v[118:119], v[1:2], v[118:119]
	s_waitcnt vmcnt(0)
	v_fma_f64 v[1:2], v[1:2], v[122:123], -v[124:125]
	v_fma_f64 v[3:4], v[3:4], v[122:123], v[118:119]
.LBB54_490:
	s_mov_b32 s8, exec_lo
	v_cmpx_ne_u32_e32 7, v0
	s_cbranch_execz .LBB54_494
; %bb.491:
	v_add_nc_u32_e32 v118, 0x380, v121
	v_add3_u32 v119, 0, v121, 16
	v_mov_b32_e32 v120, v0
	s_mov_b32 s62, 0
	.p2align	6
.LBB54_492:                             ; =>This Inner Loop Header: Depth=1
	s_clause 0x3
	buffer_load_dword v126, v119, s[0:3], 0 offen offset:8
	buffer_load_dword v127, v119, s[0:3], 0 offen offset:12
	buffer_load_dword v128, v119, s[0:3], 0 offen
	buffer_load_dword v129, v119, s[0:3], 0 offen offset:4
	ds_read_b128 v[122:125], v118
	v_add_nc_u32_e32 v120, 1, v120
	v_add_nc_u32_e32 v118, 16, v118
	;; [unrolled: 1-line block ×3, first 2 shown]
	v_cmp_lt_u32_e32 vcc_lo, 6, v120
	s_or_b32 s62, vcc_lo, s62
	s_waitcnt vmcnt(2) lgkmcnt(0)
	v_mul_f64 v[130:131], v[124:125], v[126:127]
	v_mul_f64 v[126:127], v[122:123], v[126:127]
	s_waitcnt vmcnt(0)
	v_fma_f64 v[122:123], v[122:123], v[128:129], -v[130:131]
	v_fma_f64 v[124:125], v[124:125], v[128:129], v[126:127]
	v_add_f64 v[1:2], v[1:2], v[122:123]
	v_add_f64 v[3:4], v[3:4], v[124:125]
	s_andn2_b32 exec_lo, exec_lo, s62
	s_cbranch_execnz .LBB54_492
; %bb.493:
	s_or_b32 exec_lo, exec_lo, s62
.LBB54_494:
	s_or_b32 exec_lo, exec_lo, s8
	v_mov_b32_e32 v118, 0
	ds_read_b128 v[122:125], v118 offset:128
	s_waitcnt lgkmcnt(0)
	v_mul_f64 v[118:119], v[3:4], v[124:125]
	v_mul_f64 v[124:125], v[1:2], v[124:125]
	v_fma_f64 v[1:2], v[1:2], v[122:123], -v[118:119]
	v_fma_f64 v[3:4], v[3:4], v[122:123], v[124:125]
	buffer_store_dword v2, off, s[0:3], 0 offset:132
	buffer_store_dword v1, off, s[0:3], 0 offset:128
	;; [unrolled: 1-line block ×4, first 2 shown]
.LBB54_495:
	s_or_b32 exec_lo, exec_lo, s4
	v_mov_b32_e32 v4, s53
	s_mov_b32 s4, exec_lo
	s_clause 0x3
	buffer_load_dword v1, v4, s[0:3], 0 offen
	buffer_load_dword v2, v4, s[0:3], 0 offen offset:4
	buffer_load_dword v3, v4, s[0:3], 0 offen offset:8
	;; [unrolled: 1-line block ×3, first 2 shown]
	s_waitcnt vmcnt(0)
	ds_write_b128 v116, v[1:4]
	s_waitcnt lgkmcnt(0)
	s_waitcnt_vscnt null, 0x0
	s_barrier
	buffer_gl0_inv
	v_cmpx_gt_u32_e32 9, v0
	s_cbranch_execz .LBB54_503
; %bb.496:
	ds_read_b128 v[1:4], v116
	v_cmp_ne_u32_e32 vcc_lo, 1, v117
	s_cbranch_vccnz .LBB54_498
; %bb.497:
	s_clause 0x3
	buffer_load_dword v118, v115, s[0:3], 0 offen offset:8
	buffer_load_dword v119, v115, s[0:3], 0 offen offset:12
	buffer_load_dword v122, v115, s[0:3], 0 offen
	buffer_load_dword v123, v115, s[0:3], 0 offen offset:4
	s_waitcnt vmcnt(2) lgkmcnt(0)
	v_mul_f64 v[124:125], v[3:4], v[118:119]
	v_mul_f64 v[118:119], v[1:2], v[118:119]
	s_waitcnt vmcnt(0)
	v_fma_f64 v[1:2], v[1:2], v[122:123], -v[124:125]
	v_fma_f64 v[3:4], v[3:4], v[122:123], v[118:119]
.LBB54_498:
	s_mov_b32 s8, exec_lo
	v_cmpx_ne_u32_e32 8, v0
	s_cbranch_execz .LBB54_502
; %bb.499:
	v_add_nc_u32_e32 v118, 0x380, v121
	v_add3_u32 v119, 0, v121, 16
	v_mov_b32_e32 v120, v0
	s_mov_b32 s62, 0
	.p2align	6
.LBB54_500:                             ; =>This Inner Loop Header: Depth=1
	s_clause 0x3
	buffer_load_dword v126, v119, s[0:3], 0 offen offset:8
	buffer_load_dword v127, v119, s[0:3], 0 offen offset:12
	buffer_load_dword v128, v119, s[0:3], 0 offen
	buffer_load_dword v129, v119, s[0:3], 0 offen offset:4
	ds_read_b128 v[122:125], v118
	v_add_nc_u32_e32 v120, 1, v120
	v_add_nc_u32_e32 v118, 16, v118
	;; [unrolled: 1-line block ×3, first 2 shown]
	v_cmp_lt_u32_e32 vcc_lo, 7, v120
	s_or_b32 s62, vcc_lo, s62
	s_waitcnt vmcnt(2) lgkmcnt(0)
	v_mul_f64 v[130:131], v[124:125], v[126:127]
	v_mul_f64 v[126:127], v[122:123], v[126:127]
	s_waitcnt vmcnt(0)
	v_fma_f64 v[122:123], v[122:123], v[128:129], -v[130:131]
	v_fma_f64 v[124:125], v[124:125], v[128:129], v[126:127]
	v_add_f64 v[1:2], v[1:2], v[122:123]
	v_add_f64 v[3:4], v[3:4], v[124:125]
	s_andn2_b32 exec_lo, exec_lo, s62
	s_cbranch_execnz .LBB54_500
; %bb.501:
	s_or_b32 exec_lo, exec_lo, s62
.LBB54_502:
	s_or_b32 exec_lo, exec_lo, s8
	v_mov_b32_e32 v118, 0
	ds_read_b128 v[122:125], v118 offset:144
	s_waitcnt lgkmcnt(0)
	v_mul_f64 v[118:119], v[3:4], v[124:125]
	v_mul_f64 v[124:125], v[1:2], v[124:125]
	v_fma_f64 v[1:2], v[1:2], v[122:123], -v[118:119]
	v_fma_f64 v[3:4], v[3:4], v[122:123], v[124:125]
	buffer_store_dword v2, off, s[0:3], 0 offset:148
	buffer_store_dword v1, off, s[0:3], 0 offset:144
	;; [unrolled: 1-line block ×4, first 2 shown]
.LBB54_503:
	s_or_b32 exec_lo, exec_lo, s4
	v_mov_b32_e32 v4, s52
	s_mov_b32 s4, exec_lo
	s_clause 0x3
	buffer_load_dword v1, v4, s[0:3], 0 offen
	buffer_load_dword v2, v4, s[0:3], 0 offen offset:4
	buffer_load_dword v3, v4, s[0:3], 0 offen offset:8
	;; [unrolled: 1-line block ×3, first 2 shown]
	s_waitcnt vmcnt(0)
	ds_write_b128 v116, v[1:4]
	s_waitcnt lgkmcnt(0)
	s_waitcnt_vscnt null, 0x0
	s_barrier
	buffer_gl0_inv
	v_cmpx_gt_u32_e32 10, v0
	s_cbranch_execz .LBB54_511
; %bb.504:
	ds_read_b128 v[1:4], v116
	v_cmp_ne_u32_e32 vcc_lo, 1, v117
	s_cbranch_vccnz .LBB54_506
; %bb.505:
	s_clause 0x3
	buffer_load_dword v118, v115, s[0:3], 0 offen offset:8
	buffer_load_dword v119, v115, s[0:3], 0 offen offset:12
	buffer_load_dword v122, v115, s[0:3], 0 offen
	buffer_load_dword v123, v115, s[0:3], 0 offen offset:4
	s_waitcnt vmcnt(2) lgkmcnt(0)
	v_mul_f64 v[124:125], v[3:4], v[118:119]
	v_mul_f64 v[118:119], v[1:2], v[118:119]
	s_waitcnt vmcnt(0)
	v_fma_f64 v[1:2], v[1:2], v[122:123], -v[124:125]
	v_fma_f64 v[3:4], v[3:4], v[122:123], v[118:119]
.LBB54_506:
	s_mov_b32 s8, exec_lo
	v_cmpx_ne_u32_e32 9, v0
	s_cbranch_execz .LBB54_510
; %bb.507:
	v_add_nc_u32_e32 v118, 0x380, v121
	v_add3_u32 v119, 0, v121, 16
	v_mov_b32_e32 v120, v0
	s_mov_b32 s62, 0
	.p2align	6
.LBB54_508:                             ; =>This Inner Loop Header: Depth=1
	s_clause 0x3
	buffer_load_dword v126, v119, s[0:3], 0 offen offset:8
	buffer_load_dword v127, v119, s[0:3], 0 offen offset:12
	buffer_load_dword v128, v119, s[0:3], 0 offen
	buffer_load_dword v129, v119, s[0:3], 0 offen offset:4
	ds_read_b128 v[122:125], v118
	v_add_nc_u32_e32 v120, 1, v120
	v_add_nc_u32_e32 v118, 16, v118
	;; [unrolled: 1-line block ×3, first 2 shown]
	v_cmp_lt_u32_e32 vcc_lo, 8, v120
	s_or_b32 s62, vcc_lo, s62
	s_waitcnt vmcnt(2) lgkmcnt(0)
	v_mul_f64 v[130:131], v[124:125], v[126:127]
	v_mul_f64 v[126:127], v[122:123], v[126:127]
	s_waitcnt vmcnt(0)
	v_fma_f64 v[122:123], v[122:123], v[128:129], -v[130:131]
	v_fma_f64 v[124:125], v[124:125], v[128:129], v[126:127]
	v_add_f64 v[1:2], v[1:2], v[122:123]
	v_add_f64 v[3:4], v[3:4], v[124:125]
	s_andn2_b32 exec_lo, exec_lo, s62
	s_cbranch_execnz .LBB54_508
; %bb.509:
	s_or_b32 exec_lo, exec_lo, s62
.LBB54_510:
	s_or_b32 exec_lo, exec_lo, s8
	v_mov_b32_e32 v118, 0
	ds_read_b128 v[122:125], v118 offset:160
	s_waitcnt lgkmcnt(0)
	v_mul_f64 v[118:119], v[3:4], v[124:125]
	v_mul_f64 v[124:125], v[1:2], v[124:125]
	v_fma_f64 v[1:2], v[1:2], v[122:123], -v[118:119]
	v_fma_f64 v[3:4], v[3:4], v[122:123], v[124:125]
	buffer_store_dword v2, off, s[0:3], 0 offset:164
	buffer_store_dword v1, off, s[0:3], 0 offset:160
	;; [unrolled: 1-line block ×4, first 2 shown]
.LBB54_511:
	s_or_b32 exec_lo, exec_lo, s4
	v_mov_b32_e32 v4, s51
	s_mov_b32 s4, exec_lo
	s_clause 0x3
	buffer_load_dword v1, v4, s[0:3], 0 offen
	buffer_load_dword v2, v4, s[0:3], 0 offen offset:4
	buffer_load_dword v3, v4, s[0:3], 0 offen offset:8
	;; [unrolled: 1-line block ×3, first 2 shown]
	s_waitcnt vmcnt(0)
	ds_write_b128 v116, v[1:4]
	s_waitcnt lgkmcnt(0)
	s_waitcnt_vscnt null, 0x0
	s_barrier
	buffer_gl0_inv
	v_cmpx_gt_u32_e32 11, v0
	s_cbranch_execz .LBB54_519
; %bb.512:
	ds_read_b128 v[1:4], v116
	v_cmp_ne_u32_e32 vcc_lo, 1, v117
	s_cbranch_vccnz .LBB54_514
; %bb.513:
	s_clause 0x3
	buffer_load_dword v118, v115, s[0:3], 0 offen offset:8
	buffer_load_dword v119, v115, s[0:3], 0 offen offset:12
	buffer_load_dword v122, v115, s[0:3], 0 offen
	buffer_load_dword v123, v115, s[0:3], 0 offen offset:4
	s_waitcnt vmcnt(2) lgkmcnt(0)
	v_mul_f64 v[124:125], v[3:4], v[118:119]
	v_mul_f64 v[118:119], v[1:2], v[118:119]
	s_waitcnt vmcnt(0)
	v_fma_f64 v[1:2], v[1:2], v[122:123], -v[124:125]
	v_fma_f64 v[3:4], v[3:4], v[122:123], v[118:119]
.LBB54_514:
	s_mov_b32 s8, exec_lo
	v_cmpx_ne_u32_e32 10, v0
	s_cbranch_execz .LBB54_518
; %bb.515:
	v_add_nc_u32_e32 v118, 0x380, v121
	v_add3_u32 v119, 0, v121, 16
	v_mov_b32_e32 v120, v0
	s_mov_b32 s62, 0
	.p2align	6
.LBB54_516:                             ; =>This Inner Loop Header: Depth=1
	s_clause 0x3
	buffer_load_dword v126, v119, s[0:3], 0 offen offset:8
	buffer_load_dword v127, v119, s[0:3], 0 offen offset:12
	buffer_load_dword v128, v119, s[0:3], 0 offen
	buffer_load_dword v129, v119, s[0:3], 0 offen offset:4
	ds_read_b128 v[122:125], v118
	v_add_nc_u32_e32 v120, 1, v120
	v_add_nc_u32_e32 v118, 16, v118
	;; [unrolled: 1-line block ×3, first 2 shown]
	v_cmp_lt_u32_e32 vcc_lo, 9, v120
	s_or_b32 s62, vcc_lo, s62
	s_waitcnt vmcnt(2) lgkmcnt(0)
	v_mul_f64 v[130:131], v[124:125], v[126:127]
	v_mul_f64 v[126:127], v[122:123], v[126:127]
	s_waitcnt vmcnt(0)
	v_fma_f64 v[122:123], v[122:123], v[128:129], -v[130:131]
	v_fma_f64 v[124:125], v[124:125], v[128:129], v[126:127]
	v_add_f64 v[1:2], v[1:2], v[122:123]
	v_add_f64 v[3:4], v[3:4], v[124:125]
	s_andn2_b32 exec_lo, exec_lo, s62
	s_cbranch_execnz .LBB54_516
; %bb.517:
	s_or_b32 exec_lo, exec_lo, s62
.LBB54_518:
	s_or_b32 exec_lo, exec_lo, s8
	v_mov_b32_e32 v118, 0
	ds_read_b128 v[122:125], v118 offset:176
	s_waitcnt lgkmcnt(0)
	v_mul_f64 v[118:119], v[3:4], v[124:125]
	v_mul_f64 v[124:125], v[1:2], v[124:125]
	v_fma_f64 v[1:2], v[1:2], v[122:123], -v[118:119]
	v_fma_f64 v[3:4], v[3:4], v[122:123], v[124:125]
	buffer_store_dword v2, off, s[0:3], 0 offset:180
	buffer_store_dword v1, off, s[0:3], 0 offset:176
	;; [unrolled: 1-line block ×4, first 2 shown]
.LBB54_519:
	s_or_b32 exec_lo, exec_lo, s4
	v_mov_b32_e32 v4, s50
	s_mov_b32 s4, exec_lo
	s_clause 0x3
	buffer_load_dword v1, v4, s[0:3], 0 offen
	buffer_load_dword v2, v4, s[0:3], 0 offen offset:4
	buffer_load_dword v3, v4, s[0:3], 0 offen offset:8
	;; [unrolled: 1-line block ×3, first 2 shown]
	s_waitcnt vmcnt(0)
	ds_write_b128 v116, v[1:4]
	s_waitcnt lgkmcnt(0)
	s_waitcnt_vscnt null, 0x0
	s_barrier
	buffer_gl0_inv
	v_cmpx_gt_u32_e32 12, v0
	s_cbranch_execz .LBB54_527
; %bb.520:
	ds_read_b128 v[1:4], v116
	v_cmp_ne_u32_e32 vcc_lo, 1, v117
	s_cbranch_vccnz .LBB54_522
; %bb.521:
	s_clause 0x3
	buffer_load_dword v118, v115, s[0:3], 0 offen offset:8
	buffer_load_dword v119, v115, s[0:3], 0 offen offset:12
	buffer_load_dword v122, v115, s[0:3], 0 offen
	buffer_load_dword v123, v115, s[0:3], 0 offen offset:4
	s_waitcnt vmcnt(2) lgkmcnt(0)
	v_mul_f64 v[124:125], v[3:4], v[118:119]
	v_mul_f64 v[118:119], v[1:2], v[118:119]
	s_waitcnt vmcnt(0)
	v_fma_f64 v[1:2], v[1:2], v[122:123], -v[124:125]
	v_fma_f64 v[3:4], v[3:4], v[122:123], v[118:119]
.LBB54_522:
	s_mov_b32 s8, exec_lo
	v_cmpx_ne_u32_e32 11, v0
	s_cbranch_execz .LBB54_526
; %bb.523:
	v_add_nc_u32_e32 v118, 0x380, v121
	v_add3_u32 v119, 0, v121, 16
	v_mov_b32_e32 v120, v0
	s_mov_b32 s62, 0
	.p2align	6
.LBB54_524:                             ; =>This Inner Loop Header: Depth=1
	s_clause 0x3
	buffer_load_dword v126, v119, s[0:3], 0 offen offset:8
	buffer_load_dword v127, v119, s[0:3], 0 offen offset:12
	buffer_load_dword v128, v119, s[0:3], 0 offen
	buffer_load_dword v129, v119, s[0:3], 0 offen offset:4
	ds_read_b128 v[122:125], v118
	v_add_nc_u32_e32 v120, 1, v120
	v_add_nc_u32_e32 v118, 16, v118
	;; [unrolled: 1-line block ×3, first 2 shown]
	v_cmp_lt_u32_e32 vcc_lo, 10, v120
	s_or_b32 s62, vcc_lo, s62
	s_waitcnt vmcnt(2) lgkmcnt(0)
	v_mul_f64 v[130:131], v[124:125], v[126:127]
	v_mul_f64 v[126:127], v[122:123], v[126:127]
	s_waitcnt vmcnt(0)
	v_fma_f64 v[122:123], v[122:123], v[128:129], -v[130:131]
	v_fma_f64 v[124:125], v[124:125], v[128:129], v[126:127]
	v_add_f64 v[1:2], v[1:2], v[122:123]
	v_add_f64 v[3:4], v[3:4], v[124:125]
	s_andn2_b32 exec_lo, exec_lo, s62
	s_cbranch_execnz .LBB54_524
; %bb.525:
	s_or_b32 exec_lo, exec_lo, s62
.LBB54_526:
	s_or_b32 exec_lo, exec_lo, s8
	v_mov_b32_e32 v118, 0
	ds_read_b128 v[122:125], v118 offset:192
	s_waitcnt lgkmcnt(0)
	v_mul_f64 v[118:119], v[3:4], v[124:125]
	v_mul_f64 v[124:125], v[1:2], v[124:125]
	v_fma_f64 v[1:2], v[1:2], v[122:123], -v[118:119]
	v_fma_f64 v[3:4], v[3:4], v[122:123], v[124:125]
	buffer_store_dword v2, off, s[0:3], 0 offset:196
	buffer_store_dword v1, off, s[0:3], 0 offset:192
	;; [unrolled: 1-line block ×4, first 2 shown]
.LBB54_527:
	s_or_b32 exec_lo, exec_lo, s4
	v_mov_b32_e32 v4, s49
	s_mov_b32 s4, exec_lo
	s_clause 0x3
	buffer_load_dword v1, v4, s[0:3], 0 offen
	buffer_load_dword v2, v4, s[0:3], 0 offen offset:4
	buffer_load_dword v3, v4, s[0:3], 0 offen offset:8
	;; [unrolled: 1-line block ×3, first 2 shown]
	s_waitcnt vmcnt(0)
	ds_write_b128 v116, v[1:4]
	s_waitcnt lgkmcnt(0)
	s_waitcnt_vscnt null, 0x0
	s_barrier
	buffer_gl0_inv
	v_cmpx_gt_u32_e32 13, v0
	s_cbranch_execz .LBB54_535
; %bb.528:
	ds_read_b128 v[1:4], v116
	v_cmp_ne_u32_e32 vcc_lo, 1, v117
	s_cbranch_vccnz .LBB54_530
; %bb.529:
	s_clause 0x3
	buffer_load_dword v118, v115, s[0:3], 0 offen offset:8
	buffer_load_dword v119, v115, s[0:3], 0 offen offset:12
	buffer_load_dword v122, v115, s[0:3], 0 offen
	buffer_load_dword v123, v115, s[0:3], 0 offen offset:4
	s_waitcnt vmcnt(2) lgkmcnt(0)
	v_mul_f64 v[124:125], v[3:4], v[118:119]
	v_mul_f64 v[118:119], v[1:2], v[118:119]
	s_waitcnt vmcnt(0)
	v_fma_f64 v[1:2], v[1:2], v[122:123], -v[124:125]
	v_fma_f64 v[3:4], v[3:4], v[122:123], v[118:119]
.LBB54_530:
	s_mov_b32 s8, exec_lo
	v_cmpx_ne_u32_e32 12, v0
	s_cbranch_execz .LBB54_534
; %bb.531:
	v_add_nc_u32_e32 v118, 0x380, v121
	v_add3_u32 v119, 0, v121, 16
	v_mov_b32_e32 v120, v0
	s_mov_b32 s62, 0
	.p2align	6
.LBB54_532:                             ; =>This Inner Loop Header: Depth=1
	s_clause 0x3
	buffer_load_dword v126, v119, s[0:3], 0 offen offset:8
	buffer_load_dword v127, v119, s[0:3], 0 offen offset:12
	buffer_load_dword v128, v119, s[0:3], 0 offen
	buffer_load_dword v129, v119, s[0:3], 0 offen offset:4
	ds_read_b128 v[122:125], v118
	v_add_nc_u32_e32 v120, 1, v120
	v_add_nc_u32_e32 v118, 16, v118
	;; [unrolled: 1-line block ×3, first 2 shown]
	v_cmp_lt_u32_e32 vcc_lo, 11, v120
	s_or_b32 s62, vcc_lo, s62
	s_waitcnt vmcnt(2) lgkmcnt(0)
	v_mul_f64 v[130:131], v[124:125], v[126:127]
	v_mul_f64 v[126:127], v[122:123], v[126:127]
	s_waitcnt vmcnt(0)
	v_fma_f64 v[122:123], v[122:123], v[128:129], -v[130:131]
	v_fma_f64 v[124:125], v[124:125], v[128:129], v[126:127]
	v_add_f64 v[1:2], v[1:2], v[122:123]
	v_add_f64 v[3:4], v[3:4], v[124:125]
	s_andn2_b32 exec_lo, exec_lo, s62
	s_cbranch_execnz .LBB54_532
; %bb.533:
	s_or_b32 exec_lo, exec_lo, s62
.LBB54_534:
	s_or_b32 exec_lo, exec_lo, s8
	v_mov_b32_e32 v118, 0
	ds_read_b128 v[122:125], v118 offset:208
	s_waitcnt lgkmcnt(0)
	v_mul_f64 v[118:119], v[3:4], v[124:125]
	v_mul_f64 v[124:125], v[1:2], v[124:125]
	v_fma_f64 v[1:2], v[1:2], v[122:123], -v[118:119]
	v_fma_f64 v[3:4], v[3:4], v[122:123], v[124:125]
	buffer_store_dword v2, off, s[0:3], 0 offset:212
	buffer_store_dword v1, off, s[0:3], 0 offset:208
	;; [unrolled: 1-line block ×4, first 2 shown]
.LBB54_535:
	s_or_b32 exec_lo, exec_lo, s4
	v_mov_b32_e32 v4, s48
	s_mov_b32 s4, exec_lo
	s_clause 0x3
	buffer_load_dword v1, v4, s[0:3], 0 offen
	buffer_load_dword v2, v4, s[0:3], 0 offen offset:4
	buffer_load_dword v3, v4, s[0:3], 0 offen offset:8
	;; [unrolled: 1-line block ×3, first 2 shown]
	s_waitcnt vmcnt(0)
	ds_write_b128 v116, v[1:4]
	s_waitcnt lgkmcnt(0)
	s_waitcnt_vscnt null, 0x0
	s_barrier
	buffer_gl0_inv
	v_cmpx_gt_u32_e32 14, v0
	s_cbranch_execz .LBB54_543
; %bb.536:
	ds_read_b128 v[1:4], v116
	v_cmp_ne_u32_e32 vcc_lo, 1, v117
	s_cbranch_vccnz .LBB54_538
; %bb.537:
	s_clause 0x3
	buffer_load_dword v118, v115, s[0:3], 0 offen offset:8
	buffer_load_dword v119, v115, s[0:3], 0 offen offset:12
	buffer_load_dword v122, v115, s[0:3], 0 offen
	buffer_load_dword v123, v115, s[0:3], 0 offen offset:4
	s_waitcnt vmcnt(2) lgkmcnt(0)
	v_mul_f64 v[124:125], v[3:4], v[118:119]
	v_mul_f64 v[118:119], v[1:2], v[118:119]
	s_waitcnt vmcnt(0)
	v_fma_f64 v[1:2], v[1:2], v[122:123], -v[124:125]
	v_fma_f64 v[3:4], v[3:4], v[122:123], v[118:119]
.LBB54_538:
	s_mov_b32 s8, exec_lo
	v_cmpx_ne_u32_e32 13, v0
	s_cbranch_execz .LBB54_542
; %bb.539:
	v_add_nc_u32_e32 v118, 0x380, v121
	v_add3_u32 v119, 0, v121, 16
	v_mov_b32_e32 v120, v0
	s_mov_b32 s62, 0
	.p2align	6
.LBB54_540:                             ; =>This Inner Loop Header: Depth=1
	s_clause 0x3
	buffer_load_dword v126, v119, s[0:3], 0 offen offset:8
	buffer_load_dword v127, v119, s[0:3], 0 offen offset:12
	buffer_load_dword v128, v119, s[0:3], 0 offen
	buffer_load_dword v129, v119, s[0:3], 0 offen offset:4
	ds_read_b128 v[122:125], v118
	v_add_nc_u32_e32 v120, 1, v120
	v_add_nc_u32_e32 v118, 16, v118
	;; [unrolled: 1-line block ×3, first 2 shown]
	v_cmp_lt_u32_e32 vcc_lo, 12, v120
	s_or_b32 s62, vcc_lo, s62
	s_waitcnt vmcnt(2) lgkmcnt(0)
	v_mul_f64 v[130:131], v[124:125], v[126:127]
	v_mul_f64 v[126:127], v[122:123], v[126:127]
	s_waitcnt vmcnt(0)
	v_fma_f64 v[122:123], v[122:123], v[128:129], -v[130:131]
	v_fma_f64 v[124:125], v[124:125], v[128:129], v[126:127]
	v_add_f64 v[1:2], v[1:2], v[122:123]
	v_add_f64 v[3:4], v[3:4], v[124:125]
	s_andn2_b32 exec_lo, exec_lo, s62
	s_cbranch_execnz .LBB54_540
; %bb.541:
	s_or_b32 exec_lo, exec_lo, s62
.LBB54_542:
	s_or_b32 exec_lo, exec_lo, s8
	v_mov_b32_e32 v118, 0
	ds_read_b128 v[122:125], v118 offset:224
	s_waitcnt lgkmcnt(0)
	v_mul_f64 v[118:119], v[3:4], v[124:125]
	v_mul_f64 v[124:125], v[1:2], v[124:125]
	v_fma_f64 v[1:2], v[1:2], v[122:123], -v[118:119]
	v_fma_f64 v[3:4], v[3:4], v[122:123], v[124:125]
	buffer_store_dword v2, off, s[0:3], 0 offset:228
	buffer_store_dword v1, off, s[0:3], 0 offset:224
	;; [unrolled: 1-line block ×4, first 2 shown]
.LBB54_543:
	s_or_b32 exec_lo, exec_lo, s4
	v_mov_b32_e32 v4, s47
	s_mov_b32 s4, exec_lo
	s_clause 0x3
	buffer_load_dword v1, v4, s[0:3], 0 offen
	buffer_load_dword v2, v4, s[0:3], 0 offen offset:4
	buffer_load_dword v3, v4, s[0:3], 0 offen offset:8
	;; [unrolled: 1-line block ×3, first 2 shown]
	s_waitcnt vmcnt(0)
	ds_write_b128 v116, v[1:4]
	s_waitcnt lgkmcnt(0)
	s_waitcnt_vscnt null, 0x0
	s_barrier
	buffer_gl0_inv
	v_cmpx_gt_u32_e32 15, v0
	s_cbranch_execz .LBB54_551
; %bb.544:
	ds_read_b128 v[1:4], v116
	v_cmp_ne_u32_e32 vcc_lo, 1, v117
	s_cbranch_vccnz .LBB54_546
; %bb.545:
	s_clause 0x3
	buffer_load_dword v118, v115, s[0:3], 0 offen offset:8
	buffer_load_dword v119, v115, s[0:3], 0 offen offset:12
	buffer_load_dword v122, v115, s[0:3], 0 offen
	buffer_load_dword v123, v115, s[0:3], 0 offen offset:4
	s_waitcnt vmcnt(2) lgkmcnt(0)
	v_mul_f64 v[124:125], v[3:4], v[118:119]
	v_mul_f64 v[118:119], v[1:2], v[118:119]
	s_waitcnt vmcnt(0)
	v_fma_f64 v[1:2], v[1:2], v[122:123], -v[124:125]
	v_fma_f64 v[3:4], v[3:4], v[122:123], v[118:119]
.LBB54_546:
	s_mov_b32 s8, exec_lo
	v_cmpx_ne_u32_e32 14, v0
	s_cbranch_execz .LBB54_550
; %bb.547:
	v_add_nc_u32_e32 v118, 0x380, v121
	v_add3_u32 v119, 0, v121, 16
	v_mov_b32_e32 v120, v0
	s_mov_b32 s62, 0
	.p2align	6
.LBB54_548:                             ; =>This Inner Loop Header: Depth=1
	s_clause 0x3
	buffer_load_dword v126, v119, s[0:3], 0 offen offset:8
	buffer_load_dword v127, v119, s[0:3], 0 offen offset:12
	buffer_load_dword v128, v119, s[0:3], 0 offen
	buffer_load_dword v129, v119, s[0:3], 0 offen offset:4
	ds_read_b128 v[122:125], v118
	v_add_nc_u32_e32 v120, 1, v120
	v_add_nc_u32_e32 v118, 16, v118
	;; [unrolled: 1-line block ×3, first 2 shown]
	v_cmp_lt_u32_e32 vcc_lo, 13, v120
	s_or_b32 s62, vcc_lo, s62
	s_waitcnt vmcnt(2) lgkmcnt(0)
	v_mul_f64 v[130:131], v[124:125], v[126:127]
	v_mul_f64 v[126:127], v[122:123], v[126:127]
	s_waitcnt vmcnt(0)
	v_fma_f64 v[122:123], v[122:123], v[128:129], -v[130:131]
	v_fma_f64 v[124:125], v[124:125], v[128:129], v[126:127]
	v_add_f64 v[1:2], v[1:2], v[122:123]
	v_add_f64 v[3:4], v[3:4], v[124:125]
	s_andn2_b32 exec_lo, exec_lo, s62
	s_cbranch_execnz .LBB54_548
; %bb.549:
	s_or_b32 exec_lo, exec_lo, s62
.LBB54_550:
	s_or_b32 exec_lo, exec_lo, s8
	v_mov_b32_e32 v118, 0
	ds_read_b128 v[122:125], v118 offset:240
	s_waitcnt lgkmcnt(0)
	v_mul_f64 v[118:119], v[3:4], v[124:125]
	v_mul_f64 v[124:125], v[1:2], v[124:125]
	v_fma_f64 v[1:2], v[1:2], v[122:123], -v[118:119]
	v_fma_f64 v[3:4], v[3:4], v[122:123], v[124:125]
	buffer_store_dword v2, off, s[0:3], 0 offset:244
	buffer_store_dword v1, off, s[0:3], 0 offset:240
	;; [unrolled: 1-line block ×4, first 2 shown]
.LBB54_551:
	s_or_b32 exec_lo, exec_lo, s4
	v_mov_b32_e32 v4, s46
	s_mov_b32 s4, exec_lo
	s_clause 0x3
	buffer_load_dword v1, v4, s[0:3], 0 offen
	buffer_load_dword v2, v4, s[0:3], 0 offen offset:4
	buffer_load_dword v3, v4, s[0:3], 0 offen offset:8
	;; [unrolled: 1-line block ×3, first 2 shown]
	s_waitcnt vmcnt(0)
	ds_write_b128 v116, v[1:4]
	s_waitcnt lgkmcnt(0)
	s_waitcnt_vscnt null, 0x0
	s_barrier
	buffer_gl0_inv
	v_cmpx_gt_u32_e32 16, v0
	s_cbranch_execz .LBB54_559
; %bb.552:
	ds_read_b128 v[1:4], v116
	v_cmp_ne_u32_e32 vcc_lo, 1, v117
	s_cbranch_vccnz .LBB54_554
; %bb.553:
	s_clause 0x3
	buffer_load_dword v118, v115, s[0:3], 0 offen offset:8
	buffer_load_dword v119, v115, s[0:3], 0 offen offset:12
	buffer_load_dword v122, v115, s[0:3], 0 offen
	buffer_load_dword v123, v115, s[0:3], 0 offen offset:4
	s_waitcnt vmcnt(2) lgkmcnt(0)
	v_mul_f64 v[124:125], v[3:4], v[118:119]
	v_mul_f64 v[118:119], v[1:2], v[118:119]
	s_waitcnt vmcnt(0)
	v_fma_f64 v[1:2], v[1:2], v[122:123], -v[124:125]
	v_fma_f64 v[3:4], v[3:4], v[122:123], v[118:119]
.LBB54_554:
	s_mov_b32 s8, exec_lo
	v_cmpx_ne_u32_e32 15, v0
	s_cbranch_execz .LBB54_558
; %bb.555:
	v_add_nc_u32_e32 v118, 0x380, v121
	v_add3_u32 v119, 0, v121, 16
	v_mov_b32_e32 v120, v0
	s_mov_b32 s62, 0
	.p2align	6
.LBB54_556:                             ; =>This Inner Loop Header: Depth=1
	s_clause 0x3
	buffer_load_dword v126, v119, s[0:3], 0 offen offset:8
	buffer_load_dword v127, v119, s[0:3], 0 offen offset:12
	buffer_load_dword v128, v119, s[0:3], 0 offen
	buffer_load_dword v129, v119, s[0:3], 0 offen offset:4
	ds_read_b128 v[122:125], v118
	v_add_nc_u32_e32 v120, 1, v120
	v_add_nc_u32_e32 v118, 16, v118
	v_add_nc_u32_e32 v119, 16, v119
	v_cmp_lt_u32_e32 vcc_lo, 14, v120
	s_or_b32 s62, vcc_lo, s62
	s_waitcnt vmcnt(2) lgkmcnt(0)
	v_mul_f64 v[130:131], v[124:125], v[126:127]
	v_mul_f64 v[126:127], v[122:123], v[126:127]
	s_waitcnt vmcnt(0)
	v_fma_f64 v[122:123], v[122:123], v[128:129], -v[130:131]
	v_fma_f64 v[124:125], v[124:125], v[128:129], v[126:127]
	v_add_f64 v[1:2], v[1:2], v[122:123]
	v_add_f64 v[3:4], v[3:4], v[124:125]
	s_andn2_b32 exec_lo, exec_lo, s62
	s_cbranch_execnz .LBB54_556
; %bb.557:
	s_or_b32 exec_lo, exec_lo, s62
.LBB54_558:
	s_or_b32 exec_lo, exec_lo, s8
	v_mov_b32_e32 v118, 0
	ds_read_b128 v[122:125], v118 offset:256
	s_waitcnt lgkmcnt(0)
	v_mul_f64 v[118:119], v[3:4], v[124:125]
	v_mul_f64 v[124:125], v[1:2], v[124:125]
	v_fma_f64 v[1:2], v[1:2], v[122:123], -v[118:119]
	v_fma_f64 v[3:4], v[3:4], v[122:123], v[124:125]
	buffer_store_dword v2, off, s[0:3], 0 offset:260
	buffer_store_dword v1, off, s[0:3], 0 offset:256
	;; [unrolled: 1-line block ×4, first 2 shown]
.LBB54_559:
	s_or_b32 exec_lo, exec_lo, s4
	v_mov_b32_e32 v4, s45
	s_mov_b32 s4, exec_lo
	s_clause 0x3
	buffer_load_dword v1, v4, s[0:3], 0 offen
	buffer_load_dword v2, v4, s[0:3], 0 offen offset:4
	buffer_load_dword v3, v4, s[0:3], 0 offen offset:8
	;; [unrolled: 1-line block ×3, first 2 shown]
	s_waitcnt vmcnt(0)
	ds_write_b128 v116, v[1:4]
	s_waitcnt lgkmcnt(0)
	s_waitcnt_vscnt null, 0x0
	s_barrier
	buffer_gl0_inv
	v_cmpx_gt_u32_e32 17, v0
	s_cbranch_execz .LBB54_567
; %bb.560:
	ds_read_b128 v[1:4], v116
	v_cmp_ne_u32_e32 vcc_lo, 1, v117
	s_cbranch_vccnz .LBB54_562
; %bb.561:
	s_clause 0x3
	buffer_load_dword v118, v115, s[0:3], 0 offen offset:8
	buffer_load_dword v119, v115, s[0:3], 0 offen offset:12
	buffer_load_dword v122, v115, s[0:3], 0 offen
	buffer_load_dword v123, v115, s[0:3], 0 offen offset:4
	s_waitcnt vmcnt(2) lgkmcnt(0)
	v_mul_f64 v[124:125], v[3:4], v[118:119]
	v_mul_f64 v[118:119], v[1:2], v[118:119]
	s_waitcnt vmcnt(0)
	v_fma_f64 v[1:2], v[1:2], v[122:123], -v[124:125]
	v_fma_f64 v[3:4], v[3:4], v[122:123], v[118:119]
.LBB54_562:
	s_mov_b32 s8, exec_lo
	v_cmpx_ne_u32_e32 16, v0
	s_cbranch_execz .LBB54_566
; %bb.563:
	v_add_nc_u32_e32 v118, 0x380, v121
	v_add3_u32 v119, 0, v121, 16
	v_mov_b32_e32 v120, v0
	s_mov_b32 s62, 0
	.p2align	6
.LBB54_564:                             ; =>This Inner Loop Header: Depth=1
	s_clause 0x3
	buffer_load_dword v126, v119, s[0:3], 0 offen offset:8
	buffer_load_dword v127, v119, s[0:3], 0 offen offset:12
	buffer_load_dword v128, v119, s[0:3], 0 offen
	buffer_load_dword v129, v119, s[0:3], 0 offen offset:4
	ds_read_b128 v[122:125], v118
	v_add_nc_u32_e32 v120, 1, v120
	v_add_nc_u32_e32 v118, 16, v118
	;; [unrolled: 1-line block ×3, first 2 shown]
	v_cmp_lt_u32_e32 vcc_lo, 15, v120
	s_or_b32 s62, vcc_lo, s62
	s_waitcnt vmcnt(2) lgkmcnt(0)
	v_mul_f64 v[130:131], v[124:125], v[126:127]
	v_mul_f64 v[126:127], v[122:123], v[126:127]
	s_waitcnt vmcnt(0)
	v_fma_f64 v[122:123], v[122:123], v[128:129], -v[130:131]
	v_fma_f64 v[124:125], v[124:125], v[128:129], v[126:127]
	v_add_f64 v[1:2], v[1:2], v[122:123]
	v_add_f64 v[3:4], v[3:4], v[124:125]
	s_andn2_b32 exec_lo, exec_lo, s62
	s_cbranch_execnz .LBB54_564
; %bb.565:
	s_or_b32 exec_lo, exec_lo, s62
.LBB54_566:
	s_or_b32 exec_lo, exec_lo, s8
	v_mov_b32_e32 v118, 0
	ds_read_b128 v[122:125], v118 offset:272
	s_waitcnt lgkmcnt(0)
	v_mul_f64 v[118:119], v[3:4], v[124:125]
	v_mul_f64 v[124:125], v[1:2], v[124:125]
	v_fma_f64 v[1:2], v[1:2], v[122:123], -v[118:119]
	v_fma_f64 v[3:4], v[3:4], v[122:123], v[124:125]
	buffer_store_dword v2, off, s[0:3], 0 offset:276
	buffer_store_dword v1, off, s[0:3], 0 offset:272
	buffer_store_dword v4, off, s[0:3], 0 offset:284
	buffer_store_dword v3, off, s[0:3], 0 offset:280
.LBB54_567:
	s_or_b32 exec_lo, exec_lo, s4
	v_mov_b32_e32 v4, s44
	s_mov_b32 s4, exec_lo
	s_clause 0x3
	buffer_load_dword v1, v4, s[0:3], 0 offen
	buffer_load_dword v2, v4, s[0:3], 0 offen offset:4
	buffer_load_dword v3, v4, s[0:3], 0 offen offset:8
	;; [unrolled: 1-line block ×3, first 2 shown]
	s_waitcnt vmcnt(0)
	ds_write_b128 v116, v[1:4]
	s_waitcnt lgkmcnt(0)
	s_waitcnt_vscnt null, 0x0
	s_barrier
	buffer_gl0_inv
	v_cmpx_gt_u32_e32 18, v0
	s_cbranch_execz .LBB54_575
; %bb.568:
	ds_read_b128 v[1:4], v116
	v_cmp_ne_u32_e32 vcc_lo, 1, v117
	s_cbranch_vccnz .LBB54_570
; %bb.569:
	s_clause 0x3
	buffer_load_dword v118, v115, s[0:3], 0 offen offset:8
	buffer_load_dword v119, v115, s[0:3], 0 offen offset:12
	buffer_load_dword v122, v115, s[0:3], 0 offen
	buffer_load_dword v123, v115, s[0:3], 0 offen offset:4
	s_waitcnt vmcnt(2) lgkmcnt(0)
	v_mul_f64 v[124:125], v[3:4], v[118:119]
	v_mul_f64 v[118:119], v[1:2], v[118:119]
	s_waitcnt vmcnt(0)
	v_fma_f64 v[1:2], v[1:2], v[122:123], -v[124:125]
	v_fma_f64 v[3:4], v[3:4], v[122:123], v[118:119]
.LBB54_570:
	s_mov_b32 s8, exec_lo
	v_cmpx_ne_u32_e32 17, v0
	s_cbranch_execz .LBB54_574
; %bb.571:
	v_add_nc_u32_e32 v118, 0x380, v121
	v_add3_u32 v119, 0, v121, 16
	v_mov_b32_e32 v120, v0
	s_mov_b32 s62, 0
	.p2align	6
.LBB54_572:                             ; =>This Inner Loop Header: Depth=1
	s_clause 0x3
	buffer_load_dword v126, v119, s[0:3], 0 offen offset:8
	buffer_load_dword v127, v119, s[0:3], 0 offen offset:12
	buffer_load_dword v128, v119, s[0:3], 0 offen
	buffer_load_dword v129, v119, s[0:3], 0 offen offset:4
	ds_read_b128 v[122:125], v118
	v_add_nc_u32_e32 v120, 1, v120
	v_add_nc_u32_e32 v118, 16, v118
	;; [unrolled: 1-line block ×3, first 2 shown]
	v_cmp_lt_u32_e32 vcc_lo, 16, v120
	s_or_b32 s62, vcc_lo, s62
	s_waitcnt vmcnt(2) lgkmcnt(0)
	v_mul_f64 v[130:131], v[124:125], v[126:127]
	v_mul_f64 v[126:127], v[122:123], v[126:127]
	s_waitcnt vmcnt(0)
	v_fma_f64 v[122:123], v[122:123], v[128:129], -v[130:131]
	v_fma_f64 v[124:125], v[124:125], v[128:129], v[126:127]
	v_add_f64 v[1:2], v[1:2], v[122:123]
	v_add_f64 v[3:4], v[3:4], v[124:125]
	s_andn2_b32 exec_lo, exec_lo, s62
	s_cbranch_execnz .LBB54_572
; %bb.573:
	s_or_b32 exec_lo, exec_lo, s62
.LBB54_574:
	s_or_b32 exec_lo, exec_lo, s8
	v_mov_b32_e32 v118, 0
	ds_read_b128 v[122:125], v118 offset:288
	s_waitcnt lgkmcnt(0)
	v_mul_f64 v[118:119], v[3:4], v[124:125]
	v_mul_f64 v[124:125], v[1:2], v[124:125]
	v_fma_f64 v[1:2], v[1:2], v[122:123], -v[118:119]
	v_fma_f64 v[3:4], v[3:4], v[122:123], v[124:125]
	buffer_store_dword v2, off, s[0:3], 0 offset:292
	buffer_store_dword v1, off, s[0:3], 0 offset:288
	;; [unrolled: 1-line block ×4, first 2 shown]
.LBB54_575:
	s_or_b32 exec_lo, exec_lo, s4
	v_mov_b32_e32 v4, s43
	s_mov_b32 s4, exec_lo
	s_clause 0x3
	buffer_load_dword v1, v4, s[0:3], 0 offen
	buffer_load_dword v2, v4, s[0:3], 0 offen offset:4
	buffer_load_dword v3, v4, s[0:3], 0 offen offset:8
	;; [unrolled: 1-line block ×3, first 2 shown]
	s_waitcnt vmcnt(0)
	ds_write_b128 v116, v[1:4]
	s_waitcnt lgkmcnt(0)
	s_waitcnt_vscnt null, 0x0
	s_barrier
	buffer_gl0_inv
	v_cmpx_gt_u32_e32 19, v0
	s_cbranch_execz .LBB54_583
; %bb.576:
	ds_read_b128 v[1:4], v116
	v_cmp_ne_u32_e32 vcc_lo, 1, v117
	s_cbranch_vccnz .LBB54_578
; %bb.577:
	s_clause 0x3
	buffer_load_dword v118, v115, s[0:3], 0 offen offset:8
	buffer_load_dword v119, v115, s[0:3], 0 offen offset:12
	buffer_load_dword v122, v115, s[0:3], 0 offen
	buffer_load_dword v123, v115, s[0:3], 0 offen offset:4
	s_waitcnt vmcnt(2) lgkmcnt(0)
	v_mul_f64 v[124:125], v[3:4], v[118:119]
	v_mul_f64 v[118:119], v[1:2], v[118:119]
	s_waitcnt vmcnt(0)
	v_fma_f64 v[1:2], v[1:2], v[122:123], -v[124:125]
	v_fma_f64 v[3:4], v[3:4], v[122:123], v[118:119]
.LBB54_578:
	s_mov_b32 s8, exec_lo
	v_cmpx_ne_u32_e32 18, v0
	s_cbranch_execz .LBB54_582
; %bb.579:
	v_add_nc_u32_e32 v118, 0x380, v121
	v_add3_u32 v119, 0, v121, 16
	v_mov_b32_e32 v120, v0
	s_mov_b32 s62, 0
	.p2align	6
.LBB54_580:                             ; =>This Inner Loop Header: Depth=1
	s_clause 0x3
	buffer_load_dword v126, v119, s[0:3], 0 offen offset:8
	buffer_load_dword v127, v119, s[0:3], 0 offen offset:12
	buffer_load_dword v128, v119, s[0:3], 0 offen
	buffer_load_dword v129, v119, s[0:3], 0 offen offset:4
	ds_read_b128 v[122:125], v118
	v_add_nc_u32_e32 v120, 1, v120
	v_add_nc_u32_e32 v118, 16, v118
	v_add_nc_u32_e32 v119, 16, v119
	v_cmp_lt_u32_e32 vcc_lo, 17, v120
	s_or_b32 s62, vcc_lo, s62
	s_waitcnt vmcnt(2) lgkmcnt(0)
	v_mul_f64 v[130:131], v[124:125], v[126:127]
	v_mul_f64 v[126:127], v[122:123], v[126:127]
	s_waitcnt vmcnt(0)
	v_fma_f64 v[122:123], v[122:123], v[128:129], -v[130:131]
	v_fma_f64 v[124:125], v[124:125], v[128:129], v[126:127]
	v_add_f64 v[1:2], v[1:2], v[122:123]
	v_add_f64 v[3:4], v[3:4], v[124:125]
	s_andn2_b32 exec_lo, exec_lo, s62
	s_cbranch_execnz .LBB54_580
; %bb.581:
	s_or_b32 exec_lo, exec_lo, s62
.LBB54_582:
	s_or_b32 exec_lo, exec_lo, s8
	v_mov_b32_e32 v118, 0
	ds_read_b128 v[122:125], v118 offset:304
	s_waitcnt lgkmcnt(0)
	v_mul_f64 v[118:119], v[3:4], v[124:125]
	v_mul_f64 v[124:125], v[1:2], v[124:125]
	v_fma_f64 v[1:2], v[1:2], v[122:123], -v[118:119]
	v_fma_f64 v[3:4], v[3:4], v[122:123], v[124:125]
	buffer_store_dword v2, off, s[0:3], 0 offset:308
	buffer_store_dword v1, off, s[0:3], 0 offset:304
	;; [unrolled: 1-line block ×4, first 2 shown]
.LBB54_583:
	s_or_b32 exec_lo, exec_lo, s4
	v_mov_b32_e32 v4, s42
	s_mov_b32 s4, exec_lo
	s_clause 0x3
	buffer_load_dword v1, v4, s[0:3], 0 offen
	buffer_load_dword v2, v4, s[0:3], 0 offen offset:4
	buffer_load_dword v3, v4, s[0:3], 0 offen offset:8
	buffer_load_dword v4, v4, s[0:3], 0 offen offset:12
	s_waitcnt vmcnt(0)
	ds_write_b128 v116, v[1:4]
	s_waitcnt lgkmcnt(0)
	s_waitcnt_vscnt null, 0x0
	s_barrier
	buffer_gl0_inv
	v_cmpx_gt_u32_e32 20, v0
	s_cbranch_execz .LBB54_591
; %bb.584:
	ds_read_b128 v[1:4], v116
	v_cmp_ne_u32_e32 vcc_lo, 1, v117
	s_cbranch_vccnz .LBB54_586
; %bb.585:
	s_clause 0x3
	buffer_load_dword v118, v115, s[0:3], 0 offen offset:8
	buffer_load_dword v119, v115, s[0:3], 0 offen offset:12
	buffer_load_dword v122, v115, s[0:3], 0 offen
	buffer_load_dword v123, v115, s[0:3], 0 offen offset:4
	s_waitcnt vmcnt(2) lgkmcnt(0)
	v_mul_f64 v[124:125], v[3:4], v[118:119]
	v_mul_f64 v[118:119], v[1:2], v[118:119]
	s_waitcnt vmcnt(0)
	v_fma_f64 v[1:2], v[1:2], v[122:123], -v[124:125]
	v_fma_f64 v[3:4], v[3:4], v[122:123], v[118:119]
.LBB54_586:
	s_mov_b32 s8, exec_lo
	v_cmpx_ne_u32_e32 19, v0
	s_cbranch_execz .LBB54_590
; %bb.587:
	v_add_nc_u32_e32 v118, 0x380, v121
	v_add3_u32 v119, 0, v121, 16
	v_mov_b32_e32 v120, v0
	s_mov_b32 s62, 0
	.p2align	6
.LBB54_588:                             ; =>This Inner Loop Header: Depth=1
	s_clause 0x3
	buffer_load_dword v126, v119, s[0:3], 0 offen offset:8
	buffer_load_dword v127, v119, s[0:3], 0 offen offset:12
	buffer_load_dword v128, v119, s[0:3], 0 offen
	buffer_load_dword v129, v119, s[0:3], 0 offen offset:4
	ds_read_b128 v[122:125], v118
	v_add_nc_u32_e32 v120, 1, v120
	v_add_nc_u32_e32 v118, 16, v118
	;; [unrolled: 1-line block ×3, first 2 shown]
	v_cmp_lt_u32_e32 vcc_lo, 18, v120
	s_or_b32 s62, vcc_lo, s62
	s_waitcnt vmcnt(2) lgkmcnt(0)
	v_mul_f64 v[130:131], v[124:125], v[126:127]
	v_mul_f64 v[126:127], v[122:123], v[126:127]
	s_waitcnt vmcnt(0)
	v_fma_f64 v[122:123], v[122:123], v[128:129], -v[130:131]
	v_fma_f64 v[124:125], v[124:125], v[128:129], v[126:127]
	v_add_f64 v[1:2], v[1:2], v[122:123]
	v_add_f64 v[3:4], v[3:4], v[124:125]
	s_andn2_b32 exec_lo, exec_lo, s62
	s_cbranch_execnz .LBB54_588
; %bb.589:
	s_or_b32 exec_lo, exec_lo, s62
.LBB54_590:
	s_or_b32 exec_lo, exec_lo, s8
	v_mov_b32_e32 v118, 0
	ds_read_b128 v[122:125], v118 offset:320
	s_waitcnt lgkmcnt(0)
	v_mul_f64 v[118:119], v[3:4], v[124:125]
	v_mul_f64 v[124:125], v[1:2], v[124:125]
	v_fma_f64 v[1:2], v[1:2], v[122:123], -v[118:119]
	v_fma_f64 v[3:4], v[3:4], v[122:123], v[124:125]
	buffer_store_dword v2, off, s[0:3], 0 offset:324
	buffer_store_dword v1, off, s[0:3], 0 offset:320
	;; [unrolled: 1-line block ×4, first 2 shown]
.LBB54_591:
	s_or_b32 exec_lo, exec_lo, s4
	v_mov_b32_e32 v4, s41
	s_mov_b32 s4, exec_lo
	s_clause 0x3
	buffer_load_dword v1, v4, s[0:3], 0 offen
	buffer_load_dword v2, v4, s[0:3], 0 offen offset:4
	buffer_load_dword v3, v4, s[0:3], 0 offen offset:8
	;; [unrolled: 1-line block ×3, first 2 shown]
	s_waitcnt vmcnt(0)
	ds_write_b128 v116, v[1:4]
	s_waitcnt lgkmcnt(0)
	s_waitcnt_vscnt null, 0x0
	s_barrier
	buffer_gl0_inv
	v_cmpx_gt_u32_e32 21, v0
	s_cbranch_execz .LBB54_599
; %bb.592:
	ds_read_b128 v[1:4], v116
	v_cmp_ne_u32_e32 vcc_lo, 1, v117
	s_cbranch_vccnz .LBB54_594
; %bb.593:
	s_clause 0x3
	buffer_load_dword v118, v115, s[0:3], 0 offen offset:8
	buffer_load_dword v119, v115, s[0:3], 0 offen offset:12
	buffer_load_dword v122, v115, s[0:3], 0 offen
	buffer_load_dword v123, v115, s[0:3], 0 offen offset:4
	s_waitcnt vmcnt(2) lgkmcnt(0)
	v_mul_f64 v[124:125], v[3:4], v[118:119]
	v_mul_f64 v[118:119], v[1:2], v[118:119]
	s_waitcnt vmcnt(0)
	v_fma_f64 v[1:2], v[1:2], v[122:123], -v[124:125]
	v_fma_f64 v[3:4], v[3:4], v[122:123], v[118:119]
.LBB54_594:
	s_mov_b32 s8, exec_lo
	v_cmpx_ne_u32_e32 20, v0
	s_cbranch_execz .LBB54_598
; %bb.595:
	v_add_nc_u32_e32 v118, 0x380, v121
	v_add3_u32 v119, 0, v121, 16
	v_mov_b32_e32 v120, v0
	s_mov_b32 s62, 0
	.p2align	6
.LBB54_596:                             ; =>This Inner Loop Header: Depth=1
	s_clause 0x3
	buffer_load_dword v126, v119, s[0:3], 0 offen offset:8
	buffer_load_dword v127, v119, s[0:3], 0 offen offset:12
	buffer_load_dword v128, v119, s[0:3], 0 offen
	buffer_load_dword v129, v119, s[0:3], 0 offen offset:4
	ds_read_b128 v[122:125], v118
	v_add_nc_u32_e32 v120, 1, v120
	v_add_nc_u32_e32 v118, 16, v118
	;; [unrolled: 1-line block ×3, first 2 shown]
	v_cmp_lt_u32_e32 vcc_lo, 19, v120
	s_or_b32 s62, vcc_lo, s62
	s_waitcnt vmcnt(2) lgkmcnt(0)
	v_mul_f64 v[130:131], v[124:125], v[126:127]
	v_mul_f64 v[126:127], v[122:123], v[126:127]
	s_waitcnt vmcnt(0)
	v_fma_f64 v[122:123], v[122:123], v[128:129], -v[130:131]
	v_fma_f64 v[124:125], v[124:125], v[128:129], v[126:127]
	v_add_f64 v[1:2], v[1:2], v[122:123]
	v_add_f64 v[3:4], v[3:4], v[124:125]
	s_andn2_b32 exec_lo, exec_lo, s62
	s_cbranch_execnz .LBB54_596
; %bb.597:
	s_or_b32 exec_lo, exec_lo, s62
.LBB54_598:
	s_or_b32 exec_lo, exec_lo, s8
	v_mov_b32_e32 v118, 0
	ds_read_b128 v[122:125], v118 offset:336
	s_waitcnt lgkmcnt(0)
	v_mul_f64 v[118:119], v[3:4], v[124:125]
	v_mul_f64 v[124:125], v[1:2], v[124:125]
	v_fma_f64 v[1:2], v[1:2], v[122:123], -v[118:119]
	v_fma_f64 v[3:4], v[3:4], v[122:123], v[124:125]
	buffer_store_dword v2, off, s[0:3], 0 offset:340
	buffer_store_dword v1, off, s[0:3], 0 offset:336
	buffer_store_dword v4, off, s[0:3], 0 offset:348
	buffer_store_dword v3, off, s[0:3], 0 offset:344
.LBB54_599:
	s_or_b32 exec_lo, exec_lo, s4
	v_mov_b32_e32 v4, s40
	s_mov_b32 s4, exec_lo
	s_clause 0x3
	buffer_load_dword v1, v4, s[0:3], 0 offen
	buffer_load_dword v2, v4, s[0:3], 0 offen offset:4
	buffer_load_dword v3, v4, s[0:3], 0 offen offset:8
	;; [unrolled: 1-line block ×3, first 2 shown]
	s_waitcnt vmcnt(0)
	ds_write_b128 v116, v[1:4]
	s_waitcnt lgkmcnt(0)
	s_waitcnt_vscnt null, 0x0
	s_barrier
	buffer_gl0_inv
	v_cmpx_gt_u32_e32 22, v0
	s_cbranch_execz .LBB54_607
; %bb.600:
	ds_read_b128 v[1:4], v116
	v_cmp_ne_u32_e32 vcc_lo, 1, v117
	s_cbranch_vccnz .LBB54_602
; %bb.601:
	s_clause 0x3
	buffer_load_dword v118, v115, s[0:3], 0 offen offset:8
	buffer_load_dword v119, v115, s[0:3], 0 offen offset:12
	buffer_load_dword v122, v115, s[0:3], 0 offen
	buffer_load_dword v123, v115, s[0:3], 0 offen offset:4
	s_waitcnt vmcnt(2) lgkmcnt(0)
	v_mul_f64 v[124:125], v[3:4], v[118:119]
	v_mul_f64 v[118:119], v[1:2], v[118:119]
	s_waitcnt vmcnt(0)
	v_fma_f64 v[1:2], v[1:2], v[122:123], -v[124:125]
	v_fma_f64 v[3:4], v[3:4], v[122:123], v[118:119]
.LBB54_602:
	s_mov_b32 s8, exec_lo
	v_cmpx_ne_u32_e32 21, v0
	s_cbranch_execz .LBB54_606
; %bb.603:
	v_add_nc_u32_e32 v118, 0x380, v121
	v_add3_u32 v119, 0, v121, 16
	v_mov_b32_e32 v120, v0
	s_mov_b32 s62, 0
	.p2align	6
.LBB54_604:                             ; =>This Inner Loop Header: Depth=1
	s_clause 0x3
	buffer_load_dword v126, v119, s[0:3], 0 offen offset:8
	buffer_load_dword v127, v119, s[0:3], 0 offen offset:12
	buffer_load_dword v128, v119, s[0:3], 0 offen
	buffer_load_dword v129, v119, s[0:3], 0 offen offset:4
	ds_read_b128 v[122:125], v118
	v_add_nc_u32_e32 v120, 1, v120
	v_add_nc_u32_e32 v118, 16, v118
	;; [unrolled: 1-line block ×3, first 2 shown]
	v_cmp_lt_u32_e32 vcc_lo, 20, v120
	s_or_b32 s62, vcc_lo, s62
	s_waitcnt vmcnt(2) lgkmcnt(0)
	v_mul_f64 v[130:131], v[124:125], v[126:127]
	v_mul_f64 v[126:127], v[122:123], v[126:127]
	s_waitcnt vmcnt(0)
	v_fma_f64 v[122:123], v[122:123], v[128:129], -v[130:131]
	v_fma_f64 v[124:125], v[124:125], v[128:129], v[126:127]
	v_add_f64 v[1:2], v[1:2], v[122:123]
	v_add_f64 v[3:4], v[3:4], v[124:125]
	s_andn2_b32 exec_lo, exec_lo, s62
	s_cbranch_execnz .LBB54_604
; %bb.605:
	s_or_b32 exec_lo, exec_lo, s62
.LBB54_606:
	s_or_b32 exec_lo, exec_lo, s8
	v_mov_b32_e32 v118, 0
	ds_read_b128 v[122:125], v118 offset:352
	s_waitcnt lgkmcnt(0)
	v_mul_f64 v[118:119], v[3:4], v[124:125]
	v_mul_f64 v[124:125], v[1:2], v[124:125]
	v_fma_f64 v[1:2], v[1:2], v[122:123], -v[118:119]
	v_fma_f64 v[3:4], v[3:4], v[122:123], v[124:125]
	buffer_store_dword v2, off, s[0:3], 0 offset:356
	buffer_store_dword v1, off, s[0:3], 0 offset:352
	;; [unrolled: 1-line block ×4, first 2 shown]
.LBB54_607:
	s_or_b32 exec_lo, exec_lo, s4
	v_mov_b32_e32 v4, s39
	s_mov_b32 s4, exec_lo
	s_clause 0x3
	buffer_load_dword v1, v4, s[0:3], 0 offen
	buffer_load_dword v2, v4, s[0:3], 0 offen offset:4
	buffer_load_dword v3, v4, s[0:3], 0 offen offset:8
	;; [unrolled: 1-line block ×3, first 2 shown]
	s_waitcnt vmcnt(0)
	ds_write_b128 v116, v[1:4]
	s_waitcnt lgkmcnt(0)
	s_waitcnt_vscnt null, 0x0
	s_barrier
	buffer_gl0_inv
	v_cmpx_gt_u32_e32 23, v0
	s_cbranch_execz .LBB54_615
; %bb.608:
	ds_read_b128 v[1:4], v116
	v_cmp_ne_u32_e32 vcc_lo, 1, v117
	s_cbranch_vccnz .LBB54_610
; %bb.609:
	s_clause 0x3
	buffer_load_dword v118, v115, s[0:3], 0 offen offset:8
	buffer_load_dword v119, v115, s[0:3], 0 offen offset:12
	buffer_load_dword v122, v115, s[0:3], 0 offen
	buffer_load_dword v123, v115, s[0:3], 0 offen offset:4
	s_waitcnt vmcnt(2) lgkmcnt(0)
	v_mul_f64 v[124:125], v[3:4], v[118:119]
	v_mul_f64 v[118:119], v[1:2], v[118:119]
	s_waitcnt vmcnt(0)
	v_fma_f64 v[1:2], v[1:2], v[122:123], -v[124:125]
	v_fma_f64 v[3:4], v[3:4], v[122:123], v[118:119]
.LBB54_610:
	s_mov_b32 s8, exec_lo
	v_cmpx_ne_u32_e32 22, v0
	s_cbranch_execz .LBB54_614
; %bb.611:
	v_add_nc_u32_e32 v118, 0x380, v121
	v_add3_u32 v119, 0, v121, 16
	v_mov_b32_e32 v120, v0
	s_mov_b32 s62, 0
	.p2align	6
.LBB54_612:                             ; =>This Inner Loop Header: Depth=1
	s_clause 0x3
	buffer_load_dword v126, v119, s[0:3], 0 offen offset:8
	buffer_load_dword v127, v119, s[0:3], 0 offen offset:12
	buffer_load_dword v128, v119, s[0:3], 0 offen
	buffer_load_dword v129, v119, s[0:3], 0 offen offset:4
	ds_read_b128 v[122:125], v118
	v_add_nc_u32_e32 v120, 1, v120
	v_add_nc_u32_e32 v118, 16, v118
	;; [unrolled: 1-line block ×3, first 2 shown]
	v_cmp_lt_u32_e32 vcc_lo, 21, v120
	s_or_b32 s62, vcc_lo, s62
	s_waitcnt vmcnt(2) lgkmcnt(0)
	v_mul_f64 v[130:131], v[124:125], v[126:127]
	v_mul_f64 v[126:127], v[122:123], v[126:127]
	s_waitcnt vmcnt(0)
	v_fma_f64 v[122:123], v[122:123], v[128:129], -v[130:131]
	v_fma_f64 v[124:125], v[124:125], v[128:129], v[126:127]
	v_add_f64 v[1:2], v[1:2], v[122:123]
	v_add_f64 v[3:4], v[3:4], v[124:125]
	s_andn2_b32 exec_lo, exec_lo, s62
	s_cbranch_execnz .LBB54_612
; %bb.613:
	s_or_b32 exec_lo, exec_lo, s62
.LBB54_614:
	s_or_b32 exec_lo, exec_lo, s8
	v_mov_b32_e32 v118, 0
	ds_read_b128 v[122:125], v118 offset:368
	s_waitcnt lgkmcnt(0)
	v_mul_f64 v[118:119], v[3:4], v[124:125]
	v_mul_f64 v[124:125], v[1:2], v[124:125]
	v_fma_f64 v[1:2], v[1:2], v[122:123], -v[118:119]
	v_fma_f64 v[3:4], v[3:4], v[122:123], v[124:125]
	buffer_store_dword v2, off, s[0:3], 0 offset:372
	buffer_store_dword v1, off, s[0:3], 0 offset:368
	;; [unrolled: 1-line block ×4, first 2 shown]
.LBB54_615:
	s_or_b32 exec_lo, exec_lo, s4
	v_mov_b32_e32 v4, s38
	s_mov_b32 s4, exec_lo
	s_clause 0x3
	buffer_load_dword v1, v4, s[0:3], 0 offen
	buffer_load_dword v2, v4, s[0:3], 0 offen offset:4
	buffer_load_dword v3, v4, s[0:3], 0 offen offset:8
	;; [unrolled: 1-line block ×3, first 2 shown]
	s_waitcnt vmcnt(0)
	ds_write_b128 v116, v[1:4]
	s_waitcnt lgkmcnt(0)
	s_waitcnt_vscnt null, 0x0
	s_barrier
	buffer_gl0_inv
	v_cmpx_gt_u32_e32 24, v0
	s_cbranch_execz .LBB54_623
; %bb.616:
	ds_read_b128 v[1:4], v116
	v_cmp_ne_u32_e32 vcc_lo, 1, v117
	s_cbranch_vccnz .LBB54_618
; %bb.617:
	s_clause 0x3
	buffer_load_dword v118, v115, s[0:3], 0 offen offset:8
	buffer_load_dword v119, v115, s[0:3], 0 offen offset:12
	buffer_load_dword v122, v115, s[0:3], 0 offen
	buffer_load_dword v123, v115, s[0:3], 0 offen offset:4
	s_waitcnt vmcnt(2) lgkmcnt(0)
	v_mul_f64 v[124:125], v[3:4], v[118:119]
	v_mul_f64 v[118:119], v[1:2], v[118:119]
	s_waitcnt vmcnt(0)
	v_fma_f64 v[1:2], v[1:2], v[122:123], -v[124:125]
	v_fma_f64 v[3:4], v[3:4], v[122:123], v[118:119]
.LBB54_618:
	s_mov_b32 s8, exec_lo
	v_cmpx_ne_u32_e32 23, v0
	s_cbranch_execz .LBB54_622
; %bb.619:
	v_add_nc_u32_e32 v118, 0x380, v121
	v_add3_u32 v119, 0, v121, 16
	v_mov_b32_e32 v120, v0
	s_mov_b32 s62, 0
	.p2align	6
.LBB54_620:                             ; =>This Inner Loop Header: Depth=1
	s_clause 0x3
	buffer_load_dword v126, v119, s[0:3], 0 offen offset:8
	buffer_load_dword v127, v119, s[0:3], 0 offen offset:12
	buffer_load_dword v128, v119, s[0:3], 0 offen
	buffer_load_dword v129, v119, s[0:3], 0 offen offset:4
	ds_read_b128 v[122:125], v118
	v_add_nc_u32_e32 v120, 1, v120
	v_add_nc_u32_e32 v118, 16, v118
	;; [unrolled: 1-line block ×3, first 2 shown]
	v_cmp_lt_u32_e32 vcc_lo, 22, v120
	s_or_b32 s62, vcc_lo, s62
	s_waitcnt vmcnt(2) lgkmcnt(0)
	v_mul_f64 v[130:131], v[124:125], v[126:127]
	v_mul_f64 v[126:127], v[122:123], v[126:127]
	s_waitcnt vmcnt(0)
	v_fma_f64 v[122:123], v[122:123], v[128:129], -v[130:131]
	v_fma_f64 v[124:125], v[124:125], v[128:129], v[126:127]
	v_add_f64 v[1:2], v[1:2], v[122:123]
	v_add_f64 v[3:4], v[3:4], v[124:125]
	s_andn2_b32 exec_lo, exec_lo, s62
	s_cbranch_execnz .LBB54_620
; %bb.621:
	s_or_b32 exec_lo, exec_lo, s62
.LBB54_622:
	s_or_b32 exec_lo, exec_lo, s8
	v_mov_b32_e32 v118, 0
	ds_read_b128 v[122:125], v118 offset:384
	s_waitcnt lgkmcnt(0)
	v_mul_f64 v[118:119], v[3:4], v[124:125]
	v_mul_f64 v[124:125], v[1:2], v[124:125]
	v_fma_f64 v[1:2], v[1:2], v[122:123], -v[118:119]
	v_fma_f64 v[3:4], v[3:4], v[122:123], v[124:125]
	buffer_store_dword v2, off, s[0:3], 0 offset:388
	buffer_store_dword v1, off, s[0:3], 0 offset:384
	;; [unrolled: 1-line block ×4, first 2 shown]
.LBB54_623:
	s_or_b32 exec_lo, exec_lo, s4
	v_mov_b32_e32 v4, s37
	s_mov_b32 s4, exec_lo
	s_clause 0x3
	buffer_load_dword v1, v4, s[0:3], 0 offen
	buffer_load_dword v2, v4, s[0:3], 0 offen offset:4
	buffer_load_dword v3, v4, s[0:3], 0 offen offset:8
	;; [unrolled: 1-line block ×3, first 2 shown]
	s_waitcnt vmcnt(0)
	ds_write_b128 v116, v[1:4]
	s_waitcnt lgkmcnt(0)
	s_waitcnt_vscnt null, 0x0
	s_barrier
	buffer_gl0_inv
	v_cmpx_gt_u32_e32 25, v0
	s_cbranch_execz .LBB54_631
; %bb.624:
	ds_read_b128 v[1:4], v116
	v_cmp_ne_u32_e32 vcc_lo, 1, v117
	s_cbranch_vccnz .LBB54_626
; %bb.625:
	s_clause 0x3
	buffer_load_dword v118, v115, s[0:3], 0 offen offset:8
	buffer_load_dword v119, v115, s[0:3], 0 offen offset:12
	buffer_load_dword v122, v115, s[0:3], 0 offen
	buffer_load_dword v123, v115, s[0:3], 0 offen offset:4
	s_waitcnt vmcnt(2) lgkmcnt(0)
	v_mul_f64 v[124:125], v[3:4], v[118:119]
	v_mul_f64 v[118:119], v[1:2], v[118:119]
	s_waitcnt vmcnt(0)
	v_fma_f64 v[1:2], v[1:2], v[122:123], -v[124:125]
	v_fma_f64 v[3:4], v[3:4], v[122:123], v[118:119]
.LBB54_626:
	s_mov_b32 s8, exec_lo
	v_cmpx_ne_u32_e32 24, v0
	s_cbranch_execz .LBB54_630
; %bb.627:
	v_add_nc_u32_e32 v118, 0x380, v121
	v_add3_u32 v119, 0, v121, 16
	v_mov_b32_e32 v120, v0
	s_mov_b32 s62, 0
	.p2align	6
.LBB54_628:                             ; =>This Inner Loop Header: Depth=1
	s_clause 0x3
	buffer_load_dword v126, v119, s[0:3], 0 offen offset:8
	buffer_load_dword v127, v119, s[0:3], 0 offen offset:12
	buffer_load_dword v128, v119, s[0:3], 0 offen
	buffer_load_dword v129, v119, s[0:3], 0 offen offset:4
	ds_read_b128 v[122:125], v118
	v_add_nc_u32_e32 v120, 1, v120
	v_add_nc_u32_e32 v118, 16, v118
	;; [unrolled: 1-line block ×3, first 2 shown]
	v_cmp_lt_u32_e32 vcc_lo, 23, v120
	s_or_b32 s62, vcc_lo, s62
	s_waitcnt vmcnt(2) lgkmcnt(0)
	v_mul_f64 v[130:131], v[124:125], v[126:127]
	v_mul_f64 v[126:127], v[122:123], v[126:127]
	s_waitcnt vmcnt(0)
	v_fma_f64 v[122:123], v[122:123], v[128:129], -v[130:131]
	v_fma_f64 v[124:125], v[124:125], v[128:129], v[126:127]
	v_add_f64 v[1:2], v[1:2], v[122:123]
	v_add_f64 v[3:4], v[3:4], v[124:125]
	s_andn2_b32 exec_lo, exec_lo, s62
	s_cbranch_execnz .LBB54_628
; %bb.629:
	s_or_b32 exec_lo, exec_lo, s62
.LBB54_630:
	s_or_b32 exec_lo, exec_lo, s8
	v_mov_b32_e32 v118, 0
	ds_read_b128 v[122:125], v118 offset:400
	s_waitcnt lgkmcnt(0)
	v_mul_f64 v[118:119], v[3:4], v[124:125]
	v_mul_f64 v[124:125], v[1:2], v[124:125]
	v_fma_f64 v[1:2], v[1:2], v[122:123], -v[118:119]
	v_fma_f64 v[3:4], v[3:4], v[122:123], v[124:125]
	buffer_store_dword v2, off, s[0:3], 0 offset:404
	buffer_store_dword v1, off, s[0:3], 0 offset:400
	;; [unrolled: 1-line block ×4, first 2 shown]
.LBB54_631:
	s_or_b32 exec_lo, exec_lo, s4
	v_mov_b32_e32 v4, s36
	s_mov_b32 s4, exec_lo
	s_clause 0x3
	buffer_load_dword v1, v4, s[0:3], 0 offen
	buffer_load_dword v2, v4, s[0:3], 0 offen offset:4
	buffer_load_dword v3, v4, s[0:3], 0 offen offset:8
	;; [unrolled: 1-line block ×3, first 2 shown]
	s_waitcnt vmcnt(0)
	ds_write_b128 v116, v[1:4]
	s_waitcnt lgkmcnt(0)
	s_waitcnt_vscnt null, 0x0
	s_barrier
	buffer_gl0_inv
	v_cmpx_gt_u32_e32 26, v0
	s_cbranch_execz .LBB54_639
; %bb.632:
	ds_read_b128 v[1:4], v116
	v_cmp_ne_u32_e32 vcc_lo, 1, v117
	s_cbranch_vccnz .LBB54_634
; %bb.633:
	s_clause 0x3
	buffer_load_dword v118, v115, s[0:3], 0 offen offset:8
	buffer_load_dword v119, v115, s[0:3], 0 offen offset:12
	buffer_load_dword v122, v115, s[0:3], 0 offen
	buffer_load_dword v123, v115, s[0:3], 0 offen offset:4
	s_waitcnt vmcnt(2) lgkmcnt(0)
	v_mul_f64 v[124:125], v[3:4], v[118:119]
	v_mul_f64 v[118:119], v[1:2], v[118:119]
	s_waitcnt vmcnt(0)
	v_fma_f64 v[1:2], v[1:2], v[122:123], -v[124:125]
	v_fma_f64 v[3:4], v[3:4], v[122:123], v[118:119]
.LBB54_634:
	s_mov_b32 s8, exec_lo
	v_cmpx_ne_u32_e32 25, v0
	s_cbranch_execz .LBB54_638
; %bb.635:
	v_add_nc_u32_e32 v118, 0x380, v121
	v_add3_u32 v119, 0, v121, 16
	v_mov_b32_e32 v120, v0
	s_mov_b32 s62, 0
	.p2align	6
.LBB54_636:                             ; =>This Inner Loop Header: Depth=1
	s_clause 0x3
	buffer_load_dword v126, v119, s[0:3], 0 offen offset:8
	buffer_load_dword v127, v119, s[0:3], 0 offen offset:12
	buffer_load_dword v128, v119, s[0:3], 0 offen
	buffer_load_dword v129, v119, s[0:3], 0 offen offset:4
	ds_read_b128 v[122:125], v118
	v_add_nc_u32_e32 v120, 1, v120
	v_add_nc_u32_e32 v118, 16, v118
	;; [unrolled: 1-line block ×3, first 2 shown]
	v_cmp_lt_u32_e32 vcc_lo, 24, v120
	s_or_b32 s62, vcc_lo, s62
	s_waitcnt vmcnt(2) lgkmcnt(0)
	v_mul_f64 v[130:131], v[124:125], v[126:127]
	v_mul_f64 v[126:127], v[122:123], v[126:127]
	s_waitcnt vmcnt(0)
	v_fma_f64 v[122:123], v[122:123], v[128:129], -v[130:131]
	v_fma_f64 v[124:125], v[124:125], v[128:129], v[126:127]
	v_add_f64 v[1:2], v[1:2], v[122:123]
	v_add_f64 v[3:4], v[3:4], v[124:125]
	s_andn2_b32 exec_lo, exec_lo, s62
	s_cbranch_execnz .LBB54_636
; %bb.637:
	s_or_b32 exec_lo, exec_lo, s62
.LBB54_638:
	s_or_b32 exec_lo, exec_lo, s8
	v_mov_b32_e32 v118, 0
	ds_read_b128 v[122:125], v118 offset:416
	s_waitcnt lgkmcnt(0)
	v_mul_f64 v[118:119], v[3:4], v[124:125]
	v_mul_f64 v[124:125], v[1:2], v[124:125]
	v_fma_f64 v[1:2], v[1:2], v[122:123], -v[118:119]
	v_fma_f64 v[3:4], v[3:4], v[122:123], v[124:125]
	buffer_store_dword v2, off, s[0:3], 0 offset:420
	buffer_store_dword v1, off, s[0:3], 0 offset:416
	;; [unrolled: 1-line block ×4, first 2 shown]
.LBB54_639:
	s_or_b32 exec_lo, exec_lo, s4
	v_mov_b32_e32 v4, s35
	s_mov_b32 s4, exec_lo
	s_clause 0x3
	buffer_load_dword v1, v4, s[0:3], 0 offen
	buffer_load_dword v2, v4, s[0:3], 0 offen offset:4
	buffer_load_dword v3, v4, s[0:3], 0 offen offset:8
	;; [unrolled: 1-line block ×3, first 2 shown]
	s_waitcnt vmcnt(0)
	ds_write_b128 v116, v[1:4]
	s_waitcnt lgkmcnt(0)
	s_waitcnt_vscnt null, 0x0
	s_barrier
	buffer_gl0_inv
	v_cmpx_gt_u32_e32 27, v0
	s_cbranch_execz .LBB54_647
; %bb.640:
	ds_read_b128 v[1:4], v116
	v_cmp_ne_u32_e32 vcc_lo, 1, v117
	s_cbranch_vccnz .LBB54_642
; %bb.641:
	s_clause 0x3
	buffer_load_dword v118, v115, s[0:3], 0 offen offset:8
	buffer_load_dword v119, v115, s[0:3], 0 offen offset:12
	buffer_load_dword v122, v115, s[0:3], 0 offen
	buffer_load_dword v123, v115, s[0:3], 0 offen offset:4
	s_waitcnt vmcnt(2) lgkmcnt(0)
	v_mul_f64 v[124:125], v[3:4], v[118:119]
	v_mul_f64 v[118:119], v[1:2], v[118:119]
	s_waitcnt vmcnt(0)
	v_fma_f64 v[1:2], v[1:2], v[122:123], -v[124:125]
	v_fma_f64 v[3:4], v[3:4], v[122:123], v[118:119]
.LBB54_642:
	s_mov_b32 s8, exec_lo
	v_cmpx_ne_u32_e32 26, v0
	s_cbranch_execz .LBB54_646
; %bb.643:
	v_add_nc_u32_e32 v118, 0x380, v121
	v_add3_u32 v119, 0, v121, 16
	v_mov_b32_e32 v120, v0
	s_mov_b32 s62, 0
	.p2align	6
.LBB54_644:                             ; =>This Inner Loop Header: Depth=1
	s_clause 0x3
	buffer_load_dword v126, v119, s[0:3], 0 offen offset:8
	buffer_load_dword v127, v119, s[0:3], 0 offen offset:12
	buffer_load_dword v128, v119, s[0:3], 0 offen
	buffer_load_dword v129, v119, s[0:3], 0 offen offset:4
	ds_read_b128 v[122:125], v118
	v_add_nc_u32_e32 v120, 1, v120
	v_add_nc_u32_e32 v118, 16, v118
	;; [unrolled: 1-line block ×3, first 2 shown]
	v_cmp_lt_u32_e32 vcc_lo, 25, v120
	s_or_b32 s62, vcc_lo, s62
	s_waitcnt vmcnt(2) lgkmcnt(0)
	v_mul_f64 v[130:131], v[124:125], v[126:127]
	v_mul_f64 v[126:127], v[122:123], v[126:127]
	s_waitcnt vmcnt(0)
	v_fma_f64 v[122:123], v[122:123], v[128:129], -v[130:131]
	v_fma_f64 v[124:125], v[124:125], v[128:129], v[126:127]
	v_add_f64 v[1:2], v[1:2], v[122:123]
	v_add_f64 v[3:4], v[3:4], v[124:125]
	s_andn2_b32 exec_lo, exec_lo, s62
	s_cbranch_execnz .LBB54_644
; %bb.645:
	s_or_b32 exec_lo, exec_lo, s62
.LBB54_646:
	s_or_b32 exec_lo, exec_lo, s8
	v_mov_b32_e32 v118, 0
	ds_read_b128 v[122:125], v118 offset:432
	s_waitcnt lgkmcnt(0)
	v_mul_f64 v[118:119], v[3:4], v[124:125]
	v_mul_f64 v[124:125], v[1:2], v[124:125]
	v_fma_f64 v[1:2], v[1:2], v[122:123], -v[118:119]
	v_fma_f64 v[3:4], v[3:4], v[122:123], v[124:125]
	buffer_store_dword v2, off, s[0:3], 0 offset:436
	buffer_store_dword v1, off, s[0:3], 0 offset:432
	;; [unrolled: 1-line block ×4, first 2 shown]
.LBB54_647:
	s_or_b32 exec_lo, exec_lo, s4
	v_mov_b32_e32 v4, s34
	s_mov_b32 s4, exec_lo
	s_clause 0x3
	buffer_load_dword v1, v4, s[0:3], 0 offen
	buffer_load_dword v2, v4, s[0:3], 0 offen offset:4
	buffer_load_dword v3, v4, s[0:3], 0 offen offset:8
	;; [unrolled: 1-line block ×3, first 2 shown]
	s_waitcnt vmcnt(0)
	ds_write_b128 v116, v[1:4]
	s_waitcnt lgkmcnt(0)
	s_waitcnt_vscnt null, 0x0
	s_barrier
	buffer_gl0_inv
	v_cmpx_gt_u32_e32 28, v0
	s_cbranch_execz .LBB54_655
; %bb.648:
	ds_read_b128 v[1:4], v116
	v_cmp_ne_u32_e32 vcc_lo, 1, v117
	s_cbranch_vccnz .LBB54_650
; %bb.649:
	s_clause 0x3
	buffer_load_dword v118, v115, s[0:3], 0 offen offset:8
	buffer_load_dword v119, v115, s[0:3], 0 offen offset:12
	buffer_load_dword v122, v115, s[0:3], 0 offen
	buffer_load_dword v123, v115, s[0:3], 0 offen offset:4
	s_waitcnt vmcnt(2) lgkmcnt(0)
	v_mul_f64 v[124:125], v[3:4], v[118:119]
	v_mul_f64 v[118:119], v[1:2], v[118:119]
	s_waitcnt vmcnt(0)
	v_fma_f64 v[1:2], v[1:2], v[122:123], -v[124:125]
	v_fma_f64 v[3:4], v[3:4], v[122:123], v[118:119]
.LBB54_650:
	s_mov_b32 s8, exec_lo
	v_cmpx_ne_u32_e32 27, v0
	s_cbranch_execz .LBB54_654
; %bb.651:
	v_add_nc_u32_e32 v118, 0x380, v121
	v_add3_u32 v119, 0, v121, 16
	v_mov_b32_e32 v120, v0
	s_mov_b32 s62, 0
	.p2align	6
.LBB54_652:                             ; =>This Inner Loop Header: Depth=1
	s_clause 0x3
	buffer_load_dword v126, v119, s[0:3], 0 offen offset:8
	buffer_load_dword v127, v119, s[0:3], 0 offen offset:12
	buffer_load_dword v128, v119, s[0:3], 0 offen
	buffer_load_dword v129, v119, s[0:3], 0 offen offset:4
	ds_read_b128 v[122:125], v118
	v_add_nc_u32_e32 v120, 1, v120
	v_add_nc_u32_e32 v118, 16, v118
	;; [unrolled: 1-line block ×3, first 2 shown]
	v_cmp_lt_u32_e32 vcc_lo, 26, v120
	s_or_b32 s62, vcc_lo, s62
	s_waitcnt vmcnt(2) lgkmcnt(0)
	v_mul_f64 v[130:131], v[124:125], v[126:127]
	v_mul_f64 v[126:127], v[122:123], v[126:127]
	s_waitcnt vmcnt(0)
	v_fma_f64 v[122:123], v[122:123], v[128:129], -v[130:131]
	v_fma_f64 v[124:125], v[124:125], v[128:129], v[126:127]
	v_add_f64 v[1:2], v[1:2], v[122:123]
	v_add_f64 v[3:4], v[3:4], v[124:125]
	s_andn2_b32 exec_lo, exec_lo, s62
	s_cbranch_execnz .LBB54_652
; %bb.653:
	s_or_b32 exec_lo, exec_lo, s62
.LBB54_654:
	s_or_b32 exec_lo, exec_lo, s8
	v_mov_b32_e32 v118, 0
	ds_read_b128 v[122:125], v118 offset:448
	s_waitcnt lgkmcnt(0)
	v_mul_f64 v[118:119], v[3:4], v[124:125]
	v_mul_f64 v[124:125], v[1:2], v[124:125]
	v_fma_f64 v[1:2], v[1:2], v[122:123], -v[118:119]
	v_fma_f64 v[3:4], v[3:4], v[122:123], v[124:125]
	buffer_store_dword v2, off, s[0:3], 0 offset:452
	buffer_store_dword v1, off, s[0:3], 0 offset:448
	;; [unrolled: 1-line block ×4, first 2 shown]
.LBB54_655:
	s_or_b32 exec_lo, exec_lo, s4
	v_mov_b32_e32 v4, s33
	s_mov_b32 s4, exec_lo
	s_clause 0x3
	buffer_load_dword v1, v4, s[0:3], 0 offen
	buffer_load_dword v2, v4, s[0:3], 0 offen offset:4
	buffer_load_dword v3, v4, s[0:3], 0 offen offset:8
	;; [unrolled: 1-line block ×3, first 2 shown]
	s_waitcnt vmcnt(0)
	ds_write_b128 v116, v[1:4]
	s_waitcnt lgkmcnt(0)
	s_waitcnt_vscnt null, 0x0
	s_barrier
	buffer_gl0_inv
	v_cmpx_gt_u32_e32 29, v0
	s_cbranch_execz .LBB54_663
; %bb.656:
	ds_read_b128 v[1:4], v116
	v_cmp_ne_u32_e32 vcc_lo, 1, v117
	s_cbranch_vccnz .LBB54_658
; %bb.657:
	s_clause 0x3
	buffer_load_dword v118, v115, s[0:3], 0 offen offset:8
	buffer_load_dword v119, v115, s[0:3], 0 offen offset:12
	buffer_load_dword v122, v115, s[0:3], 0 offen
	buffer_load_dword v123, v115, s[0:3], 0 offen offset:4
	s_waitcnt vmcnt(2) lgkmcnt(0)
	v_mul_f64 v[124:125], v[3:4], v[118:119]
	v_mul_f64 v[118:119], v[1:2], v[118:119]
	s_waitcnt vmcnt(0)
	v_fma_f64 v[1:2], v[1:2], v[122:123], -v[124:125]
	v_fma_f64 v[3:4], v[3:4], v[122:123], v[118:119]
.LBB54_658:
	s_mov_b32 s8, exec_lo
	v_cmpx_ne_u32_e32 28, v0
	s_cbranch_execz .LBB54_662
; %bb.659:
	v_add_nc_u32_e32 v118, 0x380, v121
	v_add3_u32 v119, 0, v121, 16
	v_mov_b32_e32 v120, v0
	s_mov_b32 s62, 0
	.p2align	6
.LBB54_660:                             ; =>This Inner Loop Header: Depth=1
	s_clause 0x3
	buffer_load_dword v126, v119, s[0:3], 0 offen offset:8
	buffer_load_dword v127, v119, s[0:3], 0 offen offset:12
	buffer_load_dword v128, v119, s[0:3], 0 offen
	buffer_load_dword v129, v119, s[0:3], 0 offen offset:4
	ds_read_b128 v[122:125], v118
	v_add_nc_u32_e32 v120, 1, v120
	v_add_nc_u32_e32 v118, 16, v118
	;; [unrolled: 1-line block ×3, first 2 shown]
	v_cmp_lt_u32_e32 vcc_lo, 27, v120
	s_or_b32 s62, vcc_lo, s62
	s_waitcnt vmcnt(2) lgkmcnt(0)
	v_mul_f64 v[130:131], v[124:125], v[126:127]
	v_mul_f64 v[126:127], v[122:123], v[126:127]
	s_waitcnt vmcnt(0)
	v_fma_f64 v[122:123], v[122:123], v[128:129], -v[130:131]
	v_fma_f64 v[124:125], v[124:125], v[128:129], v[126:127]
	v_add_f64 v[1:2], v[1:2], v[122:123]
	v_add_f64 v[3:4], v[3:4], v[124:125]
	s_andn2_b32 exec_lo, exec_lo, s62
	s_cbranch_execnz .LBB54_660
; %bb.661:
	s_or_b32 exec_lo, exec_lo, s62
.LBB54_662:
	s_or_b32 exec_lo, exec_lo, s8
	v_mov_b32_e32 v118, 0
	ds_read_b128 v[122:125], v118 offset:464
	s_waitcnt lgkmcnt(0)
	v_mul_f64 v[118:119], v[3:4], v[124:125]
	v_mul_f64 v[124:125], v[1:2], v[124:125]
	v_fma_f64 v[1:2], v[1:2], v[122:123], -v[118:119]
	v_fma_f64 v[3:4], v[3:4], v[122:123], v[124:125]
	buffer_store_dword v2, off, s[0:3], 0 offset:468
	buffer_store_dword v1, off, s[0:3], 0 offset:464
	;; [unrolled: 1-line block ×4, first 2 shown]
.LBB54_663:
	s_or_b32 exec_lo, exec_lo, s4
	v_mov_b32_e32 v4, s31
	s_mov_b32 s4, exec_lo
	s_clause 0x3
	buffer_load_dword v1, v4, s[0:3], 0 offen
	buffer_load_dword v2, v4, s[0:3], 0 offen offset:4
	buffer_load_dword v3, v4, s[0:3], 0 offen offset:8
	;; [unrolled: 1-line block ×3, first 2 shown]
	s_waitcnt vmcnt(0)
	ds_write_b128 v116, v[1:4]
	s_waitcnt lgkmcnt(0)
	s_waitcnt_vscnt null, 0x0
	s_barrier
	buffer_gl0_inv
	v_cmpx_gt_u32_e32 30, v0
	s_cbranch_execz .LBB54_671
; %bb.664:
	ds_read_b128 v[1:4], v116
	v_cmp_ne_u32_e32 vcc_lo, 1, v117
	s_cbranch_vccnz .LBB54_666
; %bb.665:
	s_clause 0x3
	buffer_load_dword v118, v115, s[0:3], 0 offen offset:8
	buffer_load_dword v119, v115, s[0:3], 0 offen offset:12
	buffer_load_dword v122, v115, s[0:3], 0 offen
	buffer_load_dword v123, v115, s[0:3], 0 offen offset:4
	s_waitcnt vmcnt(2) lgkmcnt(0)
	v_mul_f64 v[124:125], v[3:4], v[118:119]
	v_mul_f64 v[118:119], v[1:2], v[118:119]
	s_waitcnt vmcnt(0)
	v_fma_f64 v[1:2], v[1:2], v[122:123], -v[124:125]
	v_fma_f64 v[3:4], v[3:4], v[122:123], v[118:119]
.LBB54_666:
	s_mov_b32 s8, exec_lo
	v_cmpx_ne_u32_e32 29, v0
	s_cbranch_execz .LBB54_670
; %bb.667:
	v_add_nc_u32_e32 v118, 0x380, v121
	v_add3_u32 v119, 0, v121, 16
	v_mov_b32_e32 v120, v0
	s_mov_b32 s62, 0
	.p2align	6
.LBB54_668:                             ; =>This Inner Loop Header: Depth=1
	s_clause 0x3
	buffer_load_dword v126, v119, s[0:3], 0 offen offset:8
	buffer_load_dword v127, v119, s[0:3], 0 offen offset:12
	buffer_load_dword v128, v119, s[0:3], 0 offen
	buffer_load_dword v129, v119, s[0:3], 0 offen offset:4
	ds_read_b128 v[122:125], v118
	v_add_nc_u32_e32 v120, 1, v120
	v_add_nc_u32_e32 v118, 16, v118
	;; [unrolled: 1-line block ×3, first 2 shown]
	v_cmp_lt_u32_e32 vcc_lo, 28, v120
	s_or_b32 s62, vcc_lo, s62
	s_waitcnt vmcnt(2) lgkmcnt(0)
	v_mul_f64 v[130:131], v[124:125], v[126:127]
	v_mul_f64 v[126:127], v[122:123], v[126:127]
	s_waitcnt vmcnt(0)
	v_fma_f64 v[122:123], v[122:123], v[128:129], -v[130:131]
	v_fma_f64 v[124:125], v[124:125], v[128:129], v[126:127]
	v_add_f64 v[1:2], v[1:2], v[122:123]
	v_add_f64 v[3:4], v[3:4], v[124:125]
	s_andn2_b32 exec_lo, exec_lo, s62
	s_cbranch_execnz .LBB54_668
; %bb.669:
	s_or_b32 exec_lo, exec_lo, s62
.LBB54_670:
	s_or_b32 exec_lo, exec_lo, s8
	v_mov_b32_e32 v118, 0
	ds_read_b128 v[122:125], v118 offset:480
	s_waitcnt lgkmcnt(0)
	v_mul_f64 v[118:119], v[3:4], v[124:125]
	v_mul_f64 v[124:125], v[1:2], v[124:125]
	v_fma_f64 v[1:2], v[1:2], v[122:123], -v[118:119]
	v_fma_f64 v[3:4], v[3:4], v[122:123], v[124:125]
	buffer_store_dword v2, off, s[0:3], 0 offset:484
	buffer_store_dword v1, off, s[0:3], 0 offset:480
	;; [unrolled: 1-line block ×4, first 2 shown]
.LBB54_671:
	s_or_b32 exec_lo, exec_lo, s4
	v_mov_b32_e32 v4, s30
	s_mov_b32 s4, exec_lo
	s_clause 0x3
	buffer_load_dword v1, v4, s[0:3], 0 offen
	buffer_load_dword v2, v4, s[0:3], 0 offen offset:4
	buffer_load_dword v3, v4, s[0:3], 0 offen offset:8
	;; [unrolled: 1-line block ×3, first 2 shown]
	s_waitcnt vmcnt(0)
	ds_write_b128 v116, v[1:4]
	s_waitcnt lgkmcnt(0)
	s_waitcnt_vscnt null, 0x0
	s_barrier
	buffer_gl0_inv
	v_cmpx_gt_u32_e32 31, v0
	s_cbranch_execz .LBB54_679
; %bb.672:
	ds_read_b128 v[1:4], v116
	v_cmp_ne_u32_e32 vcc_lo, 1, v117
	s_cbranch_vccnz .LBB54_674
; %bb.673:
	s_clause 0x3
	buffer_load_dword v118, v115, s[0:3], 0 offen offset:8
	buffer_load_dword v119, v115, s[0:3], 0 offen offset:12
	buffer_load_dword v122, v115, s[0:3], 0 offen
	buffer_load_dword v123, v115, s[0:3], 0 offen offset:4
	s_waitcnt vmcnt(2) lgkmcnt(0)
	v_mul_f64 v[124:125], v[3:4], v[118:119]
	v_mul_f64 v[118:119], v[1:2], v[118:119]
	s_waitcnt vmcnt(0)
	v_fma_f64 v[1:2], v[1:2], v[122:123], -v[124:125]
	v_fma_f64 v[3:4], v[3:4], v[122:123], v[118:119]
.LBB54_674:
	s_mov_b32 s8, exec_lo
	v_cmpx_ne_u32_e32 30, v0
	s_cbranch_execz .LBB54_678
; %bb.675:
	v_add_nc_u32_e32 v118, 0x380, v121
	v_add3_u32 v119, 0, v121, 16
	v_mov_b32_e32 v120, v0
	s_mov_b32 s62, 0
	.p2align	6
.LBB54_676:                             ; =>This Inner Loop Header: Depth=1
	s_clause 0x3
	buffer_load_dword v126, v119, s[0:3], 0 offen offset:8
	buffer_load_dword v127, v119, s[0:3], 0 offen offset:12
	buffer_load_dword v128, v119, s[0:3], 0 offen
	buffer_load_dword v129, v119, s[0:3], 0 offen offset:4
	ds_read_b128 v[122:125], v118
	v_add_nc_u32_e32 v120, 1, v120
	v_add_nc_u32_e32 v118, 16, v118
	;; [unrolled: 1-line block ×3, first 2 shown]
	v_cmp_lt_u32_e32 vcc_lo, 29, v120
	s_or_b32 s62, vcc_lo, s62
	s_waitcnt vmcnt(2) lgkmcnt(0)
	v_mul_f64 v[130:131], v[124:125], v[126:127]
	v_mul_f64 v[126:127], v[122:123], v[126:127]
	s_waitcnt vmcnt(0)
	v_fma_f64 v[122:123], v[122:123], v[128:129], -v[130:131]
	v_fma_f64 v[124:125], v[124:125], v[128:129], v[126:127]
	v_add_f64 v[1:2], v[1:2], v[122:123]
	v_add_f64 v[3:4], v[3:4], v[124:125]
	s_andn2_b32 exec_lo, exec_lo, s62
	s_cbranch_execnz .LBB54_676
; %bb.677:
	s_or_b32 exec_lo, exec_lo, s62
.LBB54_678:
	s_or_b32 exec_lo, exec_lo, s8
	v_mov_b32_e32 v118, 0
	ds_read_b128 v[122:125], v118 offset:496
	s_waitcnt lgkmcnt(0)
	v_mul_f64 v[118:119], v[3:4], v[124:125]
	v_mul_f64 v[124:125], v[1:2], v[124:125]
	v_fma_f64 v[1:2], v[1:2], v[122:123], -v[118:119]
	v_fma_f64 v[3:4], v[3:4], v[122:123], v[124:125]
	buffer_store_dword v2, off, s[0:3], 0 offset:500
	buffer_store_dword v1, off, s[0:3], 0 offset:496
	;; [unrolled: 1-line block ×4, first 2 shown]
.LBB54_679:
	s_or_b32 exec_lo, exec_lo, s4
	v_mov_b32_e32 v4, s29
	s_mov_b32 s4, exec_lo
	s_clause 0x3
	buffer_load_dword v1, v4, s[0:3], 0 offen
	buffer_load_dword v2, v4, s[0:3], 0 offen offset:4
	buffer_load_dword v3, v4, s[0:3], 0 offen offset:8
	;; [unrolled: 1-line block ×3, first 2 shown]
	s_waitcnt vmcnt(0)
	ds_write_b128 v116, v[1:4]
	s_waitcnt lgkmcnt(0)
	s_waitcnt_vscnt null, 0x0
	s_barrier
	buffer_gl0_inv
	v_cmpx_gt_u32_e32 32, v0
	s_cbranch_execz .LBB54_687
; %bb.680:
	ds_read_b128 v[1:4], v116
	v_cmp_ne_u32_e32 vcc_lo, 1, v117
	s_cbranch_vccnz .LBB54_682
; %bb.681:
	s_clause 0x3
	buffer_load_dword v118, v115, s[0:3], 0 offen offset:8
	buffer_load_dword v119, v115, s[0:3], 0 offen offset:12
	buffer_load_dword v122, v115, s[0:3], 0 offen
	buffer_load_dword v123, v115, s[0:3], 0 offen offset:4
	s_waitcnt vmcnt(2) lgkmcnt(0)
	v_mul_f64 v[124:125], v[3:4], v[118:119]
	v_mul_f64 v[118:119], v[1:2], v[118:119]
	s_waitcnt vmcnt(0)
	v_fma_f64 v[1:2], v[1:2], v[122:123], -v[124:125]
	v_fma_f64 v[3:4], v[3:4], v[122:123], v[118:119]
.LBB54_682:
	s_mov_b32 s8, exec_lo
	v_cmpx_ne_u32_e32 31, v0
	s_cbranch_execz .LBB54_686
; %bb.683:
	v_add_nc_u32_e32 v118, 0x380, v121
	v_add3_u32 v119, 0, v121, 16
	v_mov_b32_e32 v120, v0
	s_mov_b32 s62, 0
	.p2align	6
.LBB54_684:                             ; =>This Inner Loop Header: Depth=1
	s_clause 0x3
	buffer_load_dword v126, v119, s[0:3], 0 offen offset:8
	buffer_load_dword v127, v119, s[0:3], 0 offen offset:12
	buffer_load_dword v128, v119, s[0:3], 0 offen
	buffer_load_dword v129, v119, s[0:3], 0 offen offset:4
	ds_read_b128 v[122:125], v118
	v_add_nc_u32_e32 v120, 1, v120
	v_add_nc_u32_e32 v118, 16, v118
	;; [unrolled: 1-line block ×3, first 2 shown]
	v_cmp_lt_u32_e32 vcc_lo, 30, v120
	s_or_b32 s62, vcc_lo, s62
	s_waitcnt vmcnt(2) lgkmcnt(0)
	v_mul_f64 v[130:131], v[124:125], v[126:127]
	v_mul_f64 v[126:127], v[122:123], v[126:127]
	s_waitcnt vmcnt(0)
	v_fma_f64 v[122:123], v[122:123], v[128:129], -v[130:131]
	v_fma_f64 v[124:125], v[124:125], v[128:129], v[126:127]
	v_add_f64 v[1:2], v[1:2], v[122:123]
	v_add_f64 v[3:4], v[3:4], v[124:125]
	s_andn2_b32 exec_lo, exec_lo, s62
	s_cbranch_execnz .LBB54_684
; %bb.685:
	s_or_b32 exec_lo, exec_lo, s62
.LBB54_686:
	s_or_b32 exec_lo, exec_lo, s8
	v_mov_b32_e32 v118, 0
	ds_read_b128 v[122:125], v118 offset:512
	s_waitcnt lgkmcnt(0)
	v_mul_f64 v[118:119], v[3:4], v[124:125]
	v_mul_f64 v[124:125], v[1:2], v[124:125]
	v_fma_f64 v[1:2], v[1:2], v[122:123], -v[118:119]
	v_fma_f64 v[3:4], v[3:4], v[122:123], v[124:125]
	buffer_store_dword v2, off, s[0:3], 0 offset:516
	buffer_store_dword v1, off, s[0:3], 0 offset:512
	;; [unrolled: 1-line block ×4, first 2 shown]
.LBB54_687:
	s_or_b32 exec_lo, exec_lo, s4
	v_mov_b32_e32 v4, s28
	s_mov_b32 s4, exec_lo
	s_clause 0x3
	buffer_load_dword v1, v4, s[0:3], 0 offen
	buffer_load_dword v2, v4, s[0:3], 0 offen offset:4
	buffer_load_dword v3, v4, s[0:3], 0 offen offset:8
	buffer_load_dword v4, v4, s[0:3], 0 offen offset:12
	s_waitcnt vmcnt(0)
	ds_write_b128 v116, v[1:4]
	s_waitcnt lgkmcnt(0)
	s_waitcnt_vscnt null, 0x0
	s_barrier
	buffer_gl0_inv
	v_cmpx_gt_u32_e32 33, v0
	s_cbranch_execz .LBB54_695
; %bb.688:
	ds_read_b128 v[1:4], v116
	v_cmp_ne_u32_e32 vcc_lo, 1, v117
	s_cbranch_vccnz .LBB54_690
; %bb.689:
	s_clause 0x3
	buffer_load_dword v118, v115, s[0:3], 0 offen offset:8
	buffer_load_dword v119, v115, s[0:3], 0 offen offset:12
	buffer_load_dword v122, v115, s[0:3], 0 offen
	buffer_load_dword v123, v115, s[0:3], 0 offen offset:4
	s_waitcnt vmcnt(2) lgkmcnt(0)
	v_mul_f64 v[124:125], v[3:4], v[118:119]
	v_mul_f64 v[118:119], v[1:2], v[118:119]
	s_waitcnt vmcnt(0)
	v_fma_f64 v[1:2], v[1:2], v[122:123], -v[124:125]
	v_fma_f64 v[3:4], v[3:4], v[122:123], v[118:119]
.LBB54_690:
	s_mov_b32 s8, exec_lo
	v_cmpx_ne_u32_e32 32, v0
	s_cbranch_execz .LBB54_694
; %bb.691:
	v_add_nc_u32_e32 v118, 0x380, v121
	v_add3_u32 v119, 0, v121, 16
	v_mov_b32_e32 v120, v0
	s_mov_b32 s62, 0
	.p2align	6
.LBB54_692:                             ; =>This Inner Loop Header: Depth=1
	s_clause 0x3
	buffer_load_dword v126, v119, s[0:3], 0 offen offset:8
	buffer_load_dword v127, v119, s[0:3], 0 offen offset:12
	buffer_load_dword v128, v119, s[0:3], 0 offen
	buffer_load_dword v129, v119, s[0:3], 0 offen offset:4
	ds_read_b128 v[122:125], v118
	v_add_nc_u32_e32 v120, 1, v120
	v_add_nc_u32_e32 v118, 16, v118
	;; [unrolled: 1-line block ×3, first 2 shown]
	v_cmp_lt_u32_e32 vcc_lo, 31, v120
	s_or_b32 s62, vcc_lo, s62
	s_waitcnt vmcnt(2) lgkmcnt(0)
	v_mul_f64 v[130:131], v[124:125], v[126:127]
	v_mul_f64 v[126:127], v[122:123], v[126:127]
	s_waitcnt vmcnt(0)
	v_fma_f64 v[122:123], v[122:123], v[128:129], -v[130:131]
	v_fma_f64 v[124:125], v[124:125], v[128:129], v[126:127]
	v_add_f64 v[1:2], v[1:2], v[122:123]
	v_add_f64 v[3:4], v[3:4], v[124:125]
	s_andn2_b32 exec_lo, exec_lo, s62
	s_cbranch_execnz .LBB54_692
; %bb.693:
	s_or_b32 exec_lo, exec_lo, s62
.LBB54_694:
	s_or_b32 exec_lo, exec_lo, s8
	v_mov_b32_e32 v118, 0
	ds_read_b128 v[122:125], v118 offset:528
	s_waitcnt lgkmcnt(0)
	v_mul_f64 v[118:119], v[3:4], v[124:125]
	v_mul_f64 v[124:125], v[1:2], v[124:125]
	v_fma_f64 v[1:2], v[1:2], v[122:123], -v[118:119]
	v_fma_f64 v[3:4], v[3:4], v[122:123], v[124:125]
	buffer_store_dword v2, off, s[0:3], 0 offset:532
	buffer_store_dword v1, off, s[0:3], 0 offset:528
	buffer_store_dword v4, off, s[0:3], 0 offset:540
	buffer_store_dword v3, off, s[0:3], 0 offset:536
.LBB54_695:
	s_or_b32 exec_lo, exec_lo, s4
	v_mov_b32_e32 v4, s27
	s_mov_b32 s4, exec_lo
	s_clause 0x3
	buffer_load_dword v1, v4, s[0:3], 0 offen
	buffer_load_dword v2, v4, s[0:3], 0 offen offset:4
	buffer_load_dword v3, v4, s[0:3], 0 offen offset:8
	;; [unrolled: 1-line block ×3, first 2 shown]
	s_waitcnt vmcnt(0)
	ds_write_b128 v116, v[1:4]
	s_waitcnt lgkmcnt(0)
	s_waitcnt_vscnt null, 0x0
	s_barrier
	buffer_gl0_inv
	v_cmpx_gt_u32_e32 34, v0
	s_cbranch_execz .LBB54_703
; %bb.696:
	ds_read_b128 v[1:4], v116
	v_cmp_ne_u32_e32 vcc_lo, 1, v117
	s_cbranch_vccnz .LBB54_698
; %bb.697:
	s_clause 0x3
	buffer_load_dword v118, v115, s[0:3], 0 offen offset:8
	buffer_load_dword v119, v115, s[0:3], 0 offen offset:12
	buffer_load_dword v122, v115, s[0:3], 0 offen
	buffer_load_dword v123, v115, s[0:3], 0 offen offset:4
	s_waitcnt vmcnt(2) lgkmcnt(0)
	v_mul_f64 v[124:125], v[3:4], v[118:119]
	v_mul_f64 v[118:119], v[1:2], v[118:119]
	s_waitcnt vmcnt(0)
	v_fma_f64 v[1:2], v[1:2], v[122:123], -v[124:125]
	v_fma_f64 v[3:4], v[3:4], v[122:123], v[118:119]
.LBB54_698:
	s_mov_b32 s8, exec_lo
	v_cmpx_ne_u32_e32 33, v0
	s_cbranch_execz .LBB54_702
; %bb.699:
	v_add_nc_u32_e32 v118, 0x380, v121
	v_add3_u32 v119, 0, v121, 16
	v_mov_b32_e32 v120, v0
	s_mov_b32 s62, 0
	.p2align	6
.LBB54_700:                             ; =>This Inner Loop Header: Depth=1
	s_clause 0x3
	buffer_load_dword v126, v119, s[0:3], 0 offen offset:8
	buffer_load_dword v127, v119, s[0:3], 0 offen offset:12
	buffer_load_dword v128, v119, s[0:3], 0 offen
	buffer_load_dword v129, v119, s[0:3], 0 offen offset:4
	ds_read_b128 v[122:125], v118
	v_add_nc_u32_e32 v120, 1, v120
	v_add_nc_u32_e32 v118, 16, v118
	;; [unrolled: 1-line block ×3, first 2 shown]
	v_cmp_lt_u32_e32 vcc_lo, 32, v120
	s_or_b32 s62, vcc_lo, s62
	s_waitcnt vmcnt(2) lgkmcnt(0)
	v_mul_f64 v[130:131], v[124:125], v[126:127]
	v_mul_f64 v[126:127], v[122:123], v[126:127]
	s_waitcnt vmcnt(0)
	v_fma_f64 v[122:123], v[122:123], v[128:129], -v[130:131]
	v_fma_f64 v[124:125], v[124:125], v[128:129], v[126:127]
	v_add_f64 v[1:2], v[1:2], v[122:123]
	v_add_f64 v[3:4], v[3:4], v[124:125]
	s_andn2_b32 exec_lo, exec_lo, s62
	s_cbranch_execnz .LBB54_700
; %bb.701:
	s_or_b32 exec_lo, exec_lo, s62
.LBB54_702:
	s_or_b32 exec_lo, exec_lo, s8
	v_mov_b32_e32 v118, 0
	ds_read_b128 v[122:125], v118 offset:544
	s_waitcnt lgkmcnt(0)
	v_mul_f64 v[118:119], v[3:4], v[124:125]
	v_mul_f64 v[124:125], v[1:2], v[124:125]
	v_fma_f64 v[1:2], v[1:2], v[122:123], -v[118:119]
	v_fma_f64 v[3:4], v[3:4], v[122:123], v[124:125]
	buffer_store_dword v2, off, s[0:3], 0 offset:548
	buffer_store_dword v1, off, s[0:3], 0 offset:544
	;; [unrolled: 1-line block ×4, first 2 shown]
.LBB54_703:
	s_or_b32 exec_lo, exec_lo, s4
	v_mov_b32_e32 v4, s26
	s_mov_b32 s4, exec_lo
	s_clause 0x3
	buffer_load_dword v1, v4, s[0:3], 0 offen
	buffer_load_dword v2, v4, s[0:3], 0 offen offset:4
	buffer_load_dword v3, v4, s[0:3], 0 offen offset:8
	;; [unrolled: 1-line block ×3, first 2 shown]
	s_waitcnt vmcnt(0)
	ds_write_b128 v116, v[1:4]
	s_waitcnt lgkmcnt(0)
	s_waitcnt_vscnt null, 0x0
	s_barrier
	buffer_gl0_inv
	v_cmpx_gt_u32_e32 35, v0
	s_cbranch_execz .LBB54_711
; %bb.704:
	ds_read_b128 v[1:4], v116
	v_cmp_ne_u32_e32 vcc_lo, 1, v117
	s_cbranch_vccnz .LBB54_706
; %bb.705:
	s_clause 0x3
	buffer_load_dword v118, v115, s[0:3], 0 offen offset:8
	buffer_load_dword v119, v115, s[0:3], 0 offen offset:12
	buffer_load_dword v122, v115, s[0:3], 0 offen
	buffer_load_dword v123, v115, s[0:3], 0 offen offset:4
	s_waitcnt vmcnt(2) lgkmcnt(0)
	v_mul_f64 v[124:125], v[3:4], v[118:119]
	v_mul_f64 v[118:119], v[1:2], v[118:119]
	s_waitcnt vmcnt(0)
	v_fma_f64 v[1:2], v[1:2], v[122:123], -v[124:125]
	v_fma_f64 v[3:4], v[3:4], v[122:123], v[118:119]
.LBB54_706:
	s_mov_b32 s8, exec_lo
	v_cmpx_ne_u32_e32 34, v0
	s_cbranch_execz .LBB54_710
; %bb.707:
	v_add_nc_u32_e32 v118, 0x380, v121
	v_add3_u32 v119, 0, v121, 16
	v_mov_b32_e32 v120, v0
	s_mov_b32 s62, 0
	.p2align	6
.LBB54_708:                             ; =>This Inner Loop Header: Depth=1
	s_clause 0x3
	buffer_load_dword v126, v119, s[0:3], 0 offen offset:8
	buffer_load_dword v127, v119, s[0:3], 0 offen offset:12
	buffer_load_dword v128, v119, s[0:3], 0 offen
	buffer_load_dword v129, v119, s[0:3], 0 offen offset:4
	ds_read_b128 v[122:125], v118
	v_add_nc_u32_e32 v120, 1, v120
	v_add_nc_u32_e32 v118, 16, v118
	;; [unrolled: 1-line block ×3, first 2 shown]
	v_cmp_lt_u32_e32 vcc_lo, 33, v120
	s_or_b32 s62, vcc_lo, s62
	s_waitcnt vmcnt(2) lgkmcnt(0)
	v_mul_f64 v[130:131], v[124:125], v[126:127]
	v_mul_f64 v[126:127], v[122:123], v[126:127]
	s_waitcnt vmcnt(0)
	v_fma_f64 v[122:123], v[122:123], v[128:129], -v[130:131]
	v_fma_f64 v[124:125], v[124:125], v[128:129], v[126:127]
	v_add_f64 v[1:2], v[1:2], v[122:123]
	v_add_f64 v[3:4], v[3:4], v[124:125]
	s_andn2_b32 exec_lo, exec_lo, s62
	s_cbranch_execnz .LBB54_708
; %bb.709:
	s_or_b32 exec_lo, exec_lo, s62
.LBB54_710:
	s_or_b32 exec_lo, exec_lo, s8
	v_mov_b32_e32 v118, 0
	ds_read_b128 v[122:125], v118 offset:560
	s_waitcnt lgkmcnt(0)
	v_mul_f64 v[118:119], v[3:4], v[124:125]
	v_mul_f64 v[124:125], v[1:2], v[124:125]
	v_fma_f64 v[1:2], v[1:2], v[122:123], -v[118:119]
	v_fma_f64 v[3:4], v[3:4], v[122:123], v[124:125]
	buffer_store_dword v2, off, s[0:3], 0 offset:564
	buffer_store_dword v1, off, s[0:3], 0 offset:560
	;; [unrolled: 1-line block ×4, first 2 shown]
.LBB54_711:
	s_or_b32 exec_lo, exec_lo, s4
	v_mov_b32_e32 v4, s25
	s_mov_b32 s4, exec_lo
	s_clause 0x3
	buffer_load_dword v1, v4, s[0:3], 0 offen
	buffer_load_dword v2, v4, s[0:3], 0 offen offset:4
	buffer_load_dword v3, v4, s[0:3], 0 offen offset:8
	;; [unrolled: 1-line block ×3, first 2 shown]
	s_waitcnt vmcnt(0)
	ds_write_b128 v116, v[1:4]
	s_waitcnt lgkmcnt(0)
	s_waitcnt_vscnt null, 0x0
	s_barrier
	buffer_gl0_inv
	v_cmpx_gt_u32_e32 36, v0
	s_cbranch_execz .LBB54_719
; %bb.712:
	ds_read_b128 v[1:4], v116
	v_cmp_ne_u32_e32 vcc_lo, 1, v117
	s_cbranch_vccnz .LBB54_714
; %bb.713:
	s_clause 0x3
	buffer_load_dword v118, v115, s[0:3], 0 offen offset:8
	buffer_load_dword v119, v115, s[0:3], 0 offen offset:12
	buffer_load_dword v122, v115, s[0:3], 0 offen
	buffer_load_dword v123, v115, s[0:3], 0 offen offset:4
	s_waitcnt vmcnt(2) lgkmcnt(0)
	v_mul_f64 v[124:125], v[3:4], v[118:119]
	v_mul_f64 v[118:119], v[1:2], v[118:119]
	s_waitcnt vmcnt(0)
	v_fma_f64 v[1:2], v[1:2], v[122:123], -v[124:125]
	v_fma_f64 v[3:4], v[3:4], v[122:123], v[118:119]
.LBB54_714:
	s_mov_b32 s8, exec_lo
	v_cmpx_ne_u32_e32 35, v0
	s_cbranch_execz .LBB54_718
; %bb.715:
	v_add_nc_u32_e32 v118, 0x380, v121
	v_add3_u32 v119, 0, v121, 16
	v_mov_b32_e32 v120, v0
	s_mov_b32 s62, 0
	.p2align	6
.LBB54_716:                             ; =>This Inner Loop Header: Depth=1
	s_clause 0x3
	buffer_load_dword v126, v119, s[0:3], 0 offen offset:8
	buffer_load_dword v127, v119, s[0:3], 0 offen offset:12
	buffer_load_dword v128, v119, s[0:3], 0 offen
	buffer_load_dword v129, v119, s[0:3], 0 offen offset:4
	ds_read_b128 v[122:125], v118
	v_add_nc_u32_e32 v120, 1, v120
	v_add_nc_u32_e32 v118, 16, v118
	;; [unrolled: 1-line block ×3, first 2 shown]
	v_cmp_lt_u32_e32 vcc_lo, 34, v120
	s_or_b32 s62, vcc_lo, s62
	s_waitcnt vmcnt(2) lgkmcnt(0)
	v_mul_f64 v[130:131], v[124:125], v[126:127]
	v_mul_f64 v[126:127], v[122:123], v[126:127]
	s_waitcnt vmcnt(0)
	v_fma_f64 v[122:123], v[122:123], v[128:129], -v[130:131]
	v_fma_f64 v[124:125], v[124:125], v[128:129], v[126:127]
	v_add_f64 v[1:2], v[1:2], v[122:123]
	v_add_f64 v[3:4], v[3:4], v[124:125]
	s_andn2_b32 exec_lo, exec_lo, s62
	s_cbranch_execnz .LBB54_716
; %bb.717:
	s_or_b32 exec_lo, exec_lo, s62
.LBB54_718:
	s_or_b32 exec_lo, exec_lo, s8
	v_mov_b32_e32 v118, 0
	ds_read_b128 v[122:125], v118 offset:576
	s_waitcnt lgkmcnt(0)
	v_mul_f64 v[118:119], v[3:4], v[124:125]
	v_mul_f64 v[124:125], v[1:2], v[124:125]
	v_fma_f64 v[1:2], v[1:2], v[122:123], -v[118:119]
	v_fma_f64 v[3:4], v[3:4], v[122:123], v[124:125]
	buffer_store_dword v2, off, s[0:3], 0 offset:580
	buffer_store_dword v1, off, s[0:3], 0 offset:576
	;; [unrolled: 1-line block ×4, first 2 shown]
.LBB54_719:
	s_or_b32 exec_lo, exec_lo, s4
	v_mov_b32_e32 v4, s24
	s_mov_b32 s4, exec_lo
	s_clause 0x3
	buffer_load_dword v1, v4, s[0:3], 0 offen
	buffer_load_dword v2, v4, s[0:3], 0 offen offset:4
	buffer_load_dword v3, v4, s[0:3], 0 offen offset:8
	;; [unrolled: 1-line block ×3, first 2 shown]
	s_waitcnt vmcnt(0)
	ds_write_b128 v116, v[1:4]
	s_waitcnt lgkmcnt(0)
	s_waitcnt_vscnt null, 0x0
	s_barrier
	buffer_gl0_inv
	v_cmpx_gt_u32_e32 37, v0
	s_cbranch_execz .LBB54_727
; %bb.720:
	ds_read_b128 v[1:4], v116
	v_cmp_ne_u32_e32 vcc_lo, 1, v117
	s_cbranch_vccnz .LBB54_722
; %bb.721:
	s_clause 0x3
	buffer_load_dword v118, v115, s[0:3], 0 offen offset:8
	buffer_load_dword v119, v115, s[0:3], 0 offen offset:12
	buffer_load_dword v122, v115, s[0:3], 0 offen
	buffer_load_dword v123, v115, s[0:3], 0 offen offset:4
	s_waitcnt vmcnt(2) lgkmcnt(0)
	v_mul_f64 v[124:125], v[3:4], v[118:119]
	v_mul_f64 v[118:119], v[1:2], v[118:119]
	s_waitcnt vmcnt(0)
	v_fma_f64 v[1:2], v[1:2], v[122:123], -v[124:125]
	v_fma_f64 v[3:4], v[3:4], v[122:123], v[118:119]
.LBB54_722:
	s_mov_b32 s8, exec_lo
	v_cmpx_ne_u32_e32 36, v0
	s_cbranch_execz .LBB54_726
; %bb.723:
	v_add_nc_u32_e32 v118, 0x380, v121
	v_add3_u32 v119, 0, v121, 16
	v_mov_b32_e32 v120, v0
	s_mov_b32 s62, 0
	.p2align	6
.LBB54_724:                             ; =>This Inner Loop Header: Depth=1
	s_clause 0x3
	buffer_load_dword v126, v119, s[0:3], 0 offen offset:8
	buffer_load_dword v127, v119, s[0:3], 0 offen offset:12
	buffer_load_dword v128, v119, s[0:3], 0 offen
	buffer_load_dword v129, v119, s[0:3], 0 offen offset:4
	ds_read_b128 v[122:125], v118
	v_add_nc_u32_e32 v120, 1, v120
	v_add_nc_u32_e32 v118, 16, v118
	v_add_nc_u32_e32 v119, 16, v119
	v_cmp_lt_u32_e32 vcc_lo, 35, v120
	s_or_b32 s62, vcc_lo, s62
	s_waitcnt vmcnt(2) lgkmcnt(0)
	v_mul_f64 v[130:131], v[124:125], v[126:127]
	v_mul_f64 v[126:127], v[122:123], v[126:127]
	s_waitcnt vmcnt(0)
	v_fma_f64 v[122:123], v[122:123], v[128:129], -v[130:131]
	v_fma_f64 v[124:125], v[124:125], v[128:129], v[126:127]
	v_add_f64 v[1:2], v[1:2], v[122:123]
	v_add_f64 v[3:4], v[3:4], v[124:125]
	s_andn2_b32 exec_lo, exec_lo, s62
	s_cbranch_execnz .LBB54_724
; %bb.725:
	s_or_b32 exec_lo, exec_lo, s62
.LBB54_726:
	s_or_b32 exec_lo, exec_lo, s8
	v_mov_b32_e32 v118, 0
	ds_read_b128 v[122:125], v118 offset:592
	s_waitcnt lgkmcnt(0)
	v_mul_f64 v[118:119], v[3:4], v[124:125]
	v_mul_f64 v[124:125], v[1:2], v[124:125]
	v_fma_f64 v[1:2], v[1:2], v[122:123], -v[118:119]
	v_fma_f64 v[3:4], v[3:4], v[122:123], v[124:125]
	buffer_store_dword v2, off, s[0:3], 0 offset:596
	buffer_store_dword v1, off, s[0:3], 0 offset:592
	;; [unrolled: 1-line block ×4, first 2 shown]
.LBB54_727:
	s_or_b32 exec_lo, exec_lo, s4
	v_mov_b32_e32 v4, s23
	s_mov_b32 s4, exec_lo
	s_clause 0x3
	buffer_load_dword v1, v4, s[0:3], 0 offen
	buffer_load_dword v2, v4, s[0:3], 0 offen offset:4
	buffer_load_dword v3, v4, s[0:3], 0 offen offset:8
	;; [unrolled: 1-line block ×3, first 2 shown]
	s_waitcnt vmcnt(0)
	ds_write_b128 v116, v[1:4]
	s_waitcnt lgkmcnt(0)
	s_waitcnt_vscnt null, 0x0
	s_barrier
	buffer_gl0_inv
	v_cmpx_gt_u32_e32 38, v0
	s_cbranch_execz .LBB54_735
; %bb.728:
	ds_read_b128 v[1:4], v116
	v_cmp_ne_u32_e32 vcc_lo, 1, v117
	s_cbranch_vccnz .LBB54_730
; %bb.729:
	s_clause 0x3
	buffer_load_dword v118, v115, s[0:3], 0 offen offset:8
	buffer_load_dword v119, v115, s[0:3], 0 offen offset:12
	buffer_load_dword v122, v115, s[0:3], 0 offen
	buffer_load_dword v123, v115, s[0:3], 0 offen offset:4
	s_waitcnt vmcnt(2) lgkmcnt(0)
	v_mul_f64 v[124:125], v[3:4], v[118:119]
	v_mul_f64 v[118:119], v[1:2], v[118:119]
	s_waitcnt vmcnt(0)
	v_fma_f64 v[1:2], v[1:2], v[122:123], -v[124:125]
	v_fma_f64 v[3:4], v[3:4], v[122:123], v[118:119]
.LBB54_730:
	s_mov_b32 s8, exec_lo
	v_cmpx_ne_u32_e32 37, v0
	s_cbranch_execz .LBB54_734
; %bb.731:
	v_add_nc_u32_e32 v118, 0x380, v121
	v_add3_u32 v119, 0, v121, 16
	v_mov_b32_e32 v120, v0
	s_mov_b32 s62, 0
	.p2align	6
.LBB54_732:                             ; =>This Inner Loop Header: Depth=1
	s_clause 0x3
	buffer_load_dword v126, v119, s[0:3], 0 offen offset:8
	buffer_load_dword v127, v119, s[0:3], 0 offen offset:12
	buffer_load_dword v128, v119, s[0:3], 0 offen
	buffer_load_dword v129, v119, s[0:3], 0 offen offset:4
	ds_read_b128 v[122:125], v118
	v_add_nc_u32_e32 v120, 1, v120
	v_add_nc_u32_e32 v118, 16, v118
	;; [unrolled: 1-line block ×3, first 2 shown]
	v_cmp_lt_u32_e32 vcc_lo, 36, v120
	s_or_b32 s62, vcc_lo, s62
	s_waitcnt vmcnt(2) lgkmcnt(0)
	v_mul_f64 v[130:131], v[124:125], v[126:127]
	v_mul_f64 v[126:127], v[122:123], v[126:127]
	s_waitcnt vmcnt(0)
	v_fma_f64 v[122:123], v[122:123], v[128:129], -v[130:131]
	v_fma_f64 v[124:125], v[124:125], v[128:129], v[126:127]
	v_add_f64 v[1:2], v[1:2], v[122:123]
	v_add_f64 v[3:4], v[3:4], v[124:125]
	s_andn2_b32 exec_lo, exec_lo, s62
	s_cbranch_execnz .LBB54_732
; %bb.733:
	s_or_b32 exec_lo, exec_lo, s62
.LBB54_734:
	s_or_b32 exec_lo, exec_lo, s8
	v_mov_b32_e32 v118, 0
	ds_read_b128 v[122:125], v118 offset:608
	s_waitcnt lgkmcnt(0)
	v_mul_f64 v[118:119], v[3:4], v[124:125]
	v_mul_f64 v[124:125], v[1:2], v[124:125]
	v_fma_f64 v[1:2], v[1:2], v[122:123], -v[118:119]
	v_fma_f64 v[3:4], v[3:4], v[122:123], v[124:125]
	buffer_store_dword v2, off, s[0:3], 0 offset:612
	buffer_store_dword v1, off, s[0:3], 0 offset:608
	;; [unrolled: 1-line block ×4, first 2 shown]
.LBB54_735:
	s_or_b32 exec_lo, exec_lo, s4
	v_mov_b32_e32 v4, s22
	s_mov_b32 s4, exec_lo
	s_clause 0x3
	buffer_load_dword v1, v4, s[0:3], 0 offen
	buffer_load_dword v2, v4, s[0:3], 0 offen offset:4
	buffer_load_dword v3, v4, s[0:3], 0 offen offset:8
	;; [unrolled: 1-line block ×3, first 2 shown]
	s_waitcnt vmcnt(0)
	ds_write_b128 v116, v[1:4]
	s_waitcnt lgkmcnt(0)
	s_waitcnt_vscnt null, 0x0
	s_barrier
	buffer_gl0_inv
	v_cmpx_gt_u32_e32 39, v0
	s_cbranch_execz .LBB54_743
; %bb.736:
	ds_read_b128 v[1:4], v116
	v_cmp_ne_u32_e32 vcc_lo, 1, v117
	s_cbranch_vccnz .LBB54_738
; %bb.737:
	s_clause 0x3
	buffer_load_dword v118, v115, s[0:3], 0 offen offset:8
	buffer_load_dword v119, v115, s[0:3], 0 offen offset:12
	buffer_load_dword v122, v115, s[0:3], 0 offen
	buffer_load_dword v123, v115, s[0:3], 0 offen offset:4
	s_waitcnt vmcnt(2) lgkmcnt(0)
	v_mul_f64 v[124:125], v[3:4], v[118:119]
	v_mul_f64 v[118:119], v[1:2], v[118:119]
	s_waitcnt vmcnt(0)
	v_fma_f64 v[1:2], v[1:2], v[122:123], -v[124:125]
	v_fma_f64 v[3:4], v[3:4], v[122:123], v[118:119]
.LBB54_738:
	s_mov_b32 s8, exec_lo
	v_cmpx_ne_u32_e32 38, v0
	s_cbranch_execz .LBB54_742
; %bb.739:
	v_add_nc_u32_e32 v118, 0x380, v121
	v_add3_u32 v119, 0, v121, 16
	v_mov_b32_e32 v120, v0
	s_mov_b32 s62, 0
	.p2align	6
.LBB54_740:                             ; =>This Inner Loop Header: Depth=1
	s_clause 0x3
	buffer_load_dword v126, v119, s[0:3], 0 offen offset:8
	buffer_load_dword v127, v119, s[0:3], 0 offen offset:12
	buffer_load_dword v128, v119, s[0:3], 0 offen
	buffer_load_dword v129, v119, s[0:3], 0 offen offset:4
	ds_read_b128 v[122:125], v118
	v_add_nc_u32_e32 v120, 1, v120
	v_add_nc_u32_e32 v118, 16, v118
	v_add_nc_u32_e32 v119, 16, v119
	v_cmp_lt_u32_e32 vcc_lo, 37, v120
	s_or_b32 s62, vcc_lo, s62
	s_waitcnt vmcnt(2) lgkmcnt(0)
	v_mul_f64 v[130:131], v[124:125], v[126:127]
	v_mul_f64 v[126:127], v[122:123], v[126:127]
	s_waitcnt vmcnt(0)
	v_fma_f64 v[122:123], v[122:123], v[128:129], -v[130:131]
	v_fma_f64 v[124:125], v[124:125], v[128:129], v[126:127]
	v_add_f64 v[1:2], v[1:2], v[122:123]
	v_add_f64 v[3:4], v[3:4], v[124:125]
	s_andn2_b32 exec_lo, exec_lo, s62
	s_cbranch_execnz .LBB54_740
; %bb.741:
	s_or_b32 exec_lo, exec_lo, s62
.LBB54_742:
	s_or_b32 exec_lo, exec_lo, s8
	v_mov_b32_e32 v118, 0
	ds_read_b128 v[122:125], v118 offset:624
	s_waitcnt lgkmcnt(0)
	v_mul_f64 v[118:119], v[3:4], v[124:125]
	v_mul_f64 v[124:125], v[1:2], v[124:125]
	v_fma_f64 v[1:2], v[1:2], v[122:123], -v[118:119]
	v_fma_f64 v[3:4], v[3:4], v[122:123], v[124:125]
	buffer_store_dword v2, off, s[0:3], 0 offset:628
	buffer_store_dword v1, off, s[0:3], 0 offset:624
	;; [unrolled: 1-line block ×4, first 2 shown]
.LBB54_743:
	s_or_b32 exec_lo, exec_lo, s4
	v_mov_b32_e32 v4, s21
	s_mov_b32 s4, exec_lo
	s_clause 0x3
	buffer_load_dword v1, v4, s[0:3], 0 offen
	buffer_load_dword v2, v4, s[0:3], 0 offen offset:4
	buffer_load_dword v3, v4, s[0:3], 0 offen offset:8
	;; [unrolled: 1-line block ×3, first 2 shown]
	s_waitcnt vmcnt(0)
	ds_write_b128 v116, v[1:4]
	s_waitcnt lgkmcnt(0)
	s_waitcnt_vscnt null, 0x0
	s_barrier
	buffer_gl0_inv
	v_cmpx_gt_u32_e32 40, v0
	s_cbranch_execz .LBB54_751
; %bb.744:
	ds_read_b128 v[1:4], v116
	v_cmp_ne_u32_e32 vcc_lo, 1, v117
	s_cbranch_vccnz .LBB54_746
; %bb.745:
	s_clause 0x3
	buffer_load_dword v118, v115, s[0:3], 0 offen offset:8
	buffer_load_dword v119, v115, s[0:3], 0 offen offset:12
	buffer_load_dword v122, v115, s[0:3], 0 offen
	buffer_load_dword v123, v115, s[0:3], 0 offen offset:4
	s_waitcnt vmcnt(2) lgkmcnt(0)
	v_mul_f64 v[124:125], v[3:4], v[118:119]
	v_mul_f64 v[118:119], v[1:2], v[118:119]
	s_waitcnt vmcnt(0)
	v_fma_f64 v[1:2], v[1:2], v[122:123], -v[124:125]
	v_fma_f64 v[3:4], v[3:4], v[122:123], v[118:119]
.LBB54_746:
	s_mov_b32 s8, exec_lo
	v_cmpx_ne_u32_e32 39, v0
	s_cbranch_execz .LBB54_750
; %bb.747:
	v_add_nc_u32_e32 v118, 0x380, v121
	v_add3_u32 v119, 0, v121, 16
	v_mov_b32_e32 v120, v0
	s_mov_b32 s62, 0
	.p2align	6
.LBB54_748:                             ; =>This Inner Loop Header: Depth=1
	s_clause 0x3
	buffer_load_dword v126, v119, s[0:3], 0 offen offset:8
	buffer_load_dword v127, v119, s[0:3], 0 offen offset:12
	buffer_load_dword v128, v119, s[0:3], 0 offen
	buffer_load_dword v129, v119, s[0:3], 0 offen offset:4
	ds_read_b128 v[122:125], v118
	v_add_nc_u32_e32 v120, 1, v120
	v_add_nc_u32_e32 v118, 16, v118
	;; [unrolled: 1-line block ×3, first 2 shown]
	v_cmp_lt_u32_e32 vcc_lo, 38, v120
	s_or_b32 s62, vcc_lo, s62
	s_waitcnt vmcnt(2) lgkmcnt(0)
	v_mul_f64 v[130:131], v[124:125], v[126:127]
	v_mul_f64 v[126:127], v[122:123], v[126:127]
	s_waitcnt vmcnt(0)
	v_fma_f64 v[122:123], v[122:123], v[128:129], -v[130:131]
	v_fma_f64 v[124:125], v[124:125], v[128:129], v[126:127]
	v_add_f64 v[1:2], v[1:2], v[122:123]
	v_add_f64 v[3:4], v[3:4], v[124:125]
	s_andn2_b32 exec_lo, exec_lo, s62
	s_cbranch_execnz .LBB54_748
; %bb.749:
	s_or_b32 exec_lo, exec_lo, s62
.LBB54_750:
	s_or_b32 exec_lo, exec_lo, s8
	v_mov_b32_e32 v118, 0
	ds_read_b128 v[122:125], v118 offset:640
	s_waitcnt lgkmcnt(0)
	v_mul_f64 v[118:119], v[3:4], v[124:125]
	v_mul_f64 v[124:125], v[1:2], v[124:125]
	v_fma_f64 v[1:2], v[1:2], v[122:123], -v[118:119]
	v_fma_f64 v[3:4], v[3:4], v[122:123], v[124:125]
	buffer_store_dword v2, off, s[0:3], 0 offset:644
	buffer_store_dword v1, off, s[0:3], 0 offset:640
	;; [unrolled: 1-line block ×4, first 2 shown]
.LBB54_751:
	s_or_b32 exec_lo, exec_lo, s4
	v_mov_b32_e32 v4, s20
	s_mov_b32 s4, exec_lo
	s_clause 0x3
	buffer_load_dword v1, v4, s[0:3], 0 offen
	buffer_load_dword v2, v4, s[0:3], 0 offen offset:4
	buffer_load_dword v3, v4, s[0:3], 0 offen offset:8
	;; [unrolled: 1-line block ×3, first 2 shown]
	s_waitcnt vmcnt(0)
	ds_write_b128 v116, v[1:4]
	s_waitcnt lgkmcnt(0)
	s_waitcnt_vscnt null, 0x0
	s_barrier
	buffer_gl0_inv
	v_cmpx_gt_u32_e32 41, v0
	s_cbranch_execz .LBB54_759
; %bb.752:
	ds_read_b128 v[1:4], v116
	v_cmp_ne_u32_e32 vcc_lo, 1, v117
	s_cbranch_vccnz .LBB54_754
; %bb.753:
	s_clause 0x3
	buffer_load_dword v118, v115, s[0:3], 0 offen offset:8
	buffer_load_dword v119, v115, s[0:3], 0 offen offset:12
	buffer_load_dword v122, v115, s[0:3], 0 offen
	buffer_load_dword v123, v115, s[0:3], 0 offen offset:4
	s_waitcnt vmcnt(2) lgkmcnt(0)
	v_mul_f64 v[124:125], v[3:4], v[118:119]
	v_mul_f64 v[118:119], v[1:2], v[118:119]
	s_waitcnt vmcnt(0)
	v_fma_f64 v[1:2], v[1:2], v[122:123], -v[124:125]
	v_fma_f64 v[3:4], v[3:4], v[122:123], v[118:119]
.LBB54_754:
	s_mov_b32 s8, exec_lo
	v_cmpx_ne_u32_e32 40, v0
	s_cbranch_execz .LBB54_758
; %bb.755:
	v_add_nc_u32_e32 v118, 0x380, v121
	v_add3_u32 v119, 0, v121, 16
	v_mov_b32_e32 v120, v0
	s_mov_b32 s62, 0
	.p2align	6
.LBB54_756:                             ; =>This Inner Loop Header: Depth=1
	s_clause 0x3
	buffer_load_dword v126, v119, s[0:3], 0 offen offset:8
	buffer_load_dword v127, v119, s[0:3], 0 offen offset:12
	buffer_load_dword v128, v119, s[0:3], 0 offen
	buffer_load_dword v129, v119, s[0:3], 0 offen offset:4
	ds_read_b128 v[122:125], v118
	v_add_nc_u32_e32 v120, 1, v120
	v_add_nc_u32_e32 v118, 16, v118
	;; [unrolled: 1-line block ×3, first 2 shown]
	v_cmp_lt_u32_e32 vcc_lo, 39, v120
	s_or_b32 s62, vcc_lo, s62
	s_waitcnt vmcnt(2) lgkmcnt(0)
	v_mul_f64 v[130:131], v[124:125], v[126:127]
	v_mul_f64 v[126:127], v[122:123], v[126:127]
	s_waitcnt vmcnt(0)
	v_fma_f64 v[122:123], v[122:123], v[128:129], -v[130:131]
	v_fma_f64 v[124:125], v[124:125], v[128:129], v[126:127]
	v_add_f64 v[1:2], v[1:2], v[122:123]
	v_add_f64 v[3:4], v[3:4], v[124:125]
	s_andn2_b32 exec_lo, exec_lo, s62
	s_cbranch_execnz .LBB54_756
; %bb.757:
	s_or_b32 exec_lo, exec_lo, s62
.LBB54_758:
	s_or_b32 exec_lo, exec_lo, s8
	v_mov_b32_e32 v118, 0
	ds_read_b128 v[122:125], v118 offset:656
	s_waitcnt lgkmcnt(0)
	v_mul_f64 v[118:119], v[3:4], v[124:125]
	v_mul_f64 v[124:125], v[1:2], v[124:125]
	v_fma_f64 v[1:2], v[1:2], v[122:123], -v[118:119]
	v_fma_f64 v[3:4], v[3:4], v[122:123], v[124:125]
	buffer_store_dword v2, off, s[0:3], 0 offset:660
	buffer_store_dword v1, off, s[0:3], 0 offset:656
	buffer_store_dword v4, off, s[0:3], 0 offset:668
	buffer_store_dword v3, off, s[0:3], 0 offset:664
.LBB54_759:
	s_or_b32 exec_lo, exec_lo, s4
	v_mov_b32_e32 v4, s19
	s_mov_b32 s4, exec_lo
	s_clause 0x3
	buffer_load_dword v1, v4, s[0:3], 0 offen
	buffer_load_dword v2, v4, s[0:3], 0 offen offset:4
	buffer_load_dword v3, v4, s[0:3], 0 offen offset:8
	;; [unrolled: 1-line block ×3, first 2 shown]
	s_waitcnt vmcnt(0)
	ds_write_b128 v116, v[1:4]
	s_waitcnt lgkmcnt(0)
	s_waitcnt_vscnt null, 0x0
	s_barrier
	buffer_gl0_inv
	v_cmpx_gt_u32_e32 42, v0
	s_cbranch_execz .LBB54_767
; %bb.760:
	ds_read_b128 v[1:4], v116
	v_cmp_ne_u32_e32 vcc_lo, 1, v117
	s_cbranch_vccnz .LBB54_762
; %bb.761:
	s_clause 0x3
	buffer_load_dword v118, v115, s[0:3], 0 offen offset:8
	buffer_load_dword v119, v115, s[0:3], 0 offen offset:12
	buffer_load_dword v122, v115, s[0:3], 0 offen
	buffer_load_dword v123, v115, s[0:3], 0 offen offset:4
	s_waitcnt vmcnt(2) lgkmcnt(0)
	v_mul_f64 v[124:125], v[3:4], v[118:119]
	v_mul_f64 v[118:119], v[1:2], v[118:119]
	s_waitcnt vmcnt(0)
	v_fma_f64 v[1:2], v[1:2], v[122:123], -v[124:125]
	v_fma_f64 v[3:4], v[3:4], v[122:123], v[118:119]
.LBB54_762:
	s_mov_b32 s8, exec_lo
	v_cmpx_ne_u32_e32 41, v0
	s_cbranch_execz .LBB54_766
; %bb.763:
	v_add_nc_u32_e32 v118, 0x380, v121
	v_add3_u32 v119, 0, v121, 16
	v_mov_b32_e32 v120, v0
	s_mov_b32 s62, 0
	.p2align	6
.LBB54_764:                             ; =>This Inner Loop Header: Depth=1
	s_clause 0x3
	buffer_load_dword v126, v119, s[0:3], 0 offen offset:8
	buffer_load_dword v127, v119, s[0:3], 0 offen offset:12
	buffer_load_dword v128, v119, s[0:3], 0 offen
	buffer_load_dword v129, v119, s[0:3], 0 offen offset:4
	ds_read_b128 v[122:125], v118
	v_add_nc_u32_e32 v120, 1, v120
	v_add_nc_u32_e32 v118, 16, v118
	;; [unrolled: 1-line block ×3, first 2 shown]
	v_cmp_lt_u32_e32 vcc_lo, 40, v120
	s_or_b32 s62, vcc_lo, s62
	s_waitcnt vmcnt(2) lgkmcnt(0)
	v_mul_f64 v[130:131], v[124:125], v[126:127]
	v_mul_f64 v[126:127], v[122:123], v[126:127]
	s_waitcnt vmcnt(0)
	v_fma_f64 v[122:123], v[122:123], v[128:129], -v[130:131]
	v_fma_f64 v[124:125], v[124:125], v[128:129], v[126:127]
	v_add_f64 v[1:2], v[1:2], v[122:123]
	v_add_f64 v[3:4], v[3:4], v[124:125]
	s_andn2_b32 exec_lo, exec_lo, s62
	s_cbranch_execnz .LBB54_764
; %bb.765:
	s_or_b32 exec_lo, exec_lo, s62
.LBB54_766:
	s_or_b32 exec_lo, exec_lo, s8
	v_mov_b32_e32 v118, 0
	ds_read_b128 v[122:125], v118 offset:672
	s_waitcnt lgkmcnt(0)
	v_mul_f64 v[118:119], v[3:4], v[124:125]
	v_mul_f64 v[124:125], v[1:2], v[124:125]
	v_fma_f64 v[1:2], v[1:2], v[122:123], -v[118:119]
	v_fma_f64 v[3:4], v[3:4], v[122:123], v[124:125]
	buffer_store_dword v2, off, s[0:3], 0 offset:676
	buffer_store_dword v1, off, s[0:3], 0 offset:672
	;; [unrolled: 1-line block ×4, first 2 shown]
.LBB54_767:
	s_or_b32 exec_lo, exec_lo, s4
	v_mov_b32_e32 v4, s18
	s_mov_b32 s4, exec_lo
	s_clause 0x3
	buffer_load_dword v1, v4, s[0:3], 0 offen
	buffer_load_dword v2, v4, s[0:3], 0 offen offset:4
	buffer_load_dword v3, v4, s[0:3], 0 offen offset:8
	;; [unrolled: 1-line block ×3, first 2 shown]
	s_waitcnt vmcnt(0)
	ds_write_b128 v116, v[1:4]
	s_waitcnt lgkmcnt(0)
	s_waitcnt_vscnt null, 0x0
	s_barrier
	buffer_gl0_inv
	v_cmpx_gt_u32_e32 43, v0
	s_cbranch_execz .LBB54_775
; %bb.768:
	ds_read_b128 v[1:4], v116
	v_cmp_ne_u32_e32 vcc_lo, 1, v117
	s_cbranch_vccnz .LBB54_770
; %bb.769:
	s_clause 0x3
	buffer_load_dword v118, v115, s[0:3], 0 offen offset:8
	buffer_load_dword v119, v115, s[0:3], 0 offen offset:12
	buffer_load_dword v122, v115, s[0:3], 0 offen
	buffer_load_dword v123, v115, s[0:3], 0 offen offset:4
	s_waitcnt vmcnt(2) lgkmcnt(0)
	v_mul_f64 v[124:125], v[3:4], v[118:119]
	v_mul_f64 v[118:119], v[1:2], v[118:119]
	s_waitcnt vmcnt(0)
	v_fma_f64 v[1:2], v[1:2], v[122:123], -v[124:125]
	v_fma_f64 v[3:4], v[3:4], v[122:123], v[118:119]
.LBB54_770:
	s_mov_b32 s8, exec_lo
	v_cmpx_ne_u32_e32 42, v0
	s_cbranch_execz .LBB54_774
; %bb.771:
	v_add_nc_u32_e32 v118, 0x380, v121
	v_add3_u32 v119, 0, v121, 16
	v_mov_b32_e32 v120, v0
	s_mov_b32 s62, 0
	.p2align	6
.LBB54_772:                             ; =>This Inner Loop Header: Depth=1
	s_clause 0x3
	buffer_load_dword v126, v119, s[0:3], 0 offen offset:8
	buffer_load_dword v127, v119, s[0:3], 0 offen offset:12
	buffer_load_dword v128, v119, s[0:3], 0 offen
	buffer_load_dword v129, v119, s[0:3], 0 offen offset:4
	ds_read_b128 v[122:125], v118
	v_add_nc_u32_e32 v120, 1, v120
	v_add_nc_u32_e32 v118, 16, v118
	;; [unrolled: 1-line block ×3, first 2 shown]
	v_cmp_lt_u32_e32 vcc_lo, 41, v120
	s_or_b32 s62, vcc_lo, s62
	s_waitcnt vmcnt(2) lgkmcnt(0)
	v_mul_f64 v[130:131], v[124:125], v[126:127]
	v_mul_f64 v[126:127], v[122:123], v[126:127]
	s_waitcnt vmcnt(0)
	v_fma_f64 v[122:123], v[122:123], v[128:129], -v[130:131]
	v_fma_f64 v[124:125], v[124:125], v[128:129], v[126:127]
	v_add_f64 v[1:2], v[1:2], v[122:123]
	v_add_f64 v[3:4], v[3:4], v[124:125]
	s_andn2_b32 exec_lo, exec_lo, s62
	s_cbranch_execnz .LBB54_772
; %bb.773:
	s_or_b32 exec_lo, exec_lo, s62
.LBB54_774:
	s_or_b32 exec_lo, exec_lo, s8
	v_mov_b32_e32 v118, 0
	ds_read_b128 v[122:125], v118 offset:688
	s_waitcnt lgkmcnt(0)
	v_mul_f64 v[118:119], v[3:4], v[124:125]
	v_mul_f64 v[124:125], v[1:2], v[124:125]
	v_fma_f64 v[1:2], v[1:2], v[122:123], -v[118:119]
	v_fma_f64 v[3:4], v[3:4], v[122:123], v[124:125]
	buffer_store_dword v2, off, s[0:3], 0 offset:692
	buffer_store_dword v1, off, s[0:3], 0 offset:688
	;; [unrolled: 1-line block ×4, first 2 shown]
.LBB54_775:
	s_or_b32 exec_lo, exec_lo, s4
	v_mov_b32_e32 v4, s17
	s_mov_b32 s4, exec_lo
	s_clause 0x3
	buffer_load_dword v1, v4, s[0:3], 0 offen
	buffer_load_dword v2, v4, s[0:3], 0 offen offset:4
	buffer_load_dword v3, v4, s[0:3], 0 offen offset:8
	buffer_load_dword v4, v4, s[0:3], 0 offen offset:12
	s_waitcnt vmcnt(0)
	ds_write_b128 v116, v[1:4]
	s_waitcnt lgkmcnt(0)
	s_waitcnt_vscnt null, 0x0
	s_barrier
	buffer_gl0_inv
	v_cmpx_gt_u32_e32 44, v0
	s_cbranch_execz .LBB54_783
; %bb.776:
	ds_read_b128 v[1:4], v116
	v_cmp_ne_u32_e32 vcc_lo, 1, v117
	s_cbranch_vccnz .LBB54_778
; %bb.777:
	s_clause 0x3
	buffer_load_dword v118, v115, s[0:3], 0 offen offset:8
	buffer_load_dword v119, v115, s[0:3], 0 offen offset:12
	buffer_load_dword v122, v115, s[0:3], 0 offen
	buffer_load_dword v123, v115, s[0:3], 0 offen offset:4
	s_waitcnt vmcnt(2) lgkmcnt(0)
	v_mul_f64 v[124:125], v[3:4], v[118:119]
	v_mul_f64 v[118:119], v[1:2], v[118:119]
	s_waitcnt vmcnt(0)
	v_fma_f64 v[1:2], v[1:2], v[122:123], -v[124:125]
	v_fma_f64 v[3:4], v[3:4], v[122:123], v[118:119]
.LBB54_778:
	s_mov_b32 s8, exec_lo
	v_cmpx_ne_u32_e32 43, v0
	s_cbranch_execz .LBB54_782
; %bb.779:
	v_add_nc_u32_e32 v118, 0x380, v121
	v_add3_u32 v119, 0, v121, 16
	v_mov_b32_e32 v120, v0
	s_mov_b32 s62, 0
	.p2align	6
.LBB54_780:                             ; =>This Inner Loop Header: Depth=1
	s_clause 0x3
	buffer_load_dword v126, v119, s[0:3], 0 offen offset:8
	buffer_load_dword v127, v119, s[0:3], 0 offen offset:12
	buffer_load_dword v128, v119, s[0:3], 0 offen
	buffer_load_dword v129, v119, s[0:3], 0 offen offset:4
	ds_read_b128 v[122:125], v118
	v_add_nc_u32_e32 v120, 1, v120
	v_add_nc_u32_e32 v118, 16, v118
	;; [unrolled: 1-line block ×3, first 2 shown]
	v_cmp_lt_u32_e32 vcc_lo, 42, v120
	s_or_b32 s62, vcc_lo, s62
	s_waitcnt vmcnt(2) lgkmcnt(0)
	v_mul_f64 v[130:131], v[124:125], v[126:127]
	v_mul_f64 v[126:127], v[122:123], v[126:127]
	s_waitcnt vmcnt(0)
	v_fma_f64 v[122:123], v[122:123], v[128:129], -v[130:131]
	v_fma_f64 v[124:125], v[124:125], v[128:129], v[126:127]
	v_add_f64 v[1:2], v[1:2], v[122:123]
	v_add_f64 v[3:4], v[3:4], v[124:125]
	s_andn2_b32 exec_lo, exec_lo, s62
	s_cbranch_execnz .LBB54_780
; %bb.781:
	s_or_b32 exec_lo, exec_lo, s62
.LBB54_782:
	s_or_b32 exec_lo, exec_lo, s8
	v_mov_b32_e32 v118, 0
	ds_read_b128 v[122:125], v118 offset:704
	s_waitcnt lgkmcnt(0)
	v_mul_f64 v[118:119], v[3:4], v[124:125]
	v_mul_f64 v[124:125], v[1:2], v[124:125]
	v_fma_f64 v[1:2], v[1:2], v[122:123], -v[118:119]
	v_fma_f64 v[3:4], v[3:4], v[122:123], v[124:125]
	buffer_store_dword v2, off, s[0:3], 0 offset:708
	buffer_store_dword v1, off, s[0:3], 0 offset:704
	;; [unrolled: 1-line block ×4, first 2 shown]
.LBB54_783:
	s_or_b32 exec_lo, exec_lo, s4
	v_mov_b32_e32 v4, s16
	s_mov_b32 s4, exec_lo
	s_clause 0x3
	buffer_load_dword v1, v4, s[0:3], 0 offen
	buffer_load_dword v2, v4, s[0:3], 0 offen offset:4
	buffer_load_dword v3, v4, s[0:3], 0 offen offset:8
	;; [unrolled: 1-line block ×3, first 2 shown]
	s_waitcnt vmcnt(0)
	ds_write_b128 v116, v[1:4]
	s_waitcnt lgkmcnt(0)
	s_waitcnt_vscnt null, 0x0
	s_barrier
	buffer_gl0_inv
	v_cmpx_gt_u32_e32 45, v0
	s_cbranch_execz .LBB54_791
; %bb.784:
	ds_read_b128 v[1:4], v116
	v_cmp_ne_u32_e32 vcc_lo, 1, v117
	s_cbranch_vccnz .LBB54_786
; %bb.785:
	s_clause 0x3
	buffer_load_dword v118, v115, s[0:3], 0 offen offset:8
	buffer_load_dword v119, v115, s[0:3], 0 offen offset:12
	buffer_load_dword v122, v115, s[0:3], 0 offen
	buffer_load_dword v123, v115, s[0:3], 0 offen offset:4
	s_waitcnt vmcnt(2) lgkmcnt(0)
	v_mul_f64 v[124:125], v[3:4], v[118:119]
	v_mul_f64 v[118:119], v[1:2], v[118:119]
	s_waitcnt vmcnt(0)
	v_fma_f64 v[1:2], v[1:2], v[122:123], -v[124:125]
	v_fma_f64 v[3:4], v[3:4], v[122:123], v[118:119]
.LBB54_786:
	s_mov_b32 s8, exec_lo
	v_cmpx_ne_u32_e32 44, v0
	s_cbranch_execz .LBB54_790
; %bb.787:
	v_add_nc_u32_e32 v118, 0x380, v121
	v_add3_u32 v119, 0, v121, 16
	v_mov_b32_e32 v120, v0
	s_mov_b32 s62, 0
	.p2align	6
.LBB54_788:                             ; =>This Inner Loop Header: Depth=1
	s_clause 0x3
	buffer_load_dword v126, v119, s[0:3], 0 offen offset:8
	buffer_load_dword v127, v119, s[0:3], 0 offen offset:12
	buffer_load_dword v128, v119, s[0:3], 0 offen
	buffer_load_dword v129, v119, s[0:3], 0 offen offset:4
	ds_read_b128 v[122:125], v118
	v_add_nc_u32_e32 v120, 1, v120
	v_add_nc_u32_e32 v118, 16, v118
	;; [unrolled: 1-line block ×3, first 2 shown]
	v_cmp_lt_u32_e32 vcc_lo, 43, v120
	s_or_b32 s62, vcc_lo, s62
	s_waitcnt vmcnt(2) lgkmcnt(0)
	v_mul_f64 v[130:131], v[124:125], v[126:127]
	v_mul_f64 v[126:127], v[122:123], v[126:127]
	s_waitcnt vmcnt(0)
	v_fma_f64 v[122:123], v[122:123], v[128:129], -v[130:131]
	v_fma_f64 v[124:125], v[124:125], v[128:129], v[126:127]
	v_add_f64 v[1:2], v[1:2], v[122:123]
	v_add_f64 v[3:4], v[3:4], v[124:125]
	s_andn2_b32 exec_lo, exec_lo, s62
	s_cbranch_execnz .LBB54_788
; %bb.789:
	s_or_b32 exec_lo, exec_lo, s62
.LBB54_790:
	s_or_b32 exec_lo, exec_lo, s8
	v_mov_b32_e32 v118, 0
	ds_read_b128 v[122:125], v118 offset:720
	s_waitcnt lgkmcnt(0)
	v_mul_f64 v[118:119], v[3:4], v[124:125]
	v_mul_f64 v[124:125], v[1:2], v[124:125]
	v_fma_f64 v[1:2], v[1:2], v[122:123], -v[118:119]
	v_fma_f64 v[3:4], v[3:4], v[122:123], v[124:125]
	buffer_store_dword v2, off, s[0:3], 0 offset:724
	buffer_store_dword v1, off, s[0:3], 0 offset:720
	buffer_store_dword v4, off, s[0:3], 0 offset:732
	buffer_store_dword v3, off, s[0:3], 0 offset:728
.LBB54_791:
	s_or_b32 exec_lo, exec_lo, s4
	v_mov_b32_e32 v4, s15
	s_mov_b32 s4, exec_lo
	s_clause 0x3
	buffer_load_dword v1, v4, s[0:3], 0 offen
	buffer_load_dword v2, v4, s[0:3], 0 offen offset:4
	buffer_load_dword v3, v4, s[0:3], 0 offen offset:8
	;; [unrolled: 1-line block ×3, first 2 shown]
	s_waitcnt vmcnt(0)
	ds_write_b128 v116, v[1:4]
	s_waitcnt lgkmcnt(0)
	s_waitcnt_vscnt null, 0x0
	s_barrier
	buffer_gl0_inv
	v_cmpx_gt_u32_e32 46, v0
	s_cbranch_execz .LBB54_799
; %bb.792:
	ds_read_b128 v[1:4], v116
	v_cmp_ne_u32_e32 vcc_lo, 1, v117
	s_cbranch_vccnz .LBB54_794
; %bb.793:
	s_clause 0x3
	buffer_load_dword v118, v115, s[0:3], 0 offen offset:8
	buffer_load_dword v119, v115, s[0:3], 0 offen offset:12
	buffer_load_dword v122, v115, s[0:3], 0 offen
	buffer_load_dword v123, v115, s[0:3], 0 offen offset:4
	s_waitcnt vmcnt(2) lgkmcnt(0)
	v_mul_f64 v[124:125], v[3:4], v[118:119]
	v_mul_f64 v[118:119], v[1:2], v[118:119]
	s_waitcnt vmcnt(0)
	v_fma_f64 v[1:2], v[1:2], v[122:123], -v[124:125]
	v_fma_f64 v[3:4], v[3:4], v[122:123], v[118:119]
.LBB54_794:
	s_mov_b32 s8, exec_lo
	v_cmpx_ne_u32_e32 45, v0
	s_cbranch_execz .LBB54_798
; %bb.795:
	v_add_nc_u32_e32 v118, 0x380, v121
	v_add3_u32 v119, 0, v121, 16
	v_mov_b32_e32 v120, v0
	s_mov_b32 s62, 0
	.p2align	6
.LBB54_796:                             ; =>This Inner Loop Header: Depth=1
	s_clause 0x3
	buffer_load_dword v126, v119, s[0:3], 0 offen offset:8
	buffer_load_dword v127, v119, s[0:3], 0 offen offset:12
	buffer_load_dword v128, v119, s[0:3], 0 offen
	buffer_load_dword v129, v119, s[0:3], 0 offen offset:4
	ds_read_b128 v[122:125], v118
	v_add_nc_u32_e32 v120, 1, v120
	v_add_nc_u32_e32 v118, 16, v118
	;; [unrolled: 1-line block ×3, first 2 shown]
	v_cmp_lt_u32_e32 vcc_lo, 44, v120
	s_or_b32 s62, vcc_lo, s62
	s_waitcnt vmcnt(2) lgkmcnt(0)
	v_mul_f64 v[130:131], v[124:125], v[126:127]
	v_mul_f64 v[126:127], v[122:123], v[126:127]
	s_waitcnt vmcnt(0)
	v_fma_f64 v[122:123], v[122:123], v[128:129], -v[130:131]
	v_fma_f64 v[124:125], v[124:125], v[128:129], v[126:127]
	v_add_f64 v[1:2], v[1:2], v[122:123]
	v_add_f64 v[3:4], v[3:4], v[124:125]
	s_andn2_b32 exec_lo, exec_lo, s62
	s_cbranch_execnz .LBB54_796
; %bb.797:
	s_or_b32 exec_lo, exec_lo, s62
.LBB54_798:
	s_or_b32 exec_lo, exec_lo, s8
	v_mov_b32_e32 v118, 0
	ds_read_b128 v[122:125], v118 offset:736
	s_waitcnt lgkmcnt(0)
	v_mul_f64 v[118:119], v[3:4], v[124:125]
	v_mul_f64 v[124:125], v[1:2], v[124:125]
	v_fma_f64 v[1:2], v[1:2], v[122:123], -v[118:119]
	v_fma_f64 v[3:4], v[3:4], v[122:123], v[124:125]
	buffer_store_dword v2, off, s[0:3], 0 offset:740
	buffer_store_dword v1, off, s[0:3], 0 offset:736
	;; [unrolled: 1-line block ×4, first 2 shown]
.LBB54_799:
	s_or_b32 exec_lo, exec_lo, s4
	v_mov_b32_e32 v4, s14
	s_mov_b32 s4, exec_lo
	s_clause 0x3
	buffer_load_dword v1, v4, s[0:3], 0 offen
	buffer_load_dword v2, v4, s[0:3], 0 offen offset:4
	buffer_load_dword v3, v4, s[0:3], 0 offen offset:8
	;; [unrolled: 1-line block ×3, first 2 shown]
	s_waitcnt vmcnt(0)
	ds_write_b128 v116, v[1:4]
	s_waitcnt lgkmcnt(0)
	s_waitcnt_vscnt null, 0x0
	s_barrier
	buffer_gl0_inv
	v_cmpx_gt_u32_e32 47, v0
	s_cbranch_execz .LBB54_807
; %bb.800:
	ds_read_b128 v[1:4], v116
	v_cmp_ne_u32_e32 vcc_lo, 1, v117
	s_cbranch_vccnz .LBB54_802
; %bb.801:
	s_clause 0x3
	buffer_load_dword v118, v115, s[0:3], 0 offen offset:8
	buffer_load_dword v119, v115, s[0:3], 0 offen offset:12
	buffer_load_dword v122, v115, s[0:3], 0 offen
	buffer_load_dword v123, v115, s[0:3], 0 offen offset:4
	s_waitcnt vmcnt(2) lgkmcnt(0)
	v_mul_f64 v[124:125], v[3:4], v[118:119]
	v_mul_f64 v[118:119], v[1:2], v[118:119]
	s_waitcnt vmcnt(0)
	v_fma_f64 v[1:2], v[1:2], v[122:123], -v[124:125]
	v_fma_f64 v[3:4], v[3:4], v[122:123], v[118:119]
.LBB54_802:
	s_mov_b32 s8, exec_lo
	v_cmpx_ne_u32_e32 46, v0
	s_cbranch_execz .LBB54_806
; %bb.803:
	v_add_nc_u32_e32 v118, 0x380, v121
	v_add3_u32 v119, 0, v121, 16
	v_mov_b32_e32 v120, v0
	s_mov_b32 s62, 0
	.p2align	6
.LBB54_804:                             ; =>This Inner Loop Header: Depth=1
	s_clause 0x3
	buffer_load_dword v126, v119, s[0:3], 0 offen offset:8
	buffer_load_dword v127, v119, s[0:3], 0 offen offset:12
	buffer_load_dword v128, v119, s[0:3], 0 offen
	buffer_load_dword v129, v119, s[0:3], 0 offen offset:4
	ds_read_b128 v[122:125], v118
	v_add_nc_u32_e32 v120, 1, v120
	v_add_nc_u32_e32 v118, 16, v118
	v_add_nc_u32_e32 v119, 16, v119
	v_cmp_lt_u32_e32 vcc_lo, 45, v120
	s_or_b32 s62, vcc_lo, s62
	s_waitcnt vmcnt(2) lgkmcnt(0)
	v_mul_f64 v[130:131], v[124:125], v[126:127]
	v_mul_f64 v[126:127], v[122:123], v[126:127]
	s_waitcnt vmcnt(0)
	v_fma_f64 v[122:123], v[122:123], v[128:129], -v[130:131]
	v_fma_f64 v[124:125], v[124:125], v[128:129], v[126:127]
	v_add_f64 v[1:2], v[1:2], v[122:123]
	v_add_f64 v[3:4], v[3:4], v[124:125]
	s_andn2_b32 exec_lo, exec_lo, s62
	s_cbranch_execnz .LBB54_804
; %bb.805:
	s_or_b32 exec_lo, exec_lo, s62
.LBB54_806:
	s_or_b32 exec_lo, exec_lo, s8
	v_mov_b32_e32 v118, 0
	ds_read_b128 v[122:125], v118 offset:752
	s_waitcnt lgkmcnt(0)
	v_mul_f64 v[118:119], v[3:4], v[124:125]
	v_mul_f64 v[124:125], v[1:2], v[124:125]
	v_fma_f64 v[1:2], v[1:2], v[122:123], -v[118:119]
	v_fma_f64 v[3:4], v[3:4], v[122:123], v[124:125]
	buffer_store_dword v2, off, s[0:3], 0 offset:756
	buffer_store_dword v1, off, s[0:3], 0 offset:752
	;; [unrolled: 1-line block ×4, first 2 shown]
.LBB54_807:
	s_or_b32 exec_lo, exec_lo, s4
	v_mov_b32_e32 v4, s13
	s_mov_b32 s4, exec_lo
	s_clause 0x3
	buffer_load_dword v1, v4, s[0:3], 0 offen
	buffer_load_dword v2, v4, s[0:3], 0 offen offset:4
	buffer_load_dword v3, v4, s[0:3], 0 offen offset:8
	;; [unrolled: 1-line block ×3, first 2 shown]
	s_waitcnt vmcnt(0)
	ds_write_b128 v116, v[1:4]
	s_waitcnt lgkmcnt(0)
	s_waitcnt_vscnt null, 0x0
	s_barrier
	buffer_gl0_inv
	v_cmpx_gt_u32_e32 48, v0
	s_cbranch_execz .LBB54_815
; %bb.808:
	ds_read_b128 v[1:4], v116
	v_cmp_ne_u32_e32 vcc_lo, 1, v117
	s_cbranch_vccnz .LBB54_810
; %bb.809:
	s_clause 0x3
	buffer_load_dword v118, v115, s[0:3], 0 offen offset:8
	buffer_load_dword v119, v115, s[0:3], 0 offen offset:12
	buffer_load_dword v122, v115, s[0:3], 0 offen
	buffer_load_dword v123, v115, s[0:3], 0 offen offset:4
	s_waitcnt vmcnt(2) lgkmcnt(0)
	v_mul_f64 v[124:125], v[3:4], v[118:119]
	v_mul_f64 v[118:119], v[1:2], v[118:119]
	s_waitcnt vmcnt(0)
	v_fma_f64 v[1:2], v[1:2], v[122:123], -v[124:125]
	v_fma_f64 v[3:4], v[3:4], v[122:123], v[118:119]
.LBB54_810:
	s_mov_b32 s8, exec_lo
	v_cmpx_ne_u32_e32 47, v0
	s_cbranch_execz .LBB54_814
; %bb.811:
	v_add_nc_u32_e32 v118, 0x380, v121
	v_add3_u32 v119, 0, v121, 16
	v_mov_b32_e32 v120, v0
	s_mov_b32 s62, 0
	.p2align	6
.LBB54_812:                             ; =>This Inner Loop Header: Depth=1
	s_clause 0x3
	buffer_load_dword v126, v119, s[0:3], 0 offen offset:8
	buffer_load_dword v127, v119, s[0:3], 0 offen offset:12
	buffer_load_dword v128, v119, s[0:3], 0 offen
	buffer_load_dword v129, v119, s[0:3], 0 offen offset:4
	ds_read_b128 v[122:125], v118
	v_add_nc_u32_e32 v120, 1, v120
	v_add_nc_u32_e32 v118, 16, v118
	;; [unrolled: 1-line block ×3, first 2 shown]
	v_cmp_lt_u32_e32 vcc_lo, 46, v120
	s_or_b32 s62, vcc_lo, s62
	s_waitcnt vmcnt(2) lgkmcnt(0)
	v_mul_f64 v[130:131], v[124:125], v[126:127]
	v_mul_f64 v[126:127], v[122:123], v[126:127]
	s_waitcnt vmcnt(0)
	v_fma_f64 v[122:123], v[122:123], v[128:129], -v[130:131]
	v_fma_f64 v[124:125], v[124:125], v[128:129], v[126:127]
	v_add_f64 v[1:2], v[1:2], v[122:123]
	v_add_f64 v[3:4], v[3:4], v[124:125]
	s_andn2_b32 exec_lo, exec_lo, s62
	s_cbranch_execnz .LBB54_812
; %bb.813:
	s_or_b32 exec_lo, exec_lo, s62
.LBB54_814:
	s_or_b32 exec_lo, exec_lo, s8
	v_mov_b32_e32 v118, 0
	ds_read_b128 v[122:125], v118 offset:768
	s_waitcnt lgkmcnt(0)
	v_mul_f64 v[118:119], v[3:4], v[124:125]
	v_mul_f64 v[124:125], v[1:2], v[124:125]
	v_fma_f64 v[1:2], v[1:2], v[122:123], -v[118:119]
	v_fma_f64 v[3:4], v[3:4], v[122:123], v[124:125]
	buffer_store_dword v2, off, s[0:3], 0 offset:772
	buffer_store_dword v1, off, s[0:3], 0 offset:768
	;; [unrolled: 1-line block ×4, first 2 shown]
.LBB54_815:
	s_or_b32 exec_lo, exec_lo, s4
	v_mov_b32_e32 v4, s12
	s_mov_b32 s4, exec_lo
	s_clause 0x3
	buffer_load_dword v1, v4, s[0:3], 0 offen
	buffer_load_dword v2, v4, s[0:3], 0 offen offset:4
	buffer_load_dword v3, v4, s[0:3], 0 offen offset:8
	;; [unrolled: 1-line block ×3, first 2 shown]
	s_waitcnt vmcnt(0)
	ds_write_b128 v116, v[1:4]
	s_waitcnt lgkmcnt(0)
	s_waitcnt_vscnt null, 0x0
	s_barrier
	buffer_gl0_inv
	v_cmpx_gt_u32_e32 49, v0
	s_cbranch_execz .LBB54_823
; %bb.816:
	ds_read_b128 v[1:4], v116
	v_cmp_ne_u32_e32 vcc_lo, 1, v117
	s_cbranch_vccnz .LBB54_818
; %bb.817:
	s_clause 0x3
	buffer_load_dword v118, v115, s[0:3], 0 offen offset:8
	buffer_load_dword v119, v115, s[0:3], 0 offen offset:12
	buffer_load_dword v122, v115, s[0:3], 0 offen
	buffer_load_dword v123, v115, s[0:3], 0 offen offset:4
	s_waitcnt vmcnt(2) lgkmcnt(0)
	v_mul_f64 v[124:125], v[3:4], v[118:119]
	v_mul_f64 v[118:119], v[1:2], v[118:119]
	s_waitcnt vmcnt(0)
	v_fma_f64 v[1:2], v[1:2], v[122:123], -v[124:125]
	v_fma_f64 v[3:4], v[3:4], v[122:123], v[118:119]
.LBB54_818:
	s_mov_b32 s8, exec_lo
	v_cmpx_ne_u32_e32 48, v0
	s_cbranch_execz .LBB54_822
; %bb.819:
	v_add_nc_u32_e32 v118, 0x380, v121
	v_add3_u32 v119, 0, v121, 16
	v_mov_b32_e32 v120, v0
	s_mov_b32 s62, 0
	.p2align	6
.LBB54_820:                             ; =>This Inner Loop Header: Depth=1
	s_clause 0x3
	buffer_load_dword v126, v119, s[0:3], 0 offen offset:8
	buffer_load_dword v127, v119, s[0:3], 0 offen offset:12
	buffer_load_dword v128, v119, s[0:3], 0 offen
	buffer_load_dword v129, v119, s[0:3], 0 offen offset:4
	ds_read_b128 v[122:125], v118
	v_add_nc_u32_e32 v120, 1, v120
	v_add_nc_u32_e32 v118, 16, v118
	;; [unrolled: 1-line block ×3, first 2 shown]
	v_cmp_lt_u32_e32 vcc_lo, 47, v120
	s_or_b32 s62, vcc_lo, s62
	s_waitcnt vmcnt(2) lgkmcnt(0)
	v_mul_f64 v[130:131], v[124:125], v[126:127]
	v_mul_f64 v[126:127], v[122:123], v[126:127]
	s_waitcnt vmcnt(0)
	v_fma_f64 v[122:123], v[122:123], v[128:129], -v[130:131]
	v_fma_f64 v[124:125], v[124:125], v[128:129], v[126:127]
	v_add_f64 v[1:2], v[1:2], v[122:123]
	v_add_f64 v[3:4], v[3:4], v[124:125]
	s_andn2_b32 exec_lo, exec_lo, s62
	s_cbranch_execnz .LBB54_820
; %bb.821:
	s_or_b32 exec_lo, exec_lo, s62
.LBB54_822:
	s_or_b32 exec_lo, exec_lo, s8
	v_mov_b32_e32 v118, 0
	ds_read_b128 v[122:125], v118 offset:784
	s_waitcnt lgkmcnt(0)
	v_mul_f64 v[118:119], v[3:4], v[124:125]
	v_mul_f64 v[124:125], v[1:2], v[124:125]
	v_fma_f64 v[1:2], v[1:2], v[122:123], -v[118:119]
	v_fma_f64 v[3:4], v[3:4], v[122:123], v[124:125]
	buffer_store_dword v2, off, s[0:3], 0 offset:788
	buffer_store_dword v1, off, s[0:3], 0 offset:784
	;; [unrolled: 1-line block ×4, first 2 shown]
.LBB54_823:
	s_or_b32 exec_lo, exec_lo, s4
	v_mov_b32_e32 v4, s11
	s_mov_b32 s4, exec_lo
	s_clause 0x3
	buffer_load_dword v1, v4, s[0:3], 0 offen
	buffer_load_dword v2, v4, s[0:3], 0 offen offset:4
	buffer_load_dword v3, v4, s[0:3], 0 offen offset:8
	buffer_load_dword v4, v4, s[0:3], 0 offen offset:12
	s_waitcnt vmcnt(0)
	ds_write_b128 v116, v[1:4]
	s_waitcnt lgkmcnt(0)
	s_waitcnt_vscnt null, 0x0
	s_barrier
	buffer_gl0_inv
	v_cmpx_gt_u32_e32 50, v0
	s_cbranch_execz .LBB54_831
; %bb.824:
	ds_read_b128 v[1:4], v116
	v_cmp_ne_u32_e32 vcc_lo, 1, v117
	s_cbranch_vccnz .LBB54_826
; %bb.825:
	s_clause 0x3
	buffer_load_dword v118, v115, s[0:3], 0 offen offset:8
	buffer_load_dword v119, v115, s[0:3], 0 offen offset:12
	buffer_load_dword v122, v115, s[0:3], 0 offen
	buffer_load_dword v123, v115, s[0:3], 0 offen offset:4
	s_waitcnt vmcnt(2) lgkmcnt(0)
	v_mul_f64 v[124:125], v[3:4], v[118:119]
	v_mul_f64 v[118:119], v[1:2], v[118:119]
	s_waitcnt vmcnt(0)
	v_fma_f64 v[1:2], v[1:2], v[122:123], -v[124:125]
	v_fma_f64 v[3:4], v[3:4], v[122:123], v[118:119]
.LBB54_826:
	s_mov_b32 s8, exec_lo
	v_cmpx_ne_u32_e32 49, v0
	s_cbranch_execz .LBB54_830
; %bb.827:
	v_add_nc_u32_e32 v118, 0x380, v121
	v_add3_u32 v119, 0, v121, 16
	v_mov_b32_e32 v120, v0
	s_mov_b32 s62, 0
	.p2align	6
.LBB54_828:                             ; =>This Inner Loop Header: Depth=1
	s_clause 0x3
	buffer_load_dword v126, v119, s[0:3], 0 offen offset:8
	buffer_load_dword v127, v119, s[0:3], 0 offen offset:12
	buffer_load_dword v128, v119, s[0:3], 0 offen
	buffer_load_dword v129, v119, s[0:3], 0 offen offset:4
	ds_read_b128 v[122:125], v118
	v_add_nc_u32_e32 v120, 1, v120
	v_add_nc_u32_e32 v118, 16, v118
	v_add_nc_u32_e32 v119, 16, v119
	v_cmp_lt_u32_e32 vcc_lo, 48, v120
	s_or_b32 s62, vcc_lo, s62
	s_waitcnt vmcnt(2) lgkmcnt(0)
	v_mul_f64 v[130:131], v[124:125], v[126:127]
	v_mul_f64 v[126:127], v[122:123], v[126:127]
	s_waitcnt vmcnt(0)
	v_fma_f64 v[122:123], v[122:123], v[128:129], -v[130:131]
	v_fma_f64 v[124:125], v[124:125], v[128:129], v[126:127]
	v_add_f64 v[1:2], v[1:2], v[122:123]
	v_add_f64 v[3:4], v[3:4], v[124:125]
	s_andn2_b32 exec_lo, exec_lo, s62
	s_cbranch_execnz .LBB54_828
; %bb.829:
	s_or_b32 exec_lo, exec_lo, s62
.LBB54_830:
	s_or_b32 exec_lo, exec_lo, s8
	v_mov_b32_e32 v118, 0
	ds_read_b128 v[122:125], v118 offset:800
	s_waitcnt lgkmcnt(0)
	v_mul_f64 v[118:119], v[3:4], v[124:125]
	v_mul_f64 v[124:125], v[1:2], v[124:125]
	v_fma_f64 v[1:2], v[1:2], v[122:123], -v[118:119]
	v_fma_f64 v[3:4], v[3:4], v[122:123], v[124:125]
	buffer_store_dword v2, off, s[0:3], 0 offset:804
	buffer_store_dword v1, off, s[0:3], 0 offset:800
	;; [unrolled: 1-line block ×4, first 2 shown]
.LBB54_831:
	s_or_b32 exec_lo, exec_lo, s4
	v_mov_b32_e32 v4, s10
	s_mov_b32 s4, exec_lo
	s_clause 0x3
	buffer_load_dword v1, v4, s[0:3], 0 offen
	buffer_load_dword v2, v4, s[0:3], 0 offen offset:4
	buffer_load_dword v3, v4, s[0:3], 0 offen offset:8
	;; [unrolled: 1-line block ×3, first 2 shown]
	s_waitcnt vmcnt(0)
	ds_write_b128 v116, v[1:4]
	s_waitcnt lgkmcnt(0)
	s_waitcnt_vscnt null, 0x0
	s_barrier
	buffer_gl0_inv
	v_cmpx_gt_u32_e32 51, v0
	s_cbranch_execz .LBB54_839
; %bb.832:
	ds_read_b128 v[1:4], v116
	v_cmp_ne_u32_e32 vcc_lo, 1, v117
	s_cbranch_vccnz .LBB54_834
; %bb.833:
	s_clause 0x3
	buffer_load_dword v118, v115, s[0:3], 0 offen offset:8
	buffer_load_dword v119, v115, s[0:3], 0 offen offset:12
	buffer_load_dword v122, v115, s[0:3], 0 offen
	buffer_load_dword v123, v115, s[0:3], 0 offen offset:4
	s_waitcnt vmcnt(2) lgkmcnt(0)
	v_mul_f64 v[124:125], v[3:4], v[118:119]
	v_mul_f64 v[118:119], v[1:2], v[118:119]
	s_waitcnt vmcnt(0)
	v_fma_f64 v[1:2], v[1:2], v[122:123], -v[124:125]
	v_fma_f64 v[3:4], v[3:4], v[122:123], v[118:119]
.LBB54_834:
	s_mov_b32 s8, exec_lo
	v_cmpx_ne_u32_e32 50, v0
	s_cbranch_execz .LBB54_838
; %bb.835:
	v_add_nc_u32_e32 v118, 0x380, v121
	v_add3_u32 v119, 0, v121, 16
	v_mov_b32_e32 v120, v0
	s_mov_b32 s62, 0
	.p2align	6
.LBB54_836:                             ; =>This Inner Loop Header: Depth=1
	s_clause 0x3
	buffer_load_dword v126, v119, s[0:3], 0 offen offset:8
	buffer_load_dword v127, v119, s[0:3], 0 offen offset:12
	buffer_load_dword v128, v119, s[0:3], 0 offen
	buffer_load_dword v129, v119, s[0:3], 0 offen offset:4
	ds_read_b128 v[122:125], v118
	v_add_nc_u32_e32 v120, 1, v120
	v_add_nc_u32_e32 v118, 16, v118
	;; [unrolled: 1-line block ×3, first 2 shown]
	v_cmp_lt_u32_e32 vcc_lo, 49, v120
	s_or_b32 s62, vcc_lo, s62
	s_waitcnt vmcnt(2) lgkmcnt(0)
	v_mul_f64 v[130:131], v[124:125], v[126:127]
	v_mul_f64 v[126:127], v[122:123], v[126:127]
	s_waitcnt vmcnt(0)
	v_fma_f64 v[122:123], v[122:123], v[128:129], -v[130:131]
	v_fma_f64 v[124:125], v[124:125], v[128:129], v[126:127]
	v_add_f64 v[1:2], v[1:2], v[122:123]
	v_add_f64 v[3:4], v[3:4], v[124:125]
	s_andn2_b32 exec_lo, exec_lo, s62
	s_cbranch_execnz .LBB54_836
; %bb.837:
	s_or_b32 exec_lo, exec_lo, s62
.LBB54_838:
	s_or_b32 exec_lo, exec_lo, s8
	v_mov_b32_e32 v118, 0
	ds_read_b128 v[122:125], v118 offset:816
	s_waitcnt lgkmcnt(0)
	v_mul_f64 v[118:119], v[3:4], v[124:125]
	v_mul_f64 v[124:125], v[1:2], v[124:125]
	v_fma_f64 v[1:2], v[1:2], v[122:123], -v[118:119]
	v_fma_f64 v[3:4], v[3:4], v[122:123], v[124:125]
	buffer_store_dword v2, off, s[0:3], 0 offset:820
	buffer_store_dword v1, off, s[0:3], 0 offset:816
	;; [unrolled: 1-line block ×4, first 2 shown]
.LBB54_839:
	s_or_b32 exec_lo, exec_lo, s4
	v_mov_b32_e32 v4, s9
	s_mov_b32 s4, exec_lo
	s_clause 0x3
	buffer_load_dword v1, v4, s[0:3], 0 offen
	buffer_load_dword v2, v4, s[0:3], 0 offen offset:4
	buffer_load_dword v3, v4, s[0:3], 0 offen offset:8
	;; [unrolled: 1-line block ×3, first 2 shown]
	s_waitcnt vmcnt(0)
	ds_write_b128 v116, v[1:4]
	s_waitcnt lgkmcnt(0)
	s_waitcnt_vscnt null, 0x0
	s_barrier
	buffer_gl0_inv
	v_cmpx_gt_u32_e32 52, v0
	s_cbranch_execz .LBB54_847
; %bb.840:
	ds_read_b128 v[1:4], v116
	v_cmp_ne_u32_e32 vcc_lo, 1, v117
	s_cbranch_vccnz .LBB54_842
; %bb.841:
	s_clause 0x3
	buffer_load_dword v118, v115, s[0:3], 0 offen offset:8
	buffer_load_dword v119, v115, s[0:3], 0 offen offset:12
	buffer_load_dword v122, v115, s[0:3], 0 offen
	buffer_load_dword v123, v115, s[0:3], 0 offen offset:4
	s_waitcnt vmcnt(2) lgkmcnt(0)
	v_mul_f64 v[124:125], v[3:4], v[118:119]
	v_mul_f64 v[118:119], v[1:2], v[118:119]
	s_waitcnt vmcnt(0)
	v_fma_f64 v[1:2], v[1:2], v[122:123], -v[124:125]
	v_fma_f64 v[3:4], v[3:4], v[122:123], v[118:119]
.LBB54_842:
	s_mov_b32 s8, exec_lo
	v_cmpx_ne_u32_e32 51, v0
	s_cbranch_execz .LBB54_846
; %bb.843:
	v_add_nc_u32_e32 v118, 0x380, v121
	v_add3_u32 v119, 0, v121, 16
	v_mov_b32_e32 v120, v0
	s_mov_b32 s62, 0
	.p2align	6
.LBB54_844:                             ; =>This Inner Loop Header: Depth=1
	s_clause 0x3
	buffer_load_dword v126, v119, s[0:3], 0 offen offset:8
	buffer_load_dword v127, v119, s[0:3], 0 offen offset:12
	buffer_load_dword v128, v119, s[0:3], 0 offen
	buffer_load_dword v129, v119, s[0:3], 0 offen offset:4
	ds_read_b128 v[122:125], v118
	v_add_nc_u32_e32 v120, 1, v120
	v_add_nc_u32_e32 v118, 16, v118
	;; [unrolled: 1-line block ×3, first 2 shown]
	v_cmp_lt_u32_e32 vcc_lo, 50, v120
	s_or_b32 s62, vcc_lo, s62
	s_waitcnt vmcnt(2) lgkmcnt(0)
	v_mul_f64 v[130:131], v[124:125], v[126:127]
	v_mul_f64 v[126:127], v[122:123], v[126:127]
	s_waitcnt vmcnt(0)
	v_fma_f64 v[122:123], v[122:123], v[128:129], -v[130:131]
	v_fma_f64 v[124:125], v[124:125], v[128:129], v[126:127]
	v_add_f64 v[1:2], v[1:2], v[122:123]
	v_add_f64 v[3:4], v[3:4], v[124:125]
	s_andn2_b32 exec_lo, exec_lo, s62
	s_cbranch_execnz .LBB54_844
; %bb.845:
	s_or_b32 exec_lo, exec_lo, s62
.LBB54_846:
	s_or_b32 exec_lo, exec_lo, s8
	v_mov_b32_e32 v118, 0
	ds_read_b128 v[122:125], v118 offset:832
	s_waitcnt lgkmcnt(0)
	v_mul_f64 v[118:119], v[3:4], v[124:125]
	v_mul_f64 v[124:125], v[1:2], v[124:125]
	v_fma_f64 v[1:2], v[1:2], v[122:123], -v[118:119]
	v_fma_f64 v[3:4], v[3:4], v[122:123], v[124:125]
	buffer_store_dword v2, off, s[0:3], 0 offset:836
	buffer_store_dword v1, off, s[0:3], 0 offset:832
	;; [unrolled: 1-line block ×4, first 2 shown]
.LBB54_847:
	s_or_b32 exec_lo, exec_lo, s4
	v_mov_b32_e32 v4, s7
	v_cmp_gt_u32_e64 s4, 53, v0
	s_clause 0x3
	buffer_load_dword v1, v4, s[0:3], 0 offen
	buffer_load_dword v2, v4, s[0:3], 0 offen offset:4
	buffer_load_dword v3, v4, s[0:3], 0 offen offset:8
	;; [unrolled: 1-line block ×3, first 2 shown]
	s_waitcnt vmcnt(0)
	ds_write_b128 v116, v[1:4]
	s_waitcnt lgkmcnt(0)
	s_waitcnt_vscnt null, 0x0
	s_barrier
	buffer_gl0_inv
	s_and_saveexec_b32 s8, s4
	s_cbranch_execz .LBB54_855
; %bb.848:
	ds_read_b128 v[1:4], v116
	v_cmp_ne_u32_e32 vcc_lo, 1, v117
	s_cbranch_vccnz .LBB54_850
; %bb.849:
	s_clause 0x3
	buffer_load_dword v118, v115, s[0:3], 0 offen offset:8
	buffer_load_dword v119, v115, s[0:3], 0 offen offset:12
	buffer_load_dword v122, v115, s[0:3], 0 offen
	buffer_load_dword v123, v115, s[0:3], 0 offen offset:4
	s_waitcnt vmcnt(2) lgkmcnt(0)
	v_mul_f64 v[124:125], v[3:4], v[118:119]
	v_mul_f64 v[118:119], v[1:2], v[118:119]
	s_waitcnt vmcnt(0)
	v_fma_f64 v[1:2], v[1:2], v[122:123], -v[124:125]
	v_fma_f64 v[3:4], v[3:4], v[122:123], v[118:119]
.LBB54_850:
	s_mov_b32 s62, exec_lo
	v_cmpx_ne_u32_e32 52, v0
	s_cbranch_execz .LBB54_854
; %bb.851:
	v_add_nc_u32_e32 v118, 0x380, v121
	v_add3_u32 v119, 0, v121, 16
	v_mov_b32_e32 v120, v0
	s_mov_b32 s63, 0
	.p2align	6
.LBB54_852:                             ; =>This Inner Loop Header: Depth=1
	s_clause 0x3
	buffer_load_dword v126, v119, s[0:3], 0 offen offset:8
	buffer_load_dword v127, v119, s[0:3], 0 offen offset:12
	buffer_load_dword v128, v119, s[0:3], 0 offen
	buffer_load_dword v129, v119, s[0:3], 0 offen offset:4
	ds_read_b128 v[122:125], v118
	v_add_nc_u32_e32 v120, 1, v120
	v_add_nc_u32_e32 v118, 16, v118
	;; [unrolled: 1-line block ×3, first 2 shown]
	v_cmp_lt_u32_e32 vcc_lo, 51, v120
	s_or_b32 s63, vcc_lo, s63
	s_waitcnt vmcnt(2) lgkmcnt(0)
	v_mul_f64 v[130:131], v[124:125], v[126:127]
	v_mul_f64 v[126:127], v[122:123], v[126:127]
	s_waitcnt vmcnt(0)
	v_fma_f64 v[122:123], v[122:123], v[128:129], -v[130:131]
	v_fma_f64 v[124:125], v[124:125], v[128:129], v[126:127]
	v_add_f64 v[1:2], v[1:2], v[122:123]
	v_add_f64 v[3:4], v[3:4], v[124:125]
	s_andn2_b32 exec_lo, exec_lo, s63
	s_cbranch_execnz .LBB54_852
; %bb.853:
	s_or_b32 exec_lo, exec_lo, s63
.LBB54_854:
	s_or_b32 exec_lo, exec_lo, s62
	v_mov_b32_e32 v118, 0
	ds_read_b128 v[122:125], v118 offset:848
	s_waitcnt lgkmcnt(0)
	v_mul_f64 v[118:119], v[3:4], v[124:125]
	v_mul_f64 v[124:125], v[1:2], v[124:125]
	v_fma_f64 v[1:2], v[1:2], v[122:123], -v[118:119]
	v_fma_f64 v[3:4], v[3:4], v[122:123], v[124:125]
	buffer_store_dword v2, off, s[0:3], 0 offset:852
	buffer_store_dword v1, off, s[0:3], 0 offset:848
	;; [unrolled: 1-line block ×4, first 2 shown]
.LBB54_855:
	s_or_b32 exec_lo, exec_lo, s8
	v_mov_b32_e32 v4, s6
	s_mov_b32 s8, exec_lo
                                        ; implicit-def: $sgpr64
	s_clause 0x3
	buffer_load_dword v1, v4, s[0:3], 0 offen
	buffer_load_dword v2, v4, s[0:3], 0 offen offset:4
	buffer_load_dword v3, v4, s[0:3], 0 offen offset:8
	;; [unrolled: 1-line block ×3, first 2 shown]
	s_waitcnt vmcnt(0)
	ds_write_b128 v116, v[1:4]
	s_waitcnt lgkmcnt(0)
	s_waitcnt_vscnt null, 0x0
	s_barrier
	buffer_gl0_inv
                                        ; implicit-def: $vgpr1_vgpr2
	v_cmpx_ne_u32_e32 54, v0
	s_cbranch_execz .LBB54_863
; %bb.856:
	ds_read_b128 v[1:4], v116
	v_cmp_ne_u32_e32 vcc_lo, 1, v117
	s_cbranch_vccnz .LBB54_858
; %bb.857:
	s_clause 0x3
	buffer_load_dword v116, v115, s[0:3], 0 offen offset:8
	buffer_load_dword v117, v115, s[0:3], 0 offen offset:12
	buffer_load_dword v118, v115, s[0:3], 0 offen
	buffer_load_dword v119, v115, s[0:3], 0 offen offset:4
	s_waitcnt vmcnt(2) lgkmcnt(0)
	v_mul_f64 v[122:123], v[3:4], v[116:117]
	v_mul_f64 v[115:116], v[1:2], v[116:117]
	s_waitcnt vmcnt(0)
	v_fma_f64 v[1:2], v[1:2], v[118:119], -v[122:123]
	v_fma_f64 v[3:4], v[3:4], v[118:119], v[115:116]
.LBB54_858:
	s_and_saveexec_b32 s62, s4
	s_cbranch_execz .LBB54_862
; %bb.859:
	v_add_nc_u32_e32 v115, 0x380, v121
	v_add3_u32 v116, 0, v121, 16
	s_mov_b32 s4, 0
	.p2align	6
.LBB54_860:                             ; =>This Inner Loop Header: Depth=1
	s_clause 0x3
	buffer_load_dword v121, v116, s[0:3], 0 offen offset:8
	buffer_load_dword v122, v116, s[0:3], 0 offen offset:12
	buffer_load_dword v123, v116, s[0:3], 0 offen
	buffer_load_dword v124, v116, s[0:3], 0 offen offset:4
	ds_read_b128 v[117:120], v115
	v_add_nc_u32_e32 v0, 1, v0
	v_add_nc_u32_e32 v115, 16, v115
	;; [unrolled: 1-line block ×3, first 2 shown]
	v_cmp_lt_u32_e32 vcc_lo, 52, v0
	s_or_b32 s4, vcc_lo, s4
	s_waitcnt vmcnt(2) lgkmcnt(0)
	v_mul_f64 v[125:126], v[119:120], v[121:122]
	v_mul_f64 v[121:122], v[117:118], v[121:122]
	s_waitcnt vmcnt(0)
	v_fma_f64 v[117:118], v[117:118], v[123:124], -v[125:126]
	v_fma_f64 v[119:120], v[119:120], v[123:124], v[121:122]
	v_add_f64 v[1:2], v[1:2], v[117:118]
	v_add_f64 v[3:4], v[3:4], v[119:120]
	s_andn2_b32 exec_lo, exec_lo, s4
	s_cbranch_execnz .LBB54_860
; %bb.861:
	s_or_b32 exec_lo, exec_lo, s4
.LBB54_862:
	s_or_b32 exec_lo, exec_lo, s62
	v_mov_b32_e32 v0, 0
	s_movk_i32 s64, 0x368
	s_or_b32 s5, s5, exec_lo
	ds_read_b128 v[115:118], v0 offset:864
	s_waitcnt lgkmcnt(0)
	v_mul_f64 v[119:120], v[3:4], v[117:118]
	v_mul_f64 v[117:118], v[1:2], v[117:118]
	v_fma_f64 v[119:120], v[1:2], v[115:116], -v[119:120]
	v_fma_f64 v[1:2], v[3:4], v[115:116], v[117:118]
	buffer_store_dword v120, off, s[0:3], 0 offset:868
	buffer_store_dword v119, off, s[0:3], 0 offset:864
.LBB54_863:
	s_or_b32 exec_lo, exec_lo, s8
.LBB54_864:
	s_and_saveexec_b32 s4, s5
	s_cbranch_execz .LBB54_866
; %bb.865:
	v_mov_b32_e32 v0, s64
	buffer_store_dword v2, v0, s[0:3], 0 offen offset:4
	buffer_store_dword v1, v0, s[0:3], 0 offen
.LBB54_866:
	s_or_b32 exec_lo, exec_lo, s4
	s_clause 0x3
	buffer_load_dword v0, off, s[0:3], 0
	buffer_load_dword v1, off, s[0:3], 0 offset:4
	buffer_load_dword v2, off, s[0:3], 0 offset:8
	;; [unrolled: 1-line block ×3, first 2 shown]
	v_mov_b32_e32 v4, s61
	v_mov_b32_e32 v139, s53
	v_mov_b32_e32 v148, s15
	v_mov_b32_e32 v150, s13
	s_clause 0x3
	buffer_load_dword v115, v4, s[0:3], 0 offen
	buffer_load_dword v116, v4, s[0:3], 0 offen offset:4
	buffer_load_dword v117, v4, s[0:3], 0 offen offset:8
	;; [unrolled: 1-line block ×3, first 2 shown]
	v_mov_b32_e32 v4, s60
	v_mov_b32_e32 v152, s11
	;; [unrolled: 1-line block ×3, first 2 shown]
	s_clause 0x3
	buffer_load_dword v119, v4, s[0:3], 0 offen
	buffer_load_dword v120, v4, s[0:3], 0 offen offset:4
	buffer_load_dword v121, v4, s[0:3], 0 offen offset:8
	;; [unrolled: 1-line block ×3, first 2 shown]
	v_mov_b32_e32 v4, s59
	v_mov_b32_e32 v154, s9
	s_clause 0x3
	buffer_load_dword v123, v4, s[0:3], 0 offen
	buffer_load_dword v124, v4, s[0:3], 0 offen offset:4
	buffer_load_dword v125, v4, s[0:3], 0 offen offset:8
	buffer_load_dword v126, v4, s[0:3], 0 offen offset:12
	v_mov_b32_e32 v4, s58
	s_clause 0x3
	buffer_load_dword v127, v4, s[0:3], 0 offen
	buffer_load_dword v128, v4, s[0:3], 0 offen offset:4
	buffer_load_dword v129, v4, s[0:3], 0 offen offset:8
	buffer_load_dword v130, v4, s[0:3], 0 offen offset:12
	;; [unrolled: 6-line block ×4, first 2 shown]
	v_mov_b32_e32 v4, s55
	v_mov_b32_e32 v149, s14
	;; [unrolled: 1-line block ×6, first 2 shown]
	s_waitcnt vmcnt(24)
	global_store_dwordx4 v[15:16], v[0:3], off
	s_clause 0x3
	buffer_load_dword v0, v4, s[0:3], 0 offen
	buffer_load_dword v1, v4, s[0:3], 0 offen offset:4
	buffer_load_dword v2, v4, s[0:3], 0 offen offset:8
	;; [unrolled: 1-line block ×3, first 2 shown]
	v_mov_b32_e32 v4, s54
	s_waitcnt vmcnt(24)
	global_store_dwordx4 v[13:14], v[115:118], off
	s_clause 0x7
	buffer_load_dword v13, v4, s[0:3], 0 offen
	buffer_load_dword v14, v4, s[0:3], 0 offen offset:4
	buffer_load_dword v15, v4, s[0:3], 0 offen offset:8
	;; [unrolled: 1-line block ×3, first 2 shown]
	buffer_load_dword v115, v139, s[0:3], 0 offen
	buffer_load_dword v116, v139, s[0:3], 0 offen offset:4
	buffer_load_dword v117, v139, s[0:3], 0 offen offset:8
	;; [unrolled: 1-line block ×3, first 2 shown]
	v_mov_b32_e32 v4, s52
	s_waitcnt vmcnt(28)
	global_store_dwordx4 v[87:88], v[119:122], off
	s_clause 0x3
	buffer_load_dword v119, v4, s[0:3], 0 offen
	buffer_load_dword v120, v4, s[0:3], 0 offen offset:4
	buffer_load_dword v121, v4, s[0:3], 0 offen offset:8
	;; [unrolled: 1-line block ×3, first 2 shown]
	v_mov_b32_e32 v4, s51
	s_clause 0x3
	buffer_load_dword v139, v4, s[0:3], 0 offen
	buffer_load_dword v140, v4, s[0:3], 0 offen offset:4
	buffer_load_dword v141, v4, s[0:3], 0 offen offset:8
	;; [unrolled: 1-line block ×3, first 2 shown]
	v_mov_b32_e32 v4, s50
	s_waitcnt vmcnt(32)
	global_store_dwordx4 v[85:86], v[123:126], off
	s_clause 0x3
	buffer_load_dword v85, v4, s[0:3], 0 offen
	buffer_load_dword v86, v4, s[0:3], 0 offen offset:4
	buffer_load_dword v87, v4, s[0:3], 0 offen offset:8
	;; [unrolled: 1-line block ×3, first 2 shown]
	v_mov_b32_e32 v4, s49
	s_waitcnt vmcnt(32)
	global_store_dwordx4 v[83:84], v[127:130], off
	s_clause 0x3
	buffer_load_dword v123, v4, s[0:3], 0 offen
	buffer_load_dword v124, v4, s[0:3], 0 offen offset:4
	buffer_load_dword v125, v4, s[0:3], 0 offen offset:8
	;; [unrolled: 1-line block ×3, first 2 shown]
	v_mov_b32_e32 v4, s48
	s_clause 0x3
	buffer_load_dword v127, v4, s[0:3], 0 offen
	buffer_load_dword v128, v4, s[0:3], 0 offen offset:4
	buffer_load_dword v129, v4, s[0:3], 0 offen offset:8
	;; [unrolled: 1-line block ×3, first 2 shown]
	v_mov_b32_e32 v4, s47
	s_waitcnt vmcnt(36)
	global_store_dwordx4 v[81:82], v[131:134], off
	s_clause 0x3
	buffer_load_dword v81, v4, s[0:3], 0 offen
	buffer_load_dword v82, v4, s[0:3], 0 offen offset:4
	buffer_load_dword v83, v4, s[0:3], 0 offen offset:8
	;; [unrolled: 1-line block ×3, first 2 shown]
	v_mov_b32_e32 v4, s46
	s_waitcnt vmcnt(36)
	global_store_dwordx4 v[79:80], v[135:138], off
	s_clause 0x3
	buffer_load_dword v131, v4, s[0:3], 0 offen
	buffer_load_dword v132, v4, s[0:3], 0 offen offset:4
	buffer_load_dword v133, v4, s[0:3], 0 offen offset:8
	;; [unrolled: 1-line block ×3, first 2 shown]
	v_mov_b32_e32 v4, s45
	v_mov_b32_e32 v80, s44
	;; [unrolled: 1-line block ×5, first 2 shown]
	s_waitcnt vmcnt(36)
	global_store_dwordx4 v[77:78], v[0:3], off
	s_clause 0x3
	buffer_load_dword v0, v4, s[0:3], 0 offen
	buffer_load_dword v1, v4, s[0:3], 0 offen offset:4
	buffer_load_dword v2, v4, s[0:3], 0 offen offset:8
	;; [unrolled: 1-line block ×3, first 2 shown]
	v_mov_b32_e32 v4, s43
	s_clause 0x3
	buffer_load_dword v77, v80, s[0:3], 0 offen
	buffer_load_dword v78, v80, s[0:3], 0 offen offset:4
	buffer_load_dword v79, v80, s[0:3], 0 offen offset:8
	;; [unrolled: 1-line block ×3, first 2 shown]
	s_waitcnt vmcnt(40)
	global_store_dwordx4 v[75:76], v[13:16], off
	s_clause 0x3
	buffer_load_dword v13, v4, s[0:3], 0 offen
	buffer_load_dword v14, v4, s[0:3], 0 offen offset:4
	buffer_load_dword v15, v4, s[0:3], 0 offen offset:8
	buffer_load_dword v16, v4, s[0:3], 0 offen offset:12
	v_mov_b32_e32 v4, s40
	s_waitcnt vmcnt(40)
	global_store_dwordx4 v[73:74], v[115:118], off
	s_clause 0x7
	buffer_load_dword v73, v135, s[0:3], 0 offen
	buffer_load_dword v74, v135, s[0:3], 0 offen offset:4
	buffer_load_dword v75, v135, s[0:3], 0 offen offset:8
	;; [unrolled: 1-line block ×3, first 2 shown]
	buffer_load_dword v115, v136, s[0:3], 0 offen
	buffer_load_dword v116, v136, s[0:3], 0 offen offset:4
	buffer_load_dword v117, v136, s[0:3], 0 offen offset:8
	;; [unrolled: 1-line block ×3, first 2 shown]
	s_waitcnt vmcnt(44)
	global_store_dwordx4 v[71:72], v[119:122], off
	s_clause 0x7
	buffer_load_dword v119, v4, s[0:3], 0 offen
	buffer_load_dword v120, v4, s[0:3], 0 offen offset:4
	buffer_load_dword v121, v4, s[0:3], 0 offen offset:8
	;; [unrolled: 1-line block ×3, first 2 shown]
	buffer_load_dword v135, v138, s[0:3], 0 offen
	buffer_load_dword v136, v138, s[0:3], 0 offen offset:4
	buffer_load_dword v137, v138, s[0:3], 0 offen offset:8
	;; [unrolled: 1-line block ×3, first 2 shown]
	v_mov_b32_e32 v4, s38
	s_waitcnt vmcnt(48)
	global_store_dwordx4 v[69:70], v[139:142], off
	s_clause 0x3
	buffer_load_dword v69, v4, s[0:3], 0 offen
	buffer_load_dword v70, v4, s[0:3], 0 offen offset:4
	buffer_load_dword v71, v4, s[0:3], 0 offen offset:8
	;; [unrolled: 1-line block ×3, first 2 shown]
	v_mov_b32_e32 v4, s37
	v_mov_b32_e32 v142, s36
	s_waitcnt vmcnt(48)
	global_store_dwordx4 v[63:64], v[85:88], off
	s_clause 0x7
	buffer_load_dword v85, v4, s[0:3], 0 offen
	buffer_load_dword v86, v4, s[0:3], 0 offen offset:4
	buffer_load_dword v87, v4, s[0:3], 0 offen offset:8
	;; [unrolled: 1-line block ×3, first 2 shown]
	buffer_load_dword v139, v142, s[0:3], 0 offen
	buffer_load_dword v140, v142, s[0:3], 0 offen offset:4
	buffer_load_dword v141, v142, s[0:3], 0 offen offset:8
	;; [unrolled: 1-line block ×3, first 2 shown]
	v_mov_b32_e32 v4, s35
	v_mov_b32_e32 v64, s21
	;; [unrolled: 1-line block ×3, first 2 shown]
	s_waitcnt vmcnt(52)
	global_store_dwordx4 v[59:60], v[123:126], off
	s_clause 0x3
	buffer_load_dword v123, v4, s[0:3], 0 offen
	buffer_load_dword v124, v4, s[0:3], 0 offen offset:4
	buffer_load_dword v125, v4, s[0:3], 0 offen offset:8
	;; [unrolled: 1-line block ×3, first 2 shown]
	v_mov_b32_e32 v4, s34
	v_mov_b32_e32 v59, s33
	;; [unrolled: 1-line block ×3, first 2 shown]
	s_waitcnt vmcnt(52)
	global_store_dwordx4 v[53:54], v[127:130], off
	s_clause 0x7
	buffer_load_dword v127, v4, s[0:3], 0 offen
	buffer_load_dword v128, v4, s[0:3], 0 offen offset:4
	buffer_load_dword v129, v4, s[0:3], 0 offen offset:8
	;; [unrolled: 1-line block ×3, first 2 shown]
	buffer_load_dword v143, v59, s[0:3], 0 offen
	buffer_load_dword v144, v59, s[0:3], 0 offen offset:4
	buffer_load_dword v145, v59, s[0:3], 0 offen offset:8
	;; [unrolled: 1-line block ×3, first 2 shown]
	v_mov_b32_e32 v4, s31
	v_mov_b32_e32 v59, s26
	s_waitcnt vmcnt(56)
	global_store_dwordx4 v[55:56], v[81:84], off
	s_clause 0x3
	buffer_load_dword v53, v4, s[0:3], 0 offen
	buffer_load_dword v54, v4, s[0:3], 0 offen offset:4
	buffer_load_dword v55, v4, s[0:3], 0 offen offset:8
	;; [unrolled: 1-line block ×3, first 2 shown]
	v_mov_b32_e32 v4, s30
	s_waitcnt vmcnt(56)
	global_store_dwordx4 v[51:52], v[131:134], off
	s_clause 0x3
	buffer_load_dword v81, v4, s[0:3], 0 offen
	buffer_load_dword v82, v4, s[0:3], 0 offen offset:4
	buffer_load_dword v83, v4, s[0:3], 0 offen offset:8
	;; [unrolled: 1-line block ×3, first 2 shown]
	v_mov_b32_e32 v4, s29
	v_mov_b32_e32 v52, s27
	v_mov_b32_e32 v51, s28
	v_mov_b32_e32 v132, s19
	v_mov_b32_e32 v134, s17
	v_mov_b32_e32 v131, s20
	v_mov_b32_e32 v133, s18
	s_waitcnt vmcnt(56)
	global_store_dwordx4 v[43:44], v[0:3], off
	v_mov_b32_e32 v43, s25
	s_waitcnt vmcnt(52)
	global_store_dwordx4 v[31:32], v[77:80], off
	v_mov_b32_e32 v44, s24
	s_waitcnt vmcnt(48)
	global_store_dwordx4 v[21:22], v[13:16], off
	s_waitcnt vmcnt(44)
	global_store_dwordx4 v[17:18], v[73:76], off
	;; [unrolled: 2-line block ×3, first 2 shown]
	s_clause 0x7
	buffer_load_dword v0, v4, s[0:3], 0 offen
	buffer_load_dword v1, v4, s[0:3], 0 offen offset:4
	buffer_load_dword v2, v4, s[0:3], 0 offen offset:8
	buffer_load_dword v3, v4, s[0:3], 0 offen offset:12
	buffer_load_dword v13, v51, s[0:3], 0 offen
	buffer_load_dword v14, v51, s[0:3], 0 offen offset:4
	buffer_load_dword v15, v51, s[0:3], 0 offen offset:8
	buffer_load_dword v16, v51, s[0:3], 0 offen offset:12
	s_waitcnt vmcnt(44)
	global_store_dwordx4 v[23:24], v[119:122], off
	s_clause 0x7
	buffer_load_dword v17, v52, s[0:3], 0 offen
	buffer_load_dword v18, v52, s[0:3], 0 offen offset:4
	buffer_load_dword v19, v52, s[0:3], 0 offen offset:8
	buffer_load_dword v20, v52, s[0:3], 0 offen offset:12
	buffer_load_dword v21, v59, s[0:3], 0 offen
	buffer_load_dword v22, v59, s[0:3], 0 offen offset:4
	buffer_load_dword v23, v59, s[0:3], 0 offen offset:8
	buffer_load_dword v24, v59, s[0:3], 0 offen offset:12
	s_waitcnt vmcnt(48)
	global_store_dwordx4 v[25:26], v[135:138], off
	;; [unrolled: 11-line block ×7, first 2 shown]
	s_clause 0x7
	buffer_load_dword v127, v148, s[0:3], 0 offen
	buffer_load_dword v128, v148, s[0:3], 0 offen offset:4
	buffer_load_dword v129, v148, s[0:3], 0 offen offset:8
	;; [unrolled: 1-line block ×3, first 2 shown]
	buffer_load_dword v131, v149, s[0:3], 0 offen
	buffer_load_dword v132, v149, s[0:3], 0 offen offset:4
	buffer_load_dword v133, v149, s[0:3], 0 offen offset:8
	;; [unrolled: 1-line block ×3, first 2 shown]
	global_store_dwordx4 v[39:40], v[143:146], off
	s_clause 0x7
	buffer_load_dword v37, v150, s[0:3], 0 offen
	buffer_load_dword v38, v150, s[0:3], 0 offen offset:4
	buffer_load_dword v39, v150, s[0:3], 0 offen offset:8
	;; [unrolled: 1-line block ×3, first 2 shown]
	buffer_load_dword v135, v151, s[0:3], 0 offen
	buffer_load_dword v136, v151, s[0:3], 0 offen offset:4
	buffer_load_dword v137, v151, s[0:3], 0 offen offset:8
	;; [unrolled: 1-line block ×3, first 2 shown]
	s_waitcnt vmcnt(62)
	global_store_dwordx4 v[41:42], v[53:56], off
	s_clause 0x7
	buffer_load_dword v41, v152, s[0:3], 0 offen
	buffer_load_dword v42, v152, s[0:3], 0 offen offset:4
	buffer_load_dword v43, v152, s[0:3], 0 offen offset:8
	;; [unrolled: 1-line block ×3, first 2 shown]
	buffer_load_dword v51, v153, s[0:3], 0 offen
	buffer_load_dword v52, v153, s[0:3], 0 offen offset:4
	buffer_load_dword v53, v153, s[0:3], 0 offen offset:8
	;; [unrolled: 1-line block ×3, first 2 shown]
	global_store_dwordx4 v[45:46], v[81:84], off
	s_clause 0xb
	buffer_load_dword v81, v154, s[0:3], 0 offen
	buffer_load_dword v82, v154, s[0:3], 0 offen offset:4
	buffer_load_dword v83, v154, s[0:3], 0 offen offset:8
	buffer_load_dword v84, v154, s[0:3], 0 offen offset:12
	buffer_load_dword v139, v155, s[0:3], 0 offen
	buffer_load_dword v140, v155, s[0:3], 0 offen offset:4
	buffer_load_dword v141, v155, s[0:3], 0 offen offset:8
	buffer_load_dword v142, v155, s[0:3], 0 offen offset:12
	;; [unrolled: 4-line block ×3, first 2 shown]
	global_store_dwordx4 v[47:48], v[0:3], off
	global_store_dwordx4 v[49:50], v[13:16], off
	s_waitcnt vmcnt(62)
	global_store_dwordx4 v[57:58], v[17:20], off
	global_store_dwordx4 v[61:62], v[21:24], off
	;; [unrolled: 1-line block ×5, first 2 shown]
	s_waitcnt vmcnt(60)
	global_store_dwordx4 v[7:8], v[69:72], off
	s_waitcnt vmcnt(56)
	global_store_dwordx4 v[9:10], v[29:32], off
	;; [unrolled: 2-line block ×16, first 2 shown]
.LBB54_867:
	s_endpgm
	.section	.rodata,"a",@progbits
	.p2align	6, 0x0
	.amdhsa_kernel _ZN9rocsolver6v33100L18trti2_kernel_smallILi55E19rocblas_complex_numIdEPS3_EEv13rocblas_fill_17rocblas_diagonal_T1_iil
		.amdhsa_group_segment_fixed_size 1760
		.amdhsa_private_segment_fixed_size 896
		.amdhsa_kernarg_size 32
		.amdhsa_user_sgpr_count 6
		.amdhsa_user_sgpr_private_segment_buffer 1
		.amdhsa_user_sgpr_dispatch_ptr 0
		.amdhsa_user_sgpr_queue_ptr 0
		.amdhsa_user_sgpr_kernarg_segment_ptr 1
		.amdhsa_user_sgpr_dispatch_id 0
		.amdhsa_user_sgpr_flat_scratch_init 0
		.amdhsa_user_sgpr_private_segment_size 0
		.amdhsa_wavefront_size32 1
		.amdhsa_uses_dynamic_stack 0
		.amdhsa_system_sgpr_private_segment_wavefront_offset 1
		.amdhsa_system_sgpr_workgroup_id_x 1
		.amdhsa_system_sgpr_workgroup_id_y 0
		.amdhsa_system_sgpr_workgroup_id_z 0
		.amdhsa_system_sgpr_workgroup_info 0
		.amdhsa_system_vgpr_workitem_id 0
		.amdhsa_next_free_vgpr 157
		.amdhsa_next_free_sgpr 87
		.amdhsa_reserve_vcc 1
		.amdhsa_reserve_flat_scratch 0
		.amdhsa_float_round_mode_32 0
		.amdhsa_float_round_mode_16_64 0
		.amdhsa_float_denorm_mode_32 3
		.amdhsa_float_denorm_mode_16_64 3
		.amdhsa_dx10_clamp 1
		.amdhsa_ieee_mode 1
		.amdhsa_fp16_overflow 0
		.amdhsa_workgroup_processor_mode 1
		.amdhsa_memory_ordered 1
		.amdhsa_forward_progress 1
		.amdhsa_shared_vgpr_count 0
		.amdhsa_exception_fp_ieee_invalid_op 0
		.amdhsa_exception_fp_denorm_src 0
		.amdhsa_exception_fp_ieee_div_zero 0
		.amdhsa_exception_fp_ieee_overflow 0
		.amdhsa_exception_fp_ieee_underflow 0
		.amdhsa_exception_fp_ieee_inexact 0
		.amdhsa_exception_int_div_zero 0
	.end_amdhsa_kernel
	.section	.text._ZN9rocsolver6v33100L18trti2_kernel_smallILi55E19rocblas_complex_numIdEPS3_EEv13rocblas_fill_17rocblas_diagonal_T1_iil,"axG",@progbits,_ZN9rocsolver6v33100L18trti2_kernel_smallILi55E19rocblas_complex_numIdEPS3_EEv13rocblas_fill_17rocblas_diagonal_T1_iil,comdat
.Lfunc_end54:
	.size	_ZN9rocsolver6v33100L18trti2_kernel_smallILi55E19rocblas_complex_numIdEPS3_EEv13rocblas_fill_17rocblas_diagonal_T1_iil, .Lfunc_end54-_ZN9rocsolver6v33100L18trti2_kernel_smallILi55E19rocblas_complex_numIdEPS3_EEv13rocblas_fill_17rocblas_diagonal_T1_iil
                                        ; -- End function
	.set _ZN9rocsolver6v33100L18trti2_kernel_smallILi55E19rocblas_complex_numIdEPS3_EEv13rocblas_fill_17rocblas_diagonal_T1_iil.num_vgpr, 157
	.set _ZN9rocsolver6v33100L18trti2_kernel_smallILi55E19rocblas_complex_numIdEPS3_EEv13rocblas_fill_17rocblas_diagonal_T1_iil.num_agpr, 0
	.set _ZN9rocsolver6v33100L18trti2_kernel_smallILi55E19rocblas_complex_numIdEPS3_EEv13rocblas_fill_17rocblas_diagonal_T1_iil.numbered_sgpr, 87
	.set _ZN9rocsolver6v33100L18trti2_kernel_smallILi55E19rocblas_complex_numIdEPS3_EEv13rocblas_fill_17rocblas_diagonal_T1_iil.num_named_barrier, 0
	.set _ZN9rocsolver6v33100L18trti2_kernel_smallILi55E19rocblas_complex_numIdEPS3_EEv13rocblas_fill_17rocblas_diagonal_T1_iil.private_seg_size, 896
	.set _ZN9rocsolver6v33100L18trti2_kernel_smallILi55E19rocblas_complex_numIdEPS3_EEv13rocblas_fill_17rocblas_diagonal_T1_iil.uses_vcc, 1
	.set _ZN9rocsolver6v33100L18trti2_kernel_smallILi55E19rocblas_complex_numIdEPS3_EEv13rocblas_fill_17rocblas_diagonal_T1_iil.uses_flat_scratch, 0
	.set _ZN9rocsolver6v33100L18trti2_kernel_smallILi55E19rocblas_complex_numIdEPS3_EEv13rocblas_fill_17rocblas_diagonal_T1_iil.has_dyn_sized_stack, 0
	.set _ZN9rocsolver6v33100L18trti2_kernel_smallILi55E19rocblas_complex_numIdEPS3_EEv13rocblas_fill_17rocblas_diagonal_T1_iil.has_recursion, 0
	.set _ZN9rocsolver6v33100L18trti2_kernel_smallILi55E19rocblas_complex_numIdEPS3_EEv13rocblas_fill_17rocblas_diagonal_T1_iil.has_indirect_call, 0
	.section	.AMDGPU.csdata,"",@progbits
; Kernel info:
; codeLenInByte = 55996
; TotalNumSgprs: 89
; NumVgprs: 157
; ScratchSize: 896
; MemoryBound: 0
; FloatMode: 240
; IeeeMode: 1
; LDSByteSize: 1760 bytes/workgroup (compile time only)
; SGPRBlocks: 0
; VGPRBlocks: 19
; NumSGPRsForWavesPerEU: 89
; NumVGPRsForWavesPerEU: 157
; Occupancy: 6
; WaveLimiterHint : 0
; COMPUTE_PGM_RSRC2:SCRATCH_EN: 1
; COMPUTE_PGM_RSRC2:USER_SGPR: 6
; COMPUTE_PGM_RSRC2:TRAP_HANDLER: 0
; COMPUTE_PGM_RSRC2:TGID_X_EN: 1
; COMPUTE_PGM_RSRC2:TGID_Y_EN: 0
; COMPUTE_PGM_RSRC2:TGID_Z_EN: 0
; COMPUTE_PGM_RSRC2:TIDIG_COMP_CNT: 0
	.section	.text._ZN9rocsolver6v33100L18trti2_kernel_smallILi56E19rocblas_complex_numIdEPS3_EEv13rocblas_fill_17rocblas_diagonal_T1_iil,"axG",@progbits,_ZN9rocsolver6v33100L18trti2_kernel_smallILi56E19rocblas_complex_numIdEPS3_EEv13rocblas_fill_17rocblas_diagonal_T1_iil,comdat
	.globl	_ZN9rocsolver6v33100L18trti2_kernel_smallILi56E19rocblas_complex_numIdEPS3_EEv13rocblas_fill_17rocblas_diagonal_T1_iil ; -- Begin function _ZN9rocsolver6v33100L18trti2_kernel_smallILi56E19rocblas_complex_numIdEPS3_EEv13rocblas_fill_17rocblas_diagonal_T1_iil
	.p2align	8
	.type	_ZN9rocsolver6v33100L18trti2_kernel_smallILi56E19rocblas_complex_numIdEPS3_EEv13rocblas_fill_17rocblas_diagonal_T1_iil,@function
_ZN9rocsolver6v33100L18trti2_kernel_smallILi56E19rocblas_complex_numIdEPS3_EEv13rocblas_fill_17rocblas_diagonal_T1_iil: ; @_ZN9rocsolver6v33100L18trti2_kernel_smallILi56E19rocblas_complex_numIdEPS3_EEv13rocblas_fill_17rocblas_diagonal_T1_iil
; %bb.0:
	s_add_u32 s0, s0, s7
	s_addc_u32 s1, s1, 0
	s_mov_b32 s7, exec_lo
	v_cmpx_gt_u32_e32 56, v0
	s_cbranch_execz .LBB55_883
; %bb.1:
	s_load_dwordx8 s[8:15], s[4:5], 0x0
	s_ashr_i32 s4, s6, 31
	v_lshlrev_b32_e32 v123, 4, v0
	s_movk_i32 s16, 0xf0
	s_movk_i32 s17, 0x100
	;; [unrolled: 1-line block ×17, first 2 shown]
	s_waitcnt lgkmcnt(0)
	s_mul_hi_u32 s7, s14, s6
	s_mul_i32 s4, s14, s4
	s_mul_i32 s15, s15, s6
	s_add_i32 s4, s7, s4
	v_add3_u32 v1, s13, s13, v0
	s_mul_i32 s6, s14, s6
	s_add_i32 s7, s4, s15
	s_ashr_i32 s5, s12, 31
	s_lshl_b64 s[6:7], s[6:7], 4
	s_mov_b32 s4, s12
	s_add_u32 s6, s10, s6
	s_addc_u32 s7, s11, s7
	s_lshl_b64 s[4:5], s[4:5], 4
	v_ashrrev_i32_e32 v2, 31, v1
	s_add_u32 s4, s6, s4
	s_addc_u32 s5, s7, s5
	v_add_co_u32 v75, s6, s4, v123
	s_mov_b32 s14, s13
	s_ashr_i32 s15, s13, 31
	v_lshlrev_b64 v[2:3], 4, v[1:2]
	v_add_co_ci_u32_e64 v76, null, s5, 0, s6
	v_add_nc_u32_e32 v1, s13, v1
	s_lshl_b64 s[6:7], s[14:15], 4
	global_load_dwordx4 v[7:10], v123, s[4:5]
	v_add_co_u32 v63, vcc_lo, v75, s6
	v_add_co_ci_u32_e64 v64, null, s7, v76, vcc_lo
	v_add_co_u32 v51, vcc_lo, s4, v2
	v_ashrrev_i32_e32 v2, 31, v1
	v_add_co_ci_u32_e64 v52, null, s5, v3, vcc_lo
	global_load_dwordx4 v[11:14], v[63:64], off
	s_cmpk_lg_i32 s9, 0x84
	v_lshlrev_b64 v[2:3], 4, v[1:2]
	v_add_nc_u32_e32 v1, s13, v1
	global_load_dwordx4 v[15:18], v[51:52], off
	s_movk_i32 s6, 0x70
	s_movk_i32 s7, 0x80
	;; [unrolled: 1-line block ×3, first 2 shown]
	v_add_co_u32 v53, vcc_lo, s4, v2
	v_ashrrev_i32_e32 v2, 31, v1
	v_add_co_ci_u32_e64 v54, null, s5, v3, vcc_lo
	v_add_nc_u32_e32 v3, s13, v1
	s_movk_i32 s11, 0xa0
	v_lshlrev_b64 v[1:2], 4, v[1:2]
	global_load_dwordx4 v[19:22], v[53:54], off
	s_movk_i32 s12, 0xb0
	v_add_nc_u32_e32 v5, s13, v3
	v_ashrrev_i32_e32 v4, 31, v3
	s_movk_i32 s14, 0xd0
	v_add_co_u32 v49, vcc_lo, s4, v1
	v_add_co_ci_u32_e64 v50, null, s5, v2, vcc_lo
	v_add_nc_u32_e32 v27, s13, v5
	v_ashrrev_i32_e32 v6, 31, v5
	v_lshlrev_b64 v[3:4], 4, v[3:4]
	global_load_dwordx4 v[23:26], v[49:50], off
	s_movk_i32 s15, 0xe0
	v_add_nc_u32_e32 v29, s13, v27
	v_ashrrev_i32_e32 v28, 31, v27
	v_lshlrev_b64 v[45:46], 4, v[5:6]
	s_movk_i32 s65, 0x200
	s_movk_i32 s66, 0x210
	v_add_nc_u32_e32 v31, s13, v29
	v_lshlrev_b64 v[27:28], 4, v[27:28]
	v_ashrrev_i32_e32 v30, 31, v29
	s_movk_i32 s67, 0x220
	s_movk_i32 s68, 0x230
	v_add_nc_u32_e32 v33, s13, v31
	v_ashrrev_i32_e32 v32, 31, v31
	s_movk_i32 s69, 0x240
	s_movk_i32 s70, 0x250
	s_movk_i32 s71, 0x260
	v_add_nc_u32_e32 v35, s13, v33
	v_ashrrev_i32_e32 v34, 31, v33
	s_movk_i32 s72, 0x270
	;; [unrolled: 5-line block ×6, first 2 shown]
	s_movk_i32 s85, 0x340
	s_movk_i32 s86, 0x350
	v_add_nc_u32_e32 v59, s13, v44
	s_movk_i32 s87, 0x360
	s_cselect_b32 s64, -1, 0
	s_cmpk_eq_i32 s9, 0x84
	s_movk_i32 s88, 0x370
	v_add_nc_u32_e32 v69, s13, v59
	v_ashrrev_i32_e32 v60, 31, v59
	v_add_nc_u32_e32 v116, s13, v69
	v_ashrrev_i32_e32 v70, 31, v69
	;; [unrolled: 2-line block ×21, first 2 shown]
	v_add_nc_u32_e32 v47, s13, v41
	v_add_nc_u32_e32 v55, s13, v47
	v_ashrrev_i32_e32 v48, 31, v47
	v_add_nc_u32_e32 v77, s13, v55
	v_ashrrev_i32_e32 v56, 31, v55
	v_lshlrev_b64 v[47:48], 4, v[47:48]
	v_add_nc_u32_e32 v87, s13, v77
	v_lshlrev_b64 v[55:56], 4, v[55:56]
	v_ashrrev_i32_e32 v78, 31, v77
	v_add_nc_u32_e32 v83, s13, v87
	v_ashrrev_i32_e32 v88, 31, v87
	v_lshlrev_b64 v[77:78], 4, v[77:78]
	v_add_nc_u32_e32 v93, s13, v83
	v_lshlrev_b64 v[87:88], 4, v[87:88]
	v_ashrrev_i32_e32 v84, 31, v83
	v_add_nc_u32_e32 v95, s13, v93
	v_ashrrev_i32_e32 v94, 31, v93
	v_add_nc_u32_e32 v99, s13, v95
	v_ashrrev_i32_e32 v96, 31, v95
	v_lshlrev_b64 v[93:94], 4, v[93:94]
	v_add_nc_u32_e32 v97, s13, v99
	v_lshlrev_b64 v[95:96], 4, v[95:96]
	v_ashrrev_i32_e32 v100, 31, v99
	v_add_nc_u32_e32 v103, s13, v97
	v_ashrrev_i32_e32 v98, 31, v97
	v_lshlrev_b64 v[99:100], 4, v[99:100]
	v_add_nc_u32_e32 v101, s13, v103
	v_ashrrev_i32_e32 v104, 31, v103
	v_add_nc_u32_e32 v105, s13, v101
	v_ashrrev_i32_e32 v102, 31, v101
	v_lshlrev_b64 v[103:104], 4, v[103:104]
	v_add_nc_u32_e32 v107, s13, v105
	v_ashrrev_i32_e32 v106, 31, v105
	v_add_nc_u32_e32 v111, s13, v107
	v_lshlrev_b64 v[105:106], 4, v[105:106]
	v_ashrrev_i32_e32 v108, 31, v107
	v_add_nc_u32_e32 v109, s13, v111
	v_ashrrev_i32_e32 v112, 31, v111
	v_lshlrev_b64 v[107:108], 4, v[107:108]
	v_add_nc_u32_e32 v115, s13, v109
	v_ashrrev_i32_e32 v110, 31, v109
	v_lshlrev_b64 v[111:112], 4, v[111:112]
	v_add_nc_u32_e32 v113, s13, v115
	v_add_nc_u32_e32 v1, s13, v113
	v_ashrrev_i32_e32 v114, 31, v113
	s_movk_i32 s13, 0xc0
	v_ashrrev_i32_e32 v2, 31, v1
	v_lshlrev_b64 v[1:2], 4, v[1:2]
	v_add_co_u32 v5, vcc_lo, s4, v1
	v_add_co_ci_u32_e64 v6, null, s5, v2, vcc_lo
	v_add_co_u32 v91, vcc_lo, s4, v3
	v_add_co_ci_u32_e64 v92, null, s5, v4, vcc_lo
	global_load_dwordx4 v[1:4], v[5:6], off
	v_add_co_u32 v89, vcc_lo, s4, v45
	v_add_co_ci_u32_e64 v90, null, s5, v46, vcc_lo
	v_add_co_u32 v85, vcc_lo, s4, v27
	v_add_co_ci_u32_e64 v86, null, s5, v28, vcc_lo
	v_lshlrev_b64 v[27:28], 4, v[29:30]
	s_waitcnt vmcnt(5)
	buffer_store_dword v10, off, s[0:3], 0 offset:12
	buffer_store_dword v9, off, s[0:3], 0 offset:8
	;; [unrolled: 1-line block ×3, first 2 shown]
	buffer_store_dword v7, off, s[0:3], 0
	global_load_dwordx4 v[7:10], v[91:92], off
	s_waitcnt vmcnt(5)
	buffer_store_dword v14, off, s[0:3], 0 offset:28
	buffer_store_dword v13, off, s[0:3], 0 offset:24
	;; [unrolled: 1-line block ×4, first 2 shown]
	global_load_dwordx4 v[11:14], v[89:90], off
	v_add_co_u32 v79, vcc_lo, s4, v27
	v_add_co_ci_u32_e64 v80, null, s5, v28, vcc_lo
	v_lshlrev_b64 v[27:28], 4, v[31:32]
	s_waitcnt vmcnt(5)
	buffer_store_dword v18, off, s[0:3], 0 offset:44
	buffer_store_dword v17, off, s[0:3], 0 offset:40
	;; [unrolled: 1-line block ×4, first 2 shown]
	global_load_dwordx4 v[15:18], v[85:86], off
	s_waitcnt vmcnt(5)
	buffer_store_dword v22, off, s[0:3], 0 offset:60
	buffer_store_dword v21, off, s[0:3], 0 offset:56
	;; [unrolled: 1-line block ×4, first 2 shown]
	v_add_co_u32 v73, vcc_lo, s4, v27
	v_add_co_ci_u32_e64 v74, null, s5, v28, vcc_lo
	global_load_dwordx4 v[19:22], v[79:80], off
	s_waitcnt vmcnt(5)
	buffer_store_dword v26, off, s[0:3], 0 offset:76
	buffer_store_dword v25, off, s[0:3], 0 offset:72
	;; [unrolled: 1-line block ×4, first 2 shown]
	global_load_dwordx4 v[23:26], v[73:74], off
	v_lshlrev_b64 v[27:28], 4, v[33:34]
	v_lshlrev_b64 v[29:30], 4, v[35:36]
	v_ashrrev_i32_e32 v45, 31, v44
	v_lshlrev_b64 v[35:36], 4, v[124:125]
	s_waitcnt vmcnt(4)
	buffer_store_dword v10, off, s[0:3], 0 offset:92
	buffer_store_dword v9, off, s[0:3], 0 offset:88
	;; [unrolled: 1-line block ×4, first 2 shown]
	v_add_co_u32 v81, vcc_lo, s4, v27
	v_add_co_ci_u32_e64 v82, null, s5, v28, vcc_lo
	v_lshlrev_b64 v[27:28], 4, v[37:38]
	v_add_co_u32 v65, vcc_lo, s4, v29
	global_load_dwordx4 v[7:10], v[81:82], off
	v_add_co_ci_u32_e64 v66, null, s5, v30, vcc_lo
	v_add_co_u32 v67, vcc_lo, s4, v27
	v_add_co_ci_u32_e64 v68, null, s5, v28, vcc_lo
	v_lshlrev_b64 v[27:28], 4, v[39:40]
	s_waitcnt vmcnt(4)
	buffer_store_dword v14, off, s[0:3], 0 offset:108
	buffer_store_dword v13, off, s[0:3], 0 offset:104
	;; [unrolled: 1-line block ×4, first 2 shown]
	global_load_dwordx4 v[11:14], v[65:66], off
	s_waitcnt vmcnt(4)
	buffer_store_dword v18, off, s[0:3], 0 offset:124
	buffer_store_dword v17, off, s[0:3], 0 offset:120
	;; [unrolled: 1-line block ×4, first 2 shown]
	global_load_dwordx4 v[15:18], v[67:68], off
	s_waitcnt vmcnt(4)
	buffer_store_dword v22, off, s[0:3], 0 offset:140
	buffer_store_dword v21, off, s[0:3], 0 offset:136
	;; [unrolled: 1-line block ×4, first 2 shown]
	v_add_co_u32 v57, vcc_lo, s4, v27
	v_add_co_ci_u32_e64 v58, null, s5, v28, vcc_lo
	v_lshlrev_b64 v[27:28], 4, v[42:43]
	v_lshlrev_b64 v[29:30], 4, v[59:60]
	;; [unrolled: 1-line block ×3, first 2 shown]
	global_load_dwordx4 v[19:22], v[57:58], off
	s_waitcnt vmcnt(4)
	buffer_store_dword v23, off, s[0:3], 0 offset:144
	buffer_store_dword v24, off, s[0:3], 0 offset:148
	;; [unrolled: 1-line block ×4, first 2 shown]
	v_ashrrev_i32_e32 v42, 31, v41
	v_add_co_u32 v61, vcc_lo, s4, v27
	v_add_co_ci_u32_e64 v62, null, s5, v28, vcc_lo
	v_lshlrev_b64 v[27:28], 4, v[44:45]
	v_lshlrev_b64 v[43:44], 4, v[156:157]
	global_load_dwordx4 v[23:26], v[61:62], off
	s_waitcnt vmcnt(4)
	buffer_store_dword v7, off, s[0:3], 0 offset:160
	buffer_store_dword v8, off, s[0:3], 0 offset:164
	;; [unrolled: 1-line block ×4, first 2 shown]
	v_add_co_u32 v71, vcc_lo, s4, v27
	v_add_co_ci_u32_e64 v72, null, s5, v28, vcc_lo
	v_lshlrev_b64 v[27:28], 4, v[69:70]
	v_add_co_u32 v69, vcc_lo, s4, v29
	global_load_dwordx4 v[7:10], v[71:72], off
	v_add_co_ci_u32_e64 v70, null, s5, v30, vcc_lo
	v_add_co_u32 v59, vcc_lo, s4, v27
	v_add_co_ci_u32_e64 v60, null, s5, v28, vcc_lo
	v_lshlrev_b64 v[27:28], 4, v[116:117]
	s_waitcnt vmcnt(4)
	buffer_store_dword v11, off, s[0:3], 0 offset:176
	buffer_store_dword v12, off, s[0:3], 0 offset:180
	;; [unrolled: 1-line block ×4, first 2 shown]
	global_load_dwordx4 v[11:14], v[69:70], off
	s_waitcnt vmcnt(4)
	buffer_store_dword v18, off, s[0:3], 0 offset:204
	buffer_store_dword v17, off, s[0:3], 0 offset:200
	;; [unrolled: 1-line block ×4, first 2 shown]
	global_load_dwordx4 v[15:18], v[59:60], off
	s_waitcnt vmcnt(4)
	buffer_store_dword v22, off, s[0:3], 0 offset:220
	buffer_store_dword v21, off, s[0:3], 0 offset:216
	;; [unrolled: 1-line block ×4, first 2 shown]
	v_add_co_u32 v45, vcc_lo, s4, v27
	v_add_co_ci_u32_e64 v46, null, s5, v28, vcc_lo
	v_lshlrev_b64 v[27:28], 4, v[118:119]
	global_load_dwordx4 v[19:22], v[45:46], off
	s_waitcnt vmcnt(4)
	buffer_store_dword v26, off, s[0:3], 0 offset:236
	buffer_store_dword v25, off, s[0:3], 0 offset:232
	;; [unrolled: 1-line block ×4, first 2 shown]
	v_add_co_u32 v37, vcc_lo, s4, v27
	v_add_co_ci_u32_e64 v38, null, s5, v28, vcc_lo
	v_lshlrev_b64 v[23:24], 4, v[120:121]
	v_lshlrev_b64 v[120:121], 4, v[41:42]
	global_load_dwordx4 v[27:30], v[37:38], off
	s_waitcnt vmcnt(4)
	buffer_store_dword v10, off, s[0:3], 0 offset:252
	buffer_store_dword v9, off, s[0:3], 0 offset:248
	;; [unrolled: 1-line block ×4, first 2 shown]
	v_add_co_u32 v25, vcc_lo, s4, v23
	v_add_co_ci_u32_e64 v26, null, s5, v24, vcc_lo
	v_add_co_u32 v9, vcc_lo, s4, v35
	v_add_co_ci_u32_e64 v10, null, s5, v36, vcc_lo
	global_load_dwordx4 v[31:34], v[25:26], off
	s_waitcnt vmcnt(4)
	buffer_store_dword v14, off, s[0:3], 0 offset:268
	buffer_store_dword v13, off, s[0:3], 0 offset:264
	;; [unrolled: 1-line block ×4, first 2 shown]
	v_lshlrev_b64 v[23:24], 4, v[126:127]
	global_load_dwordx4 v[116:119], v[9:10], off
	v_lshlrev_b64 v[11:12], 4, v[128:129]
	v_lshlrev_b64 v[13:14], 4, v[132:133]
	s_waitcnt vmcnt(4)
	buffer_store_dword v18, off, s[0:3], 0 offset:284
	buffer_store_dword v17, off, s[0:3], 0 offset:280
	;; [unrolled: 1-line block ×4, first 2 shown]
	v_lshlrev_b64 v[15:16], 4, v[134:135]
	v_add_co_u32 v7, vcc_lo, s4, v23
	v_add_co_ci_u32_e64 v8, null, s5, v24, vcc_lo
	v_add_co_u32 v11, vcc_lo, s4, v11
	v_add_co_ci_u32_e64 v12, null, s5, v12, vcc_lo
	v_add_co_u32 v13, vcc_lo, s4, v13
	global_load_dwordx4 v[124:127], v[7:8], off
	v_add_co_ci_u32_e64 v14, null, s5, v14, vcc_lo
	s_waitcnt vmcnt(4)
	buffer_store_dword v22, off, s[0:3], 0 offset:300
	buffer_store_dword v21, off, s[0:3], 0 offset:296
	;; [unrolled: 1-line block ×4, first 2 shown]
	global_load_dwordx4 v[128:131], v[11:12], off
	s_waitcnt vmcnt(4)
	buffer_store_dword v30, off, s[0:3], 0 offset:316
	buffer_store_dword v29, off, s[0:3], 0 offset:312
	;; [unrolled: 1-line block ×4, first 2 shown]
	global_load_dwordx4 v[27:30], v[13:14], off
	v_lshlrev_b64 v[17:18], 4, v[136:137]
	v_add_co_u32 v19, vcc_lo, s4, v15
	v_add_co_ci_u32_e64 v20, null, s5, v16, vcc_lo
	v_lshlrev_b64 v[15:16], 4, v[138:139]
	v_add_co_u32 v17, vcc_lo, s4, v17
	v_add_co_ci_u32_e64 v18, null, s5, v18, vcc_lo
	v_lshlrev_b64 v[21:22], 4, v[140:141]
	v_lshlrev_b64 v[23:24], 4, v[142:143]
	v_add_co_u32 v15, vcc_lo, s4, v15
	v_add_co_ci_u32_e64 v16, null, s5, v16, vcc_lo
	v_add_co_u32 v21, vcc_lo, s4, v21
	v_add_co_ci_u32_e64 v22, null, s5, v22, vcc_lo
	;; [unrolled: 2-line block ×3, first 2 shown]
	s_waitcnt vmcnt(4)
	buffer_store_dword v34, off, s[0:3], 0 offset:332
	buffer_store_dword v33, off, s[0:3], 0 offset:328
	buffer_store_dword v32, off, s[0:3], 0 offset:324
	buffer_store_dword v31, off, s[0:3], 0 offset:320
	global_load_dwordx4 v[33:36], v[19:20], off
	s_waitcnt vmcnt(4)
	buffer_store_dword v119, off, s[0:3], 0 offset:348
	buffer_store_dword v118, off, s[0:3], 0 offset:344
	buffer_store_dword v117, off, s[0:3], 0 offset:340
	buffer_store_dword v116, off, s[0:3], 0 offset:336
	global_load_dwordx4 v[116:119], v[17:18], off
	;; [unrolled: 6-line block ×5, first 2 shown]
	v_lshlrev_b64 v[27:28], 4, v[144:145]
	v_lshlrev_b64 v[29:30], 4, v[146:147]
	s_waitcnt vmcnt(4)
	buffer_store_dword v36, off, s[0:3], 0 offset:412
	buffer_store_dword v35, off, s[0:3], 0 offset:408
	;; [unrolled: 1-line block ×4, first 2 shown]
	v_add_co_u32 v31, vcc_lo, s4, v27
	v_add_co_ci_u32_e64 v32, null, s5, v28, vcc_lo
	v_add_co_u32 v27, vcc_lo, s4, v29
	v_add_co_ci_u32_e64 v28, null, s5, v30, vcc_lo
	global_load_dwordx4 v[136:139], v[31:32], off
	s_waitcnt vmcnt(4)
	buffer_store_dword v119, off, s[0:3], 0 offset:428
	buffer_store_dword v118, off, s[0:3], 0 offset:424
	;; [unrolled: 1-line block ×4, first 2 shown]
	v_lshlrev_b64 v[33:34], 4, v[150:151]
	global_load_dwordx4 v[116:119], v[27:28], off
	v_lshlrev_b64 v[35:36], 4, v[152:153]
	v_add_co_u32 v29, vcc_lo, s4, v39
	v_add_co_ci_u32_e64 v30, null, s5, v40, vcc_lo
	v_add_co_u32 v33, vcc_lo, s4, v33
	v_add_co_ci_u32_e64 v34, null, s5, v34, vcc_lo
	v_add_co_u32 v35, vcc_lo, s4, v35
	s_waitcnt vmcnt(4)
	buffer_store_dword v127, off, s[0:3], 0 offset:444
	buffer_store_dword v126, off, s[0:3], 0 offset:440
	;; [unrolled: 1-line block ×4, first 2 shown]
	global_load_dwordx4 v[124:127], v[29:30], off
	v_add_co_ci_u32_e64 v36, null, s5, v36, vcc_lo
	s_waitcnt vmcnt(4)
	buffer_store_dword v131, off, s[0:3], 0 offset:460
	buffer_store_dword v130, off, s[0:3], 0 offset:456
	;; [unrolled: 1-line block ×4, first 2 shown]
	global_load_dwordx4 v[128:131], v[33:34], off
	s_waitcnt vmcnt(4)
	buffer_store_dword v135, off, s[0:3], 0 offset:476
	buffer_store_dword v134, off, s[0:3], 0 offset:472
	;; [unrolled: 1-line block ×4, first 2 shown]
	global_load_dwordx4 v[132:135], v[35:36], off
	v_lshlrev_b64 v[39:40], 4, v[154:155]
	s_waitcnt vmcnt(4)
	buffer_store_dword v139, off, s[0:3], 0 offset:492
	buffer_store_dword v138, off, s[0:3], 0 offset:488
	;; [unrolled: 1-line block ×4, first 2 shown]
	v_add_co_u32 v39, vcc_lo, s4, v39
	v_add_co_ci_u32_e64 v40, null, s5, v40, vcc_lo
	v_add_co_u32 v41, vcc_lo, s4, v43
	v_add_co_ci_u32_e64 v42, null, s5, v44, vcc_lo
	global_load_dwordx4 v[136:139], v[39:40], off
	s_waitcnt vmcnt(4)
	buffer_store_dword v119, off, s[0:3], 0 offset:508
	buffer_store_dword v118, off, s[0:3], 0 offset:504
	;; [unrolled: 1-line block ×4, first 2 shown]
	v_add_co_u32 v43, vcc_lo, s4, v120
	global_load_dwordx4 v[116:119], v[41:42], off
	v_add_co_ci_u32_e64 v44, null, s5, v121, vcc_lo
	v_add_co_u32 v47, vcc_lo, s4, v47
	v_add_co_ci_u32_e64 v48, null, s5, v48, vcc_lo
	v_add_co_u32 v55, vcc_lo, s4, v55
	s_waitcnt vmcnt(4)
	buffer_store_dword v127, off, s[0:3], 0 offset:524
	buffer_store_dword v126, off, s[0:3], 0 offset:520
	buffer_store_dword v125, off, s[0:3], 0 offset:516
	buffer_store_dword v124, off, s[0:3], 0 offset:512
	global_load_dwordx4 v[124:127], v[43:44], off
	v_add_co_ci_u32_e64 v56, null, s5, v56, vcc_lo
	s_waitcnt vmcnt(4)
	buffer_store_dword v131, off, s[0:3], 0 offset:540
	buffer_store_dword v130, off, s[0:3], 0 offset:536
	;; [unrolled: 1-line block ×4, first 2 shown]
	global_load_dwordx4 v[128:131], v[47:48], off
	s_waitcnt vmcnt(4)
	buffer_store_dword v135, off, s[0:3], 0 offset:556
	buffer_store_dword v134, off, s[0:3], 0 offset:552
	;; [unrolled: 1-line block ×4, first 2 shown]
	global_load_dwordx4 v[132:135], v[55:56], off
	v_add_co_u32 v77, vcc_lo, s4, v77
	v_add_co_ci_u32_e64 v78, null, s5, v78, vcc_lo
	v_lshlrev_b64 v[120:121], 4, v[83:84]
	v_add_co_u32 v83, vcc_lo, s4, v87
	v_add_co_ci_u32_e64 v84, null, s5, v88, vcc_lo
	s_waitcnt vmcnt(4)
	buffer_store_dword v139, off, s[0:3], 0 offset:572
	buffer_store_dword v138, off, s[0:3], 0 offset:568
	;; [unrolled: 1-line block ×4, first 2 shown]
	global_load_dwordx4 v[136:139], v[77:78], off
	s_waitcnt vmcnt(4)
	buffer_store_dword v119, off, s[0:3], 0 offset:588
	buffer_store_dword v118, off, s[0:3], 0 offset:584
	;; [unrolled: 1-line block ×4, first 2 shown]
	global_load_dwordx4 v[116:119], v[83:84], off
	v_add_co_u32 v87, vcc_lo, s4, v120
	v_add_co_ci_u32_e64 v88, null, s5, v121, vcc_lo
	v_add_co_u32 v93, vcc_lo, s4, v93
	v_add_co_ci_u32_e64 v94, null, s5, v94, vcc_lo
	v_add_co_u32 v95, vcc_lo, s4, v95
	s_waitcnt vmcnt(4)
	buffer_store_dword v127, off, s[0:3], 0 offset:604
	buffer_store_dword v126, off, s[0:3], 0 offset:600
	;; [unrolled: 1-line block ×4, first 2 shown]
	global_load_dwordx4 v[124:127], v[87:88], off
	v_add_co_ci_u32_e64 v96, null, s5, v96, vcc_lo
	s_waitcnt vmcnt(4)
	buffer_store_dword v131, off, s[0:3], 0 offset:620
	buffer_store_dword v130, off, s[0:3], 0 offset:616
	;; [unrolled: 1-line block ×4, first 2 shown]
	global_load_dwordx4 v[128:131], v[93:94], off
	s_waitcnt vmcnt(4)
	buffer_store_dword v135, off, s[0:3], 0 offset:636
	buffer_store_dword v134, off, s[0:3], 0 offset:632
	;; [unrolled: 1-line block ×4, first 2 shown]
	global_load_dwordx4 v[132:135], v[95:96], off
	v_lshlrev_b64 v[120:121], 4, v[101:102]
	s_waitcnt vmcnt(4)
	buffer_store_dword v139, off, s[0:3], 0 offset:652
	buffer_store_dword v138, off, s[0:3], 0 offset:648
	;; [unrolled: 1-line block ×4, first 2 shown]
	s_waitcnt vmcnt(3)
	buffer_store_dword v119, off, s[0:3], 0 offset:668
	buffer_store_dword v118, off, s[0:3], 0 offset:664
	;; [unrolled: 1-line block ×4, first 2 shown]
	v_lshlrev_b64 v[116:117], 4, v[97:98]
	v_add_co_u32 v97, vcc_lo, s4, v99
	v_add_co_ci_u32_e64 v98, null, s5, v100, vcc_lo
	s_waitcnt vmcnt(2)
	buffer_store_dword v127, off, s[0:3], 0 offset:684
	buffer_store_dword v126, off, s[0:3], 0 offset:680
	;; [unrolled: 1-line block ×3, first 2 shown]
	v_add_co_u32 v99, vcc_lo, s4, v116
	v_add_co_ci_u32_e64 v100, null, s5, v117, vcc_lo
	v_add_co_u32 v101, vcc_lo, s4, v103
	v_add_co_ci_u32_e64 v102, null, s5, v104, vcc_lo
	;; [unrolled: 2-line block ×3, first 2 shown]
	v_add_co_u32 v105, vcc_lo, s4, v105
	buffer_store_dword v124, off, s[0:3], 0 offset:672
	s_clause 0x1
	global_load_dwordx4 v[116:119], v[97:98], off
	global_load_dwordx4 v[124:127], v[99:100], off
	v_add_co_ci_u32_e64 v106, null, s5, v106, vcc_lo
	global_load_dwordx4 v[136:139], v[101:102], off
	s_waitcnt vmcnt(4)
	buffer_store_dword v131, off, s[0:3], 0 offset:700
	buffer_store_dword v130, off, s[0:3], 0 offset:696
	;; [unrolled: 1-line block ×4, first 2 shown]
	global_load_dwordx4 v[128:131], v[103:104], off
	s_waitcnt vmcnt(4)
	buffer_store_dword v135, off, s[0:3], 0 offset:716
	buffer_store_dword v134, off, s[0:3], 0 offset:712
	;; [unrolled: 1-line block ×4, first 2 shown]
	global_load_dwordx4 v[132:135], v[105:106], off
	v_lshlrev_b64 v[121:122], 4, v[109:110]
	v_add_co_u32 v107, vcc_lo, s4, v107
	v_add_co_ci_u32_e64 v108, null, s5, v108, vcc_lo
	v_add_co_u32 v109, vcc_lo, s4, v111
	v_add_co_ci_u32_e64 v110, null, s5, v112, vcc_lo
	;; [unrolled: 2-line block ×3, first 2 shown]
	v_lshlrev_b64 v[121:122], 4, v[113:114]
	s_waitcnt vmcnt(4)
	buffer_store_dword v119, off, s[0:3], 0 offset:732
	buffer_store_dword v118, off, s[0:3], 0 offset:728
	buffer_store_dword v117, off, s[0:3], 0 offset:724
	buffer_store_dword v116, off, s[0:3], 0 offset:720
	s_waitcnt vmcnt(3)
	buffer_store_dword v127, off, s[0:3], 0 offset:748
	buffer_store_dword v126, off, s[0:3], 0 offset:744
	;; [unrolled: 1-line block ×3, first 2 shown]
	v_ashrrev_i32_e32 v116, 31, v115
	buffer_store_dword v124, off, s[0:3], 0 offset:736
	s_waitcnt vmcnt(2)
	buffer_store_dword v139, off, s[0:3], 0 offset:764
	buffer_store_dword v138, off, s[0:3], 0 offset:760
	;; [unrolled: 1-line block ×4, first 2 shown]
	s_waitcnt vmcnt(1)
	buffer_store_dword v131, off, s[0:3], 0 offset:780
	buffer_store_dword v130, off, s[0:3], 0 offset:776
	;; [unrolled: 1-line block ×4, first 2 shown]
	v_lshlrev_b64 v[115:116], 4, v[115:116]
	s_waitcnt vmcnt(0)
	buffer_store_dword v135, off, s[0:3], 0 offset:796
	s_clause 0x2
	global_load_dwordx4 v[117:120], v[107:108], off
	global_load_dwordx4 v[124:127], v[109:110], off
	;; [unrolled: 1-line block ×3, first 2 shown]
	v_add_co_u32 v113, vcc_lo, s4, v115
	v_add_co_ci_u32_e64 v114, null, s5, v116, vcc_lo
	v_add_co_u32 v115, vcc_lo, s4, v121
	v_add_co_ci_u32_e64 v116, null, s5, v122, vcc_lo
	global_load_dwordx4 v[135:138], v[113:114], off
	buffer_store_dword v134, off, s[0:3], 0 offset:792
	buffer_store_dword v133, off, s[0:3], 0 offset:788
	;; [unrolled: 1-line block ×3, first 2 shown]
	s_movk_i32 s4, 0x50
	global_load_dwordx4 v[139:142], v[115:116], off
	s_movk_i32 s5, 0x60
	s_waitcnt vmcnt(4)
	buffer_store_dword v120, off, s[0:3], 0 offset:812
	buffer_store_dword v119, off, s[0:3], 0 offset:808
	buffer_store_dword v118, off, s[0:3], 0 offset:804
	buffer_store_dword v117, off, s[0:3], 0 offset:800
	s_waitcnt vmcnt(3)
	buffer_store_dword v127, off, s[0:3], 0 offset:828
	buffer_store_dword v126, off, s[0:3], 0 offset:824
	buffer_store_dword v125, off, s[0:3], 0 offset:820
	buffer_store_dword v124, off, s[0:3], 0 offset:816
	;; [unrolled: 5-line block ×5, first 2 shown]
	buffer_store_dword v4, off, s[0:3], 0 offset:892
	buffer_store_dword v3, off, s[0:3], 0 offset:888
	;; [unrolled: 1-line block ×4, first 2 shown]
	s_cbranch_scc1 .LBB55_7
; %bb.2:
	v_lshl_add_u32 v124, v0, 4, 0
                                        ; implicit-def: $vgpr119_vgpr120
                                        ; implicit-def: $vgpr3_vgpr4
	s_clause 0x3
	buffer_load_dword v117, v124, s[0:3], 0 offen
	buffer_load_dword v118, v124, s[0:3], 0 offen offset:4
	buffer_load_dword v121, v124, s[0:3], 0 offen offset:8
	;; [unrolled: 1-line block ×3, first 2 shown]
	s_waitcnt vmcnt(0)
	v_cmp_ngt_f64_e64 s9, |v[117:118]|, |v[121:122]|
	s_and_saveexec_b32 s34, s9
	s_xor_b32 s9, exec_lo, s34
	s_cbranch_execz .LBB55_4
; %bb.3:
	v_div_scale_f64 v[1:2], null, v[121:122], v[121:122], v[117:118]
	v_div_scale_f64 v[125:126], vcc_lo, v[117:118], v[121:122], v[117:118]
	v_rcp_f64_e32 v[3:4], v[1:2]
	v_fma_f64 v[119:120], -v[1:2], v[3:4], 1.0
	v_fma_f64 v[3:4], v[3:4], v[119:120], v[3:4]
	v_fma_f64 v[119:120], -v[1:2], v[3:4], 1.0
	v_fma_f64 v[3:4], v[3:4], v[119:120], v[3:4]
	v_mul_f64 v[119:120], v[125:126], v[3:4]
	v_fma_f64 v[1:2], -v[1:2], v[119:120], v[125:126]
	v_div_fmas_f64 v[1:2], v[1:2], v[3:4], v[119:120]
	v_div_fixup_f64 v[1:2], v[1:2], v[121:122], v[117:118]
	v_fma_f64 v[3:4], v[117:118], v[1:2], v[121:122]
	v_div_scale_f64 v[117:118], null, v[3:4], v[3:4], 1.0
	v_div_scale_f64 v[125:126], vcc_lo, 1.0, v[3:4], 1.0
	v_rcp_f64_e32 v[119:120], v[117:118]
	v_fma_f64 v[121:122], -v[117:118], v[119:120], 1.0
	v_fma_f64 v[119:120], v[119:120], v[121:122], v[119:120]
	v_fma_f64 v[121:122], -v[117:118], v[119:120], 1.0
	v_fma_f64 v[119:120], v[119:120], v[121:122], v[119:120]
	v_mul_f64 v[121:122], v[125:126], v[119:120]
	v_fma_f64 v[117:118], -v[117:118], v[121:122], v[125:126]
	v_div_fmas_f64 v[117:118], v[117:118], v[119:120], v[121:122]
                                        ; implicit-def: $vgpr121_vgpr122
	v_div_fixup_f64 v[3:4], v[117:118], v[3:4], 1.0
                                        ; implicit-def: $vgpr117_vgpr118
	v_mul_f64 v[119:120], v[1:2], v[3:4]
	v_xor_b32_e32 v4, 0x80000000, v4
	v_xor_b32_e32 v2, 0x80000000, v120
	v_mov_b32_e32 v1, v119
.LBB55_4:
	s_andn2_saveexec_b32 s9, s9
	s_cbranch_execz .LBB55_6
; %bb.5:
	v_div_scale_f64 v[1:2], null, v[117:118], v[117:118], v[121:122]
	v_div_scale_f64 v[125:126], vcc_lo, v[121:122], v[117:118], v[121:122]
	v_rcp_f64_e32 v[3:4], v[1:2]
	v_fma_f64 v[119:120], -v[1:2], v[3:4], 1.0
	v_fma_f64 v[3:4], v[3:4], v[119:120], v[3:4]
	v_fma_f64 v[119:120], -v[1:2], v[3:4], 1.0
	v_fma_f64 v[3:4], v[3:4], v[119:120], v[3:4]
	v_mul_f64 v[119:120], v[125:126], v[3:4]
	v_fma_f64 v[1:2], -v[1:2], v[119:120], v[125:126]
	v_div_fmas_f64 v[1:2], v[1:2], v[3:4], v[119:120]
	v_div_fixup_f64 v[1:2], v[1:2], v[117:118], v[121:122]
	v_fma_f64 v[3:4], v[121:122], v[1:2], v[117:118]
	v_div_scale_f64 v[117:118], null, v[3:4], v[3:4], 1.0
	v_rcp_f64_e32 v[119:120], v[117:118]
	v_fma_f64 v[121:122], -v[117:118], v[119:120], 1.0
	v_fma_f64 v[119:120], v[119:120], v[121:122], v[119:120]
	v_fma_f64 v[121:122], -v[117:118], v[119:120], 1.0
	v_fma_f64 v[119:120], v[119:120], v[121:122], v[119:120]
	v_div_scale_f64 v[121:122], vcc_lo, 1.0, v[3:4], 1.0
	v_mul_f64 v[125:126], v[121:122], v[119:120]
	v_fma_f64 v[117:118], -v[117:118], v[125:126], v[121:122]
	v_div_fmas_f64 v[117:118], v[117:118], v[119:120], v[125:126]
	v_div_fixup_f64 v[119:120], v[117:118], v[3:4], 1.0
	v_mul_f64 v[3:4], v[1:2], -v[119:120]
	v_xor_b32_e32 v2, 0x80000000, v120
	v_mov_b32_e32 v1, v119
.LBB55_6:
	s_or_b32 exec_lo, exec_lo, s9
	buffer_store_dword v4, v124, s[0:3], 0 offen offset:12
	v_xor_b32_e32 v4, 0x80000000, v4
	buffer_store_dword v120, v124, s[0:3], 0 offen offset:4
	buffer_store_dword v119, v124, s[0:3], 0 offen
	buffer_store_dword v3, v124, s[0:3], 0 offen offset:8
	s_branch .LBB55_8
.LBB55_7:
	v_mov_b32_e32 v1, 0
	v_mov_b32_e32 v3, 0
	;; [unrolled: 1-line block ×4, first 2 shown]
.LBB55_8:
	v_add_nc_u32_e32 v118, 0x380, v123
	v_mov_b32_e32 v117, v123
	s_mov_b32 s62, 16
	s_mov_b32 s63, 32
	;; [unrolled: 1-line block ×54, first 2 shown]
	s_cmpk_eq_i32 s8, 0x79
	ds_write_b128 v123, v[1:4]
	s_cbranch_scc1 .LBB55_444
; %bb.9:
	v_mov_b32_e32 v4, s9
	v_cmp_eq_u32_e64 s4, 55, v0
	s_clause 0x3
	buffer_load_dword v1, v4, s[0:3], 0 offen
	buffer_load_dword v2, v4, s[0:3], 0 offen offset:4
	buffer_load_dword v3, v4, s[0:3], 0 offen offset:8
	;; [unrolled: 1-line block ×3, first 2 shown]
	s_waitcnt vmcnt(0)
	ds_write_b128 v118, v[1:4]
	s_waitcnt lgkmcnt(0)
	s_waitcnt_vscnt null, 0x0
	s_barrier
	buffer_gl0_inv
	s_and_saveexec_b32 s5, s4
	s_cbranch_execz .LBB55_13
; %bb.10:
	ds_read_b128 v[1:4], v118
	s_andn2_b32 vcc_lo, exec_lo, s64
	s_cbranch_vccnz .LBB55_12
; %bb.11:
	s_clause 0x3
	buffer_load_dword v119, v117, s[0:3], 0 offen offset:8
	buffer_load_dword v120, v117, s[0:3], 0 offen offset:12
	buffer_load_dword v121, v117, s[0:3], 0 offen
	buffer_load_dword v122, v117, s[0:3], 0 offen offset:4
	s_waitcnt vmcnt(2) lgkmcnt(0)
	v_mul_f64 v[124:125], v[3:4], v[119:120]
	v_mul_f64 v[119:120], v[1:2], v[119:120]
	s_waitcnt vmcnt(0)
	v_fma_f64 v[1:2], v[1:2], v[121:122], -v[124:125]
	v_fma_f64 v[3:4], v[3:4], v[121:122], v[119:120]
.LBB55_12:
	v_mov_b32_e32 v119, 0
	ds_read_b128 v[119:122], v119 offset:864
	s_waitcnt lgkmcnt(0)
	v_mul_f64 v[124:125], v[3:4], v[121:122]
	v_mul_f64 v[121:122], v[1:2], v[121:122]
	v_fma_f64 v[1:2], v[1:2], v[119:120], -v[124:125]
	v_fma_f64 v[3:4], v[3:4], v[119:120], v[121:122]
	buffer_store_dword v2, off, s[0:3], 0 offset:868
	buffer_store_dword v1, off, s[0:3], 0 offset:864
	;; [unrolled: 1-line block ×4, first 2 shown]
.LBB55_13:
	s_or_b32 exec_lo, exec_lo, s5
	v_mov_b32_e32 v4, s10
	v_cmp_lt_u32_e64 s5, 53, v0
	s_clause 0x3
	buffer_load_dword v1, v4, s[0:3], 0 offen
	buffer_load_dword v2, v4, s[0:3], 0 offen offset:4
	buffer_load_dword v3, v4, s[0:3], 0 offen offset:8
	;; [unrolled: 1-line block ×3, first 2 shown]
	s_waitcnt vmcnt(0)
	ds_write_b128 v118, v[1:4]
	s_waitcnt lgkmcnt(0)
	s_waitcnt_vscnt null, 0x0
	s_barrier
	buffer_gl0_inv
	s_and_saveexec_b32 s6, s5
	s_cbranch_execz .LBB55_19
; %bb.14:
	ds_read_b128 v[1:4], v118
	s_andn2_b32 vcc_lo, exec_lo, s64
	s_cbranch_vccnz .LBB55_16
; %bb.15:
	s_clause 0x3
	buffer_load_dword v119, v117, s[0:3], 0 offen offset:8
	buffer_load_dword v120, v117, s[0:3], 0 offen offset:12
	buffer_load_dword v121, v117, s[0:3], 0 offen
	buffer_load_dword v122, v117, s[0:3], 0 offen offset:4
	s_waitcnt vmcnt(2) lgkmcnt(0)
	v_mul_f64 v[124:125], v[3:4], v[119:120]
	v_mul_f64 v[119:120], v[1:2], v[119:120]
	s_waitcnt vmcnt(0)
	v_fma_f64 v[1:2], v[1:2], v[121:122], -v[124:125]
	v_fma_f64 v[3:4], v[3:4], v[121:122], v[119:120]
.LBB55_16:
	s_and_saveexec_b32 s8, s4
	s_cbranch_execz .LBB55_18
; %bb.17:
	s_clause 0x3
	buffer_load_dword v124, off, s[0:3], 0 offset:872
	buffer_load_dword v125, off, s[0:3], 0 offset:876
	;; [unrolled: 1-line block ×4, first 2 shown]
	v_mov_b32_e32 v119, 0
	ds_read_b128 v[119:122], v119 offset:1760
	s_waitcnt vmcnt(2) lgkmcnt(0)
	v_mul_f64 v[128:129], v[119:120], v[124:125]
	v_mul_f64 v[124:125], v[121:122], v[124:125]
	s_waitcnt vmcnt(0)
	v_fma_f64 v[121:122], v[121:122], v[126:127], v[128:129]
	v_fma_f64 v[119:120], v[119:120], v[126:127], -v[124:125]
	v_add_f64 v[3:4], v[3:4], v[121:122]
	v_add_f64 v[1:2], v[1:2], v[119:120]
.LBB55_18:
	s_or_b32 exec_lo, exec_lo, s8
	v_mov_b32_e32 v119, 0
	ds_read_b128 v[119:122], v119 offset:848
	s_waitcnt lgkmcnt(0)
	v_mul_f64 v[124:125], v[3:4], v[121:122]
	v_mul_f64 v[121:122], v[1:2], v[121:122]
	v_fma_f64 v[1:2], v[1:2], v[119:120], -v[124:125]
	v_fma_f64 v[3:4], v[3:4], v[119:120], v[121:122]
	buffer_store_dword v2, off, s[0:3], 0 offset:852
	buffer_store_dword v1, off, s[0:3], 0 offset:848
	buffer_store_dword v4, off, s[0:3], 0 offset:860
	buffer_store_dword v3, off, s[0:3], 0 offset:856
.LBB55_19:
	s_or_b32 exec_lo, exec_lo, s6
	v_mov_b32_e32 v4, s11
	v_cmp_lt_u32_e64 s4, 52, v0
	s_clause 0x3
	buffer_load_dword v1, v4, s[0:3], 0 offen
	buffer_load_dword v2, v4, s[0:3], 0 offen offset:4
	buffer_load_dword v3, v4, s[0:3], 0 offen offset:8
	;; [unrolled: 1-line block ×3, first 2 shown]
	s_waitcnt vmcnt(0)
	ds_write_b128 v118, v[1:4]
	s_waitcnt lgkmcnt(0)
	s_waitcnt_vscnt null, 0x0
	s_barrier
	buffer_gl0_inv
	s_and_saveexec_b32 s6, s4
	s_cbranch_execz .LBB55_27
; %bb.20:
	ds_read_b128 v[1:4], v118
	s_andn2_b32 vcc_lo, exec_lo, s64
	s_cbranch_vccnz .LBB55_22
; %bb.21:
	s_clause 0x3
	buffer_load_dword v119, v117, s[0:3], 0 offen offset:8
	buffer_load_dword v120, v117, s[0:3], 0 offen offset:12
	buffer_load_dword v121, v117, s[0:3], 0 offen
	buffer_load_dword v122, v117, s[0:3], 0 offen offset:4
	s_waitcnt vmcnt(2) lgkmcnt(0)
	v_mul_f64 v[124:125], v[3:4], v[119:120]
	v_mul_f64 v[119:120], v[1:2], v[119:120]
	s_waitcnt vmcnt(0)
	v_fma_f64 v[1:2], v[1:2], v[121:122], -v[124:125]
	v_fma_f64 v[3:4], v[3:4], v[121:122], v[119:120]
.LBB55_22:
	s_and_saveexec_b32 s8, s5
	s_cbranch_execz .LBB55_26
; %bb.23:
	v_subrev_nc_u32_e32 v119, 53, v0
	s_movk_i32 s65, 0x6d0
	s_mov_b32 s5, 0
	s_mov_b32 s66, s10
	.p2align	6
.LBB55_24:                              ; =>This Inner Loop Header: Depth=1
	v_mov_b32_e32 v122, s66
	v_add_nc_u32_e32 v119, -1, v119
	s_add_i32 s66, s66, 16
	s_clause 0x3
	buffer_load_dword v120, v122, s[0:3], 0 offen offset:8
	buffer_load_dword v121, v122, s[0:3], 0 offen offset:12
	buffer_load_dword v128, v122, s[0:3], 0 offen
	buffer_load_dword v129, v122, s[0:3], 0 offen offset:4
	v_mov_b32_e32 v122, s65
	v_cmp_eq_u32_e32 vcc_lo, 0, v119
	s_add_i32 s65, s65, 16
	ds_read_b128 v[124:127], v122
	s_or_b32 s5, vcc_lo, s5
	s_waitcnt vmcnt(2) lgkmcnt(0)
	v_mul_f64 v[130:131], v[126:127], v[120:121]
	v_mul_f64 v[120:121], v[124:125], v[120:121]
	s_waitcnt vmcnt(0)
	v_fma_f64 v[124:125], v[124:125], v[128:129], -v[130:131]
	v_fma_f64 v[120:121], v[126:127], v[128:129], v[120:121]
	v_add_f64 v[1:2], v[1:2], v[124:125]
	v_add_f64 v[3:4], v[3:4], v[120:121]
	s_andn2_b32 exec_lo, exec_lo, s5
	s_cbranch_execnz .LBB55_24
; %bb.25:
	s_or_b32 exec_lo, exec_lo, s5
.LBB55_26:
	s_or_b32 exec_lo, exec_lo, s8
	v_mov_b32_e32 v119, 0
	ds_read_b128 v[119:122], v119 offset:832
	s_waitcnt lgkmcnt(0)
	v_mul_f64 v[124:125], v[3:4], v[121:122]
	v_mul_f64 v[121:122], v[1:2], v[121:122]
	v_fma_f64 v[1:2], v[1:2], v[119:120], -v[124:125]
	v_fma_f64 v[3:4], v[3:4], v[119:120], v[121:122]
	buffer_store_dword v2, off, s[0:3], 0 offset:836
	buffer_store_dword v1, off, s[0:3], 0 offset:832
	;; [unrolled: 1-line block ×4, first 2 shown]
.LBB55_27:
	s_or_b32 exec_lo, exec_lo, s6
	v_mov_b32_e32 v4, s12
	v_cmp_lt_u32_e64 s5, 51, v0
	s_clause 0x3
	buffer_load_dword v1, v4, s[0:3], 0 offen
	buffer_load_dword v2, v4, s[0:3], 0 offen offset:4
	buffer_load_dword v3, v4, s[0:3], 0 offen offset:8
	;; [unrolled: 1-line block ×3, first 2 shown]
	s_waitcnt vmcnt(0)
	ds_write_b128 v118, v[1:4]
	s_waitcnt lgkmcnt(0)
	s_waitcnt_vscnt null, 0x0
	s_barrier
	buffer_gl0_inv
	s_and_saveexec_b32 s6, s5
	s_cbranch_execz .LBB55_35
; %bb.28:
	ds_read_b128 v[1:4], v118
	s_andn2_b32 vcc_lo, exec_lo, s64
	s_cbranch_vccnz .LBB55_30
; %bb.29:
	s_clause 0x3
	buffer_load_dword v119, v117, s[0:3], 0 offen offset:8
	buffer_load_dword v120, v117, s[0:3], 0 offen offset:12
	buffer_load_dword v121, v117, s[0:3], 0 offen
	buffer_load_dword v122, v117, s[0:3], 0 offen offset:4
	s_waitcnt vmcnt(2) lgkmcnt(0)
	v_mul_f64 v[124:125], v[3:4], v[119:120]
	v_mul_f64 v[119:120], v[1:2], v[119:120]
	s_waitcnt vmcnt(0)
	v_fma_f64 v[1:2], v[1:2], v[121:122], -v[124:125]
	v_fma_f64 v[3:4], v[3:4], v[121:122], v[119:120]
.LBB55_30:
	s_and_saveexec_b32 s8, s4
	s_cbranch_execz .LBB55_34
; %bb.31:
	v_subrev_nc_u32_e32 v119, 52, v0
	s_movk_i32 s65, 0x6c0
	s_mov_b32 s4, 0
	s_mov_b32 s66, s11
	.p2align	6
.LBB55_32:                              ; =>This Inner Loop Header: Depth=1
	v_mov_b32_e32 v122, s66
	v_add_nc_u32_e32 v119, -1, v119
	s_add_i32 s66, s66, 16
	s_clause 0x3
	buffer_load_dword v120, v122, s[0:3], 0 offen offset:8
	buffer_load_dword v121, v122, s[0:3], 0 offen offset:12
	buffer_load_dword v128, v122, s[0:3], 0 offen
	buffer_load_dword v129, v122, s[0:3], 0 offen offset:4
	v_mov_b32_e32 v122, s65
	v_cmp_eq_u32_e32 vcc_lo, 0, v119
	s_add_i32 s65, s65, 16
	ds_read_b128 v[124:127], v122
	s_or_b32 s4, vcc_lo, s4
	s_waitcnt vmcnt(2) lgkmcnt(0)
	v_mul_f64 v[130:131], v[126:127], v[120:121]
	v_mul_f64 v[120:121], v[124:125], v[120:121]
	s_waitcnt vmcnt(0)
	v_fma_f64 v[124:125], v[124:125], v[128:129], -v[130:131]
	v_fma_f64 v[120:121], v[126:127], v[128:129], v[120:121]
	v_add_f64 v[1:2], v[1:2], v[124:125]
	v_add_f64 v[3:4], v[3:4], v[120:121]
	s_andn2_b32 exec_lo, exec_lo, s4
	s_cbranch_execnz .LBB55_32
; %bb.33:
	s_or_b32 exec_lo, exec_lo, s4
.LBB55_34:
	s_or_b32 exec_lo, exec_lo, s8
	v_mov_b32_e32 v119, 0
	ds_read_b128 v[119:122], v119 offset:816
	s_waitcnt lgkmcnt(0)
	v_mul_f64 v[124:125], v[3:4], v[121:122]
	v_mul_f64 v[121:122], v[1:2], v[121:122]
	v_fma_f64 v[1:2], v[1:2], v[119:120], -v[124:125]
	v_fma_f64 v[3:4], v[3:4], v[119:120], v[121:122]
	buffer_store_dword v2, off, s[0:3], 0 offset:820
	buffer_store_dword v1, off, s[0:3], 0 offset:816
	;; [unrolled: 1-line block ×4, first 2 shown]
.LBB55_35:
	s_or_b32 exec_lo, exec_lo, s6
	v_mov_b32_e32 v4, s13
	v_cmp_lt_u32_e64 s4, 50, v0
	s_clause 0x3
	buffer_load_dword v1, v4, s[0:3], 0 offen
	buffer_load_dword v2, v4, s[0:3], 0 offen offset:4
	buffer_load_dword v3, v4, s[0:3], 0 offen offset:8
	;; [unrolled: 1-line block ×3, first 2 shown]
	s_waitcnt vmcnt(0)
	ds_write_b128 v118, v[1:4]
	s_waitcnt lgkmcnt(0)
	s_waitcnt_vscnt null, 0x0
	s_barrier
	buffer_gl0_inv
	s_and_saveexec_b32 s6, s4
	s_cbranch_execz .LBB55_43
; %bb.36:
	ds_read_b128 v[1:4], v118
	s_andn2_b32 vcc_lo, exec_lo, s64
	s_cbranch_vccnz .LBB55_38
; %bb.37:
	s_clause 0x3
	buffer_load_dword v119, v117, s[0:3], 0 offen offset:8
	buffer_load_dword v120, v117, s[0:3], 0 offen offset:12
	buffer_load_dword v121, v117, s[0:3], 0 offen
	buffer_load_dword v122, v117, s[0:3], 0 offen offset:4
	s_waitcnt vmcnt(2) lgkmcnt(0)
	v_mul_f64 v[124:125], v[3:4], v[119:120]
	v_mul_f64 v[119:120], v[1:2], v[119:120]
	s_waitcnt vmcnt(0)
	v_fma_f64 v[1:2], v[1:2], v[121:122], -v[124:125]
	v_fma_f64 v[3:4], v[3:4], v[121:122], v[119:120]
.LBB55_38:
	s_and_saveexec_b32 s8, s5
	s_cbranch_execz .LBB55_42
; %bb.39:
	v_subrev_nc_u32_e32 v119, 51, v0
	s_movk_i32 s65, 0x6b0
	s_mov_b32 s5, 0
	s_mov_b32 s66, s12
	.p2align	6
.LBB55_40:                              ; =>This Inner Loop Header: Depth=1
	v_mov_b32_e32 v122, s66
	v_add_nc_u32_e32 v119, -1, v119
	s_add_i32 s66, s66, 16
	s_clause 0x3
	buffer_load_dword v120, v122, s[0:3], 0 offen offset:8
	buffer_load_dword v121, v122, s[0:3], 0 offen offset:12
	buffer_load_dword v128, v122, s[0:3], 0 offen
	buffer_load_dword v129, v122, s[0:3], 0 offen offset:4
	v_mov_b32_e32 v122, s65
	v_cmp_eq_u32_e32 vcc_lo, 0, v119
	s_add_i32 s65, s65, 16
	ds_read_b128 v[124:127], v122
	s_or_b32 s5, vcc_lo, s5
	s_waitcnt vmcnt(2) lgkmcnt(0)
	v_mul_f64 v[130:131], v[126:127], v[120:121]
	v_mul_f64 v[120:121], v[124:125], v[120:121]
	s_waitcnt vmcnt(0)
	v_fma_f64 v[124:125], v[124:125], v[128:129], -v[130:131]
	v_fma_f64 v[120:121], v[126:127], v[128:129], v[120:121]
	v_add_f64 v[1:2], v[1:2], v[124:125]
	v_add_f64 v[3:4], v[3:4], v[120:121]
	s_andn2_b32 exec_lo, exec_lo, s5
	s_cbranch_execnz .LBB55_40
; %bb.41:
	s_or_b32 exec_lo, exec_lo, s5
.LBB55_42:
	s_or_b32 exec_lo, exec_lo, s8
	v_mov_b32_e32 v119, 0
	ds_read_b128 v[119:122], v119 offset:800
	s_waitcnt lgkmcnt(0)
	v_mul_f64 v[124:125], v[3:4], v[121:122]
	v_mul_f64 v[121:122], v[1:2], v[121:122]
	v_fma_f64 v[1:2], v[1:2], v[119:120], -v[124:125]
	v_fma_f64 v[3:4], v[3:4], v[119:120], v[121:122]
	buffer_store_dword v2, off, s[0:3], 0 offset:804
	buffer_store_dword v1, off, s[0:3], 0 offset:800
	buffer_store_dword v4, off, s[0:3], 0 offset:812
	buffer_store_dword v3, off, s[0:3], 0 offset:808
.LBB55_43:
	s_or_b32 exec_lo, exec_lo, s6
	v_mov_b32_e32 v4, s14
	v_cmp_lt_u32_e64 s5, 49, v0
	s_clause 0x3
	buffer_load_dword v1, v4, s[0:3], 0 offen
	buffer_load_dword v2, v4, s[0:3], 0 offen offset:4
	buffer_load_dword v3, v4, s[0:3], 0 offen offset:8
	;; [unrolled: 1-line block ×3, first 2 shown]
	s_waitcnt vmcnt(0)
	ds_write_b128 v118, v[1:4]
	s_waitcnt lgkmcnt(0)
	s_waitcnt_vscnt null, 0x0
	s_barrier
	buffer_gl0_inv
	s_and_saveexec_b32 s6, s5
	s_cbranch_execz .LBB55_51
; %bb.44:
	ds_read_b128 v[1:4], v118
	s_andn2_b32 vcc_lo, exec_lo, s64
	s_cbranch_vccnz .LBB55_46
; %bb.45:
	s_clause 0x3
	buffer_load_dword v119, v117, s[0:3], 0 offen offset:8
	buffer_load_dword v120, v117, s[0:3], 0 offen offset:12
	buffer_load_dword v121, v117, s[0:3], 0 offen
	buffer_load_dword v122, v117, s[0:3], 0 offen offset:4
	s_waitcnt vmcnt(2) lgkmcnt(0)
	v_mul_f64 v[124:125], v[3:4], v[119:120]
	v_mul_f64 v[119:120], v[1:2], v[119:120]
	s_waitcnt vmcnt(0)
	v_fma_f64 v[1:2], v[1:2], v[121:122], -v[124:125]
	v_fma_f64 v[3:4], v[3:4], v[121:122], v[119:120]
.LBB55_46:
	s_and_saveexec_b32 s8, s4
	s_cbranch_execz .LBB55_50
; %bb.47:
	v_subrev_nc_u32_e32 v119, 50, v0
	s_movk_i32 s65, 0x6a0
	s_mov_b32 s4, 0
	s_mov_b32 s66, s13
	.p2align	6
.LBB55_48:                              ; =>This Inner Loop Header: Depth=1
	v_mov_b32_e32 v122, s66
	v_add_nc_u32_e32 v119, -1, v119
	s_add_i32 s66, s66, 16
	s_clause 0x3
	buffer_load_dword v120, v122, s[0:3], 0 offen offset:8
	buffer_load_dword v121, v122, s[0:3], 0 offen offset:12
	buffer_load_dword v128, v122, s[0:3], 0 offen
	buffer_load_dword v129, v122, s[0:3], 0 offen offset:4
	v_mov_b32_e32 v122, s65
	v_cmp_eq_u32_e32 vcc_lo, 0, v119
	s_add_i32 s65, s65, 16
	ds_read_b128 v[124:127], v122
	s_or_b32 s4, vcc_lo, s4
	s_waitcnt vmcnt(2) lgkmcnt(0)
	v_mul_f64 v[130:131], v[126:127], v[120:121]
	v_mul_f64 v[120:121], v[124:125], v[120:121]
	s_waitcnt vmcnt(0)
	v_fma_f64 v[124:125], v[124:125], v[128:129], -v[130:131]
	v_fma_f64 v[120:121], v[126:127], v[128:129], v[120:121]
	v_add_f64 v[1:2], v[1:2], v[124:125]
	v_add_f64 v[3:4], v[3:4], v[120:121]
	s_andn2_b32 exec_lo, exec_lo, s4
	s_cbranch_execnz .LBB55_48
; %bb.49:
	s_or_b32 exec_lo, exec_lo, s4
.LBB55_50:
	s_or_b32 exec_lo, exec_lo, s8
	v_mov_b32_e32 v119, 0
	ds_read_b128 v[119:122], v119 offset:784
	s_waitcnt lgkmcnt(0)
	v_mul_f64 v[124:125], v[3:4], v[121:122]
	v_mul_f64 v[121:122], v[1:2], v[121:122]
	v_fma_f64 v[1:2], v[1:2], v[119:120], -v[124:125]
	v_fma_f64 v[3:4], v[3:4], v[119:120], v[121:122]
	buffer_store_dword v2, off, s[0:3], 0 offset:788
	buffer_store_dword v1, off, s[0:3], 0 offset:784
	;; [unrolled: 1-line block ×4, first 2 shown]
.LBB55_51:
	s_or_b32 exec_lo, exec_lo, s6
	v_mov_b32_e32 v4, s15
	v_cmp_lt_u32_e64 s4, 48, v0
	s_clause 0x3
	buffer_load_dword v1, v4, s[0:3], 0 offen
	buffer_load_dword v2, v4, s[0:3], 0 offen offset:4
	buffer_load_dword v3, v4, s[0:3], 0 offen offset:8
	;; [unrolled: 1-line block ×3, first 2 shown]
	s_waitcnt vmcnt(0)
	ds_write_b128 v118, v[1:4]
	s_waitcnt lgkmcnt(0)
	s_waitcnt_vscnt null, 0x0
	s_barrier
	buffer_gl0_inv
	s_and_saveexec_b32 s6, s4
	s_cbranch_execz .LBB55_59
; %bb.52:
	ds_read_b128 v[1:4], v118
	s_andn2_b32 vcc_lo, exec_lo, s64
	s_cbranch_vccnz .LBB55_54
; %bb.53:
	s_clause 0x3
	buffer_load_dword v119, v117, s[0:3], 0 offen offset:8
	buffer_load_dword v120, v117, s[0:3], 0 offen offset:12
	buffer_load_dword v121, v117, s[0:3], 0 offen
	buffer_load_dword v122, v117, s[0:3], 0 offen offset:4
	s_waitcnt vmcnt(2) lgkmcnt(0)
	v_mul_f64 v[124:125], v[3:4], v[119:120]
	v_mul_f64 v[119:120], v[1:2], v[119:120]
	s_waitcnt vmcnt(0)
	v_fma_f64 v[1:2], v[1:2], v[121:122], -v[124:125]
	v_fma_f64 v[3:4], v[3:4], v[121:122], v[119:120]
.LBB55_54:
	s_and_saveexec_b32 s8, s5
	s_cbranch_execz .LBB55_58
; %bb.55:
	v_subrev_nc_u32_e32 v119, 49, v0
	s_movk_i32 s65, 0x690
	s_mov_b32 s5, 0
	s_mov_b32 s66, s14
	.p2align	6
.LBB55_56:                              ; =>This Inner Loop Header: Depth=1
	v_mov_b32_e32 v122, s66
	v_add_nc_u32_e32 v119, -1, v119
	s_add_i32 s66, s66, 16
	s_clause 0x3
	buffer_load_dword v120, v122, s[0:3], 0 offen offset:8
	buffer_load_dword v121, v122, s[0:3], 0 offen offset:12
	buffer_load_dword v128, v122, s[0:3], 0 offen
	buffer_load_dword v129, v122, s[0:3], 0 offen offset:4
	v_mov_b32_e32 v122, s65
	v_cmp_eq_u32_e32 vcc_lo, 0, v119
	s_add_i32 s65, s65, 16
	ds_read_b128 v[124:127], v122
	s_or_b32 s5, vcc_lo, s5
	s_waitcnt vmcnt(2) lgkmcnt(0)
	v_mul_f64 v[130:131], v[126:127], v[120:121]
	v_mul_f64 v[120:121], v[124:125], v[120:121]
	s_waitcnt vmcnt(0)
	v_fma_f64 v[124:125], v[124:125], v[128:129], -v[130:131]
	v_fma_f64 v[120:121], v[126:127], v[128:129], v[120:121]
	v_add_f64 v[1:2], v[1:2], v[124:125]
	v_add_f64 v[3:4], v[3:4], v[120:121]
	s_andn2_b32 exec_lo, exec_lo, s5
	s_cbranch_execnz .LBB55_56
; %bb.57:
	s_or_b32 exec_lo, exec_lo, s5
.LBB55_58:
	s_or_b32 exec_lo, exec_lo, s8
	v_mov_b32_e32 v119, 0
	ds_read_b128 v[119:122], v119 offset:768
	s_waitcnt lgkmcnt(0)
	v_mul_f64 v[124:125], v[3:4], v[121:122]
	v_mul_f64 v[121:122], v[1:2], v[121:122]
	v_fma_f64 v[1:2], v[1:2], v[119:120], -v[124:125]
	v_fma_f64 v[3:4], v[3:4], v[119:120], v[121:122]
	buffer_store_dword v2, off, s[0:3], 0 offset:772
	buffer_store_dword v1, off, s[0:3], 0 offset:768
	;; [unrolled: 1-line block ×4, first 2 shown]
.LBB55_59:
	s_or_b32 exec_lo, exec_lo, s6
	v_mov_b32_e32 v4, s16
	v_cmp_lt_u32_e64 s5, 47, v0
	s_clause 0x3
	buffer_load_dword v1, v4, s[0:3], 0 offen
	buffer_load_dword v2, v4, s[0:3], 0 offen offset:4
	buffer_load_dword v3, v4, s[0:3], 0 offen offset:8
	;; [unrolled: 1-line block ×3, first 2 shown]
	s_waitcnt vmcnt(0)
	ds_write_b128 v118, v[1:4]
	s_waitcnt lgkmcnt(0)
	s_waitcnt_vscnt null, 0x0
	s_barrier
	buffer_gl0_inv
	s_and_saveexec_b32 s6, s5
	s_cbranch_execz .LBB55_67
; %bb.60:
	ds_read_b128 v[1:4], v118
	s_andn2_b32 vcc_lo, exec_lo, s64
	s_cbranch_vccnz .LBB55_62
; %bb.61:
	s_clause 0x3
	buffer_load_dword v119, v117, s[0:3], 0 offen offset:8
	buffer_load_dword v120, v117, s[0:3], 0 offen offset:12
	buffer_load_dword v121, v117, s[0:3], 0 offen
	buffer_load_dword v122, v117, s[0:3], 0 offen offset:4
	s_waitcnt vmcnt(2) lgkmcnt(0)
	v_mul_f64 v[124:125], v[3:4], v[119:120]
	v_mul_f64 v[119:120], v[1:2], v[119:120]
	s_waitcnt vmcnt(0)
	v_fma_f64 v[1:2], v[1:2], v[121:122], -v[124:125]
	v_fma_f64 v[3:4], v[3:4], v[121:122], v[119:120]
.LBB55_62:
	s_and_saveexec_b32 s8, s4
	s_cbranch_execz .LBB55_66
; %bb.63:
	v_subrev_nc_u32_e32 v119, 48, v0
	s_movk_i32 s65, 0x680
	s_mov_b32 s4, 0
	s_mov_b32 s66, s15
	.p2align	6
.LBB55_64:                              ; =>This Inner Loop Header: Depth=1
	v_mov_b32_e32 v122, s66
	v_add_nc_u32_e32 v119, -1, v119
	s_add_i32 s66, s66, 16
	s_clause 0x3
	buffer_load_dword v120, v122, s[0:3], 0 offen offset:8
	buffer_load_dword v121, v122, s[0:3], 0 offen offset:12
	buffer_load_dword v128, v122, s[0:3], 0 offen
	buffer_load_dword v129, v122, s[0:3], 0 offen offset:4
	v_mov_b32_e32 v122, s65
	v_cmp_eq_u32_e32 vcc_lo, 0, v119
	s_add_i32 s65, s65, 16
	ds_read_b128 v[124:127], v122
	s_or_b32 s4, vcc_lo, s4
	s_waitcnt vmcnt(2) lgkmcnt(0)
	v_mul_f64 v[130:131], v[126:127], v[120:121]
	v_mul_f64 v[120:121], v[124:125], v[120:121]
	s_waitcnt vmcnt(0)
	v_fma_f64 v[124:125], v[124:125], v[128:129], -v[130:131]
	v_fma_f64 v[120:121], v[126:127], v[128:129], v[120:121]
	v_add_f64 v[1:2], v[1:2], v[124:125]
	v_add_f64 v[3:4], v[3:4], v[120:121]
	s_andn2_b32 exec_lo, exec_lo, s4
	s_cbranch_execnz .LBB55_64
; %bb.65:
	s_or_b32 exec_lo, exec_lo, s4
.LBB55_66:
	s_or_b32 exec_lo, exec_lo, s8
	v_mov_b32_e32 v119, 0
	ds_read_b128 v[119:122], v119 offset:752
	s_waitcnt lgkmcnt(0)
	v_mul_f64 v[124:125], v[3:4], v[121:122]
	v_mul_f64 v[121:122], v[1:2], v[121:122]
	v_fma_f64 v[1:2], v[1:2], v[119:120], -v[124:125]
	v_fma_f64 v[3:4], v[3:4], v[119:120], v[121:122]
	buffer_store_dword v2, off, s[0:3], 0 offset:756
	buffer_store_dword v1, off, s[0:3], 0 offset:752
	buffer_store_dword v4, off, s[0:3], 0 offset:764
	buffer_store_dword v3, off, s[0:3], 0 offset:760
.LBB55_67:
	s_or_b32 exec_lo, exec_lo, s6
	v_mov_b32_e32 v4, s17
	v_cmp_lt_u32_e64 s4, 46, v0
	s_clause 0x3
	buffer_load_dword v1, v4, s[0:3], 0 offen
	buffer_load_dword v2, v4, s[0:3], 0 offen offset:4
	buffer_load_dword v3, v4, s[0:3], 0 offen offset:8
	;; [unrolled: 1-line block ×3, first 2 shown]
	s_waitcnt vmcnt(0)
	ds_write_b128 v118, v[1:4]
	s_waitcnt lgkmcnt(0)
	s_waitcnt_vscnt null, 0x0
	s_barrier
	buffer_gl0_inv
	s_and_saveexec_b32 s6, s4
	s_cbranch_execz .LBB55_75
; %bb.68:
	ds_read_b128 v[1:4], v118
	s_andn2_b32 vcc_lo, exec_lo, s64
	s_cbranch_vccnz .LBB55_70
; %bb.69:
	s_clause 0x3
	buffer_load_dword v119, v117, s[0:3], 0 offen offset:8
	buffer_load_dword v120, v117, s[0:3], 0 offen offset:12
	buffer_load_dword v121, v117, s[0:3], 0 offen
	buffer_load_dword v122, v117, s[0:3], 0 offen offset:4
	s_waitcnt vmcnt(2) lgkmcnt(0)
	v_mul_f64 v[124:125], v[3:4], v[119:120]
	v_mul_f64 v[119:120], v[1:2], v[119:120]
	s_waitcnt vmcnt(0)
	v_fma_f64 v[1:2], v[1:2], v[121:122], -v[124:125]
	v_fma_f64 v[3:4], v[3:4], v[121:122], v[119:120]
.LBB55_70:
	s_and_saveexec_b32 s8, s5
	s_cbranch_execz .LBB55_74
; %bb.71:
	v_subrev_nc_u32_e32 v119, 47, v0
	s_movk_i32 s65, 0x670
	s_mov_b32 s5, 0
	s_mov_b32 s66, s16
	.p2align	6
.LBB55_72:                              ; =>This Inner Loop Header: Depth=1
	v_mov_b32_e32 v122, s66
	v_add_nc_u32_e32 v119, -1, v119
	s_add_i32 s66, s66, 16
	s_clause 0x3
	buffer_load_dword v120, v122, s[0:3], 0 offen offset:8
	buffer_load_dword v121, v122, s[0:3], 0 offen offset:12
	buffer_load_dword v128, v122, s[0:3], 0 offen
	buffer_load_dword v129, v122, s[0:3], 0 offen offset:4
	v_mov_b32_e32 v122, s65
	v_cmp_eq_u32_e32 vcc_lo, 0, v119
	s_add_i32 s65, s65, 16
	ds_read_b128 v[124:127], v122
	s_or_b32 s5, vcc_lo, s5
	s_waitcnt vmcnt(2) lgkmcnt(0)
	v_mul_f64 v[130:131], v[126:127], v[120:121]
	v_mul_f64 v[120:121], v[124:125], v[120:121]
	s_waitcnt vmcnt(0)
	v_fma_f64 v[124:125], v[124:125], v[128:129], -v[130:131]
	v_fma_f64 v[120:121], v[126:127], v[128:129], v[120:121]
	v_add_f64 v[1:2], v[1:2], v[124:125]
	v_add_f64 v[3:4], v[3:4], v[120:121]
	s_andn2_b32 exec_lo, exec_lo, s5
	s_cbranch_execnz .LBB55_72
; %bb.73:
	s_or_b32 exec_lo, exec_lo, s5
.LBB55_74:
	s_or_b32 exec_lo, exec_lo, s8
	v_mov_b32_e32 v119, 0
	ds_read_b128 v[119:122], v119 offset:736
	s_waitcnt lgkmcnt(0)
	v_mul_f64 v[124:125], v[3:4], v[121:122]
	v_mul_f64 v[121:122], v[1:2], v[121:122]
	v_fma_f64 v[1:2], v[1:2], v[119:120], -v[124:125]
	v_fma_f64 v[3:4], v[3:4], v[119:120], v[121:122]
	buffer_store_dword v2, off, s[0:3], 0 offset:740
	buffer_store_dword v1, off, s[0:3], 0 offset:736
	;; [unrolled: 1-line block ×4, first 2 shown]
.LBB55_75:
	s_or_b32 exec_lo, exec_lo, s6
	v_mov_b32_e32 v4, s18
	v_cmp_lt_u32_e64 s5, 45, v0
	s_clause 0x3
	buffer_load_dword v1, v4, s[0:3], 0 offen
	buffer_load_dword v2, v4, s[0:3], 0 offen offset:4
	buffer_load_dword v3, v4, s[0:3], 0 offen offset:8
	;; [unrolled: 1-line block ×3, first 2 shown]
	s_waitcnt vmcnt(0)
	ds_write_b128 v118, v[1:4]
	s_waitcnt lgkmcnt(0)
	s_waitcnt_vscnt null, 0x0
	s_barrier
	buffer_gl0_inv
	s_and_saveexec_b32 s6, s5
	s_cbranch_execz .LBB55_83
; %bb.76:
	ds_read_b128 v[1:4], v118
	s_andn2_b32 vcc_lo, exec_lo, s64
	s_cbranch_vccnz .LBB55_78
; %bb.77:
	s_clause 0x3
	buffer_load_dword v119, v117, s[0:3], 0 offen offset:8
	buffer_load_dword v120, v117, s[0:3], 0 offen offset:12
	buffer_load_dword v121, v117, s[0:3], 0 offen
	buffer_load_dword v122, v117, s[0:3], 0 offen offset:4
	s_waitcnt vmcnt(2) lgkmcnt(0)
	v_mul_f64 v[124:125], v[3:4], v[119:120]
	v_mul_f64 v[119:120], v[1:2], v[119:120]
	s_waitcnt vmcnt(0)
	v_fma_f64 v[1:2], v[1:2], v[121:122], -v[124:125]
	v_fma_f64 v[3:4], v[3:4], v[121:122], v[119:120]
.LBB55_78:
	s_and_saveexec_b32 s8, s4
	s_cbranch_execz .LBB55_82
; %bb.79:
	v_subrev_nc_u32_e32 v119, 46, v0
	s_movk_i32 s65, 0x660
	s_mov_b32 s4, 0
	s_mov_b32 s66, s17
	.p2align	6
.LBB55_80:                              ; =>This Inner Loop Header: Depth=1
	v_mov_b32_e32 v122, s66
	v_add_nc_u32_e32 v119, -1, v119
	s_add_i32 s66, s66, 16
	s_clause 0x3
	buffer_load_dword v120, v122, s[0:3], 0 offen offset:8
	buffer_load_dword v121, v122, s[0:3], 0 offen offset:12
	buffer_load_dword v128, v122, s[0:3], 0 offen
	buffer_load_dword v129, v122, s[0:3], 0 offen offset:4
	v_mov_b32_e32 v122, s65
	v_cmp_eq_u32_e32 vcc_lo, 0, v119
	s_add_i32 s65, s65, 16
	ds_read_b128 v[124:127], v122
	s_or_b32 s4, vcc_lo, s4
	s_waitcnt vmcnt(2) lgkmcnt(0)
	v_mul_f64 v[130:131], v[126:127], v[120:121]
	v_mul_f64 v[120:121], v[124:125], v[120:121]
	s_waitcnt vmcnt(0)
	v_fma_f64 v[124:125], v[124:125], v[128:129], -v[130:131]
	v_fma_f64 v[120:121], v[126:127], v[128:129], v[120:121]
	v_add_f64 v[1:2], v[1:2], v[124:125]
	v_add_f64 v[3:4], v[3:4], v[120:121]
	s_andn2_b32 exec_lo, exec_lo, s4
	s_cbranch_execnz .LBB55_80
; %bb.81:
	s_or_b32 exec_lo, exec_lo, s4
.LBB55_82:
	s_or_b32 exec_lo, exec_lo, s8
	v_mov_b32_e32 v119, 0
	ds_read_b128 v[119:122], v119 offset:720
	s_waitcnt lgkmcnt(0)
	v_mul_f64 v[124:125], v[3:4], v[121:122]
	v_mul_f64 v[121:122], v[1:2], v[121:122]
	v_fma_f64 v[1:2], v[1:2], v[119:120], -v[124:125]
	v_fma_f64 v[3:4], v[3:4], v[119:120], v[121:122]
	buffer_store_dword v2, off, s[0:3], 0 offset:724
	buffer_store_dword v1, off, s[0:3], 0 offset:720
	;; [unrolled: 1-line block ×4, first 2 shown]
.LBB55_83:
	s_or_b32 exec_lo, exec_lo, s6
	v_mov_b32_e32 v4, s19
	v_cmp_lt_u32_e64 s4, 44, v0
	s_clause 0x3
	buffer_load_dword v1, v4, s[0:3], 0 offen
	buffer_load_dword v2, v4, s[0:3], 0 offen offset:4
	buffer_load_dword v3, v4, s[0:3], 0 offen offset:8
	;; [unrolled: 1-line block ×3, first 2 shown]
	s_waitcnt vmcnt(0)
	ds_write_b128 v118, v[1:4]
	s_waitcnt lgkmcnt(0)
	s_waitcnt_vscnt null, 0x0
	s_barrier
	buffer_gl0_inv
	s_and_saveexec_b32 s6, s4
	s_cbranch_execz .LBB55_91
; %bb.84:
	ds_read_b128 v[1:4], v118
	s_andn2_b32 vcc_lo, exec_lo, s64
	s_cbranch_vccnz .LBB55_86
; %bb.85:
	s_clause 0x3
	buffer_load_dword v119, v117, s[0:3], 0 offen offset:8
	buffer_load_dword v120, v117, s[0:3], 0 offen offset:12
	buffer_load_dword v121, v117, s[0:3], 0 offen
	buffer_load_dword v122, v117, s[0:3], 0 offen offset:4
	s_waitcnt vmcnt(2) lgkmcnt(0)
	v_mul_f64 v[124:125], v[3:4], v[119:120]
	v_mul_f64 v[119:120], v[1:2], v[119:120]
	s_waitcnt vmcnt(0)
	v_fma_f64 v[1:2], v[1:2], v[121:122], -v[124:125]
	v_fma_f64 v[3:4], v[3:4], v[121:122], v[119:120]
.LBB55_86:
	s_and_saveexec_b32 s8, s5
	s_cbranch_execz .LBB55_90
; %bb.87:
	v_subrev_nc_u32_e32 v119, 45, v0
	s_movk_i32 s65, 0x650
	s_mov_b32 s5, 0
	s_mov_b32 s66, s18
	.p2align	6
.LBB55_88:                              ; =>This Inner Loop Header: Depth=1
	v_mov_b32_e32 v122, s66
	v_add_nc_u32_e32 v119, -1, v119
	s_add_i32 s66, s66, 16
	s_clause 0x3
	buffer_load_dword v120, v122, s[0:3], 0 offen offset:8
	buffer_load_dword v121, v122, s[0:3], 0 offen offset:12
	buffer_load_dword v128, v122, s[0:3], 0 offen
	buffer_load_dword v129, v122, s[0:3], 0 offen offset:4
	v_mov_b32_e32 v122, s65
	v_cmp_eq_u32_e32 vcc_lo, 0, v119
	s_add_i32 s65, s65, 16
	ds_read_b128 v[124:127], v122
	s_or_b32 s5, vcc_lo, s5
	s_waitcnt vmcnt(2) lgkmcnt(0)
	v_mul_f64 v[130:131], v[126:127], v[120:121]
	v_mul_f64 v[120:121], v[124:125], v[120:121]
	s_waitcnt vmcnt(0)
	v_fma_f64 v[124:125], v[124:125], v[128:129], -v[130:131]
	v_fma_f64 v[120:121], v[126:127], v[128:129], v[120:121]
	v_add_f64 v[1:2], v[1:2], v[124:125]
	v_add_f64 v[3:4], v[3:4], v[120:121]
	s_andn2_b32 exec_lo, exec_lo, s5
	s_cbranch_execnz .LBB55_88
; %bb.89:
	s_or_b32 exec_lo, exec_lo, s5
.LBB55_90:
	s_or_b32 exec_lo, exec_lo, s8
	v_mov_b32_e32 v119, 0
	ds_read_b128 v[119:122], v119 offset:704
	s_waitcnt lgkmcnt(0)
	v_mul_f64 v[124:125], v[3:4], v[121:122]
	v_mul_f64 v[121:122], v[1:2], v[121:122]
	v_fma_f64 v[1:2], v[1:2], v[119:120], -v[124:125]
	v_fma_f64 v[3:4], v[3:4], v[119:120], v[121:122]
	buffer_store_dword v2, off, s[0:3], 0 offset:708
	buffer_store_dword v1, off, s[0:3], 0 offset:704
	;; [unrolled: 1-line block ×4, first 2 shown]
.LBB55_91:
	s_or_b32 exec_lo, exec_lo, s6
	v_mov_b32_e32 v4, s20
	v_cmp_lt_u32_e64 s5, 43, v0
	s_clause 0x3
	buffer_load_dword v1, v4, s[0:3], 0 offen
	buffer_load_dword v2, v4, s[0:3], 0 offen offset:4
	buffer_load_dword v3, v4, s[0:3], 0 offen offset:8
	;; [unrolled: 1-line block ×3, first 2 shown]
	s_waitcnt vmcnt(0)
	ds_write_b128 v118, v[1:4]
	s_waitcnt lgkmcnt(0)
	s_waitcnt_vscnt null, 0x0
	s_barrier
	buffer_gl0_inv
	s_and_saveexec_b32 s6, s5
	s_cbranch_execz .LBB55_99
; %bb.92:
	ds_read_b128 v[1:4], v118
	s_andn2_b32 vcc_lo, exec_lo, s64
	s_cbranch_vccnz .LBB55_94
; %bb.93:
	s_clause 0x3
	buffer_load_dword v119, v117, s[0:3], 0 offen offset:8
	buffer_load_dword v120, v117, s[0:3], 0 offen offset:12
	buffer_load_dword v121, v117, s[0:3], 0 offen
	buffer_load_dword v122, v117, s[0:3], 0 offen offset:4
	s_waitcnt vmcnt(2) lgkmcnt(0)
	v_mul_f64 v[124:125], v[3:4], v[119:120]
	v_mul_f64 v[119:120], v[1:2], v[119:120]
	s_waitcnt vmcnt(0)
	v_fma_f64 v[1:2], v[1:2], v[121:122], -v[124:125]
	v_fma_f64 v[3:4], v[3:4], v[121:122], v[119:120]
.LBB55_94:
	s_and_saveexec_b32 s8, s4
	s_cbranch_execz .LBB55_98
; %bb.95:
	v_subrev_nc_u32_e32 v119, 44, v0
	s_movk_i32 s65, 0x640
	s_mov_b32 s4, 0
	s_mov_b32 s66, s19
	.p2align	6
.LBB55_96:                              ; =>This Inner Loop Header: Depth=1
	v_mov_b32_e32 v122, s66
	v_add_nc_u32_e32 v119, -1, v119
	s_add_i32 s66, s66, 16
	s_clause 0x3
	buffer_load_dword v120, v122, s[0:3], 0 offen offset:8
	buffer_load_dword v121, v122, s[0:3], 0 offen offset:12
	buffer_load_dword v128, v122, s[0:3], 0 offen
	buffer_load_dword v129, v122, s[0:3], 0 offen offset:4
	v_mov_b32_e32 v122, s65
	v_cmp_eq_u32_e32 vcc_lo, 0, v119
	s_add_i32 s65, s65, 16
	ds_read_b128 v[124:127], v122
	s_or_b32 s4, vcc_lo, s4
	s_waitcnt vmcnt(2) lgkmcnt(0)
	v_mul_f64 v[130:131], v[126:127], v[120:121]
	v_mul_f64 v[120:121], v[124:125], v[120:121]
	s_waitcnt vmcnt(0)
	v_fma_f64 v[124:125], v[124:125], v[128:129], -v[130:131]
	v_fma_f64 v[120:121], v[126:127], v[128:129], v[120:121]
	v_add_f64 v[1:2], v[1:2], v[124:125]
	v_add_f64 v[3:4], v[3:4], v[120:121]
	s_andn2_b32 exec_lo, exec_lo, s4
	s_cbranch_execnz .LBB55_96
; %bb.97:
	s_or_b32 exec_lo, exec_lo, s4
.LBB55_98:
	s_or_b32 exec_lo, exec_lo, s8
	v_mov_b32_e32 v119, 0
	ds_read_b128 v[119:122], v119 offset:688
	s_waitcnt lgkmcnt(0)
	v_mul_f64 v[124:125], v[3:4], v[121:122]
	v_mul_f64 v[121:122], v[1:2], v[121:122]
	v_fma_f64 v[1:2], v[1:2], v[119:120], -v[124:125]
	v_fma_f64 v[3:4], v[3:4], v[119:120], v[121:122]
	buffer_store_dword v2, off, s[0:3], 0 offset:692
	buffer_store_dword v1, off, s[0:3], 0 offset:688
	;; [unrolled: 1-line block ×4, first 2 shown]
.LBB55_99:
	s_or_b32 exec_lo, exec_lo, s6
	v_mov_b32_e32 v4, s21
	v_cmp_lt_u32_e64 s4, 42, v0
	s_clause 0x3
	buffer_load_dword v1, v4, s[0:3], 0 offen
	buffer_load_dword v2, v4, s[0:3], 0 offen offset:4
	buffer_load_dword v3, v4, s[0:3], 0 offen offset:8
	;; [unrolled: 1-line block ×3, first 2 shown]
	s_waitcnt vmcnt(0)
	ds_write_b128 v118, v[1:4]
	s_waitcnt lgkmcnt(0)
	s_waitcnt_vscnt null, 0x0
	s_barrier
	buffer_gl0_inv
	s_and_saveexec_b32 s6, s4
	s_cbranch_execz .LBB55_107
; %bb.100:
	ds_read_b128 v[1:4], v118
	s_andn2_b32 vcc_lo, exec_lo, s64
	s_cbranch_vccnz .LBB55_102
; %bb.101:
	s_clause 0x3
	buffer_load_dword v119, v117, s[0:3], 0 offen offset:8
	buffer_load_dword v120, v117, s[0:3], 0 offen offset:12
	buffer_load_dword v121, v117, s[0:3], 0 offen
	buffer_load_dword v122, v117, s[0:3], 0 offen offset:4
	s_waitcnt vmcnt(2) lgkmcnt(0)
	v_mul_f64 v[124:125], v[3:4], v[119:120]
	v_mul_f64 v[119:120], v[1:2], v[119:120]
	s_waitcnt vmcnt(0)
	v_fma_f64 v[1:2], v[1:2], v[121:122], -v[124:125]
	v_fma_f64 v[3:4], v[3:4], v[121:122], v[119:120]
.LBB55_102:
	s_and_saveexec_b32 s8, s5
	s_cbranch_execz .LBB55_106
; %bb.103:
	v_subrev_nc_u32_e32 v119, 43, v0
	s_movk_i32 s65, 0x630
	s_mov_b32 s5, 0
	s_mov_b32 s66, s20
	.p2align	6
.LBB55_104:                             ; =>This Inner Loop Header: Depth=1
	v_mov_b32_e32 v122, s66
	v_add_nc_u32_e32 v119, -1, v119
	s_add_i32 s66, s66, 16
	s_clause 0x3
	buffer_load_dword v120, v122, s[0:3], 0 offen offset:8
	buffer_load_dword v121, v122, s[0:3], 0 offen offset:12
	buffer_load_dword v128, v122, s[0:3], 0 offen
	buffer_load_dword v129, v122, s[0:3], 0 offen offset:4
	v_mov_b32_e32 v122, s65
	v_cmp_eq_u32_e32 vcc_lo, 0, v119
	s_add_i32 s65, s65, 16
	ds_read_b128 v[124:127], v122
	s_or_b32 s5, vcc_lo, s5
	s_waitcnt vmcnt(2) lgkmcnt(0)
	v_mul_f64 v[130:131], v[126:127], v[120:121]
	v_mul_f64 v[120:121], v[124:125], v[120:121]
	s_waitcnt vmcnt(0)
	v_fma_f64 v[124:125], v[124:125], v[128:129], -v[130:131]
	v_fma_f64 v[120:121], v[126:127], v[128:129], v[120:121]
	v_add_f64 v[1:2], v[1:2], v[124:125]
	v_add_f64 v[3:4], v[3:4], v[120:121]
	s_andn2_b32 exec_lo, exec_lo, s5
	s_cbranch_execnz .LBB55_104
; %bb.105:
	s_or_b32 exec_lo, exec_lo, s5
.LBB55_106:
	s_or_b32 exec_lo, exec_lo, s8
	v_mov_b32_e32 v119, 0
	ds_read_b128 v[119:122], v119 offset:672
	s_waitcnt lgkmcnt(0)
	v_mul_f64 v[124:125], v[3:4], v[121:122]
	v_mul_f64 v[121:122], v[1:2], v[121:122]
	v_fma_f64 v[1:2], v[1:2], v[119:120], -v[124:125]
	v_fma_f64 v[3:4], v[3:4], v[119:120], v[121:122]
	buffer_store_dword v2, off, s[0:3], 0 offset:676
	buffer_store_dword v1, off, s[0:3], 0 offset:672
	;; [unrolled: 1-line block ×4, first 2 shown]
.LBB55_107:
	s_or_b32 exec_lo, exec_lo, s6
	v_mov_b32_e32 v4, s22
	v_cmp_lt_u32_e64 s5, 41, v0
	s_clause 0x3
	buffer_load_dword v1, v4, s[0:3], 0 offen
	buffer_load_dword v2, v4, s[0:3], 0 offen offset:4
	buffer_load_dword v3, v4, s[0:3], 0 offen offset:8
	;; [unrolled: 1-line block ×3, first 2 shown]
	s_waitcnt vmcnt(0)
	ds_write_b128 v118, v[1:4]
	s_waitcnt lgkmcnt(0)
	s_waitcnt_vscnt null, 0x0
	s_barrier
	buffer_gl0_inv
	s_and_saveexec_b32 s6, s5
	s_cbranch_execz .LBB55_115
; %bb.108:
	ds_read_b128 v[1:4], v118
	s_andn2_b32 vcc_lo, exec_lo, s64
	s_cbranch_vccnz .LBB55_110
; %bb.109:
	s_clause 0x3
	buffer_load_dword v119, v117, s[0:3], 0 offen offset:8
	buffer_load_dword v120, v117, s[0:3], 0 offen offset:12
	buffer_load_dword v121, v117, s[0:3], 0 offen
	buffer_load_dword v122, v117, s[0:3], 0 offen offset:4
	s_waitcnt vmcnt(2) lgkmcnt(0)
	v_mul_f64 v[124:125], v[3:4], v[119:120]
	v_mul_f64 v[119:120], v[1:2], v[119:120]
	s_waitcnt vmcnt(0)
	v_fma_f64 v[1:2], v[1:2], v[121:122], -v[124:125]
	v_fma_f64 v[3:4], v[3:4], v[121:122], v[119:120]
.LBB55_110:
	s_and_saveexec_b32 s8, s4
	s_cbranch_execz .LBB55_114
; %bb.111:
	v_subrev_nc_u32_e32 v119, 42, v0
	s_movk_i32 s65, 0x620
	s_mov_b32 s4, 0
	s_mov_b32 s66, s21
	.p2align	6
.LBB55_112:                             ; =>This Inner Loop Header: Depth=1
	v_mov_b32_e32 v122, s66
	v_add_nc_u32_e32 v119, -1, v119
	s_add_i32 s66, s66, 16
	s_clause 0x3
	buffer_load_dword v120, v122, s[0:3], 0 offen offset:8
	buffer_load_dword v121, v122, s[0:3], 0 offen offset:12
	buffer_load_dword v128, v122, s[0:3], 0 offen
	buffer_load_dword v129, v122, s[0:3], 0 offen offset:4
	v_mov_b32_e32 v122, s65
	v_cmp_eq_u32_e32 vcc_lo, 0, v119
	s_add_i32 s65, s65, 16
	ds_read_b128 v[124:127], v122
	s_or_b32 s4, vcc_lo, s4
	s_waitcnt vmcnt(2) lgkmcnt(0)
	v_mul_f64 v[130:131], v[126:127], v[120:121]
	v_mul_f64 v[120:121], v[124:125], v[120:121]
	s_waitcnt vmcnt(0)
	v_fma_f64 v[124:125], v[124:125], v[128:129], -v[130:131]
	v_fma_f64 v[120:121], v[126:127], v[128:129], v[120:121]
	v_add_f64 v[1:2], v[1:2], v[124:125]
	v_add_f64 v[3:4], v[3:4], v[120:121]
	s_andn2_b32 exec_lo, exec_lo, s4
	s_cbranch_execnz .LBB55_112
; %bb.113:
	s_or_b32 exec_lo, exec_lo, s4
.LBB55_114:
	s_or_b32 exec_lo, exec_lo, s8
	v_mov_b32_e32 v119, 0
	ds_read_b128 v[119:122], v119 offset:656
	s_waitcnt lgkmcnt(0)
	v_mul_f64 v[124:125], v[3:4], v[121:122]
	v_mul_f64 v[121:122], v[1:2], v[121:122]
	v_fma_f64 v[1:2], v[1:2], v[119:120], -v[124:125]
	v_fma_f64 v[3:4], v[3:4], v[119:120], v[121:122]
	buffer_store_dword v2, off, s[0:3], 0 offset:660
	buffer_store_dword v1, off, s[0:3], 0 offset:656
	;; [unrolled: 1-line block ×4, first 2 shown]
.LBB55_115:
	s_or_b32 exec_lo, exec_lo, s6
	v_mov_b32_e32 v4, s23
	v_cmp_lt_u32_e64 s4, 40, v0
	s_clause 0x3
	buffer_load_dword v1, v4, s[0:3], 0 offen
	buffer_load_dword v2, v4, s[0:3], 0 offen offset:4
	buffer_load_dword v3, v4, s[0:3], 0 offen offset:8
	;; [unrolled: 1-line block ×3, first 2 shown]
	s_waitcnt vmcnt(0)
	ds_write_b128 v118, v[1:4]
	s_waitcnt lgkmcnt(0)
	s_waitcnt_vscnt null, 0x0
	s_barrier
	buffer_gl0_inv
	s_and_saveexec_b32 s6, s4
	s_cbranch_execz .LBB55_123
; %bb.116:
	ds_read_b128 v[1:4], v118
	s_andn2_b32 vcc_lo, exec_lo, s64
	s_cbranch_vccnz .LBB55_118
; %bb.117:
	s_clause 0x3
	buffer_load_dword v119, v117, s[0:3], 0 offen offset:8
	buffer_load_dword v120, v117, s[0:3], 0 offen offset:12
	buffer_load_dword v121, v117, s[0:3], 0 offen
	buffer_load_dword v122, v117, s[0:3], 0 offen offset:4
	s_waitcnt vmcnt(2) lgkmcnt(0)
	v_mul_f64 v[124:125], v[3:4], v[119:120]
	v_mul_f64 v[119:120], v[1:2], v[119:120]
	s_waitcnt vmcnt(0)
	v_fma_f64 v[1:2], v[1:2], v[121:122], -v[124:125]
	v_fma_f64 v[3:4], v[3:4], v[121:122], v[119:120]
.LBB55_118:
	s_and_saveexec_b32 s8, s5
	s_cbranch_execz .LBB55_122
; %bb.119:
	v_subrev_nc_u32_e32 v119, 41, v0
	s_movk_i32 s65, 0x610
	s_mov_b32 s5, 0
	s_mov_b32 s66, s22
	.p2align	6
.LBB55_120:                             ; =>This Inner Loop Header: Depth=1
	v_mov_b32_e32 v122, s66
	v_add_nc_u32_e32 v119, -1, v119
	s_add_i32 s66, s66, 16
	s_clause 0x3
	buffer_load_dword v120, v122, s[0:3], 0 offen offset:8
	buffer_load_dword v121, v122, s[0:3], 0 offen offset:12
	buffer_load_dword v128, v122, s[0:3], 0 offen
	buffer_load_dword v129, v122, s[0:3], 0 offen offset:4
	v_mov_b32_e32 v122, s65
	v_cmp_eq_u32_e32 vcc_lo, 0, v119
	s_add_i32 s65, s65, 16
	ds_read_b128 v[124:127], v122
	s_or_b32 s5, vcc_lo, s5
	s_waitcnt vmcnt(2) lgkmcnt(0)
	v_mul_f64 v[130:131], v[126:127], v[120:121]
	v_mul_f64 v[120:121], v[124:125], v[120:121]
	s_waitcnt vmcnt(0)
	v_fma_f64 v[124:125], v[124:125], v[128:129], -v[130:131]
	v_fma_f64 v[120:121], v[126:127], v[128:129], v[120:121]
	v_add_f64 v[1:2], v[1:2], v[124:125]
	v_add_f64 v[3:4], v[3:4], v[120:121]
	s_andn2_b32 exec_lo, exec_lo, s5
	s_cbranch_execnz .LBB55_120
; %bb.121:
	s_or_b32 exec_lo, exec_lo, s5
.LBB55_122:
	s_or_b32 exec_lo, exec_lo, s8
	v_mov_b32_e32 v119, 0
	ds_read_b128 v[119:122], v119 offset:640
	s_waitcnt lgkmcnt(0)
	v_mul_f64 v[124:125], v[3:4], v[121:122]
	v_mul_f64 v[121:122], v[1:2], v[121:122]
	v_fma_f64 v[1:2], v[1:2], v[119:120], -v[124:125]
	v_fma_f64 v[3:4], v[3:4], v[119:120], v[121:122]
	buffer_store_dword v2, off, s[0:3], 0 offset:644
	buffer_store_dword v1, off, s[0:3], 0 offset:640
	buffer_store_dword v4, off, s[0:3], 0 offset:652
	buffer_store_dword v3, off, s[0:3], 0 offset:648
.LBB55_123:
	s_or_b32 exec_lo, exec_lo, s6
	v_mov_b32_e32 v4, s24
	v_cmp_lt_u32_e64 s5, 39, v0
	s_clause 0x3
	buffer_load_dword v1, v4, s[0:3], 0 offen
	buffer_load_dword v2, v4, s[0:3], 0 offen offset:4
	buffer_load_dword v3, v4, s[0:3], 0 offen offset:8
	;; [unrolled: 1-line block ×3, first 2 shown]
	s_waitcnt vmcnt(0)
	ds_write_b128 v118, v[1:4]
	s_waitcnt lgkmcnt(0)
	s_waitcnt_vscnt null, 0x0
	s_barrier
	buffer_gl0_inv
	s_and_saveexec_b32 s6, s5
	s_cbranch_execz .LBB55_131
; %bb.124:
	ds_read_b128 v[1:4], v118
	s_andn2_b32 vcc_lo, exec_lo, s64
	s_cbranch_vccnz .LBB55_126
; %bb.125:
	s_clause 0x3
	buffer_load_dword v119, v117, s[0:3], 0 offen offset:8
	buffer_load_dword v120, v117, s[0:3], 0 offen offset:12
	buffer_load_dword v121, v117, s[0:3], 0 offen
	buffer_load_dword v122, v117, s[0:3], 0 offen offset:4
	s_waitcnt vmcnt(2) lgkmcnt(0)
	v_mul_f64 v[124:125], v[3:4], v[119:120]
	v_mul_f64 v[119:120], v[1:2], v[119:120]
	s_waitcnt vmcnt(0)
	v_fma_f64 v[1:2], v[1:2], v[121:122], -v[124:125]
	v_fma_f64 v[3:4], v[3:4], v[121:122], v[119:120]
.LBB55_126:
	s_and_saveexec_b32 s8, s4
	s_cbranch_execz .LBB55_130
; %bb.127:
	v_subrev_nc_u32_e32 v119, 40, v0
	s_movk_i32 s65, 0x600
	s_mov_b32 s4, 0
	s_mov_b32 s66, s23
	.p2align	6
.LBB55_128:                             ; =>This Inner Loop Header: Depth=1
	v_mov_b32_e32 v122, s66
	v_add_nc_u32_e32 v119, -1, v119
	s_add_i32 s66, s66, 16
	s_clause 0x3
	buffer_load_dword v120, v122, s[0:3], 0 offen offset:8
	buffer_load_dword v121, v122, s[0:3], 0 offen offset:12
	buffer_load_dword v128, v122, s[0:3], 0 offen
	buffer_load_dword v129, v122, s[0:3], 0 offen offset:4
	v_mov_b32_e32 v122, s65
	v_cmp_eq_u32_e32 vcc_lo, 0, v119
	s_add_i32 s65, s65, 16
	ds_read_b128 v[124:127], v122
	s_or_b32 s4, vcc_lo, s4
	s_waitcnt vmcnt(2) lgkmcnt(0)
	v_mul_f64 v[130:131], v[126:127], v[120:121]
	v_mul_f64 v[120:121], v[124:125], v[120:121]
	s_waitcnt vmcnt(0)
	v_fma_f64 v[124:125], v[124:125], v[128:129], -v[130:131]
	v_fma_f64 v[120:121], v[126:127], v[128:129], v[120:121]
	v_add_f64 v[1:2], v[1:2], v[124:125]
	v_add_f64 v[3:4], v[3:4], v[120:121]
	s_andn2_b32 exec_lo, exec_lo, s4
	s_cbranch_execnz .LBB55_128
; %bb.129:
	s_or_b32 exec_lo, exec_lo, s4
.LBB55_130:
	s_or_b32 exec_lo, exec_lo, s8
	v_mov_b32_e32 v119, 0
	ds_read_b128 v[119:122], v119 offset:624
	s_waitcnt lgkmcnt(0)
	v_mul_f64 v[124:125], v[3:4], v[121:122]
	v_mul_f64 v[121:122], v[1:2], v[121:122]
	v_fma_f64 v[1:2], v[1:2], v[119:120], -v[124:125]
	v_fma_f64 v[3:4], v[3:4], v[119:120], v[121:122]
	buffer_store_dword v2, off, s[0:3], 0 offset:628
	buffer_store_dword v1, off, s[0:3], 0 offset:624
	buffer_store_dword v4, off, s[0:3], 0 offset:636
	buffer_store_dword v3, off, s[0:3], 0 offset:632
.LBB55_131:
	s_or_b32 exec_lo, exec_lo, s6
	v_mov_b32_e32 v4, s25
	v_cmp_lt_u32_e64 s4, 38, v0
	s_clause 0x3
	buffer_load_dword v1, v4, s[0:3], 0 offen
	buffer_load_dword v2, v4, s[0:3], 0 offen offset:4
	buffer_load_dword v3, v4, s[0:3], 0 offen offset:8
	;; [unrolled: 1-line block ×3, first 2 shown]
	s_waitcnt vmcnt(0)
	ds_write_b128 v118, v[1:4]
	s_waitcnt lgkmcnt(0)
	s_waitcnt_vscnt null, 0x0
	s_barrier
	buffer_gl0_inv
	s_and_saveexec_b32 s6, s4
	s_cbranch_execz .LBB55_139
; %bb.132:
	ds_read_b128 v[1:4], v118
	s_andn2_b32 vcc_lo, exec_lo, s64
	s_cbranch_vccnz .LBB55_134
; %bb.133:
	s_clause 0x3
	buffer_load_dword v119, v117, s[0:3], 0 offen offset:8
	buffer_load_dword v120, v117, s[0:3], 0 offen offset:12
	buffer_load_dword v121, v117, s[0:3], 0 offen
	buffer_load_dword v122, v117, s[0:3], 0 offen offset:4
	s_waitcnt vmcnt(2) lgkmcnt(0)
	v_mul_f64 v[124:125], v[3:4], v[119:120]
	v_mul_f64 v[119:120], v[1:2], v[119:120]
	s_waitcnt vmcnt(0)
	v_fma_f64 v[1:2], v[1:2], v[121:122], -v[124:125]
	v_fma_f64 v[3:4], v[3:4], v[121:122], v[119:120]
.LBB55_134:
	s_and_saveexec_b32 s8, s5
	s_cbranch_execz .LBB55_138
; %bb.135:
	v_subrev_nc_u32_e32 v119, 39, v0
	s_movk_i32 s65, 0x5f0
	s_mov_b32 s5, 0
	s_mov_b32 s66, s24
	.p2align	6
.LBB55_136:                             ; =>This Inner Loop Header: Depth=1
	v_mov_b32_e32 v122, s66
	v_add_nc_u32_e32 v119, -1, v119
	s_add_i32 s66, s66, 16
	s_clause 0x3
	buffer_load_dword v120, v122, s[0:3], 0 offen offset:8
	buffer_load_dword v121, v122, s[0:3], 0 offen offset:12
	buffer_load_dword v128, v122, s[0:3], 0 offen
	buffer_load_dword v129, v122, s[0:3], 0 offen offset:4
	v_mov_b32_e32 v122, s65
	v_cmp_eq_u32_e32 vcc_lo, 0, v119
	s_add_i32 s65, s65, 16
	ds_read_b128 v[124:127], v122
	s_or_b32 s5, vcc_lo, s5
	s_waitcnt vmcnt(2) lgkmcnt(0)
	v_mul_f64 v[130:131], v[126:127], v[120:121]
	v_mul_f64 v[120:121], v[124:125], v[120:121]
	s_waitcnt vmcnt(0)
	v_fma_f64 v[124:125], v[124:125], v[128:129], -v[130:131]
	v_fma_f64 v[120:121], v[126:127], v[128:129], v[120:121]
	v_add_f64 v[1:2], v[1:2], v[124:125]
	v_add_f64 v[3:4], v[3:4], v[120:121]
	s_andn2_b32 exec_lo, exec_lo, s5
	s_cbranch_execnz .LBB55_136
; %bb.137:
	s_or_b32 exec_lo, exec_lo, s5
.LBB55_138:
	s_or_b32 exec_lo, exec_lo, s8
	v_mov_b32_e32 v119, 0
	ds_read_b128 v[119:122], v119 offset:608
	s_waitcnt lgkmcnt(0)
	v_mul_f64 v[124:125], v[3:4], v[121:122]
	v_mul_f64 v[121:122], v[1:2], v[121:122]
	v_fma_f64 v[1:2], v[1:2], v[119:120], -v[124:125]
	v_fma_f64 v[3:4], v[3:4], v[119:120], v[121:122]
	buffer_store_dword v2, off, s[0:3], 0 offset:612
	buffer_store_dword v1, off, s[0:3], 0 offset:608
	;; [unrolled: 1-line block ×4, first 2 shown]
.LBB55_139:
	s_or_b32 exec_lo, exec_lo, s6
	v_mov_b32_e32 v4, s26
	v_cmp_lt_u32_e64 s5, 37, v0
	s_clause 0x3
	buffer_load_dword v1, v4, s[0:3], 0 offen
	buffer_load_dword v2, v4, s[0:3], 0 offen offset:4
	buffer_load_dword v3, v4, s[0:3], 0 offen offset:8
	;; [unrolled: 1-line block ×3, first 2 shown]
	s_waitcnt vmcnt(0)
	ds_write_b128 v118, v[1:4]
	s_waitcnt lgkmcnt(0)
	s_waitcnt_vscnt null, 0x0
	s_barrier
	buffer_gl0_inv
	s_and_saveexec_b32 s6, s5
	s_cbranch_execz .LBB55_147
; %bb.140:
	ds_read_b128 v[1:4], v118
	s_andn2_b32 vcc_lo, exec_lo, s64
	s_cbranch_vccnz .LBB55_142
; %bb.141:
	s_clause 0x3
	buffer_load_dword v119, v117, s[0:3], 0 offen offset:8
	buffer_load_dword v120, v117, s[0:3], 0 offen offset:12
	buffer_load_dword v121, v117, s[0:3], 0 offen
	buffer_load_dword v122, v117, s[0:3], 0 offen offset:4
	s_waitcnt vmcnt(2) lgkmcnt(0)
	v_mul_f64 v[124:125], v[3:4], v[119:120]
	v_mul_f64 v[119:120], v[1:2], v[119:120]
	s_waitcnt vmcnt(0)
	v_fma_f64 v[1:2], v[1:2], v[121:122], -v[124:125]
	v_fma_f64 v[3:4], v[3:4], v[121:122], v[119:120]
.LBB55_142:
	s_and_saveexec_b32 s8, s4
	s_cbranch_execz .LBB55_146
; %bb.143:
	v_subrev_nc_u32_e32 v119, 38, v0
	s_movk_i32 s65, 0x5e0
	s_mov_b32 s4, 0
	s_mov_b32 s66, s25
	.p2align	6
.LBB55_144:                             ; =>This Inner Loop Header: Depth=1
	v_mov_b32_e32 v122, s66
	v_add_nc_u32_e32 v119, -1, v119
	s_add_i32 s66, s66, 16
	s_clause 0x3
	buffer_load_dword v120, v122, s[0:3], 0 offen offset:8
	buffer_load_dword v121, v122, s[0:3], 0 offen offset:12
	buffer_load_dword v128, v122, s[0:3], 0 offen
	buffer_load_dword v129, v122, s[0:3], 0 offen offset:4
	v_mov_b32_e32 v122, s65
	v_cmp_eq_u32_e32 vcc_lo, 0, v119
	s_add_i32 s65, s65, 16
	ds_read_b128 v[124:127], v122
	s_or_b32 s4, vcc_lo, s4
	s_waitcnt vmcnt(2) lgkmcnt(0)
	v_mul_f64 v[130:131], v[126:127], v[120:121]
	v_mul_f64 v[120:121], v[124:125], v[120:121]
	s_waitcnt vmcnt(0)
	v_fma_f64 v[124:125], v[124:125], v[128:129], -v[130:131]
	v_fma_f64 v[120:121], v[126:127], v[128:129], v[120:121]
	v_add_f64 v[1:2], v[1:2], v[124:125]
	v_add_f64 v[3:4], v[3:4], v[120:121]
	s_andn2_b32 exec_lo, exec_lo, s4
	s_cbranch_execnz .LBB55_144
; %bb.145:
	s_or_b32 exec_lo, exec_lo, s4
.LBB55_146:
	s_or_b32 exec_lo, exec_lo, s8
	v_mov_b32_e32 v119, 0
	ds_read_b128 v[119:122], v119 offset:592
	s_waitcnt lgkmcnt(0)
	v_mul_f64 v[124:125], v[3:4], v[121:122]
	v_mul_f64 v[121:122], v[1:2], v[121:122]
	v_fma_f64 v[1:2], v[1:2], v[119:120], -v[124:125]
	v_fma_f64 v[3:4], v[3:4], v[119:120], v[121:122]
	buffer_store_dword v2, off, s[0:3], 0 offset:596
	buffer_store_dword v1, off, s[0:3], 0 offset:592
	;; [unrolled: 1-line block ×4, first 2 shown]
.LBB55_147:
	s_or_b32 exec_lo, exec_lo, s6
	v_mov_b32_e32 v4, s27
	v_cmp_lt_u32_e64 s4, 36, v0
	s_clause 0x3
	buffer_load_dword v1, v4, s[0:3], 0 offen
	buffer_load_dword v2, v4, s[0:3], 0 offen offset:4
	buffer_load_dword v3, v4, s[0:3], 0 offen offset:8
	;; [unrolled: 1-line block ×3, first 2 shown]
	s_waitcnt vmcnt(0)
	ds_write_b128 v118, v[1:4]
	s_waitcnt lgkmcnt(0)
	s_waitcnt_vscnt null, 0x0
	s_barrier
	buffer_gl0_inv
	s_and_saveexec_b32 s6, s4
	s_cbranch_execz .LBB55_155
; %bb.148:
	ds_read_b128 v[1:4], v118
	s_andn2_b32 vcc_lo, exec_lo, s64
	s_cbranch_vccnz .LBB55_150
; %bb.149:
	s_clause 0x3
	buffer_load_dword v119, v117, s[0:3], 0 offen offset:8
	buffer_load_dword v120, v117, s[0:3], 0 offen offset:12
	buffer_load_dword v121, v117, s[0:3], 0 offen
	buffer_load_dword v122, v117, s[0:3], 0 offen offset:4
	s_waitcnt vmcnt(2) lgkmcnt(0)
	v_mul_f64 v[124:125], v[3:4], v[119:120]
	v_mul_f64 v[119:120], v[1:2], v[119:120]
	s_waitcnt vmcnt(0)
	v_fma_f64 v[1:2], v[1:2], v[121:122], -v[124:125]
	v_fma_f64 v[3:4], v[3:4], v[121:122], v[119:120]
.LBB55_150:
	s_and_saveexec_b32 s8, s5
	s_cbranch_execz .LBB55_154
; %bb.151:
	v_subrev_nc_u32_e32 v119, 37, v0
	s_movk_i32 s65, 0x5d0
	s_mov_b32 s5, 0
	s_mov_b32 s66, s26
	.p2align	6
.LBB55_152:                             ; =>This Inner Loop Header: Depth=1
	v_mov_b32_e32 v122, s66
	v_add_nc_u32_e32 v119, -1, v119
	s_add_i32 s66, s66, 16
	s_clause 0x3
	buffer_load_dword v120, v122, s[0:3], 0 offen offset:8
	buffer_load_dword v121, v122, s[0:3], 0 offen offset:12
	buffer_load_dword v128, v122, s[0:3], 0 offen
	buffer_load_dword v129, v122, s[0:3], 0 offen offset:4
	v_mov_b32_e32 v122, s65
	v_cmp_eq_u32_e32 vcc_lo, 0, v119
	s_add_i32 s65, s65, 16
	ds_read_b128 v[124:127], v122
	s_or_b32 s5, vcc_lo, s5
	s_waitcnt vmcnt(2) lgkmcnt(0)
	v_mul_f64 v[130:131], v[126:127], v[120:121]
	v_mul_f64 v[120:121], v[124:125], v[120:121]
	s_waitcnt vmcnt(0)
	v_fma_f64 v[124:125], v[124:125], v[128:129], -v[130:131]
	v_fma_f64 v[120:121], v[126:127], v[128:129], v[120:121]
	v_add_f64 v[1:2], v[1:2], v[124:125]
	v_add_f64 v[3:4], v[3:4], v[120:121]
	s_andn2_b32 exec_lo, exec_lo, s5
	s_cbranch_execnz .LBB55_152
; %bb.153:
	s_or_b32 exec_lo, exec_lo, s5
.LBB55_154:
	s_or_b32 exec_lo, exec_lo, s8
	v_mov_b32_e32 v119, 0
	ds_read_b128 v[119:122], v119 offset:576
	s_waitcnt lgkmcnt(0)
	v_mul_f64 v[124:125], v[3:4], v[121:122]
	v_mul_f64 v[121:122], v[1:2], v[121:122]
	v_fma_f64 v[1:2], v[1:2], v[119:120], -v[124:125]
	v_fma_f64 v[3:4], v[3:4], v[119:120], v[121:122]
	buffer_store_dword v2, off, s[0:3], 0 offset:580
	buffer_store_dword v1, off, s[0:3], 0 offset:576
	;; [unrolled: 1-line block ×4, first 2 shown]
.LBB55_155:
	s_or_b32 exec_lo, exec_lo, s6
	v_mov_b32_e32 v4, s28
	v_cmp_lt_u32_e64 s5, 35, v0
	s_clause 0x3
	buffer_load_dword v1, v4, s[0:3], 0 offen
	buffer_load_dword v2, v4, s[0:3], 0 offen offset:4
	buffer_load_dword v3, v4, s[0:3], 0 offen offset:8
	buffer_load_dword v4, v4, s[0:3], 0 offen offset:12
	s_waitcnt vmcnt(0)
	ds_write_b128 v118, v[1:4]
	s_waitcnt lgkmcnt(0)
	s_waitcnt_vscnt null, 0x0
	s_barrier
	buffer_gl0_inv
	s_and_saveexec_b32 s6, s5
	s_cbranch_execz .LBB55_163
; %bb.156:
	ds_read_b128 v[1:4], v118
	s_andn2_b32 vcc_lo, exec_lo, s64
	s_cbranch_vccnz .LBB55_158
; %bb.157:
	s_clause 0x3
	buffer_load_dword v119, v117, s[0:3], 0 offen offset:8
	buffer_load_dword v120, v117, s[0:3], 0 offen offset:12
	buffer_load_dword v121, v117, s[0:3], 0 offen
	buffer_load_dword v122, v117, s[0:3], 0 offen offset:4
	s_waitcnt vmcnt(2) lgkmcnt(0)
	v_mul_f64 v[124:125], v[3:4], v[119:120]
	v_mul_f64 v[119:120], v[1:2], v[119:120]
	s_waitcnt vmcnt(0)
	v_fma_f64 v[1:2], v[1:2], v[121:122], -v[124:125]
	v_fma_f64 v[3:4], v[3:4], v[121:122], v[119:120]
.LBB55_158:
	s_and_saveexec_b32 s8, s4
	s_cbranch_execz .LBB55_162
; %bb.159:
	v_subrev_nc_u32_e32 v119, 36, v0
	s_movk_i32 s65, 0x5c0
	s_mov_b32 s4, 0
	s_mov_b32 s66, s27
	.p2align	6
.LBB55_160:                             ; =>This Inner Loop Header: Depth=1
	v_mov_b32_e32 v122, s66
	v_add_nc_u32_e32 v119, -1, v119
	s_add_i32 s66, s66, 16
	s_clause 0x3
	buffer_load_dword v120, v122, s[0:3], 0 offen offset:8
	buffer_load_dword v121, v122, s[0:3], 0 offen offset:12
	buffer_load_dword v128, v122, s[0:3], 0 offen
	buffer_load_dword v129, v122, s[0:3], 0 offen offset:4
	v_mov_b32_e32 v122, s65
	v_cmp_eq_u32_e32 vcc_lo, 0, v119
	s_add_i32 s65, s65, 16
	ds_read_b128 v[124:127], v122
	s_or_b32 s4, vcc_lo, s4
	s_waitcnt vmcnt(2) lgkmcnt(0)
	v_mul_f64 v[130:131], v[126:127], v[120:121]
	v_mul_f64 v[120:121], v[124:125], v[120:121]
	s_waitcnt vmcnt(0)
	v_fma_f64 v[124:125], v[124:125], v[128:129], -v[130:131]
	v_fma_f64 v[120:121], v[126:127], v[128:129], v[120:121]
	v_add_f64 v[1:2], v[1:2], v[124:125]
	v_add_f64 v[3:4], v[3:4], v[120:121]
	s_andn2_b32 exec_lo, exec_lo, s4
	s_cbranch_execnz .LBB55_160
; %bb.161:
	s_or_b32 exec_lo, exec_lo, s4
.LBB55_162:
	s_or_b32 exec_lo, exec_lo, s8
	v_mov_b32_e32 v119, 0
	ds_read_b128 v[119:122], v119 offset:560
	s_waitcnt lgkmcnt(0)
	v_mul_f64 v[124:125], v[3:4], v[121:122]
	v_mul_f64 v[121:122], v[1:2], v[121:122]
	v_fma_f64 v[1:2], v[1:2], v[119:120], -v[124:125]
	v_fma_f64 v[3:4], v[3:4], v[119:120], v[121:122]
	buffer_store_dword v2, off, s[0:3], 0 offset:564
	buffer_store_dword v1, off, s[0:3], 0 offset:560
	buffer_store_dword v4, off, s[0:3], 0 offset:572
	buffer_store_dword v3, off, s[0:3], 0 offset:568
.LBB55_163:
	s_or_b32 exec_lo, exec_lo, s6
	v_mov_b32_e32 v4, s29
	v_cmp_lt_u32_e64 s4, 34, v0
	s_clause 0x3
	buffer_load_dword v1, v4, s[0:3], 0 offen
	buffer_load_dword v2, v4, s[0:3], 0 offen offset:4
	buffer_load_dword v3, v4, s[0:3], 0 offen offset:8
	;; [unrolled: 1-line block ×3, first 2 shown]
	s_waitcnt vmcnt(0)
	ds_write_b128 v118, v[1:4]
	s_waitcnt lgkmcnt(0)
	s_waitcnt_vscnt null, 0x0
	s_barrier
	buffer_gl0_inv
	s_and_saveexec_b32 s6, s4
	s_cbranch_execz .LBB55_171
; %bb.164:
	ds_read_b128 v[1:4], v118
	s_andn2_b32 vcc_lo, exec_lo, s64
	s_cbranch_vccnz .LBB55_166
; %bb.165:
	s_clause 0x3
	buffer_load_dword v119, v117, s[0:3], 0 offen offset:8
	buffer_load_dword v120, v117, s[0:3], 0 offen offset:12
	buffer_load_dword v121, v117, s[0:3], 0 offen
	buffer_load_dword v122, v117, s[0:3], 0 offen offset:4
	s_waitcnt vmcnt(2) lgkmcnt(0)
	v_mul_f64 v[124:125], v[3:4], v[119:120]
	v_mul_f64 v[119:120], v[1:2], v[119:120]
	s_waitcnt vmcnt(0)
	v_fma_f64 v[1:2], v[1:2], v[121:122], -v[124:125]
	v_fma_f64 v[3:4], v[3:4], v[121:122], v[119:120]
.LBB55_166:
	s_and_saveexec_b32 s8, s5
	s_cbranch_execz .LBB55_170
; %bb.167:
	v_subrev_nc_u32_e32 v119, 35, v0
	s_movk_i32 s65, 0x5b0
	s_mov_b32 s5, 0
	s_mov_b32 s66, s28
	.p2align	6
.LBB55_168:                             ; =>This Inner Loop Header: Depth=1
	v_mov_b32_e32 v122, s66
	v_add_nc_u32_e32 v119, -1, v119
	s_add_i32 s66, s66, 16
	s_clause 0x3
	buffer_load_dword v120, v122, s[0:3], 0 offen offset:8
	buffer_load_dword v121, v122, s[0:3], 0 offen offset:12
	buffer_load_dword v128, v122, s[0:3], 0 offen
	buffer_load_dword v129, v122, s[0:3], 0 offen offset:4
	v_mov_b32_e32 v122, s65
	v_cmp_eq_u32_e32 vcc_lo, 0, v119
	s_add_i32 s65, s65, 16
	ds_read_b128 v[124:127], v122
	s_or_b32 s5, vcc_lo, s5
	s_waitcnt vmcnt(2) lgkmcnt(0)
	v_mul_f64 v[130:131], v[126:127], v[120:121]
	v_mul_f64 v[120:121], v[124:125], v[120:121]
	s_waitcnt vmcnt(0)
	v_fma_f64 v[124:125], v[124:125], v[128:129], -v[130:131]
	v_fma_f64 v[120:121], v[126:127], v[128:129], v[120:121]
	v_add_f64 v[1:2], v[1:2], v[124:125]
	v_add_f64 v[3:4], v[3:4], v[120:121]
	s_andn2_b32 exec_lo, exec_lo, s5
	s_cbranch_execnz .LBB55_168
; %bb.169:
	s_or_b32 exec_lo, exec_lo, s5
.LBB55_170:
	s_or_b32 exec_lo, exec_lo, s8
	v_mov_b32_e32 v119, 0
	ds_read_b128 v[119:122], v119 offset:544
	s_waitcnt lgkmcnt(0)
	v_mul_f64 v[124:125], v[3:4], v[121:122]
	v_mul_f64 v[121:122], v[1:2], v[121:122]
	v_fma_f64 v[1:2], v[1:2], v[119:120], -v[124:125]
	v_fma_f64 v[3:4], v[3:4], v[119:120], v[121:122]
	buffer_store_dword v2, off, s[0:3], 0 offset:548
	buffer_store_dword v1, off, s[0:3], 0 offset:544
	;; [unrolled: 1-line block ×4, first 2 shown]
.LBB55_171:
	s_or_b32 exec_lo, exec_lo, s6
	v_mov_b32_e32 v4, s30
	v_cmp_lt_u32_e64 s5, 33, v0
	s_clause 0x3
	buffer_load_dword v1, v4, s[0:3], 0 offen
	buffer_load_dword v2, v4, s[0:3], 0 offen offset:4
	buffer_load_dword v3, v4, s[0:3], 0 offen offset:8
	buffer_load_dword v4, v4, s[0:3], 0 offen offset:12
	s_waitcnt vmcnt(0)
	ds_write_b128 v118, v[1:4]
	s_waitcnt lgkmcnt(0)
	s_waitcnt_vscnt null, 0x0
	s_barrier
	buffer_gl0_inv
	s_and_saveexec_b32 s6, s5
	s_cbranch_execz .LBB55_179
; %bb.172:
	ds_read_b128 v[1:4], v118
	s_andn2_b32 vcc_lo, exec_lo, s64
	s_cbranch_vccnz .LBB55_174
; %bb.173:
	s_clause 0x3
	buffer_load_dword v119, v117, s[0:3], 0 offen offset:8
	buffer_load_dword v120, v117, s[0:3], 0 offen offset:12
	buffer_load_dword v121, v117, s[0:3], 0 offen
	buffer_load_dword v122, v117, s[0:3], 0 offen offset:4
	s_waitcnt vmcnt(2) lgkmcnt(0)
	v_mul_f64 v[124:125], v[3:4], v[119:120]
	v_mul_f64 v[119:120], v[1:2], v[119:120]
	s_waitcnt vmcnt(0)
	v_fma_f64 v[1:2], v[1:2], v[121:122], -v[124:125]
	v_fma_f64 v[3:4], v[3:4], v[121:122], v[119:120]
.LBB55_174:
	s_and_saveexec_b32 s8, s4
	s_cbranch_execz .LBB55_178
; %bb.175:
	v_subrev_nc_u32_e32 v119, 34, v0
	s_movk_i32 s65, 0x5a0
	s_mov_b32 s4, 0
	s_mov_b32 s66, s29
	.p2align	6
.LBB55_176:                             ; =>This Inner Loop Header: Depth=1
	v_mov_b32_e32 v122, s66
	v_add_nc_u32_e32 v119, -1, v119
	s_add_i32 s66, s66, 16
	s_clause 0x3
	buffer_load_dword v120, v122, s[0:3], 0 offen offset:8
	buffer_load_dword v121, v122, s[0:3], 0 offen offset:12
	buffer_load_dword v128, v122, s[0:3], 0 offen
	buffer_load_dword v129, v122, s[0:3], 0 offen offset:4
	v_mov_b32_e32 v122, s65
	v_cmp_eq_u32_e32 vcc_lo, 0, v119
	s_add_i32 s65, s65, 16
	ds_read_b128 v[124:127], v122
	s_or_b32 s4, vcc_lo, s4
	s_waitcnt vmcnt(2) lgkmcnt(0)
	v_mul_f64 v[130:131], v[126:127], v[120:121]
	v_mul_f64 v[120:121], v[124:125], v[120:121]
	s_waitcnt vmcnt(0)
	v_fma_f64 v[124:125], v[124:125], v[128:129], -v[130:131]
	v_fma_f64 v[120:121], v[126:127], v[128:129], v[120:121]
	v_add_f64 v[1:2], v[1:2], v[124:125]
	v_add_f64 v[3:4], v[3:4], v[120:121]
	s_andn2_b32 exec_lo, exec_lo, s4
	s_cbranch_execnz .LBB55_176
; %bb.177:
	s_or_b32 exec_lo, exec_lo, s4
.LBB55_178:
	s_or_b32 exec_lo, exec_lo, s8
	v_mov_b32_e32 v119, 0
	ds_read_b128 v[119:122], v119 offset:528
	s_waitcnt lgkmcnt(0)
	v_mul_f64 v[124:125], v[3:4], v[121:122]
	v_mul_f64 v[121:122], v[1:2], v[121:122]
	v_fma_f64 v[1:2], v[1:2], v[119:120], -v[124:125]
	v_fma_f64 v[3:4], v[3:4], v[119:120], v[121:122]
	buffer_store_dword v2, off, s[0:3], 0 offset:532
	buffer_store_dword v1, off, s[0:3], 0 offset:528
	buffer_store_dword v4, off, s[0:3], 0 offset:540
	buffer_store_dword v3, off, s[0:3], 0 offset:536
.LBB55_179:
	s_or_b32 exec_lo, exec_lo, s6
	v_mov_b32_e32 v4, s31
	v_cmp_lt_u32_e64 s4, 32, v0
	s_clause 0x3
	buffer_load_dword v1, v4, s[0:3], 0 offen
	buffer_load_dword v2, v4, s[0:3], 0 offen offset:4
	buffer_load_dword v3, v4, s[0:3], 0 offen offset:8
	buffer_load_dword v4, v4, s[0:3], 0 offen offset:12
	s_waitcnt vmcnt(0)
	ds_write_b128 v118, v[1:4]
	s_waitcnt lgkmcnt(0)
	s_waitcnt_vscnt null, 0x0
	s_barrier
	buffer_gl0_inv
	s_and_saveexec_b32 s6, s4
	s_cbranch_execz .LBB55_187
; %bb.180:
	ds_read_b128 v[1:4], v118
	s_andn2_b32 vcc_lo, exec_lo, s64
	s_cbranch_vccnz .LBB55_182
; %bb.181:
	s_clause 0x3
	buffer_load_dword v119, v117, s[0:3], 0 offen offset:8
	buffer_load_dword v120, v117, s[0:3], 0 offen offset:12
	buffer_load_dword v121, v117, s[0:3], 0 offen
	buffer_load_dword v122, v117, s[0:3], 0 offen offset:4
	s_waitcnt vmcnt(2) lgkmcnt(0)
	v_mul_f64 v[124:125], v[3:4], v[119:120]
	v_mul_f64 v[119:120], v[1:2], v[119:120]
	s_waitcnt vmcnt(0)
	v_fma_f64 v[1:2], v[1:2], v[121:122], -v[124:125]
	v_fma_f64 v[3:4], v[3:4], v[121:122], v[119:120]
.LBB55_182:
	s_and_saveexec_b32 s8, s5
	s_cbranch_execz .LBB55_186
; %bb.183:
	v_subrev_nc_u32_e32 v119, 33, v0
	s_movk_i32 s65, 0x590
	s_mov_b32 s5, 0
	s_mov_b32 s66, s30
	.p2align	6
.LBB55_184:                             ; =>This Inner Loop Header: Depth=1
	v_mov_b32_e32 v122, s66
	v_add_nc_u32_e32 v119, -1, v119
	s_add_i32 s66, s66, 16
	s_clause 0x3
	buffer_load_dword v120, v122, s[0:3], 0 offen offset:8
	buffer_load_dword v121, v122, s[0:3], 0 offen offset:12
	buffer_load_dword v128, v122, s[0:3], 0 offen
	buffer_load_dword v129, v122, s[0:3], 0 offen offset:4
	v_mov_b32_e32 v122, s65
	v_cmp_eq_u32_e32 vcc_lo, 0, v119
	s_add_i32 s65, s65, 16
	ds_read_b128 v[124:127], v122
	s_or_b32 s5, vcc_lo, s5
	s_waitcnt vmcnt(2) lgkmcnt(0)
	v_mul_f64 v[130:131], v[126:127], v[120:121]
	v_mul_f64 v[120:121], v[124:125], v[120:121]
	s_waitcnt vmcnt(0)
	v_fma_f64 v[124:125], v[124:125], v[128:129], -v[130:131]
	v_fma_f64 v[120:121], v[126:127], v[128:129], v[120:121]
	v_add_f64 v[1:2], v[1:2], v[124:125]
	v_add_f64 v[3:4], v[3:4], v[120:121]
	s_andn2_b32 exec_lo, exec_lo, s5
	s_cbranch_execnz .LBB55_184
; %bb.185:
	s_or_b32 exec_lo, exec_lo, s5
.LBB55_186:
	s_or_b32 exec_lo, exec_lo, s8
	v_mov_b32_e32 v119, 0
	ds_read_b128 v[119:122], v119 offset:512
	s_waitcnt lgkmcnt(0)
	v_mul_f64 v[124:125], v[3:4], v[121:122]
	v_mul_f64 v[121:122], v[1:2], v[121:122]
	v_fma_f64 v[1:2], v[1:2], v[119:120], -v[124:125]
	v_fma_f64 v[3:4], v[3:4], v[119:120], v[121:122]
	buffer_store_dword v2, off, s[0:3], 0 offset:516
	buffer_store_dword v1, off, s[0:3], 0 offset:512
	;; [unrolled: 1-line block ×4, first 2 shown]
.LBB55_187:
	s_or_b32 exec_lo, exec_lo, s6
	v_mov_b32_e32 v4, s33
	v_cmp_lt_u32_e64 s5, 31, v0
	s_clause 0x3
	buffer_load_dword v1, v4, s[0:3], 0 offen
	buffer_load_dword v2, v4, s[0:3], 0 offen offset:4
	buffer_load_dword v3, v4, s[0:3], 0 offen offset:8
	;; [unrolled: 1-line block ×3, first 2 shown]
	s_waitcnt vmcnt(0)
	ds_write_b128 v118, v[1:4]
	s_waitcnt lgkmcnt(0)
	s_waitcnt_vscnt null, 0x0
	s_barrier
	buffer_gl0_inv
	s_and_saveexec_b32 s6, s5
	s_cbranch_execz .LBB55_195
; %bb.188:
	ds_read_b128 v[1:4], v118
	s_andn2_b32 vcc_lo, exec_lo, s64
	s_cbranch_vccnz .LBB55_190
; %bb.189:
	s_clause 0x3
	buffer_load_dword v119, v117, s[0:3], 0 offen offset:8
	buffer_load_dword v120, v117, s[0:3], 0 offen offset:12
	buffer_load_dword v121, v117, s[0:3], 0 offen
	buffer_load_dword v122, v117, s[0:3], 0 offen offset:4
	s_waitcnt vmcnt(2) lgkmcnt(0)
	v_mul_f64 v[124:125], v[3:4], v[119:120]
	v_mul_f64 v[119:120], v[1:2], v[119:120]
	s_waitcnt vmcnt(0)
	v_fma_f64 v[1:2], v[1:2], v[121:122], -v[124:125]
	v_fma_f64 v[3:4], v[3:4], v[121:122], v[119:120]
.LBB55_190:
	s_and_saveexec_b32 s8, s4
	s_cbranch_execz .LBB55_194
; %bb.191:
	v_subrev_nc_u32_e32 v119, 32, v0
	s_movk_i32 s65, 0x580
	s_mov_b32 s4, 0
	s_mov_b32 s66, s31
	.p2align	6
.LBB55_192:                             ; =>This Inner Loop Header: Depth=1
	v_mov_b32_e32 v122, s66
	v_add_nc_u32_e32 v119, -1, v119
	s_add_i32 s66, s66, 16
	s_clause 0x3
	buffer_load_dword v120, v122, s[0:3], 0 offen offset:8
	buffer_load_dword v121, v122, s[0:3], 0 offen offset:12
	buffer_load_dword v128, v122, s[0:3], 0 offen
	buffer_load_dword v129, v122, s[0:3], 0 offen offset:4
	v_mov_b32_e32 v122, s65
	v_cmp_eq_u32_e32 vcc_lo, 0, v119
	s_add_i32 s65, s65, 16
	ds_read_b128 v[124:127], v122
	s_or_b32 s4, vcc_lo, s4
	s_waitcnt vmcnt(2) lgkmcnt(0)
	v_mul_f64 v[130:131], v[126:127], v[120:121]
	v_mul_f64 v[120:121], v[124:125], v[120:121]
	s_waitcnt vmcnt(0)
	v_fma_f64 v[124:125], v[124:125], v[128:129], -v[130:131]
	v_fma_f64 v[120:121], v[126:127], v[128:129], v[120:121]
	v_add_f64 v[1:2], v[1:2], v[124:125]
	v_add_f64 v[3:4], v[3:4], v[120:121]
	s_andn2_b32 exec_lo, exec_lo, s4
	s_cbranch_execnz .LBB55_192
; %bb.193:
	s_or_b32 exec_lo, exec_lo, s4
.LBB55_194:
	s_or_b32 exec_lo, exec_lo, s8
	v_mov_b32_e32 v119, 0
	ds_read_b128 v[119:122], v119 offset:496
	s_waitcnt lgkmcnt(0)
	v_mul_f64 v[124:125], v[3:4], v[121:122]
	v_mul_f64 v[121:122], v[1:2], v[121:122]
	v_fma_f64 v[1:2], v[1:2], v[119:120], -v[124:125]
	v_fma_f64 v[3:4], v[3:4], v[119:120], v[121:122]
	buffer_store_dword v2, off, s[0:3], 0 offset:500
	buffer_store_dword v1, off, s[0:3], 0 offset:496
	;; [unrolled: 1-line block ×4, first 2 shown]
.LBB55_195:
	s_or_b32 exec_lo, exec_lo, s6
	v_mov_b32_e32 v4, s34
	v_cmp_lt_u32_e64 s4, 30, v0
	s_clause 0x3
	buffer_load_dword v1, v4, s[0:3], 0 offen
	buffer_load_dword v2, v4, s[0:3], 0 offen offset:4
	buffer_load_dword v3, v4, s[0:3], 0 offen offset:8
	;; [unrolled: 1-line block ×3, first 2 shown]
	s_waitcnt vmcnt(0)
	ds_write_b128 v118, v[1:4]
	s_waitcnt lgkmcnt(0)
	s_waitcnt_vscnt null, 0x0
	s_barrier
	buffer_gl0_inv
	s_and_saveexec_b32 s6, s4
	s_cbranch_execz .LBB55_203
; %bb.196:
	ds_read_b128 v[1:4], v118
	s_andn2_b32 vcc_lo, exec_lo, s64
	s_cbranch_vccnz .LBB55_198
; %bb.197:
	s_clause 0x3
	buffer_load_dword v119, v117, s[0:3], 0 offen offset:8
	buffer_load_dword v120, v117, s[0:3], 0 offen offset:12
	buffer_load_dword v121, v117, s[0:3], 0 offen
	buffer_load_dword v122, v117, s[0:3], 0 offen offset:4
	s_waitcnt vmcnt(2) lgkmcnt(0)
	v_mul_f64 v[124:125], v[3:4], v[119:120]
	v_mul_f64 v[119:120], v[1:2], v[119:120]
	s_waitcnt vmcnt(0)
	v_fma_f64 v[1:2], v[1:2], v[121:122], -v[124:125]
	v_fma_f64 v[3:4], v[3:4], v[121:122], v[119:120]
.LBB55_198:
	s_and_saveexec_b32 s8, s5
	s_cbranch_execz .LBB55_202
; %bb.199:
	v_subrev_nc_u32_e32 v119, 31, v0
	s_movk_i32 s65, 0x570
	s_mov_b32 s5, 0
	s_mov_b32 s66, s33
	.p2align	6
.LBB55_200:                             ; =>This Inner Loop Header: Depth=1
	v_mov_b32_e32 v122, s66
	v_add_nc_u32_e32 v119, -1, v119
	s_add_i32 s66, s66, 16
	s_clause 0x3
	buffer_load_dword v120, v122, s[0:3], 0 offen offset:8
	buffer_load_dword v121, v122, s[0:3], 0 offen offset:12
	buffer_load_dword v128, v122, s[0:3], 0 offen
	buffer_load_dword v129, v122, s[0:3], 0 offen offset:4
	v_mov_b32_e32 v122, s65
	v_cmp_eq_u32_e32 vcc_lo, 0, v119
	s_add_i32 s65, s65, 16
	ds_read_b128 v[124:127], v122
	s_or_b32 s5, vcc_lo, s5
	s_waitcnt vmcnt(2) lgkmcnt(0)
	v_mul_f64 v[130:131], v[126:127], v[120:121]
	v_mul_f64 v[120:121], v[124:125], v[120:121]
	s_waitcnt vmcnt(0)
	v_fma_f64 v[124:125], v[124:125], v[128:129], -v[130:131]
	v_fma_f64 v[120:121], v[126:127], v[128:129], v[120:121]
	v_add_f64 v[1:2], v[1:2], v[124:125]
	v_add_f64 v[3:4], v[3:4], v[120:121]
	s_andn2_b32 exec_lo, exec_lo, s5
	s_cbranch_execnz .LBB55_200
; %bb.201:
	s_or_b32 exec_lo, exec_lo, s5
.LBB55_202:
	s_or_b32 exec_lo, exec_lo, s8
	v_mov_b32_e32 v119, 0
	ds_read_b128 v[119:122], v119 offset:480
	s_waitcnt lgkmcnt(0)
	v_mul_f64 v[124:125], v[3:4], v[121:122]
	v_mul_f64 v[121:122], v[1:2], v[121:122]
	v_fma_f64 v[1:2], v[1:2], v[119:120], -v[124:125]
	v_fma_f64 v[3:4], v[3:4], v[119:120], v[121:122]
	buffer_store_dword v2, off, s[0:3], 0 offset:484
	buffer_store_dword v1, off, s[0:3], 0 offset:480
	;; [unrolled: 1-line block ×4, first 2 shown]
.LBB55_203:
	s_or_b32 exec_lo, exec_lo, s6
	v_mov_b32_e32 v4, s35
	v_cmp_lt_u32_e64 s5, 29, v0
	s_clause 0x3
	buffer_load_dword v1, v4, s[0:3], 0 offen
	buffer_load_dword v2, v4, s[0:3], 0 offen offset:4
	buffer_load_dword v3, v4, s[0:3], 0 offen offset:8
	;; [unrolled: 1-line block ×3, first 2 shown]
	s_waitcnt vmcnt(0)
	ds_write_b128 v118, v[1:4]
	s_waitcnt lgkmcnt(0)
	s_waitcnt_vscnt null, 0x0
	s_barrier
	buffer_gl0_inv
	s_and_saveexec_b32 s6, s5
	s_cbranch_execz .LBB55_211
; %bb.204:
	ds_read_b128 v[1:4], v118
	s_andn2_b32 vcc_lo, exec_lo, s64
	s_cbranch_vccnz .LBB55_206
; %bb.205:
	s_clause 0x3
	buffer_load_dword v119, v117, s[0:3], 0 offen offset:8
	buffer_load_dword v120, v117, s[0:3], 0 offen offset:12
	buffer_load_dword v121, v117, s[0:3], 0 offen
	buffer_load_dword v122, v117, s[0:3], 0 offen offset:4
	s_waitcnt vmcnt(2) lgkmcnt(0)
	v_mul_f64 v[124:125], v[3:4], v[119:120]
	v_mul_f64 v[119:120], v[1:2], v[119:120]
	s_waitcnt vmcnt(0)
	v_fma_f64 v[1:2], v[1:2], v[121:122], -v[124:125]
	v_fma_f64 v[3:4], v[3:4], v[121:122], v[119:120]
.LBB55_206:
	s_and_saveexec_b32 s8, s4
	s_cbranch_execz .LBB55_210
; %bb.207:
	v_subrev_nc_u32_e32 v119, 30, v0
	s_movk_i32 s65, 0x560
	s_mov_b32 s4, 0
	s_mov_b32 s66, s34
	.p2align	6
.LBB55_208:                             ; =>This Inner Loop Header: Depth=1
	v_mov_b32_e32 v122, s66
	v_add_nc_u32_e32 v119, -1, v119
	s_add_i32 s66, s66, 16
	s_clause 0x3
	buffer_load_dword v120, v122, s[0:3], 0 offen offset:8
	buffer_load_dword v121, v122, s[0:3], 0 offen offset:12
	buffer_load_dword v128, v122, s[0:3], 0 offen
	buffer_load_dword v129, v122, s[0:3], 0 offen offset:4
	v_mov_b32_e32 v122, s65
	v_cmp_eq_u32_e32 vcc_lo, 0, v119
	s_add_i32 s65, s65, 16
	ds_read_b128 v[124:127], v122
	s_or_b32 s4, vcc_lo, s4
	s_waitcnt vmcnt(2) lgkmcnt(0)
	v_mul_f64 v[130:131], v[126:127], v[120:121]
	v_mul_f64 v[120:121], v[124:125], v[120:121]
	s_waitcnt vmcnt(0)
	v_fma_f64 v[124:125], v[124:125], v[128:129], -v[130:131]
	v_fma_f64 v[120:121], v[126:127], v[128:129], v[120:121]
	v_add_f64 v[1:2], v[1:2], v[124:125]
	v_add_f64 v[3:4], v[3:4], v[120:121]
	s_andn2_b32 exec_lo, exec_lo, s4
	s_cbranch_execnz .LBB55_208
; %bb.209:
	s_or_b32 exec_lo, exec_lo, s4
.LBB55_210:
	s_or_b32 exec_lo, exec_lo, s8
	v_mov_b32_e32 v119, 0
	ds_read_b128 v[119:122], v119 offset:464
	s_waitcnt lgkmcnt(0)
	v_mul_f64 v[124:125], v[3:4], v[121:122]
	v_mul_f64 v[121:122], v[1:2], v[121:122]
	v_fma_f64 v[1:2], v[1:2], v[119:120], -v[124:125]
	v_fma_f64 v[3:4], v[3:4], v[119:120], v[121:122]
	buffer_store_dword v2, off, s[0:3], 0 offset:468
	buffer_store_dword v1, off, s[0:3], 0 offset:464
	;; [unrolled: 1-line block ×4, first 2 shown]
.LBB55_211:
	s_or_b32 exec_lo, exec_lo, s6
	v_mov_b32_e32 v4, s36
	v_cmp_lt_u32_e64 s4, 28, v0
	s_clause 0x3
	buffer_load_dword v1, v4, s[0:3], 0 offen
	buffer_load_dword v2, v4, s[0:3], 0 offen offset:4
	buffer_load_dword v3, v4, s[0:3], 0 offen offset:8
	;; [unrolled: 1-line block ×3, first 2 shown]
	s_waitcnt vmcnt(0)
	ds_write_b128 v118, v[1:4]
	s_waitcnt lgkmcnt(0)
	s_waitcnt_vscnt null, 0x0
	s_barrier
	buffer_gl0_inv
	s_and_saveexec_b32 s6, s4
	s_cbranch_execz .LBB55_219
; %bb.212:
	ds_read_b128 v[1:4], v118
	s_andn2_b32 vcc_lo, exec_lo, s64
	s_cbranch_vccnz .LBB55_214
; %bb.213:
	s_clause 0x3
	buffer_load_dword v119, v117, s[0:3], 0 offen offset:8
	buffer_load_dword v120, v117, s[0:3], 0 offen offset:12
	buffer_load_dword v121, v117, s[0:3], 0 offen
	buffer_load_dword v122, v117, s[0:3], 0 offen offset:4
	s_waitcnt vmcnt(2) lgkmcnt(0)
	v_mul_f64 v[124:125], v[3:4], v[119:120]
	v_mul_f64 v[119:120], v[1:2], v[119:120]
	s_waitcnt vmcnt(0)
	v_fma_f64 v[1:2], v[1:2], v[121:122], -v[124:125]
	v_fma_f64 v[3:4], v[3:4], v[121:122], v[119:120]
.LBB55_214:
	s_and_saveexec_b32 s8, s5
	s_cbranch_execz .LBB55_218
; %bb.215:
	v_subrev_nc_u32_e32 v119, 29, v0
	s_movk_i32 s65, 0x550
	s_mov_b32 s5, 0
	s_mov_b32 s66, s35
	.p2align	6
.LBB55_216:                             ; =>This Inner Loop Header: Depth=1
	v_mov_b32_e32 v122, s66
	v_add_nc_u32_e32 v119, -1, v119
	s_add_i32 s66, s66, 16
	s_clause 0x3
	buffer_load_dword v120, v122, s[0:3], 0 offen offset:8
	buffer_load_dword v121, v122, s[0:3], 0 offen offset:12
	buffer_load_dword v128, v122, s[0:3], 0 offen
	buffer_load_dword v129, v122, s[0:3], 0 offen offset:4
	v_mov_b32_e32 v122, s65
	v_cmp_eq_u32_e32 vcc_lo, 0, v119
	s_add_i32 s65, s65, 16
	ds_read_b128 v[124:127], v122
	s_or_b32 s5, vcc_lo, s5
	s_waitcnt vmcnt(2) lgkmcnt(0)
	v_mul_f64 v[130:131], v[126:127], v[120:121]
	v_mul_f64 v[120:121], v[124:125], v[120:121]
	s_waitcnt vmcnt(0)
	v_fma_f64 v[124:125], v[124:125], v[128:129], -v[130:131]
	v_fma_f64 v[120:121], v[126:127], v[128:129], v[120:121]
	v_add_f64 v[1:2], v[1:2], v[124:125]
	v_add_f64 v[3:4], v[3:4], v[120:121]
	s_andn2_b32 exec_lo, exec_lo, s5
	s_cbranch_execnz .LBB55_216
; %bb.217:
	s_or_b32 exec_lo, exec_lo, s5
.LBB55_218:
	s_or_b32 exec_lo, exec_lo, s8
	v_mov_b32_e32 v119, 0
	ds_read_b128 v[119:122], v119 offset:448
	s_waitcnt lgkmcnt(0)
	v_mul_f64 v[124:125], v[3:4], v[121:122]
	v_mul_f64 v[121:122], v[1:2], v[121:122]
	v_fma_f64 v[1:2], v[1:2], v[119:120], -v[124:125]
	v_fma_f64 v[3:4], v[3:4], v[119:120], v[121:122]
	buffer_store_dword v2, off, s[0:3], 0 offset:452
	buffer_store_dword v1, off, s[0:3], 0 offset:448
	;; [unrolled: 1-line block ×4, first 2 shown]
.LBB55_219:
	s_or_b32 exec_lo, exec_lo, s6
	v_mov_b32_e32 v4, s37
	v_cmp_lt_u32_e64 s5, 27, v0
	s_clause 0x3
	buffer_load_dword v1, v4, s[0:3], 0 offen
	buffer_load_dword v2, v4, s[0:3], 0 offen offset:4
	buffer_load_dword v3, v4, s[0:3], 0 offen offset:8
	;; [unrolled: 1-line block ×3, first 2 shown]
	s_waitcnt vmcnt(0)
	ds_write_b128 v118, v[1:4]
	s_waitcnt lgkmcnt(0)
	s_waitcnt_vscnt null, 0x0
	s_barrier
	buffer_gl0_inv
	s_and_saveexec_b32 s6, s5
	s_cbranch_execz .LBB55_227
; %bb.220:
	ds_read_b128 v[1:4], v118
	s_andn2_b32 vcc_lo, exec_lo, s64
	s_cbranch_vccnz .LBB55_222
; %bb.221:
	s_clause 0x3
	buffer_load_dword v119, v117, s[0:3], 0 offen offset:8
	buffer_load_dword v120, v117, s[0:3], 0 offen offset:12
	buffer_load_dword v121, v117, s[0:3], 0 offen
	buffer_load_dword v122, v117, s[0:3], 0 offen offset:4
	s_waitcnt vmcnt(2) lgkmcnt(0)
	v_mul_f64 v[124:125], v[3:4], v[119:120]
	v_mul_f64 v[119:120], v[1:2], v[119:120]
	s_waitcnt vmcnt(0)
	v_fma_f64 v[1:2], v[1:2], v[121:122], -v[124:125]
	v_fma_f64 v[3:4], v[3:4], v[121:122], v[119:120]
.LBB55_222:
	s_and_saveexec_b32 s8, s4
	s_cbranch_execz .LBB55_226
; %bb.223:
	v_subrev_nc_u32_e32 v119, 28, v0
	s_movk_i32 s65, 0x540
	s_mov_b32 s4, 0
	s_mov_b32 s66, s36
	.p2align	6
.LBB55_224:                             ; =>This Inner Loop Header: Depth=1
	v_mov_b32_e32 v122, s66
	v_add_nc_u32_e32 v119, -1, v119
	s_add_i32 s66, s66, 16
	s_clause 0x3
	buffer_load_dword v120, v122, s[0:3], 0 offen offset:8
	buffer_load_dword v121, v122, s[0:3], 0 offen offset:12
	buffer_load_dword v128, v122, s[0:3], 0 offen
	buffer_load_dword v129, v122, s[0:3], 0 offen offset:4
	v_mov_b32_e32 v122, s65
	v_cmp_eq_u32_e32 vcc_lo, 0, v119
	s_add_i32 s65, s65, 16
	ds_read_b128 v[124:127], v122
	s_or_b32 s4, vcc_lo, s4
	s_waitcnt vmcnt(2) lgkmcnt(0)
	v_mul_f64 v[130:131], v[126:127], v[120:121]
	v_mul_f64 v[120:121], v[124:125], v[120:121]
	s_waitcnt vmcnt(0)
	v_fma_f64 v[124:125], v[124:125], v[128:129], -v[130:131]
	v_fma_f64 v[120:121], v[126:127], v[128:129], v[120:121]
	v_add_f64 v[1:2], v[1:2], v[124:125]
	v_add_f64 v[3:4], v[3:4], v[120:121]
	s_andn2_b32 exec_lo, exec_lo, s4
	s_cbranch_execnz .LBB55_224
; %bb.225:
	s_or_b32 exec_lo, exec_lo, s4
.LBB55_226:
	s_or_b32 exec_lo, exec_lo, s8
	v_mov_b32_e32 v119, 0
	ds_read_b128 v[119:122], v119 offset:432
	s_waitcnt lgkmcnt(0)
	v_mul_f64 v[124:125], v[3:4], v[121:122]
	v_mul_f64 v[121:122], v[1:2], v[121:122]
	v_fma_f64 v[1:2], v[1:2], v[119:120], -v[124:125]
	v_fma_f64 v[3:4], v[3:4], v[119:120], v[121:122]
	buffer_store_dword v2, off, s[0:3], 0 offset:436
	buffer_store_dword v1, off, s[0:3], 0 offset:432
	;; [unrolled: 1-line block ×4, first 2 shown]
.LBB55_227:
	s_or_b32 exec_lo, exec_lo, s6
	v_mov_b32_e32 v4, s38
	v_cmp_lt_u32_e64 s4, 26, v0
	s_clause 0x3
	buffer_load_dword v1, v4, s[0:3], 0 offen
	buffer_load_dword v2, v4, s[0:3], 0 offen offset:4
	buffer_load_dword v3, v4, s[0:3], 0 offen offset:8
	;; [unrolled: 1-line block ×3, first 2 shown]
	s_waitcnt vmcnt(0)
	ds_write_b128 v118, v[1:4]
	s_waitcnt lgkmcnt(0)
	s_waitcnt_vscnt null, 0x0
	s_barrier
	buffer_gl0_inv
	s_and_saveexec_b32 s6, s4
	s_cbranch_execz .LBB55_235
; %bb.228:
	ds_read_b128 v[1:4], v118
	s_andn2_b32 vcc_lo, exec_lo, s64
	s_cbranch_vccnz .LBB55_230
; %bb.229:
	s_clause 0x3
	buffer_load_dword v119, v117, s[0:3], 0 offen offset:8
	buffer_load_dword v120, v117, s[0:3], 0 offen offset:12
	buffer_load_dword v121, v117, s[0:3], 0 offen
	buffer_load_dword v122, v117, s[0:3], 0 offen offset:4
	s_waitcnt vmcnt(2) lgkmcnt(0)
	v_mul_f64 v[124:125], v[3:4], v[119:120]
	v_mul_f64 v[119:120], v[1:2], v[119:120]
	s_waitcnt vmcnt(0)
	v_fma_f64 v[1:2], v[1:2], v[121:122], -v[124:125]
	v_fma_f64 v[3:4], v[3:4], v[121:122], v[119:120]
.LBB55_230:
	s_and_saveexec_b32 s8, s5
	s_cbranch_execz .LBB55_234
; %bb.231:
	v_subrev_nc_u32_e32 v119, 27, v0
	s_movk_i32 s65, 0x530
	s_mov_b32 s5, 0
	s_mov_b32 s66, s37
	.p2align	6
.LBB55_232:                             ; =>This Inner Loop Header: Depth=1
	v_mov_b32_e32 v122, s66
	v_add_nc_u32_e32 v119, -1, v119
	s_add_i32 s66, s66, 16
	s_clause 0x3
	buffer_load_dword v120, v122, s[0:3], 0 offen offset:8
	buffer_load_dword v121, v122, s[0:3], 0 offen offset:12
	buffer_load_dword v128, v122, s[0:3], 0 offen
	buffer_load_dword v129, v122, s[0:3], 0 offen offset:4
	v_mov_b32_e32 v122, s65
	v_cmp_eq_u32_e32 vcc_lo, 0, v119
	s_add_i32 s65, s65, 16
	ds_read_b128 v[124:127], v122
	s_or_b32 s5, vcc_lo, s5
	s_waitcnt vmcnt(2) lgkmcnt(0)
	v_mul_f64 v[130:131], v[126:127], v[120:121]
	v_mul_f64 v[120:121], v[124:125], v[120:121]
	s_waitcnt vmcnt(0)
	v_fma_f64 v[124:125], v[124:125], v[128:129], -v[130:131]
	v_fma_f64 v[120:121], v[126:127], v[128:129], v[120:121]
	v_add_f64 v[1:2], v[1:2], v[124:125]
	v_add_f64 v[3:4], v[3:4], v[120:121]
	s_andn2_b32 exec_lo, exec_lo, s5
	s_cbranch_execnz .LBB55_232
; %bb.233:
	s_or_b32 exec_lo, exec_lo, s5
.LBB55_234:
	s_or_b32 exec_lo, exec_lo, s8
	v_mov_b32_e32 v119, 0
	ds_read_b128 v[119:122], v119 offset:416
	s_waitcnt lgkmcnt(0)
	v_mul_f64 v[124:125], v[3:4], v[121:122]
	v_mul_f64 v[121:122], v[1:2], v[121:122]
	v_fma_f64 v[1:2], v[1:2], v[119:120], -v[124:125]
	v_fma_f64 v[3:4], v[3:4], v[119:120], v[121:122]
	buffer_store_dword v2, off, s[0:3], 0 offset:420
	buffer_store_dword v1, off, s[0:3], 0 offset:416
	;; [unrolled: 1-line block ×4, first 2 shown]
.LBB55_235:
	s_or_b32 exec_lo, exec_lo, s6
	v_mov_b32_e32 v4, s39
	v_cmp_lt_u32_e64 s5, 25, v0
	s_clause 0x3
	buffer_load_dword v1, v4, s[0:3], 0 offen
	buffer_load_dword v2, v4, s[0:3], 0 offen offset:4
	buffer_load_dword v3, v4, s[0:3], 0 offen offset:8
	;; [unrolled: 1-line block ×3, first 2 shown]
	s_waitcnt vmcnt(0)
	ds_write_b128 v118, v[1:4]
	s_waitcnt lgkmcnt(0)
	s_waitcnt_vscnt null, 0x0
	s_barrier
	buffer_gl0_inv
	s_and_saveexec_b32 s6, s5
	s_cbranch_execz .LBB55_243
; %bb.236:
	ds_read_b128 v[1:4], v118
	s_andn2_b32 vcc_lo, exec_lo, s64
	s_cbranch_vccnz .LBB55_238
; %bb.237:
	s_clause 0x3
	buffer_load_dword v119, v117, s[0:3], 0 offen offset:8
	buffer_load_dword v120, v117, s[0:3], 0 offen offset:12
	buffer_load_dword v121, v117, s[0:3], 0 offen
	buffer_load_dword v122, v117, s[0:3], 0 offen offset:4
	s_waitcnt vmcnt(2) lgkmcnt(0)
	v_mul_f64 v[124:125], v[3:4], v[119:120]
	v_mul_f64 v[119:120], v[1:2], v[119:120]
	s_waitcnt vmcnt(0)
	v_fma_f64 v[1:2], v[1:2], v[121:122], -v[124:125]
	v_fma_f64 v[3:4], v[3:4], v[121:122], v[119:120]
.LBB55_238:
	s_and_saveexec_b32 s8, s4
	s_cbranch_execz .LBB55_242
; %bb.239:
	v_subrev_nc_u32_e32 v119, 26, v0
	s_movk_i32 s65, 0x520
	s_mov_b32 s4, 0
	s_mov_b32 s66, s38
	.p2align	6
.LBB55_240:                             ; =>This Inner Loop Header: Depth=1
	v_mov_b32_e32 v122, s66
	v_add_nc_u32_e32 v119, -1, v119
	s_add_i32 s66, s66, 16
	s_clause 0x3
	buffer_load_dword v120, v122, s[0:3], 0 offen offset:8
	buffer_load_dword v121, v122, s[0:3], 0 offen offset:12
	buffer_load_dword v128, v122, s[0:3], 0 offen
	buffer_load_dword v129, v122, s[0:3], 0 offen offset:4
	v_mov_b32_e32 v122, s65
	v_cmp_eq_u32_e32 vcc_lo, 0, v119
	s_add_i32 s65, s65, 16
	ds_read_b128 v[124:127], v122
	s_or_b32 s4, vcc_lo, s4
	s_waitcnt vmcnt(2) lgkmcnt(0)
	v_mul_f64 v[130:131], v[126:127], v[120:121]
	v_mul_f64 v[120:121], v[124:125], v[120:121]
	s_waitcnt vmcnt(0)
	v_fma_f64 v[124:125], v[124:125], v[128:129], -v[130:131]
	v_fma_f64 v[120:121], v[126:127], v[128:129], v[120:121]
	v_add_f64 v[1:2], v[1:2], v[124:125]
	v_add_f64 v[3:4], v[3:4], v[120:121]
	s_andn2_b32 exec_lo, exec_lo, s4
	s_cbranch_execnz .LBB55_240
; %bb.241:
	s_or_b32 exec_lo, exec_lo, s4
.LBB55_242:
	s_or_b32 exec_lo, exec_lo, s8
	v_mov_b32_e32 v119, 0
	ds_read_b128 v[119:122], v119 offset:400
	s_waitcnt lgkmcnt(0)
	v_mul_f64 v[124:125], v[3:4], v[121:122]
	v_mul_f64 v[121:122], v[1:2], v[121:122]
	v_fma_f64 v[1:2], v[1:2], v[119:120], -v[124:125]
	v_fma_f64 v[3:4], v[3:4], v[119:120], v[121:122]
	buffer_store_dword v2, off, s[0:3], 0 offset:404
	buffer_store_dword v1, off, s[0:3], 0 offset:400
	;; [unrolled: 1-line block ×4, first 2 shown]
.LBB55_243:
	s_or_b32 exec_lo, exec_lo, s6
	v_mov_b32_e32 v4, s40
	v_cmp_lt_u32_e64 s4, 24, v0
	s_clause 0x3
	buffer_load_dword v1, v4, s[0:3], 0 offen
	buffer_load_dword v2, v4, s[0:3], 0 offen offset:4
	buffer_load_dword v3, v4, s[0:3], 0 offen offset:8
	;; [unrolled: 1-line block ×3, first 2 shown]
	s_waitcnt vmcnt(0)
	ds_write_b128 v118, v[1:4]
	s_waitcnt lgkmcnt(0)
	s_waitcnt_vscnt null, 0x0
	s_barrier
	buffer_gl0_inv
	s_and_saveexec_b32 s6, s4
	s_cbranch_execz .LBB55_251
; %bb.244:
	ds_read_b128 v[1:4], v118
	s_andn2_b32 vcc_lo, exec_lo, s64
	s_cbranch_vccnz .LBB55_246
; %bb.245:
	s_clause 0x3
	buffer_load_dword v119, v117, s[0:3], 0 offen offset:8
	buffer_load_dword v120, v117, s[0:3], 0 offen offset:12
	buffer_load_dword v121, v117, s[0:3], 0 offen
	buffer_load_dword v122, v117, s[0:3], 0 offen offset:4
	s_waitcnt vmcnt(2) lgkmcnt(0)
	v_mul_f64 v[124:125], v[3:4], v[119:120]
	v_mul_f64 v[119:120], v[1:2], v[119:120]
	s_waitcnt vmcnt(0)
	v_fma_f64 v[1:2], v[1:2], v[121:122], -v[124:125]
	v_fma_f64 v[3:4], v[3:4], v[121:122], v[119:120]
.LBB55_246:
	s_and_saveexec_b32 s8, s5
	s_cbranch_execz .LBB55_250
; %bb.247:
	v_subrev_nc_u32_e32 v119, 25, v0
	s_movk_i32 s65, 0x510
	s_mov_b32 s5, 0
	s_mov_b32 s66, s39
	.p2align	6
.LBB55_248:                             ; =>This Inner Loop Header: Depth=1
	v_mov_b32_e32 v122, s66
	v_add_nc_u32_e32 v119, -1, v119
	s_add_i32 s66, s66, 16
	s_clause 0x3
	buffer_load_dword v120, v122, s[0:3], 0 offen offset:8
	buffer_load_dword v121, v122, s[0:3], 0 offen offset:12
	buffer_load_dword v128, v122, s[0:3], 0 offen
	buffer_load_dword v129, v122, s[0:3], 0 offen offset:4
	v_mov_b32_e32 v122, s65
	v_cmp_eq_u32_e32 vcc_lo, 0, v119
	s_add_i32 s65, s65, 16
	ds_read_b128 v[124:127], v122
	s_or_b32 s5, vcc_lo, s5
	s_waitcnt vmcnt(2) lgkmcnt(0)
	v_mul_f64 v[130:131], v[126:127], v[120:121]
	v_mul_f64 v[120:121], v[124:125], v[120:121]
	s_waitcnt vmcnt(0)
	v_fma_f64 v[124:125], v[124:125], v[128:129], -v[130:131]
	v_fma_f64 v[120:121], v[126:127], v[128:129], v[120:121]
	v_add_f64 v[1:2], v[1:2], v[124:125]
	v_add_f64 v[3:4], v[3:4], v[120:121]
	s_andn2_b32 exec_lo, exec_lo, s5
	s_cbranch_execnz .LBB55_248
; %bb.249:
	s_or_b32 exec_lo, exec_lo, s5
.LBB55_250:
	s_or_b32 exec_lo, exec_lo, s8
	v_mov_b32_e32 v119, 0
	ds_read_b128 v[119:122], v119 offset:384
	s_waitcnt lgkmcnt(0)
	v_mul_f64 v[124:125], v[3:4], v[121:122]
	v_mul_f64 v[121:122], v[1:2], v[121:122]
	v_fma_f64 v[1:2], v[1:2], v[119:120], -v[124:125]
	v_fma_f64 v[3:4], v[3:4], v[119:120], v[121:122]
	buffer_store_dword v2, off, s[0:3], 0 offset:388
	buffer_store_dword v1, off, s[0:3], 0 offset:384
	;; [unrolled: 1-line block ×4, first 2 shown]
.LBB55_251:
	s_or_b32 exec_lo, exec_lo, s6
	v_mov_b32_e32 v4, s41
	v_cmp_lt_u32_e64 s5, 23, v0
	s_clause 0x3
	buffer_load_dword v1, v4, s[0:3], 0 offen
	buffer_load_dword v2, v4, s[0:3], 0 offen offset:4
	buffer_load_dword v3, v4, s[0:3], 0 offen offset:8
	;; [unrolled: 1-line block ×3, first 2 shown]
	s_waitcnt vmcnt(0)
	ds_write_b128 v118, v[1:4]
	s_waitcnt lgkmcnt(0)
	s_waitcnt_vscnt null, 0x0
	s_barrier
	buffer_gl0_inv
	s_and_saveexec_b32 s6, s5
	s_cbranch_execz .LBB55_259
; %bb.252:
	ds_read_b128 v[1:4], v118
	s_andn2_b32 vcc_lo, exec_lo, s64
	s_cbranch_vccnz .LBB55_254
; %bb.253:
	s_clause 0x3
	buffer_load_dword v119, v117, s[0:3], 0 offen offset:8
	buffer_load_dword v120, v117, s[0:3], 0 offen offset:12
	buffer_load_dword v121, v117, s[0:3], 0 offen
	buffer_load_dword v122, v117, s[0:3], 0 offen offset:4
	s_waitcnt vmcnt(2) lgkmcnt(0)
	v_mul_f64 v[124:125], v[3:4], v[119:120]
	v_mul_f64 v[119:120], v[1:2], v[119:120]
	s_waitcnt vmcnt(0)
	v_fma_f64 v[1:2], v[1:2], v[121:122], -v[124:125]
	v_fma_f64 v[3:4], v[3:4], v[121:122], v[119:120]
.LBB55_254:
	s_and_saveexec_b32 s8, s4
	s_cbranch_execz .LBB55_258
; %bb.255:
	v_subrev_nc_u32_e32 v119, 24, v0
	s_movk_i32 s65, 0x500
	s_mov_b32 s4, 0
	s_mov_b32 s66, s40
	.p2align	6
.LBB55_256:                             ; =>This Inner Loop Header: Depth=1
	v_mov_b32_e32 v122, s66
	v_add_nc_u32_e32 v119, -1, v119
	s_add_i32 s66, s66, 16
	s_clause 0x3
	buffer_load_dword v120, v122, s[0:3], 0 offen offset:8
	buffer_load_dword v121, v122, s[0:3], 0 offen offset:12
	buffer_load_dword v128, v122, s[0:3], 0 offen
	buffer_load_dword v129, v122, s[0:3], 0 offen offset:4
	v_mov_b32_e32 v122, s65
	v_cmp_eq_u32_e32 vcc_lo, 0, v119
	s_add_i32 s65, s65, 16
	ds_read_b128 v[124:127], v122
	s_or_b32 s4, vcc_lo, s4
	s_waitcnt vmcnt(2) lgkmcnt(0)
	v_mul_f64 v[130:131], v[126:127], v[120:121]
	v_mul_f64 v[120:121], v[124:125], v[120:121]
	s_waitcnt vmcnt(0)
	v_fma_f64 v[124:125], v[124:125], v[128:129], -v[130:131]
	v_fma_f64 v[120:121], v[126:127], v[128:129], v[120:121]
	v_add_f64 v[1:2], v[1:2], v[124:125]
	v_add_f64 v[3:4], v[3:4], v[120:121]
	s_andn2_b32 exec_lo, exec_lo, s4
	s_cbranch_execnz .LBB55_256
; %bb.257:
	s_or_b32 exec_lo, exec_lo, s4
.LBB55_258:
	s_or_b32 exec_lo, exec_lo, s8
	v_mov_b32_e32 v119, 0
	ds_read_b128 v[119:122], v119 offset:368
	s_waitcnt lgkmcnt(0)
	v_mul_f64 v[124:125], v[3:4], v[121:122]
	v_mul_f64 v[121:122], v[1:2], v[121:122]
	v_fma_f64 v[1:2], v[1:2], v[119:120], -v[124:125]
	v_fma_f64 v[3:4], v[3:4], v[119:120], v[121:122]
	buffer_store_dword v2, off, s[0:3], 0 offset:372
	buffer_store_dword v1, off, s[0:3], 0 offset:368
	;; [unrolled: 1-line block ×4, first 2 shown]
.LBB55_259:
	s_or_b32 exec_lo, exec_lo, s6
	v_mov_b32_e32 v4, s42
	v_cmp_lt_u32_e64 s4, 22, v0
	s_clause 0x3
	buffer_load_dword v1, v4, s[0:3], 0 offen
	buffer_load_dword v2, v4, s[0:3], 0 offen offset:4
	buffer_load_dword v3, v4, s[0:3], 0 offen offset:8
	;; [unrolled: 1-line block ×3, first 2 shown]
	s_waitcnt vmcnt(0)
	ds_write_b128 v118, v[1:4]
	s_waitcnt lgkmcnt(0)
	s_waitcnt_vscnt null, 0x0
	s_barrier
	buffer_gl0_inv
	s_and_saveexec_b32 s6, s4
	s_cbranch_execz .LBB55_267
; %bb.260:
	ds_read_b128 v[1:4], v118
	s_andn2_b32 vcc_lo, exec_lo, s64
	s_cbranch_vccnz .LBB55_262
; %bb.261:
	s_clause 0x3
	buffer_load_dword v119, v117, s[0:3], 0 offen offset:8
	buffer_load_dword v120, v117, s[0:3], 0 offen offset:12
	buffer_load_dword v121, v117, s[0:3], 0 offen
	buffer_load_dword v122, v117, s[0:3], 0 offen offset:4
	s_waitcnt vmcnt(2) lgkmcnt(0)
	v_mul_f64 v[124:125], v[3:4], v[119:120]
	v_mul_f64 v[119:120], v[1:2], v[119:120]
	s_waitcnt vmcnt(0)
	v_fma_f64 v[1:2], v[1:2], v[121:122], -v[124:125]
	v_fma_f64 v[3:4], v[3:4], v[121:122], v[119:120]
.LBB55_262:
	s_and_saveexec_b32 s8, s5
	s_cbranch_execz .LBB55_266
; %bb.263:
	v_subrev_nc_u32_e32 v119, 23, v0
	s_movk_i32 s65, 0x4f0
	s_mov_b32 s5, 0
	s_mov_b32 s66, s41
	.p2align	6
.LBB55_264:                             ; =>This Inner Loop Header: Depth=1
	v_mov_b32_e32 v122, s66
	v_add_nc_u32_e32 v119, -1, v119
	s_add_i32 s66, s66, 16
	s_clause 0x3
	buffer_load_dword v120, v122, s[0:3], 0 offen offset:8
	buffer_load_dword v121, v122, s[0:3], 0 offen offset:12
	buffer_load_dword v128, v122, s[0:3], 0 offen
	buffer_load_dword v129, v122, s[0:3], 0 offen offset:4
	v_mov_b32_e32 v122, s65
	v_cmp_eq_u32_e32 vcc_lo, 0, v119
	s_add_i32 s65, s65, 16
	ds_read_b128 v[124:127], v122
	s_or_b32 s5, vcc_lo, s5
	s_waitcnt vmcnt(2) lgkmcnt(0)
	v_mul_f64 v[130:131], v[126:127], v[120:121]
	v_mul_f64 v[120:121], v[124:125], v[120:121]
	s_waitcnt vmcnt(0)
	v_fma_f64 v[124:125], v[124:125], v[128:129], -v[130:131]
	v_fma_f64 v[120:121], v[126:127], v[128:129], v[120:121]
	v_add_f64 v[1:2], v[1:2], v[124:125]
	v_add_f64 v[3:4], v[3:4], v[120:121]
	s_andn2_b32 exec_lo, exec_lo, s5
	s_cbranch_execnz .LBB55_264
; %bb.265:
	s_or_b32 exec_lo, exec_lo, s5
.LBB55_266:
	s_or_b32 exec_lo, exec_lo, s8
	v_mov_b32_e32 v119, 0
	ds_read_b128 v[119:122], v119 offset:352
	s_waitcnt lgkmcnt(0)
	v_mul_f64 v[124:125], v[3:4], v[121:122]
	v_mul_f64 v[121:122], v[1:2], v[121:122]
	v_fma_f64 v[1:2], v[1:2], v[119:120], -v[124:125]
	v_fma_f64 v[3:4], v[3:4], v[119:120], v[121:122]
	buffer_store_dword v2, off, s[0:3], 0 offset:356
	buffer_store_dword v1, off, s[0:3], 0 offset:352
	;; [unrolled: 1-line block ×4, first 2 shown]
.LBB55_267:
	s_or_b32 exec_lo, exec_lo, s6
	v_mov_b32_e32 v4, s43
	v_cmp_lt_u32_e64 s5, 21, v0
	s_clause 0x3
	buffer_load_dword v1, v4, s[0:3], 0 offen
	buffer_load_dword v2, v4, s[0:3], 0 offen offset:4
	buffer_load_dword v3, v4, s[0:3], 0 offen offset:8
	;; [unrolled: 1-line block ×3, first 2 shown]
	s_waitcnt vmcnt(0)
	ds_write_b128 v118, v[1:4]
	s_waitcnt lgkmcnt(0)
	s_waitcnt_vscnt null, 0x0
	s_barrier
	buffer_gl0_inv
	s_and_saveexec_b32 s6, s5
	s_cbranch_execz .LBB55_275
; %bb.268:
	ds_read_b128 v[1:4], v118
	s_andn2_b32 vcc_lo, exec_lo, s64
	s_cbranch_vccnz .LBB55_270
; %bb.269:
	s_clause 0x3
	buffer_load_dword v119, v117, s[0:3], 0 offen offset:8
	buffer_load_dword v120, v117, s[0:3], 0 offen offset:12
	buffer_load_dword v121, v117, s[0:3], 0 offen
	buffer_load_dword v122, v117, s[0:3], 0 offen offset:4
	s_waitcnt vmcnt(2) lgkmcnt(0)
	v_mul_f64 v[124:125], v[3:4], v[119:120]
	v_mul_f64 v[119:120], v[1:2], v[119:120]
	s_waitcnt vmcnt(0)
	v_fma_f64 v[1:2], v[1:2], v[121:122], -v[124:125]
	v_fma_f64 v[3:4], v[3:4], v[121:122], v[119:120]
.LBB55_270:
	s_and_saveexec_b32 s8, s4
	s_cbranch_execz .LBB55_274
; %bb.271:
	v_subrev_nc_u32_e32 v119, 22, v0
	s_movk_i32 s65, 0x4e0
	s_mov_b32 s4, 0
	s_mov_b32 s66, s42
	.p2align	6
.LBB55_272:                             ; =>This Inner Loop Header: Depth=1
	v_mov_b32_e32 v122, s66
	v_add_nc_u32_e32 v119, -1, v119
	s_add_i32 s66, s66, 16
	s_clause 0x3
	buffer_load_dword v120, v122, s[0:3], 0 offen offset:8
	buffer_load_dword v121, v122, s[0:3], 0 offen offset:12
	buffer_load_dword v128, v122, s[0:3], 0 offen
	buffer_load_dword v129, v122, s[0:3], 0 offen offset:4
	v_mov_b32_e32 v122, s65
	v_cmp_eq_u32_e32 vcc_lo, 0, v119
	s_add_i32 s65, s65, 16
	ds_read_b128 v[124:127], v122
	s_or_b32 s4, vcc_lo, s4
	s_waitcnt vmcnt(2) lgkmcnt(0)
	v_mul_f64 v[130:131], v[126:127], v[120:121]
	v_mul_f64 v[120:121], v[124:125], v[120:121]
	s_waitcnt vmcnt(0)
	v_fma_f64 v[124:125], v[124:125], v[128:129], -v[130:131]
	v_fma_f64 v[120:121], v[126:127], v[128:129], v[120:121]
	v_add_f64 v[1:2], v[1:2], v[124:125]
	v_add_f64 v[3:4], v[3:4], v[120:121]
	s_andn2_b32 exec_lo, exec_lo, s4
	s_cbranch_execnz .LBB55_272
; %bb.273:
	s_or_b32 exec_lo, exec_lo, s4
.LBB55_274:
	s_or_b32 exec_lo, exec_lo, s8
	v_mov_b32_e32 v119, 0
	ds_read_b128 v[119:122], v119 offset:336
	s_waitcnt lgkmcnt(0)
	v_mul_f64 v[124:125], v[3:4], v[121:122]
	v_mul_f64 v[121:122], v[1:2], v[121:122]
	v_fma_f64 v[1:2], v[1:2], v[119:120], -v[124:125]
	v_fma_f64 v[3:4], v[3:4], v[119:120], v[121:122]
	buffer_store_dword v2, off, s[0:3], 0 offset:340
	buffer_store_dword v1, off, s[0:3], 0 offset:336
	;; [unrolled: 1-line block ×4, first 2 shown]
.LBB55_275:
	s_or_b32 exec_lo, exec_lo, s6
	v_mov_b32_e32 v4, s44
	v_cmp_lt_u32_e64 s4, 20, v0
	s_clause 0x3
	buffer_load_dword v1, v4, s[0:3], 0 offen
	buffer_load_dword v2, v4, s[0:3], 0 offen offset:4
	buffer_load_dword v3, v4, s[0:3], 0 offen offset:8
	;; [unrolled: 1-line block ×3, first 2 shown]
	s_waitcnt vmcnt(0)
	ds_write_b128 v118, v[1:4]
	s_waitcnt lgkmcnt(0)
	s_waitcnt_vscnt null, 0x0
	s_barrier
	buffer_gl0_inv
	s_and_saveexec_b32 s6, s4
	s_cbranch_execz .LBB55_283
; %bb.276:
	ds_read_b128 v[1:4], v118
	s_andn2_b32 vcc_lo, exec_lo, s64
	s_cbranch_vccnz .LBB55_278
; %bb.277:
	s_clause 0x3
	buffer_load_dword v119, v117, s[0:3], 0 offen offset:8
	buffer_load_dword v120, v117, s[0:3], 0 offen offset:12
	buffer_load_dword v121, v117, s[0:3], 0 offen
	buffer_load_dword v122, v117, s[0:3], 0 offen offset:4
	s_waitcnt vmcnt(2) lgkmcnt(0)
	v_mul_f64 v[124:125], v[3:4], v[119:120]
	v_mul_f64 v[119:120], v[1:2], v[119:120]
	s_waitcnt vmcnt(0)
	v_fma_f64 v[1:2], v[1:2], v[121:122], -v[124:125]
	v_fma_f64 v[3:4], v[3:4], v[121:122], v[119:120]
.LBB55_278:
	s_and_saveexec_b32 s8, s5
	s_cbranch_execz .LBB55_282
; %bb.279:
	v_subrev_nc_u32_e32 v119, 21, v0
	s_movk_i32 s65, 0x4d0
	s_mov_b32 s5, 0
	s_mov_b32 s66, s43
	.p2align	6
.LBB55_280:                             ; =>This Inner Loop Header: Depth=1
	v_mov_b32_e32 v122, s66
	v_add_nc_u32_e32 v119, -1, v119
	s_add_i32 s66, s66, 16
	s_clause 0x3
	buffer_load_dword v120, v122, s[0:3], 0 offen offset:8
	buffer_load_dword v121, v122, s[0:3], 0 offen offset:12
	buffer_load_dword v128, v122, s[0:3], 0 offen
	buffer_load_dword v129, v122, s[0:3], 0 offen offset:4
	v_mov_b32_e32 v122, s65
	v_cmp_eq_u32_e32 vcc_lo, 0, v119
	s_add_i32 s65, s65, 16
	ds_read_b128 v[124:127], v122
	s_or_b32 s5, vcc_lo, s5
	s_waitcnt vmcnt(2) lgkmcnt(0)
	v_mul_f64 v[130:131], v[126:127], v[120:121]
	v_mul_f64 v[120:121], v[124:125], v[120:121]
	s_waitcnt vmcnt(0)
	v_fma_f64 v[124:125], v[124:125], v[128:129], -v[130:131]
	v_fma_f64 v[120:121], v[126:127], v[128:129], v[120:121]
	v_add_f64 v[1:2], v[1:2], v[124:125]
	v_add_f64 v[3:4], v[3:4], v[120:121]
	s_andn2_b32 exec_lo, exec_lo, s5
	s_cbranch_execnz .LBB55_280
; %bb.281:
	s_or_b32 exec_lo, exec_lo, s5
.LBB55_282:
	s_or_b32 exec_lo, exec_lo, s8
	v_mov_b32_e32 v119, 0
	ds_read_b128 v[119:122], v119 offset:320
	s_waitcnt lgkmcnt(0)
	v_mul_f64 v[124:125], v[3:4], v[121:122]
	v_mul_f64 v[121:122], v[1:2], v[121:122]
	v_fma_f64 v[1:2], v[1:2], v[119:120], -v[124:125]
	v_fma_f64 v[3:4], v[3:4], v[119:120], v[121:122]
	buffer_store_dword v2, off, s[0:3], 0 offset:324
	buffer_store_dword v1, off, s[0:3], 0 offset:320
	;; [unrolled: 1-line block ×4, first 2 shown]
.LBB55_283:
	s_or_b32 exec_lo, exec_lo, s6
	v_mov_b32_e32 v4, s45
	v_cmp_lt_u32_e64 s5, 19, v0
	s_clause 0x3
	buffer_load_dword v1, v4, s[0:3], 0 offen
	buffer_load_dword v2, v4, s[0:3], 0 offen offset:4
	buffer_load_dword v3, v4, s[0:3], 0 offen offset:8
	;; [unrolled: 1-line block ×3, first 2 shown]
	s_waitcnt vmcnt(0)
	ds_write_b128 v118, v[1:4]
	s_waitcnt lgkmcnt(0)
	s_waitcnt_vscnt null, 0x0
	s_barrier
	buffer_gl0_inv
	s_and_saveexec_b32 s6, s5
	s_cbranch_execz .LBB55_291
; %bb.284:
	ds_read_b128 v[1:4], v118
	s_andn2_b32 vcc_lo, exec_lo, s64
	s_cbranch_vccnz .LBB55_286
; %bb.285:
	s_clause 0x3
	buffer_load_dword v119, v117, s[0:3], 0 offen offset:8
	buffer_load_dword v120, v117, s[0:3], 0 offen offset:12
	buffer_load_dword v121, v117, s[0:3], 0 offen
	buffer_load_dword v122, v117, s[0:3], 0 offen offset:4
	s_waitcnt vmcnt(2) lgkmcnt(0)
	v_mul_f64 v[124:125], v[3:4], v[119:120]
	v_mul_f64 v[119:120], v[1:2], v[119:120]
	s_waitcnt vmcnt(0)
	v_fma_f64 v[1:2], v[1:2], v[121:122], -v[124:125]
	v_fma_f64 v[3:4], v[3:4], v[121:122], v[119:120]
.LBB55_286:
	s_and_saveexec_b32 s8, s4
	s_cbranch_execz .LBB55_290
; %bb.287:
	v_subrev_nc_u32_e32 v119, 20, v0
	s_movk_i32 s65, 0x4c0
	s_mov_b32 s4, 0
	s_mov_b32 s66, s44
	.p2align	6
.LBB55_288:                             ; =>This Inner Loop Header: Depth=1
	v_mov_b32_e32 v122, s66
	v_add_nc_u32_e32 v119, -1, v119
	s_add_i32 s66, s66, 16
	s_clause 0x3
	buffer_load_dword v120, v122, s[0:3], 0 offen offset:8
	buffer_load_dword v121, v122, s[0:3], 0 offen offset:12
	buffer_load_dword v128, v122, s[0:3], 0 offen
	buffer_load_dword v129, v122, s[0:3], 0 offen offset:4
	v_mov_b32_e32 v122, s65
	v_cmp_eq_u32_e32 vcc_lo, 0, v119
	s_add_i32 s65, s65, 16
	ds_read_b128 v[124:127], v122
	s_or_b32 s4, vcc_lo, s4
	s_waitcnt vmcnt(2) lgkmcnt(0)
	v_mul_f64 v[130:131], v[126:127], v[120:121]
	v_mul_f64 v[120:121], v[124:125], v[120:121]
	s_waitcnt vmcnt(0)
	v_fma_f64 v[124:125], v[124:125], v[128:129], -v[130:131]
	v_fma_f64 v[120:121], v[126:127], v[128:129], v[120:121]
	v_add_f64 v[1:2], v[1:2], v[124:125]
	v_add_f64 v[3:4], v[3:4], v[120:121]
	s_andn2_b32 exec_lo, exec_lo, s4
	s_cbranch_execnz .LBB55_288
; %bb.289:
	s_or_b32 exec_lo, exec_lo, s4
.LBB55_290:
	s_or_b32 exec_lo, exec_lo, s8
	v_mov_b32_e32 v119, 0
	ds_read_b128 v[119:122], v119 offset:304
	s_waitcnt lgkmcnt(0)
	v_mul_f64 v[124:125], v[3:4], v[121:122]
	v_mul_f64 v[121:122], v[1:2], v[121:122]
	v_fma_f64 v[1:2], v[1:2], v[119:120], -v[124:125]
	v_fma_f64 v[3:4], v[3:4], v[119:120], v[121:122]
	buffer_store_dword v2, off, s[0:3], 0 offset:308
	buffer_store_dword v1, off, s[0:3], 0 offset:304
	;; [unrolled: 1-line block ×4, first 2 shown]
.LBB55_291:
	s_or_b32 exec_lo, exec_lo, s6
	v_mov_b32_e32 v4, s46
	v_cmp_lt_u32_e64 s4, 18, v0
	s_clause 0x3
	buffer_load_dword v1, v4, s[0:3], 0 offen
	buffer_load_dword v2, v4, s[0:3], 0 offen offset:4
	buffer_load_dword v3, v4, s[0:3], 0 offen offset:8
	;; [unrolled: 1-line block ×3, first 2 shown]
	s_waitcnt vmcnt(0)
	ds_write_b128 v118, v[1:4]
	s_waitcnt lgkmcnt(0)
	s_waitcnt_vscnt null, 0x0
	s_barrier
	buffer_gl0_inv
	s_and_saveexec_b32 s6, s4
	s_cbranch_execz .LBB55_299
; %bb.292:
	ds_read_b128 v[1:4], v118
	s_andn2_b32 vcc_lo, exec_lo, s64
	s_cbranch_vccnz .LBB55_294
; %bb.293:
	s_clause 0x3
	buffer_load_dword v119, v117, s[0:3], 0 offen offset:8
	buffer_load_dword v120, v117, s[0:3], 0 offen offset:12
	buffer_load_dword v121, v117, s[0:3], 0 offen
	buffer_load_dword v122, v117, s[0:3], 0 offen offset:4
	s_waitcnt vmcnt(2) lgkmcnt(0)
	v_mul_f64 v[124:125], v[3:4], v[119:120]
	v_mul_f64 v[119:120], v[1:2], v[119:120]
	s_waitcnt vmcnt(0)
	v_fma_f64 v[1:2], v[1:2], v[121:122], -v[124:125]
	v_fma_f64 v[3:4], v[3:4], v[121:122], v[119:120]
.LBB55_294:
	s_and_saveexec_b32 s8, s5
	s_cbranch_execz .LBB55_298
; %bb.295:
	v_subrev_nc_u32_e32 v119, 19, v0
	s_movk_i32 s65, 0x4b0
	s_mov_b32 s5, 0
	s_mov_b32 s66, s45
	.p2align	6
.LBB55_296:                             ; =>This Inner Loop Header: Depth=1
	v_mov_b32_e32 v122, s66
	v_add_nc_u32_e32 v119, -1, v119
	s_add_i32 s66, s66, 16
	s_clause 0x3
	buffer_load_dword v120, v122, s[0:3], 0 offen offset:8
	buffer_load_dword v121, v122, s[0:3], 0 offen offset:12
	buffer_load_dword v128, v122, s[0:3], 0 offen
	buffer_load_dword v129, v122, s[0:3], 0 offen offset:4
	v_mov_b32_e32 v122, s65
	v_cmp_eq_u32_e32 vcc_lo, 0, v119
	s_add_i32 s65, s65, 16
	ds_read_b128 v[124:127], v122
	s_or_b32 s5, vcc_lo, s5
	s_waitcnt vmcnt(2) lgkmcnt(0)
	v_mul_f64 v[130:131], v[126:127], v[120:121]
	v_mul_f64 v[120:121], v[124:125], v[120:121]
	s_waitcnt vmcnt(0)
	v_fma_f64 v[124:125], v[124:125], v[128:129], -v[130:131]
	v_fma_f64 v[120:121], v[126:127], v[128:129], v[120:121]
	v_add_f64 v[1:2], v[1:2], v[124:125]
	v_add_f64 v[3:4], v[3:4], v[120:121]
	s_andn2_b32 exec_lo, exec_lo, s5
	s_cbranch_execnz .LBB55_296
; %bb.297:
	s_or_b32 exec_lo, exec_lo, s5
.LBB55_298:
	s_or_b32 exec_lo, exec_lo, s8
	v_mov_b32_e32 v119, 0
	ds_read_b128 v[119:122], v119 offset:288
	s_waitcnt lgkmcnt(0)
	v_mul_f64 v[124:125], v[3:4], v[121:122]
	v_mul_f64 v[121:122], v[1:2], v[121:122]
	v_fma_f64 v[1:2], v[1:2], v[119:120], -v[124:125]
	v_fma_f64 v[3:4], v[3:4], v[119:120], v[121:122]
	buffer_store_dword v2, off, s[0:3], 0 offset:292
	buffer_store_dword v1, off, s[0:3], 0 offset:288
	;; [unrolled: 1-line block ×4, first 2 shown]
.LBB55_299:
	s_or_b32 exec_lo, exec_lo, s6
	v_mov_b32_e32 v4, s47
	v_cmp_lt_u32_e64 s5, 17, v0
	s_clause 0x3
	buffer_load_dword v1, v4, s[0:3], 0 offen
	buffer_load_dword v2, v4, s[0:3], 0 offen offset:4
	buffer_load_dword v3, v4, s[0:3], 0 offen offset:8
	;; [unrolled: 1-line block ×3, first 2 shown]
	s_waitcnt vmcnt(0)
	ds_write_b128 v118, v[1:4]
	s_waitcnt lgkmcnt(0)
	s_waitcnt_vscnt null, 0x0
	s_barrier
	buffer_gl0_inv
	s_and_saveexec_b32 s6, s5
	s_cbranch_execz .LBB55_307
; %bb.300:
	ds_read_b128 v[1:4], v118
	s_andn2_b32 vcc_lo, exec_lo, s64
	s_cbranch_vccnz .LBB55_302
; %bb.301:
	s_clause 0x3
	buffer_load_dword v119, v117, s[0:3], 0 offen offset:8
	buffer_load_dword v120, v117, s[0:3], 0 offen offset:12
	buffer_load_dword v121, v117, s[0:3], 0 offen
	buffer_load_dword v122, v117, s[0:3], 0 offen offset:4
	s_waitcnt vmcnt(2) lgkmcnt(0)
	v_mul_f64 v[124:125], v[3:4], v[119:120]
	v_mul_f64 v[119:120], v[1:2], v[119:120]
	s_waitcnt vmcnt(0)
	v_fma_f64 v[1:2], v[1:2], v[121:122], -v[124:125]
	v_fma_f64 v[3:4], v[3:4], v[121:122], v[119:120]
.LBB55_302:
	s_and_saveexec_b32 s8, s4
	s_cbranch_execz .LBB55_306
; %bb.303:
	v_subrev_nc_u32_e32 v119, 18, v0
	s_movk_i32 s65, 0x4a0
	s_mov_b32 s4, 0
	s_mov_b32 s66, s46
	.p2align	6
.LBB55_304:                             ; =>This Inner Loop Header: Depth=1
	v_mov_b32_e32 v122, s66
	v_add_nc_u32_e32 v119, -1, v119
	s_add_i32 s66, s66, 16
	s_clause 0x3
	buffer_load_dword v120, v122, s[0:3], 0 offen offset:8
	buffer_load_dword v121, v122, s[0:3], 0 offen offset:12
	buffer_load_dword v128, v122, s[0:3], 0 offen
	buffer_load_dword v129, v122, s[0:3], 0 offen offset:4
	v_mov_b32_e32 v122, s65
	v_cmp_eq_u32_e32 vcc_lo, 0, v119
	s_add_i32 s65, s65, 16
	ds_read_b128 v[124:127], v122
	s_or_b32 s4, vcc_lo, s4
	s_waitcnt vmcnt(2) lgkmcnt(0)
	v_mul_f64 v[130:131], v[126:127], v[120:121]
	v_mul_f64 v[120:121], v[124:125], v[120:121]
	s_waitcnt vmcnt(0)
	v_fma_f64 v[124:125], v[124:125], v[128:129], -v[130:131]
	v_fma_f64 v[120:121], v[126:127], v[128:129], v[120:121]
	v_add_f64 v[1:2], v[1:2], v[124:125]
	v_add_f64 v[3:4], v[3:4], v[120:121]
	s_andn2_b32 exec_lo, exec_lo, s4
	s_cbranch_execnz .LBB55_304
; %bb.305:
	s_or_b32 exec_lo, exec_lo, s4
.LBB55_306:
	s_or_b32 exec_lo, exec_lo, s8
	v_mov_b32_e32 v119, 0
	ds_read_b128 v[119:122], v119 offset:272
	s_waitcnt lgkmcnt(0)
	v_mul_f64 v[124:125], v[3:4], v[121:122]
	v_mul_f64 v[121:122], v[1:2], v[121:122]
	v_fma_f64 v[1:2], v[1:2], v[119:120], -v[124:125]
	v_fma_f64 v[3:4], v[3:4], v[119:120], v[121:122]
	buffer_store_dword v2, off, s[0:3], 0 offset:276
	buffer_store_dword v1, off, s[0:3], 0 offset:272
	;; [unrolled: 1-line block ×4, first 2 shown]
.LBB55_307:
	s_or_b32 exec_lo, exec_lo, s6
	v_mov_b32_e32 v4, s48
	v_cmp_lt_u32_e64 s4, 16, v0
	s_clause 0x3
	buffer_load_dword v1, v4, s[0:3], 0 offen
	buffer_load_dword v2, v4, s[0:3], 0 offen offset:4
	buffer_load_dword v3, v4, s[0:3], 0 offen offset:8
	;; [unrolled: 1-line block ×3, first 2 shown]
	s_waitcnt vmcnt(0)
	ds_write_b128 v118, v[1:4]
	s_waitcnt lgkmcnt(0)
	s_waitcnt_vscnt null, 0x0
	s_barrier
	buffer_gl0_inv
	s_and_saveexec_b32 s6, s4
	s_cbranch_execz .LBB55_315
; %bb.308:
	ds_read_b128 v[1:4], v118
	s_andn2_b32 vcc_lo, exec_lo, s64
	s_cbranch_vccnz .LBB55_310
; %bb.309:
	s_clause 0x3
	buffer_load_dword v119, v117, s[0:3], 0 offen offset:8
	buffer_load_dword v120, v117, s[0:3], 0 offen offset:12
	buffer_load_dword v121, v117, s[0:3], 0 offen
	buffer_load_dword v122, v117, s[0:3], 0 offen offset:4
	s_waitcnt vmcnt(2) lgkmcnt(0)
	v_mul_f64 v[124:125], v[3:4], v[119:120]
	v_mul_f64 v[119:120], v[1:2], v[119:120]
	s_waitcnt vmcnt(0)
	v_fma_f64 v[1:2], v[1:2], v[121:122], -v[124:125]
	v_fma_f64 v[3:4], v[3:4], v[121:122], v[119:120]
.LBB55_310:
	s_and_saveexec_b32 s8, s5
	s_cbranch_execz .LBB55_314
; %bb.311:
	v_subrev_nc_u32_e32 v119, 17, v0
	s_movk_i32 s65, 0x490
	s_mov_b32 s5, 0
	s_mov_b32 s66, s47
	.p2align	6
.LBB55_312:                             ; =>This Inner Loop Header: Depth=1
	v_mov_b32_e32 v122, s66
	v_add_nc_u32_e32 v119, -1, v119
	s_add_i32 s66, s66, 16
	s_clause 0x3
	buffer_load_dword v120, v122, s[0:3], 0 offen offset:8
	buffer_load_dword v121, v122, s[0:3], 0 offen offset:12
	buffer_load_dword v128, v122, s[0:3], 0 offen
	buffer_load_dword v129, v122, s[0:3], 0 offen offset:4
	v_mov_b32_e32 v122, s65
	v_cmp_eq_u32_e32 vcc_lo, 0, v119
	s_add_i32 s65, s65, 16
	ds_read_b128 v[124:127], v122
	s_or_b32 s5, vcc_lo, s5
	s_waitcnt vmcnt(2) lgkmcnt(0)
	v_mul_f64 v[130:131], v[126:127], v[120:121]
	v_mul_f64 v[120:121], v[124:125], v[120:121]
	s_waitcnt vmcnt(0)
	v_fma_f64 v[124:125], v[124:125], v[128:129], -v[130:131]
	v_fma_f64 v[120:121], v[126:127], v[128:129], v[120:121]
	v_add_f64 v[1:2], v[1:2], v[124:125]
	v_add_f64 v[3:4], v[3:4], v[120:121]
	s_andn2_b32 exec_lo, exec_lo, s5
	s_cbranch_execnz .LBB55_312
; %bb.313:
	s_or_b32 exec_lo, exec_lo, s5
.LBB55_314:
	s_or_b32 exec_lo, exec_lo, s8
	v_mov_b32_e32 v119, 0
	ds_read_b128 v[119:122], v119 offset:256
	s_waitcnt lgkmcnt(0)
	v_mul_f64 v[124:125], v[3:4], v[121:122]
	v_mul_f64 v[121:122], v[1:2], v[121:122]
	v_fma_f64 v[1:2], v[1:2], v[119:120], -v[124:125]
	v_fma_f64 v[3:4], v[3:4], v[119:120], v[121:122]
	buffer_store_dword v2, off, s[0:3], 0 offset:260
	buffer_store_dword v1, off, s[0:3], 0 offset:256
	buffer_store_dword v4, off, s[0:3], 0 offset:268
	buffer_store_dword v3, off, s[0:3], 0 offset:264
.LBB55_315:
	s_or_b32 exec_lo, exec_lo, s6
	v_mov_b32_e32 v4, s49
	v_cmp_lt_u32_e64 s5, 15, v0
	s_clause 0x3
	buffer_load_dword v1, v4, s[0:3], 0 offen
	buffer_load_dword v2, v4, s[0:3], 0 offen offset:4
	buffer_load_dword v3, v4, s[0:3], 0 offen offset:8
	;; [unrolled: 1-line block ×3, first 2 shown]
	s_waitcnt vmcnt(0)
	ds_write_b128 v118, v[1:4]
	s_waitcnt lgkmcnt(0)
	s_waitcnt_vscnt null, 0x0
	s_barrier
	buffer_gl0_inv
	s_and_saveexec_b32 s6, s5
	s_cbranch_execz .LBB55_323
; %bb.316:
	ds_read_b128 v[1:4], v118
	s_andn2_b32 vcc_lo, exec_lo, s64
	s_cbranch_vccnz .LBB55_318
; %bb.317:
	s_clause 0x3
	buffer_load_dword v119, v117, s[0:3], 0 offen offset:8
	buffer_load_dword v120, v117, s[0:3], 0 offen offset:12
	buffer_load_dword v121, v117, s[0:3], 0 offen
	buffer_load_dword v122, v117, s[0:3], 0 offen offset:4
	s_waitcnt vmcnt(2) lgkmcnt(0)
	v_mul_f64 v[124:125], v[3:4], v[119:120]
	v_mul_f64 v[119:120], v[1:2], v[119:120]
	s_waitcnt vmcnt(0)
	v_fma_f64 v[1:2], v[1:2], v[121:122], -v[124:125]
	v_fma_f64 v[3:4], v[3:4], v[121:122], v[119:120]
.LBB55_318:
	s_and_saveexec_b32 s8, s4
	s_cbranch_execz .LBB55_322
; %bb.319:
	v_add_nc_u32_e32 v119, -16, v0
	s_movk_i32 s65, 0x480
	s_mov_b32 s4, 0
	s_mov_b32 s66, s48
	.p2align	6
.LBB55_320:                             ; =>This Inner Loop Header: Depth=1
	v_mov_b32_e32 v122, s66
	v_add_nc_u32_e32 v119, -1, v119
	s_add_i32 s66, s66, 16
	s_clause 0x3
	buffer_load_dword v120, v122, s[0:3], 0 offen offset:8
	buffer_load_dword v121, v122, s[0:3], 0 offen offset:12
	buffer_load_dword v128, v122, s[0:3], 0 offen
	buffer_load_dword v129, v122, s[0:3], 0 offen offset:4
	v_mov_b32_e32 v122, s65
	v_cmp_eq_u32_e32 vcc_lo, 0, v119
	s_add_i32 s65, s65, 16
	ds_read_b128 v[124:127], v122
	s_or_b32 s4, vcc_lo, s4
	s_waitcnt vmcnt(2) lgkmcnt(0)
	v_mul_f64 v[130:131], v[126:127], v[120:121]
	v_mul_f64 v[120:121], v[124:125], v[120:121]
	s_waitcnt vmcnt(0)
	v_fma_f64 v[124:125], v[124:125], v[128:129], -v[130:131]
	v_fma_f64 v[120:121], v[126:127], v[128:129], v[120:121]
	v_add_f64 v[1:2], v[1:2], v[124:125]
	v_add_f64 v[3:4], v[3:4], v[120:121]
	s_andn2_b32 exec_lo, exec_lo, s4
	s_cbranch_execnz .LBB55_320
; %bb.321:
	s_or_b32 exec_lo, exec_lo, s4
.LBB55_322:
	s_or_b32 exec_lo, exec_lo, s8
	v_mov_b32_e32 v119, 0
	ds_read_b128 v[119:122], v119 offset:240
	s_waitcnt lgkmcnt(0)
	v_mul_f64 v[124:125], v[3:4], v[121:122]
	v_mul_f64 v[121:122], v[1:2], v[121:122]
	v_fma_f64 v[1:2], v[1:2], v[119:120], -v[124:125]
	v_fma_f64 v[3:4], v[3:4], v[119:120], v[121:122]
	buffer_store_dword v2, off, s[0:3], 0 offset:244
	buffer_store_dword v1, off, s[0:3], 0 offset:240
	;; [unrolled: 1-line block ×4, first 2 shown]
.LBB55_323:
	s_or_b32 exec_lo, exec_lo, s6
	v_mov_b32_e32 v4, s50
	v_cmp_lt_u32_e64 s4, 14, v0
	s_clause 0x3
	buffer_load_dword v1, v4, s[0:3], 0 offen
	buffer_load_dword v2, v4, s[0:3], 0 offen offset:4
	buffer_load_dword v3, v4, s[0:3], 0 offen offset:8
	;; [unrolled: 1-line block ×3, first 2 shown]
	s_waitcnt vmcnt(0)
	ds_write_b128 v118, v[1:4]
	s_waitcnt lgkmcnt(0)
	s_waitcnt_vscnt null, 0x0
	s_barrier
	buffer_gl0_inv
	s_and_saveexec_b32 s6, s4
	s_cbranch_execz .LBB55_331
; %bb.324:
	ds_read_b128 v[1:4], v118
	s_andn2_b32 vcc_lo, exec_lo, s64
	s_cbranch_vccnz .LBB55_326
; %bb.325:
	s_clause 0x3
	buffer_load_dword v119, v117, s[0:3], 0 offen offset:8
	buffer_load_dword v120, v117, s[0:3], 0 offen offset:12
	buffer_load_dword v121, v117, s[0:3], 0 offen
	buffer_load_dword v122, v117, s[0:3], 0 offen offset:4
	s_waitcnt vmcnt(2) lgkmcnt(0)
	v_mul_f64 v[124:125], v[3:4], v[119:120]
	v_mul_f64 v[119:120], v[1:2], v[119:120]
	s_waitcnt vmcnt(0)
	v_fma_f64 v[1:2], v[1:2], v[121:122], -v[124:125]
	v_fma_f64 v[3:4], v[3:4], v[121:122], v[119:120]
.LBB55_326:
	s_and_saveexec_b32 s8, s5
	s_cbranch_execz .LBB55_330
; %bb.327:
	v_add_nc_u32_e32 v119, -15, v0
	s_movk_i32 s65, 0x470
	s_mov_b32 s5, 0
	s_mov_b32 s66, s49
	.p2align	6
.LBB55_328:                             ; =>This Inner Loop Header: Depth=1
	v_mov_b32_e32 v122, s66
	v_add_nc_u32_e32 v119, -1, v119
	s_add_i32 s66, s66, 16
	s_clause 0x3
	buffer_load_dword v120, v122, s[0:3], 0 offen offset:8
	buffer_load_dword v121, v122, s[0:3], 0 offen offset:12
	buffer_load_dword v128, v122, s[0:3], 0 offen
	buffer_load_dword v129, v122, s[0:3], 0 offen offset:4
	v_mov_b32_e32 v122, s65
	v_cmp_eq_u32_e32 vcc_lo, 0, v119
	s_add_i32 s65, s65, 16
	ds_read_b128 v[124:127], v122
	s_or_b32 s5, vcc_lo, s5
	s_waitcnt vmcnt(2) lgkmcnt(0)
	v_mul_f64 v[130:131], v[126:127], v[120:121]
	v_mul_f64 v[120:121], v[124:125], v[120:121]
	s_waitcnt vmcnt(0)
	v_fma_f64 v[124:125], v[124:125], v[128:129], -v[130:131]
	v_fma_f64 v[120:121], v[126:127], v[128:129], v[120:121]
	v_add_f64 v[1:2], v[1:2], v[124:125]
	v_add_f64 v[3:4], v[3:4], v[120:121]
	s_andn2_b32 exec_lo, exec_lo, s5
	s_cbranch_execnz .LBB55_328
; %bb.329:
	s_or_b32 exec_lo, exec_lo, s5
.LBB55_330:
	s_or_b32 exec_lo, exec_lo, s8
	v_mov_b32_e32 v119, 0
	ds_read_b128 v[119:122], v119 offset:224
	s_waitcnt lgkmcnt(0)
	v_mul_f64 v[124:125], v[3:4], v[121:122]
	v_mul_f64 v[121:122], v[1:2], v[121:122]
	v_fma_f64 v[1:2], v[1:2], v[119:120], -v[124:125]
	v_fma_f64 v[3:4], v[3:4], v[119:120], v[121:122]
	buffer_store_dword v2, off, s[0:3], 0 offset:228
	buffer_store_dword v1, off, s[0:3], 0 offset:224
	;; [unrolled: 1-line block ×4, first 2 shown]
.LBB55_331:
	s_or_b32 exec_lo, exec_lo, s6
	v_mov_b32_e32 v4, s51
	v_cmp_lt_u32_e64 s5, 13, v0
	s_clause 0x3
	buffer_load_dword v1, v4, s[0:3], 0 offen
	buffer_load_dword v2, v4, s[0:3], 0 offen offset:4
	buffer_load_dword v3, v4, s[0:3], 0 offen offset:8
	buffer_load_dword v4, v4, s[0:3], 0 offen offset:12
	s_waitcnt vmcnt(0)
	ds_write_b128 v118, v[1:4]
	s_waitcnt lgkmcnt(0)
	s_waitcnt_vscnt null, 0x0
	s_barrier
	buffer_gl0_inv
	s_and_saveexec_b32 s6, s5
	s_cbranch_execz .LBB55_339
; %bb.332:
	ds_read_b128 v[1:4], v118
	s_andn2_b32 vcc_lo, exec_lo, s64
	s_cbranch_vccnz .LBB55_334
; %bb.333:
	s_clause 0x3
	buffer_load_dword v119, v117, s[0:3], 0 offen offset:8
	buffer_load_dword v120, v117, s[0:3], 0 offen offset:12
	buffer_load_dword v121, v117, s[0:3], 0 offen
	buffer_load_dword v122, v117, s[0:3], 0 offen offset:4
	s_waitcnt vmcnt(2) lgkmcnt(0)
	v_mul_f64 v[124:125], v[3:4], v[119:120]
	v_mul_f64 v[119:120], v[1:2], v[119:120]
	s_waitcnt vmcnt(0)
	v_fma_f64 v[1:2], v[1:2], v[121:122], -v[124:125]
	v_fma_f64 v[3:4], v[3:4], v[121:122], v[119:120]
.LBB55_334:
	s_and_saveexec_b32 s8, s4
	s_cbranch_execz .LBB55_338
; %bb.335:
	v_add_nc_u32_e32 v119, -14, v0
	s_movk_i32 s65, 0x460
	s_mov_b32 s4, 0
	s_mov_b32 s66, s50
	.p2align	6
.LBB55_336:                             ; =>This Inner Loop Header: Depth=1
	v_mov_b32_e32 v122, s66
	v_add_nc_u32_e32 v119, -1, v119
	s_add_i32 s66, s66, 16
	s_clause 0x3
	buffer_load_dword v120, v122, s[0:3], 0 offen offset:8
	buffer_load_dword v121, v122, s[0:3], 0 offen offset:12
	buffer_load_dword v128, v122, s[0:3], 0 offen
	buffer_load_dword v129, v122, s[0:3], 0 offen offset:4
	v_mov_b32_e32 v122, s65
	v_cmp_eq_u32_e32 vcc_lo, 0, v119
	s_add_i32 s65, s65, 16
	ds_read_b128 v[124:127], v122
	s_or_b32 s4, vcc_lo, s4
	s_waitcnt vmcnt(2) lgkmcnt(0)
	v_mul_f64 v[130:131], v[126:127], v[120:121]
	v_mul_f64 v[120:121], v[124:125], v[120:121]
	s_waitcnt vmcnt(0)
	v_fma_f64 v[124:125], v[124:125], v[128:129], -v[130:131]
	v_fma_f64 v[120:121], v[126:127], v[128:129], v[120:121]
	v_add_f64 v[1:2], v[1:2], v[124:125]
	v_add_f64 v[3:4], v[3:4], v[120:121]
	s_andn2_b32 exec_lo, exec_lo, s4
	s_cbranch_execnz .LBB55_336
; %bb.337:
	s_or_b32 exec_lo, exec_lo, s4
.LBB55_338:
	s_or_b32 exec_lo, exec_lo, s8
	v_mov_b32_e32 v119, 0
	ds_read_b128 v[119:122], v119 offset:208
	s_waitcnt lgkmcnt(0)
	v_mul_f64 v[124:125], v[3:4], v[121:122]
	v_mul_f64 v[121:122], v[1:2], v[121:122]
	v_fma_f64 v[1:2], v[1:2], v[119:120], -v[124:125]
	v_fma_f64 v[3:4], v[3:4], v[119:120], v[121:122]
	buffer_store_dword v2, off, s[0:3], 0 offset:212
	buffer_store_dword v1, off, s[0:3], 0 offset:208
	;; [unrolled: 1-line block ×4, first 2 shown]
.LBB55_339:
	s_or_b32 exec_lo, exec_lo, s6
	v_mov_b32_e32 v4, s52
	v_cmp_lt_u32_e64 s4, 12, v0
	s_clause 0x3
	buffer_load_dword v1, v4, s[0:3], 0 offen
	buffer_load_dword v2, v4, s[0:3], 0 offen offset:4
	buffer_load_dword v3, v4, s[0:3], 0 offen offset:8
	;; [unrolled: 1-line block ×3, first 2 shown]
	s_waitcnt vmcnt(0)
	ds_write_b128 v118, v[1:4]
	s_waitcnt lgkmcnt(0)
	s_waitcnt_vscnt null, 0x0
	s_barrier
	buffer_gl0_inv
	s_and_saveexec_b32 s6, s4
	s_cbranch_execz .LBB55_347
; %bb.340:
	ds_read_b128 v[1:4], v118
	s_andn2_b32 vcc_lo, exec_lo, s64
	s_cbranch_vccnz .LBB55_342
; %bb.341:
	s_clause 0x3
	buffer_load_dword v119, v117, s[0:3], 0 offen offset:8
	buffer_load_dword v120, v117, s[0:3], 0 offen offset:12
	buffer_load_dword v121, v117, s[0:3], 0 offen
	buffer_load_dword v122, v117, s[0:3], 0 offen offset:4
	s_waitcnt vmcnt(2) lgkmcnt(0)
	v_mul_f64 v[124:125], v[3:4], v[119:120]
	v_mul_f64 v[119:120], v[1:2], v[119:120]
	s_waitcnt vmcnt(0)
	v_fma_f64 v[1:2], v[1:2], v[121:122], -v[124:125]
	v_fma_f64 v[3:4], v[3:4], v[121:122], v[119:120]
.LBB55_342:
	s_and_saveexec_b32 s8, s5
	s_cbranch_execz .LBB55_346
; %bb.343:
	v_add_nc_u32_e32 v119, -13, v0
	s_movk_i32 s65, 0x450
	s_mov_b32 s5, 0
	s_mov_b32 s66, s51
	.p2align	6
.LBB55_344:                             ; =>This Inner Loop Header: Depth=1
	v_mov_b32_e32 v122, s66
	v_add_nc_u32_e32 v119, -1, v119
	s_add_i32 s66, s66, 16
	s_clause 0x3
	buffer_load_dword v120, v122, s[0:3], 0 offen offset:8
	buffer_load_dword v121, v122, s[0:3], 0 offen offset:12
	buffer_load_dword v128, v122, s[0:3], 0 offen
	buffer_load_dword v129, v122, s[0:3], 0 offen offset:4
	v_mov_b32_e32 v122, s65
	v_cmp_eq_u32_e32 vcc_lo, 0, v119
	s_add_i32 s65, s65, 16
	ds_read_b128 v[124:127], v122
	s_or_b32 s5, vcc_lo, s5
	s_waitcnt vmcnt(2) lgkmcnt(0)
	v_mul_f64 v[130:131], v[126:127], v[120:121]
	v_mul_f64 v[120:121], v[124:125], v[120:121]
	s_waitcnt vmcnt(0)
	v_fma_f64 v[124:125], v[124:125], v[128:129], -v[130:131]
	v_fma_f64 v[120:121], v[126:127], v[128:129], v[120:121]
	v_add_f64 v[1:2], v[1:2], v[124:125]
	v_add_f64 v[3:4], v[3:4], v[120:121]
	s_andn2_b32 exec_lo, exec_lo, s5
	s_cbranch_execnz .LBB55_344
; %bb.345:
	s_or_b32 exec_lo, exec_lo, s5
.LBB55_346:
	s_or_b32 exec_lo, exec_lo, s8
	v_mov_b32_e32 v119, 0
	ds_read_b128 v[119:122], v119 offset:192
	s_waitcnt lgkmcnt(0)
	v_mul_f64 v[124:125], v[3:4], v[121:122]
	v_mul_f64 v[121:122], v[1:2], v[121:122]
	v_fma_f64 v[1:2], v[1:2], v[119:120], -v[124:125]
	v_fma_f64 v[3:4], v[3:4], v[119:120], v[121:122]
	buffer_store_dword v2, off, s[0:3], 0 offset:196
	buffer_store_dword v1, off, s[0:3], 0 offset:192
	buffer_store_dword v4, off, s[0:3], 0 offset:204
	buffer_store_dword v3, off, s[0:3], 0 offset:200
.LBB55_347:
	s_or_b32 exec_lo, exec_lo, s6
	v_mov_b32_e32 v4, s53
	v_cmp_lt_u32_e64 s5, 11, v0
	s_clause 0x3
	buffer_load_dword v1, v4, s[0:3], 0 offen
	buffer_load_dword v2, v4, s[0:3], 0 offen offset:4
	buffer_load_dword v3, v4, s[0:3], 0 offen offset:8
	;; [unrolled: 1-line block ×3, first 2 shown]
	s_waitcnt vmcnt(0)
	ds_write_b128 v118, v[1:4]
	s_waitcnt lgkmcnt(0)
	s_waitcnt_vscnt null, 0x0
	s_barrier
	buffer_gl0_inv
	s_and_saveexec_b32 s6, s5
	s_cbranch_execz .LBB55_355
; %bb.348:
	ds_read_b128 v[1:4], v118
	s_andn2_b32 vcc_lo, exec_lo, s64
	s_cbranch_vccnz .LBB55_350
; %bb.349:
	s_clause 0x3
	buffer_load_dword v119, v117, s[0:3], 0 offen offset:8
	buffer_load_dword v120, v117, s[0:3], 0 offen offset:12
	buffer_load_dword v121, v117, s[0:3], 0 offen
	buffer_load_dword v122, v117, s[0:3], 0 offen offset:4
	s_waitcnt vmcnt(2) lgkmcnt(0)
	v_mul_f64 v[124:125], v[3:4], v[119:120]
	v_mul_f64 v[119:120], v[1:2], v[119:120]
	s_waitcnt vmcnt(0)
	v_fma_f64 v[1:2], v[1:2], v[121:122], -v[124:125]
	v_fma_f64 v[3:4], v[3:4], v[121:122], v[119:120]
.LBB55_350:
	s_and_saveexec_b32 s8, s4
	s_cbranch_execz .LBB55_354
; %bb.351:
	v_add_nc_u32_e32 v119, -12, v0
	s_movk_i32 s65, 0x440
	s_mov_b32 s4, 0
	s_mov_b32 s66, s52
	.p2align	6
.LBB55_352:                             ; =>This Inner Loop Header: Depth=1
	v_mov_b32_e32 v122, s66
	v_add_nc_u32_e32 v119, -1, v119
	s_add_i32 s66, s66, 16
	s_clause 0x3
	buffer_load_dword v120, v122, s[0:3], 0 offen offset:8
	buffer_load_dword v121, v122, s[0:3], 0 offen offset:12
	buffer_load_dword v128, v122, s[0:3], 0 offen
	buffer_load_dword v129, v122, s[0:3], 0 offen offset:4
	v_mov_b32_e32 v122, s65
	v_cmp_eq_u32_e32 vcc_lo, 0, v119
	s_add_i32 s65, s65, 16
	ds_read_b128 v[124:127], v122
	s_or_b32 s4, vcc_lo, s4
	s_waitcnt vmcnt(2) lgkmcnt(0)
	v_mul_f64 v[130:131], v[126:127], v[120:121]
	v_mul_f64 v[120:121], v[124:125], v[120:121]
	s_waitcnt vmcnt(0)
	v_fma_f64 v[124:125], v[124:125], v[128:129], -v[130:131]
	v_fma_f64 v[120:121], v[126:127], v[128:129], v[120:121]
	v_add_f64 v[1:2], v[1:2], v[124:125]
	v_add_f64 v[3:4], v[3:4], v[120:121]
	s_andn2_b32 exec_lo, exec_lo, s4
	s_cbranch_execnz .LBB55_352
; %bb.353:
	s_or_b32 exec_lo, exec_lo, s4
.LBB55_354:
	s_or_b32 exec_lo, exec_lo, s8
	v_mov_b32_e32 v119, 0
	ds_read_b128 v[119:122], v119 offset:176
	s_waitcnt lgkmcnt(0)
	v_mul_f64 v[124:125], v[3:4], v[121:122]
	v_mul_f64 v[121:122], v[1:2], v[121:122]
	v_fma_f64 v[1:2], v[1:2], v[119:120], -v[124:125]
	v_fma_f64 v[3:4], v[3:4], v[119:120], v[121:122]
	buffer_store_dword v2, off, s[0:3], 0 offset:180
	buffer_store_dword v1, off, s[0:3], 0 offset:176
	;; [unrolled: 1-line block ×4, first 2 shown]
.LBB55_355:
	s_or_b32 exec_lo, exec_lo, s6
	v_mov_b32_e32 v4, s54
	v_cmp_lt_u32_e64 s4, 10, v0
	s_clause 0x3
	buffer_load_dword v1, v4, s[0:3], 0 offen
	buffer_load_dword v2, v4, s[0:3], 0 offen offset:4
	buffer_load_dword v3, v4, s[0:3], 0 offen offset:8
	;; [unrolled: 1-line block ×3, first 2 shown]
	s_waitcnt vmcnt(0)
	ds_write_b128 v118, v[1:4]
	s_waitcnt lgkmcnt(0)
	s_waitcnt_vscnt null, 0x0
	s_barrier
	buffer_gl0_inv
	s_and_saveexec_b32 s6, s4
	s_cbranch_execz .LBB55_363
; %bb.356:
	ds_read_b128 v[1:4], v118
	s_andn2_b32 vcc_lo, exec_lo, s64
	s_cbranch_vccnz .LBB55_358
; %bb.357:
	s_clause 0x3
	buffer_load_dword v119, v117, s[0:3], 0 offen offset:8
	buffer_load_dword v120, v117, s[0:3], 0 offen offset:12
	buffer_load_dword v121, v117, s[0:3], 0 offen
	buffer_load_dword v122, v117, s[0:3], 0 offen offset:4
	s_waitcnt vmcnt(2) lgkmcnt(0)
	v_mul_f64 v[124:125], v[3:4], v[119:120]
	v_mul_f64 v[119:120], v[1:2], v[119:120]
	s_waitcnt vmcnt(0)
	v_fma_f64 v[1:2], v[1:2], v[121:122], -v[124:125]
	v_fma_f64 v[3:4], v[3:4], v[121:122], v[119:120]
.LBB55_358:
	s_and_saveexec_b32 s8, s5
	s_cbranch_execz .LBB55_362
; %bb.359:
	v_add_nc_u32_e32 v119, -11, v0
	s_movk_i32 s65, 0x430
	s_mov_b32 s5, 0
	s_mov_b32 s66, s53
	.p2align	6
.LBB55_360:                             ; =>This Inner Loop Header: Depth=1
	v_mov_b32_e32 v122, s66
	v_add_nc_u32_e32 v119, -1, v119
	s_add_i32 s66, s66, 16
	s_clause 0x3
	buffer_load_dword v120, v122, s[0:3], 0 offen offset:8
	buffer_load_dword v121, v122, s[0:3], 0 offen offset:12
	buffer_load_dword v128, v122, s[0:3], 0 offen
	buffer_load_dword v129, v122, s[0:3], 0 offen offset:4
	v_mov_b32_e32 v122, s65
	v_cmp_eq_u32_e32 vcc_lo, 0, v119
	s_add_i32 s65, s65, 16
	ds_read_b128 v[124:127], v122
	s_or_b32 s5, vcc_lo, s5
	s_waitcnt vmcnt(2) lgkmcnt(0)
	v_mul_f64 v[130:131], v[126:127], v[120:121]
	v_mul_f64 v[120:121], v[124:125], v[120:121]
	s_waitcnt vmcnt(0)
	v_fma_f64 v[124:125], v[124:125], v[128:129], -v[130:131]
	v_fma_f64 v[120:121], v[126:127], v[128:129], v[120:121]
	v_add_f64 v[1:2], v[1:2], v[124:125]
	v_add_f64 v[3:4], v[3:4], v[120:121]
	s_andn2_b32 exec_lo, exec_lo, s5
	s_cbranch_execnz .LBB55_360
; %bb.361:
	s_or_b32 exec_lo, exec_lo, s5
.LBB55_362:
	s_or_b32 exec_lo, exec_lo, s8
	v_mov_b32_e32 v119, 0
	ds_read_b128 v[119:122], v119 offset:160
	s_waitcnt lgkmcnt(0)
	v_mul_f64 v[124:125], v[3:4], v[121:122]
	v_mul_f64 v[121:122], v[1:2], v[121:122]
	v_fma_f64 v[1:2], v[1:2], v[119:120], -v[124:125]
	v_fma_f64 v[3:4], v[3:4], v[119:120], v[121:122]
	buffer_store_dword v2, off, s[0:3], 0 offset:164
	buffer_store_dword v1, off, s[0:3], 0 offset:160
	;; [unrolled: 1-line block ×4, first 2 shown]
.LBB55_363:
	s_or_b32 exec_lo, exec_lo, s6
	v_mov_b32_e32 v4, s55
	v_cmp_lt_u32_e64 s5, 9, v0
	s_clause 0x3
	buffer_load_dword v1, v4, s[0:3], 0 offen
	buffer_load_dword v2, v4, s[0:3], 0 offen offset:4
	buffer_load_dword v3, v4, s[0:3], 0 offen offset:8
	;; [unrolled: 1-line block ×3, first 2 shown]
	s_waitcnt vmcnt(0)
	ds_write_b128 v118, v[1:4]
	s_waitcnt lgkmcnt(0)
	s_waitcnt_vscnt null, 0x0
	s_barrier
	buffer_gl0_inv
	s_and_saveexec_b32 s6, s5
	s_cbranch_execz .LBB55_371
; %bb.364:
	ds_read_b128 v[1:4], v118
	s_andn2_b32 vcc_lo, exec_lo, s64
	s_cbranch_vccnz .LBB55_366
; %bb.365:
	s_clause 0x3
	buffer_load_dword v119, v117, s[0:3], 0 offen offset:8
	buffer_load_dword v120, v117, s[0:3], 0 offen offset:12
	buffer_load_dword v121, v117, s[0:3], 0 offen
	buffer_load_dword v122, v117, s[0:3], 0 offen offset:4
	s_waitcnt vmcnt(2) lgkmcnt(0)
	v_mul_f64 v[124:125], v[3:4], v[119:120]
	v_mul_f64 v[119:120], v[1:2], v[119:120]
	s_waitcnt vmcnt(0)
	v_fma_f64 v[1:2], v[1:2], v[121:122], -v[124:125]
	v_fma_f64 v[3:4], v[3:4], v[121:122], v[119:120]
.LBB55_366:
	s_and_saveexec_b32 s8, s4
	s_cbranch_execz .LBB55_370
; %bb.367:
	v_add_nc_u32_e32 v119, -10, v0
	s_movk_i32 s65, 0x420
	s_mov_b32 s4, 0
	s_mov_b32 s66, s54
	.p2align	6
.LBB55_368:                             ; =>This Inner Loop Header: Depth=1
	v_mov_b32_e32 v122, s66
	v_add_nc_u32_e32 v119, -1, v119
	s_add_i32 s66, s66, 16
	s_clause 0x3
	buffer_load_dword v120, v122, s[0:3], 0 offen offset:8
	buffer_load_dword v121, v122, s[0:3], 0 offen offset:12
	buffer_load_dword v128, v122, s[0:3], 0 offen
	buffer_load_dword v129, v122, s[0:3], 0 offen offset:4
	v_mov_b32_e32 v122, s65
	v_cmp_eq_u32_e32 vcc_lo, 0, v119
	s_add_i32 s65, s65, 16
	ds_read_b128 v[124:127], v122
	s_or_b32 s4, vcc_lo, s4
	s_waitcnt vmcnt(2) lgkmcnt(0)
	v_mul_f64 v[130:131], v[126:127], v[120:121]
	v_mul_f64 v[120:121], v[124:125], v[120:121]
	s_waitcnt vmcnt(0)
	v_fma_f64 v[124:125], v[124:125], v[128:129], -v[130:131]
	v_fma_f64 v[120:121], v[126:127], v[128:129], v[120:121]
	v_add_f64 v[1:2], v[1:2], v[124:125]
	v_add_f64 v[3:4], v[3:4], v[120:121]
	s_andn2_b32 exec_lo, exec_lo, s4
	s_cbranch_execnz .LBB55_368
; %bb.369:
	s_or_b32 exec_lo, exec_lo, s4
.LBB55_370:
	s_or_b32 exec_lo, exec_lo, s8
	v_mov_b32_e32 v119, 0
	ds_read_b128 v[119:122], v119 offset:144
	s_waitcnt lgkmcnt(0)
	v_mul_f64 v[124:125], v[3:4], v[121:122]
	v_mul_f64 v[121:122], v[1:2], v[121:122]
	v_fma_f64 v[1:2], v[1:2], v[119:120], -v[124:125]
	v_fma_f64 v[3:4], v[3:4], v[119:120], v[121:122]
	buffer_store_dword v2, off, s[0:3], 0 offset:148
	buffer_store_dword v1, off, s[0:3], 0 offset:144
	;; [unrolled: 1-line block ×4, first 2 shown]
.LBB55_371:
	s_or_b32 exec_lo, exec_lo, s6
	v_mov_b32_e32 v4, s56
	v_cmp_lt_u32_e64 s4, 8, v0
	s_clause 0x3
	buffer_load_dword v1, v4, s[0:3], 0 offen
	buffer_load_dword v2, v4, s[0:3], 0 offen offset:4
	buffer_load_dword v3, v4, s[0:3], 0 offen offset:8
	;; [unrolled: 1-line block ×3, first 2 shown]
	s_waitcnt vmcnt(0)
	ds_write_b128 v118, v[1:4]
	s_waitcnt lgkmcnt(0)
	s_waitcnt_vscnt null, 0x0
	s_barrier
	buffer_gl0_inv
	s_and_saveexec_b32 s6, s4
	s_cbranch_execz .LBB55_379
; %bb.372:
	ds_read_b128 v[1:4], v118
	s_andn2_b32 vcc_lo, exec_lo, s64
	s_cbranch_vccnz .LBB55_374
; %bb.373:
	s_clause 0x3
	buffer_load_dword v119, v117, s[0:3], 0 offen offset:8
	buffer_load_dword v120, v117, s[0:3], 0 offen offset:12
	buffer_load_dword v121, v117, s[0:3], 0 offen
	buffer_load_dword v122, v117, s[0:3], 0 offen offset:4
	s_waitcnt vmcnt(2) lgkmcnt(0)
	v_mul_f64 v[124:125], v[3:4], v[119:120]
	v_mul_f64 v[119:120], v[1:2], v[119:120]
	s_waitcnt vmcnt(0)
	v_fma_f64 v[1:2], v[1:2], v[121:122], -v[124:125]
	v_fma_f64 v[3:4], v[3:4], v[121:122], v[119:120]
.LBB55_374:
	s_and_saveexec_b32 s8, s5
	s_cbranch_execz .LBB55_378
; %bb.375:
	v_add_nc_u32_e32 v119, -9, v0
	s_movk_i32 s65, 0x410
	s_mov_b32 s5, 0
	s_mov_b32 s66, s55
	.p2align	6
.LBB55_376:                             ; =>This Inner Loop Header: Depth=1
	v_mov_b32_e32 v122, s66
	v_add_nc_u32_e32 v119, -1, v119
	s_add_i32 s66, s66, 16
	s_clause 0x3
	buffer_load_dword v120, v122, s[0:3], 0 offen offset:8
	buffer_load_dword v121, v122, s[0:3], 0 offen offset:12
	buffer_load_dword v128, v122, s[0:3], 0 offen
	buffer_load_dword v129, v122, s[0:3], 0 offen offset:4
	v_mov_b32_e32 v122, s65
	v_cmp_eq_u32_e32 vcc_lo, 0, v119
	s_add_i32 s65, s65, 16
	ds_read_b128 v[124:127], v122
	s_or_b32 s5, vcc_lo, s5
	s_waitcnt vmcnt(2) lgkmcnt(0)
	v_mul_f64 v[130:131], v[126:127], v[120:121]
	v_mul_f64 v[120:121], v[124:125], v[120:121]
	s_waitcnt vmcnt(0)
	v_fma_f64 v[124:125], v[124:125], v[128:129], -v[130:131]
	v_fma_f64 v[120:121], v[126:127], v[128:129], v[120:121]
	v_add_f64 v[1:2], v[1:2], v[124:125]
	v_add_f64 v[3:4], v[3:4], v[120:121]
	s_andn2_b32 exec_lo, exec_lo, s5
	s_cbranch_execnz .LBB55_376
; %bb.377:
	s_or_b32 exec_lo, exec_lo, s5
.LBB55_378:
	s_or_b32 exec_lo, exec_lo, s8
	v_mov_b32_e32 v119, 0
	ds_read_b128 v[119:122], v119 offset:128
	s_waitcnt lgkmcnt(0)
	v_mul_f64 v[124:125], v[3:4], v[121:122]
	v_mul_f64 v[121:122], v[1:2], v[121:122]
	v_fma_f64 v[1:2], v[1:2], v[119:120], -v[124:125]
	v_fma_f64 v[3:4], v[3:4], v[119:120], v[121:122]
	buffer_store_dword v2, off, s[0:3], 0 offset:132
	buffer_store_dword v1, off, s[0:3], 0 offset:128
	;; [unrolled: 1-line block ×4, first 2 shown]
.LBB55_379:
	s_or_b32 exec_lo, exec_lo, s6
	v_mov_b32_e32 v4, s57
	v_cmp_lt_u32_e64 s5, 7, v0
	s_clause 0x3
	buffer_load_dword v1, v4, s[0:3], 0 offen
	buffer_load_dword v2, v4, s[0:3], 0 offen offset:4
	buffer_load_dword v3, v4, s[0:3], 0 offen offset:8
	buffer_load_dword v4, v4, s[0:3], 0 offen offset:12
	s_waitcnt vmcnt(0)
	ds_write_b128 v118, v[1:4]
	s_waitcnt lgkmcnt(0)
	s_waitcnt_vscnt null, 0x0
	s_barrier
	buffer_gl0_inv
	s_and_saveexec_b32 s6, s5
	s_cbranch_execz .LBB55_387
; %bb.380:
	ds_read_b128 v[1:4], v118
	s_andn2_b32 vcc_lo, exec_lo, s64
	s_cbranch_vccnz .LBB55_382
; %bb.381:
	s_clause 0x3
	buffer_load_dword v119, v117, s[0:3], 0 offen offset:8
	buffer_load_dword v120, v117, s[0:3], 0 offen offset:12
	buffer_load_dword v121, v117, s[0:3], 0 offen
	buffer_load_dword v122, v117, s[0:3], 0 offen offset:4
	s_waitcnt vmcnt(2) lgkmcnt(0)
	v_mul_f64 v[124:125], v[3:4], v[119:120]
	v_mul_f64 v[119:120], v[1:2], v[119:120]
	s_waitcnt vmcnt(0)
	v_fma_f64 v[1:2], v[1:2], v[121:122], -v[124:125]
	v_fma_f64 v[3:4], v[3:4], v[121:122], v[119:120]
.LBB55_382:
	s_and_saveexec_b32 s8, s4
	s_cbranch_execz .LBB55_386
; %bb.383:
	v_add_nc_u32_e32 v119, -8, v0
	s_movk_i32 s65, 0x400
	s_mov_b32 s4, 0
	s_mov_b32 s66, s56
	.p2align	6
.LBB55_384:                             ; =>This Inner Loop Header: Depth=1
	v_mov_b32_e32 v122, s66
	v_add_nc_u32_e32 v119, -1, v119
	s_add_i32 s66, s66, 16
	s_clause 0x3
	buffer_load_dword v120, v122, s[0:3], 0 offen offset:8
	buffer_load_dword v121, v122, s[0:3], 0 offen offset:12
	buffer_load_dword v128, v122, s[0:3], 0 offen
	buffer_load_dword v129, v122, s[0:3], 0 offen offset:4
	v_mov_b32_e32 v122, s65
	v_cmp_eq_u32_e32 vcc_lo, 0, v119
	s_add_i32 s65, s65, 16
	ds_read_b128 v[124:127], v122
	s_or_b32 s4, vcc_lo, s4
	s_waitcnt vmcnt(2) lgkmcnt(0)
	v_mul_f64 v[130:131], v[126:127], v[120:121]
	v_mul_f64 v[120:121], v[124:125], v[120:121]
	s_waitcnt vmcnt(0)
	v_fma_f64 v[124:125], v[124:125], v[128:129], -v[130:131]
	v_fma_f64 v[120:121], v[126:127], v[128:129], v[120:121]
	v_add_f64 v[1:2], v[1:2], v[124:125]
	v_add_f64 v[3:4], v[3:4], v[120:121]
	s_andn2_b32 exec_lo, exec_lo, s4
	s_cbranch_execnz .LBB55_384
; %bb.385:
	s_or_b32 exec_lo, exec_lo, s4
.LBB55_386:
	s_or_b32 exec_lo, exec_lo, s8
	v_mov_b32_e32 v119, 0
	ds_read_b128 v[119:122], v119 offset:112
	s_waitcnt lgkmcnt(0)
	v_mul_f64 v[124:125], v[3:4], v[121:122]
	v_mul_f64 v[121:122], v[1:2], v[121:122]
	v_fma_f64 v[1:2], v[1:2], v[119:120], -v[124:125]
	v_fma_f64 v[3:4], v[3:4], v[119:120], v[121:122]
	buffer_store_dword v2, off, s[0:3], 0 offset:116
	buffer_store_dword v1, off, s[0:3], 0 offset:112
	;; [unrolled: 1-line block ×4, first 2 shown]
.LBB55_387:
	s_or_b32 exec_lo, exec_lo, s6
	v_mov_b32_e32 v4, s58
	v_cmp_lt_u32_e64 s4, 6, v0
	s_clause 0x3
	buffer_load_dword v1, v4, s[0:3], 0 offen
	buffer_load_dword v2, v4, s[0:3], 0 offen offset:4
	buffer_load_dword v3, v4, s[0:3], 0 offen offset:8
	;; [unrolled: 1-line block ×3, first 2 shown]
	s_waitcnt vmcnt(0)
	ds_write_b128 v118, v[1:4]
	s_waitcnt lgkmcnt(0)
	s_waitcnt_vscnt null, 0x0
	s_barrier
	buffer_gl0_inv
	s_and_saveexec_b32 s6, s4
	s_cbranch_execz .LBB55_395
; %bb.388:
	ds_read_b128 v[1:4], v118
	s_andn2_b32 vcc_lo, exec_lo, s64
	s_cbranch_vccnz .LBB55_390
; %bb.389:
	s_clause 0x3
	buffer_load_dword v119, v117, s[0:3], 0 offen offset:8
	buffer_load_dword v120, v117, s[0:3], 0 offen offset:12
	buffer_load_dword v121, v117, s[0:3], 0 offen
	buffer_load_dword v122, v117, s[0:3], 0 offen offset:4
	s_waitcnt vmcnt(2) lgkmcnt(0)
	v_mul_f64 v[124:125], v[3:4], v[119:120]
	v_mul_f64 v[119:120], v[1:2], v[119:120]
	s_waitcnt vmcnt(0)
	v_fma_f64 v[1:2], v[1:2], v[121:122], -v[124:125]
	v_fma_f64 v[3:4], v[3:4], v[121:122], v[119:120]
.LBB55_390:
	s_and_saveexec_b32 s8, s5
	s_cbranch_execz .LBB55_394
; %bb.391:
	v_add_nc_u32_e32 v119, -7, v0
	s_movk_i32 s65, 0x3f0
	s_mov_b32 s5, 0
	s_mov_b32 s66, s57
	.p2align	6
.LBB55_392:                             ; =>This Inner Loop Header: Depth=1
	v_mov_b32_e32 v122, s66
	v_add_nc_u32_e32 v119, -1, v119
	s_add_i32 s66, s66, 16
	s_clause 0x3
	buffer_load_dword v120, v122, s[0:3], 0 offen offset:8
	buffer_load_dword v121, v122, s[0:3], 0 offen offset:12
	buffer_load_dword v128, v122, s[0:3], 0 offen
	buffer_load_dword v129, v122, s[0:3], 0 offen offset:4
	v_mov_b32_e32 v122, s65
	v_cmp_eq_u32_e32 vcc_lo, 0, v119
	s_add_i32 s65, s65, 16
	ds_read_b128 v[124:127], v122
	s_or_b32 s5, vcc_lo, s5
	s_waitcnt vmcnt(2) lgkmcnt(0)
	v_mul_f64 v[130:131], v[126:127], v[120:121]
	v_mul_f64 v[120:121], v[124:125], v[120:121]
	s_waitcnt vmcnt(0)
	v_fma_f64 v[124:125], v[124:125], v[128:129], -v[130:131]
	v_fma_f64 v[120:121], v[126:127], v[128:129], v[120:121]
	v_add_f64 v[1:2], v[1:2], v[124:125]
	v_add_f64 v[3:4], v[3:4], v[120:121]
	s_andn2_b32 exec_lo, exec_lo, s5
	s_cbranch_execnz .LBB55_392
; %bb.393:
	s_or_b32 exec_lo, exec_lo, s5
.LBB55_394:
	s_or_b32 exec_lo, exec_lo, s8
	v_mov_b32_e32 v119, 0
	ds_read_b128 v[119:122], v119 offset:96
	s_waitcnt lgkmcnt(0)
	v_mul_f64 v[124:125], v[3:4], v[121:122]
	v_mul_f64 v[121:122], v[1:2], v[121:122]
	v_fma_f64 v[1:2], v[1:2], v[119:120], -v[124:125]
	v_fma_f64 v[3:4], v[3:4], v[119:120], v[121:122]
	buffer_store_dword v2, off, s[0:3], 0 offset:100
	buffer_store_dword v1, off, s[0:3], 0 offset:96
	;; [unrolled: 1-line block ×4, first 2 shown]
.LBB55_395:
	s_or_b32 exec_lo, exec_lo, s6
	v_mov_b32_e32 v4, s59
	v_cmp_lt_u32_e64 s5, 5, v0
	s_clause 0x3
	buffer_load_dword v1, v4, s[0:3], 0 offen
	buffer_load_dword v2, v4, s[0:3], 0 offen offset:4
	buffer_load_dword v3, v4, s[0:3], 0 offen offset:8
	;; [unrolled: 1-line block ×3, first 2 shown]
	s_waitcnt vmcnt(0)
	ds_write_b128 v118, v[1:4]
	s_waitcnt lgkmcnt(0)
	s_waitcnt_vscnt null, 0x0
	s_barrier
	buffer_gl0_inv
	s_and_saveexec_b32 s6, s5
	s_cbranch_execz .LBB55_403
; %bb.396:
	ds_read_b128 v[1:4], v118
	s_andn2_b32 vcc_lo, exec_lo, s64
	s_cbranch_vccnz .LBB55_398
; %bb.397:
	s_clause 0x3
	buffer_load_dword v119, v117, s[0:3], 0 offen offset:8
	buffer_load_dword v120, v117, s[0:3], 0 offen offset:12
	buffer_load_dword v121, v117, s[0:3], 0 offen
	buffer_load_dword v122, v117, s[0:3], 0 offen offset:4
	s_waitcnt vmcnt(2) lgkmcnt(0)
	v_mul_f64 v[124:125], v[3:4], v[119:120]
	v_mul_f64 v[119:120], v[1:2], v[119:120]
	s_waitcnt vmcnt(0)
	v_fma_f64 v[1:2], v[1:2], v[121:122], -v[124:125]
	v_fma_f64 v[3:4], v[3:4], v[121:122], v[119:120]
.LBB55_398:
	s_and_saveexec_b32 s8, s4
	s_cbranch_execz .LBB55_402
; %bb.399:
	v_add_nc_u32_e32 v119, -6, v0
	s_movk_i32 s65, 0x3e0
	s_mov_b32 s4, 0
	s_mov_b32 s66, s58
	.p2align	6
.LBB55_400:                             ; =>This Inner Loop Header: Depth=1
	v_mov_b32_e32 v122, s66
	v_add_nc_u32_e32 v119, -1, v119
	s_add_i32 s66, s66, 16
	s_clause 0x3
	buffer_load_dword v120, v122, s[0:3], 0 offen offset:8
	buffer_load_dword v121, v122, s[0:3], 0 offen offset:12
	buffer_load_dword v128, v122, s[0:3], 0 offen
	buffer_load_dword v129, v122, s[0:3], 0 offen offset:4
	v_mov_b32_e32 v122, s65
	v_cmp_eq_u32_e32 vcc_lo, 0, v119
	s_add_i32 s65, s65, 16
	ds_read_b128 v[124:127], v122
	s_or_b32 s4, vcc_lo, s4
	s_waitcnt vmcnt(2) lgkmcnt(0)
	v_mul_f64 v[130:131], v[126:127], v[120:121]
	v_mul_f64 v[120:121], v[124:125], v[120:121]
	s_waitcnt vmcnt(0)
	v_fma_f64 v[124:125], v[124:125], v[128:129], -v[130:131]
	v_fma_f64 v[120:121], v[126:127], v[128:129], v[120:121]
	v_add_f64 v[1:2], v[1:2], v[124:125]
	v_add_f64 v[3:4], v[3:4], v[120:121]
	s_andn2_b32 exec_lo, exec_lo, s4
	s_cbranch_execnz .LBB55_400
; %bb.401:
	s_or_b32 exec_lo, exec_lo, s4
.LBB55_402:
	s_or_b32 exec_lo, exec_lo, s8
	v_mov_b32_e32 v119, 0
	ds_read_b128 v[119:122], v119 offset:80
	s_waitcnt lgkmcnt(0)
	v_mul_f64 v[124:125], v[3:4], v[121:122]
	v_mul_f64 v[121:122], v[1:2], v[121:122]
	v_fma_f64 v[1:2], v[1:2], v[119:120], -v[124:125]
	v_fma_f64 v[3:4], v[3:4], v[119:120], v[121:122]
	buffer_store_dword v2, off, s[0:3], 0 offset:84
	buffer_store_dword v1, off, s[0:3], 0 offset:80
	buffer_store_dword v4, off, s[0:3], 0 offset:92
	buffer_store_dword v3, off, s[0:3], 0 offset:88
.LBB55_403:
	s_or_b32 exec_lo, exec_lo, s6
	v_mov_b32_e32 v4, s60
	v_cmp_lt_u32_e64 s4, 4, v0
	s_clause 0x3
	buffer_load_dword v1, v4, s[0:3], 0 offen
	buffer_load_dword v2, v4, s[0:3], 0 offen offset:4
	buffer_load_dword v3, v4, s[0:3], 0 offen offset:8
	;; [unrolled: 1-line block ×3, first 2 shown]
	s_waitcnt vmcnt(0)
	ds_write_b128 v118, v[1:4]
	s_waitcnt lgkmcnt(0)
	s_waitcnt_vscnt null, 0x0
	s_barrier
	buffer_gl0_inv
	s_and_saveexec_b32 s6, s4
	s_cbranch_execz .LBB55_411
; %bb.404:
	ds_read_b128 v[1:4], v118
	s_andn2_b32 vcc_lo, exec_lo, s64
	s_cbranch_vccnz .LBB55_406
; %bb.405:
	s_clause 0x3
	buffer_load_dword v119, v117, s[0:3], 0 offen offset:8
	buffer_load_dword v120, v117, s[0:3], 0 offen offset:12
	buffer_load_dword v121, v117, s[0:3], 0 offen
	buffer_load_dword v122, v117, s[0:3], 0 offen offset:4
	s_waitcnt vmcnt(2) lgkmcnt(0)
	v_mul_f64 v[124:125], v[3:4], v[119:120]
	v_mul_f64 v[119:120], v[1:2], v[119:120]
	s_waitcnt vmcnt(0)
	v_fma_f64 v[1:2], v[1:2], v[121:122], -v[124:125]
	v_fma_f64 v[3:4], v[3:4], v[121:122], v[119:120]
.LBB55_406:
	s_and_saveexec_b32 s8, s5
	s_cbranch_execz .LBB55_410
; %bb.407:
	v_add_nc_u32_e32 v119, -5, v0
	s_movk_i32 s65, 0x3d0
	s_mov_b32 s5, 0
	s_mov_b32 s66, s59
	.p2align	6
.LBB55_408:                             ; =>This Inner Loop Header: Depth=1
	v_mov_b32_e32 v122, s66
	v_add_nc_u32_e32 v119, -1, v119
	s_add_i32 s66, s66, 16
	s_clause 0x3
	buffer_load_dword v120, v122, s[0:3], 0 offen offset:8
	buffer_load_dword v121, v122, s[0:3], 0 offen offset:12
	buffer_load_dword v128, v122, s[0:3], 0 offen
	buffer_load_dword v129, v122, s[0:3], 0 offen offset:4
	v_mov_b32_e32 v122, s65
	v_cmp_eq_u32_e32 vcc_lo, 0, v119
	s_add_i32 s65, s65, 16
	ds_read_b128 v[124:127], v122
	s_or_b32 s5, vcc_lo, s5
	s_waitcnt vmcnt(2) lgkmcnt(0)
	v_mul_f64 v[130:131], v[126:127], v[120:121]
	v_mul_f64 v[120:121], v[124:125], v[120:121]
	s_waitcnt vmcnt(0)
	v_fma_f64 v[124:125], v[124:125], v[128:129], -v[130:131]
	v_fma_f64 v[120:121], v[126:127], v[128:129], v[120:121]
	v_add_f64 v[1:2], v[1:2], v[124:125]
	v_add_f64 v[3:4], v[3:4], v[120:121]
	s_andn2_b32 exec_lo, exec_lo, s5
	s_cbranch_execnz .LBB55_408
; %bb.409:
	s_or_b32 exec_lo, exec_lo, s5
.LBB55_410:
	s_or_b32 exec_lo, exec_lo, s8
	v_mov_b32_e32 v119, 0
	ds_read_b128 v[119:122], v119 offset:64
	s_waitcnt lgkmcnt(0)
	v_mul_f64 v[124:125], v[3:4], v[121:122]
	v_mul_f64 v[121:122], v[1:2], v[121:122]
	v_fma_f64 v[1:2], v[1:2], v[119:120], -v[124:125]
	v_fma_f64 v[3:4], v[3:4], v[119:120], v[121:122]
	buffer_store_dword v2, off, s[0:3], 0 offset:68
	buffer_store_dword v1, off, s[0:3], 0 offset:64
	;; [unrolled: 1-line block ×4, first 2 shown]
.LBB55_411:
	s_or_b32 exec_lo, exec_lo, s6
	v_mov_b32_e32 v4, s61
	v_cmp_lt_u32_e64 s5, 3, v0
	s_clause 0x3
	buffer_load_dword v1, v4, s[0:3], 0 offen
	buffer_load_dword v2, v4, s[0:3], 0 offen offset:4
	buffer_load_dword v3, v4, s[0:3], 0 offen offset:8
	;; [unrolled: 1-line block ×3, first 2 shown]
	s_waitcnt vmcnt(0)
	ds_write_b128 v118, v[1:4]
	s_waitcnt lgkmcnt(0)
	s_waitcnt_vscnt null, 0x0
	s_barrier
	buffer_gl0_inv
	s_and_saveexec_b32 s6, s5
	s_cbranch_execz .LBB55_419
; %bb.412:
	ds_read_b128 v[1:4], v118
	s_andn2_b32 vcc_lo, exec_lo, s64
	s_cbranch_vccnz .LBB55_414
; %bb.413:
	s_clause 0x3
	buffer_load_dword v119, v117, s[0:3], 0 offen offset:8
	buffer_load_dword v120, v117, s[0:3], 0 offen offset:12
	buffer_load_dword v121, v117, s[0:3], 0 offen
	buffer_load_dword v122, v117, s[0:3], 0 offen offset:4
	s_waitcnt vmcnt(2) lgkmcnt(0)
	v_mul_f64 v[124:125], v[3:4], v[119:120]
	v_mul_f64 v[119:120], v[1:2], v[119:120]
	s_waitcnt vmcnt(0)
	v_fma_f64 v[1:2], v[1:2], v[121:122], -v[124:125]
	v_fma_f64 v[3:4], v[3:4], v[121:122], v[119:120]
.LBB55_414:
	s_and_saveexec_b32 s8, s4
	s_cbranch_execz .LBB55_418
; %bb.415:
	v_add_nc_u32_e32 v119, -4, v0
	s_movk_i32 s65, 0x3c0
	s_mov_b32 s4, 0
	s_mov_b32 s66, s60
	.p2align	6
.LBB55_416:                             ; =>This Inner Loop Header: Depth=1
	v_mov_b32_e32 v122, s66
	v_add_nc_u32_e32 v119, -1, v119
	s_add_i32 s66, s66, 16
	s_clause 0x3
	buffer_load_dword v120, v122, s[0:3], 0 offen offset:8
	buffer_load_dword v121, v122, s[0:3], 0 offen offset:12
	buffer_load_dword v128, v122, s[0:3], 0 offen
	buffer_load_dword v129, v122, s[0:3], 0 offen offset:4
	v_mov_b32_e32 v122, s65
	v_cmp_eq_u32_e32 vcc_lo, 0, v119
	s_add_i32 s65, s65, 16
	ds_read_b128 v[124:127], v122
	s_or_b32 s4, vcc_lo, s4
	s_waitcnt vmcnt(2) lgkmcnt(0)
	v_mul_f64 v[130:131], v[126:127], v[120:121]
	v_mul_f64 v[120:121], v[124:125], v[120:121]
	s_waitcnt vmcnt(0)
	v_fma_f64 v[124:125], v[124:125], v[128:129], -v[130:131]
	v_fma_f64 v[120:121], v[126:127], v[128:129], v[120:121]
	v_add_f64 v[1:2], v[1:2], v[124:125]
	v_add_f64 v[3:4], v[3:4], v[120:121]
	s_andn2_b32 exec_lo, exec_lo, s4
	s_cbranch_execnz .LBB55_416
; %bb.417:
	s_or_b32 exec_lo, exec_lo, s4
.LBB55_418:
	s_or_b32 exec_lo, exec_lo, s8
	v_mov_b32_e32 v119, 0
	ds_read_b128 v[119:122], v119 offset:48
	s_waitcnt lgkmcnt(0)
	v_mul_f64 v[124:125], v[3:4], v[121:122]
	v_mul_f64 v[121:122], v[1:2], v[121:122]
	v_fma_f64 v[1:2], v[1:2], v[119:120], -v[124:125]
	v_fma_f64 v[3:4], v[3:4], v[119:120], v[121:122]
	buffer_store_dword v2, off, s[0:3], 0 offset:52
	buffer_store_dword v1, off, s[0:3], 0 offset:48
	;; [unrolled: 1-line block ×4, first 2 shown]
.LBB55_419:
	s_or_b32 exec_lo, exec_lo, s6
	v_mov_b32_e32 v4, s63
	v_cmp_lt_u32_e64 s6, 2, v0
	s_clause 0x3
	buffer_load_dword v1, v4, s[0:3], 0 offen
	buffer_load_dword v2, v4, s[0:3], 0 offen offset:4
	buffer_load_dword v3, v4, s[0:3], 0 offen offset:8
	;; [unrolled: 1-line block ×3, first 2 shown]
	s_waitcnt vmcnt(0)
	ds_write_b128 v118, v[1:4]
	s_waitcnt lgkmcnt(0)
	s_waitcnt_vscnt null, 0x0
	s_barrier
	buffer_gl0_inv
	s_and_saveexec_b32 s4, s6
	s_cbranch_execz .LBB55_427
; %bb.420:
	ds_read_b128 v[1:4], v118
	s_andn2_b32 vcc_lo, exec_lo, s64
	s_cbranch_vccnz .LBB55_422
; %bb.421:
	s_clause 0x3
	buffer_load_dword v119, v117, s[0:3], 0 offen offset:8
	buffer_load_dword v120, v117, s[0:3], 0 offen offset:12
	buffer_load_dword v121, v117, s[0:3], 0 offen
	buffer_load_dword v122, v117, s[0:3], 0 offen offset:4
	s_waitcnt vmcnt(2) lgkmcnt(0)
	v_mul_f64 v[124:125], v[3:4], v[119:120]
	v_mul_f64 v[119:120], v[1:2], v[119:120]
	s_waitcnt vmcnt(0)
	v_fma_f64 v[1:2], v[1:2], v[121:122], -v[124:125]
	v_fma_f64 v[3:4], v[3:4], v[121:122], v[119:120]
.LBB55_422:
	s_and_saveexec_b32 s8, s5
	s_cbranch_execz .LBB55_426
; %bb.423:
	v_add_nc_u32_e32 v119, -3, v0
	s_movk_i32 s65, 0x3b0
	s_mov_b32 s5, 0
	s_mov_b32 s66, s61
	.p2align	6
.LBB55_424:                             ; =>This Inner Loop Header: Depth=1
	v_mov_b32_e32 v122, s66
	v_add_nc_u32_e32 v119, -1, v119
	s_add_i32 s66, s66, 16
	s_clause 0x3
	buffer_load_dword v120, v122, s[0:3], 0 offen offset:8
	buffer_load_dword v121, v122, s[0:3], 0 offen offset:12
	buffer_load_dword v128, v122, s[0:3], 0 offen
	buffer_load_dword v129, v122, s[0:3], 0 offen offset:4
	v_mov_b32_e32 v122, s65
	v_cmp_eq_u32_e32 vcc_lo, 0, v119
	s_add_i32 s65, s65, 16
	ds_read_b128 v[124:127], v122
	s_or_b32 s5, vcc_lo, s5
	s_waitcnt vmcnt(2) lgkmcnt(0)
	v_mul_f64 v[130:131], v[126:127], v[120:121]
	v_mul_f64 v[120:121], v[124:125], v[120:121]
	s_waitcnt vmcnt(0)
	v_fma_f64 v[124:125], v[124:125], v[128:129], -v[130:131]
	v_fma_f64 v[120:121], v[126:127], v[128:129], v[120:121]
	v_add_f64 v[1:2], v[1:2], v[124:125]
	v_add_f64 v[3:4], v[3:4], v[120:121]
	s_andn2_b32 exec_lo, exec_lo, s5
	s_cbranch_execnz .LBB55_424
; %bb.425:
	s_or_b32 exec_lo, exec_lo, s5
.LBB55_426:
	s_or_b32 exec_lo, exec_lo, s8
	v_mov_b32_e32 v119, 0
	ds_read_b128 v[119:122], v119 offset:32
	s_waitcnt lgkmcnt(0)
	v_mul_f64 v[124:125], v[3:4], v[121:122]
	v_mul_f64 v[121:122], v[1:2], v[121:122]
	v_fma_f64 v[1:2], v[1:2], v[119:120], -v[124:125]
	v_fma_f64 v[3:4], v[3:4], v[119:120], v[121:122]
	buffer_store_dword v2, off, s[0:3], 0 offset:36
	buffer_store_dword v1, off, s[0:3], 0 offset:32
	;; [unrolled: 1-line block ×4, first 2 shown]
.LBB55_427:
	s_or_b32 exec_lo, exec_lo, s4
	v_mov_b32_e32 v4, s62
	v_cmp_lt_u32_e64 s4, 1, v0
	s_clause 0x3
	buffer_load_dword v1, v4, s[0:3], 0 offen
	buffer_load_dword v2, v4, s[0:3], 0 offen offset:4
	buffer_load_dword v3, v4, s[0:3], 0 offen offset:8
	;; [unrolled: 1-line block ×3, first 2 shown]
	s_waitcnt vmcnt(0)
	ds_write_b128 v118, v[1:4]
	s_waitcnt lgkmcnt(0)
	s_waitcnt_vscnt null, 0x0
	s_barrier
	buffer_gl0_inv
	s_and_saveexec_b32 s5, s4
	s_cbranch_execz .LBB55_435
; %bb.428:
	ds_read_b128 v[1:4], v118
	s_andn2_b32 vcc_lo, exec_lo, s64
	s_cbranch_vccnz .LBB55_430
; %bb.429:
	s_clause 0x3
	buffer_load_dword v119, v117, s[0:3], 0 offen offset:8
	buffer_load_dword v120, v117, s[0:3], 0 offen offset:12
	buffer_load_dword v121, v117, s[0:3], 0 offen
	buffer_load_dword v122, v117, s[0:3], 0 offen offset:4
	s_waitcnt vmcnt(2) lgkmcnt(0)
	v_mul_f64 v[124:125], v[3:4], v[119:120]
	v_mul_f64 v[119:120], v[1:2], v[119:120]
	s_waitcnt vmcnt(0)
	v_fma_f64 v[1:2], v[1:2], v[121:122], -v[124:125]
	v_fma_f64 v[3:4], v[3:4], v[121:122], v[119:120]
.LBB55_430:
	s_and_saveexec_b32 s8, s6
	s_cbranch_execz .LBB55_434
; %bb.431:
	v_add_nc_u32_e32 v119, -2, v0
	s_movk_i32 s65, 0x3a0
	s_mov_b32 s6, 0
	s_mov_b32 s66, s63
	.p2align	6
.LBB55_432:                             ; =>This Inner Loop Header: Depth=1
	v_mov_b32_e32 v122, s66
	v_add_nc_u32_e32 v119, -1, v119
	s_add_i32 s66, s66, 16
	s_clause 0x3
	buffer_load_dword v120, v122, s[0:3], 0 offen offset:8
	buffer_load_dword v121, v122, s[0:3], 0 offen offset:12
	buffer_load_dword v128, v122, s[0:3], 0 offen
	buffer_load_dword v129, v122, s[0:3], 0 offen offset:4
	v_mov_b32_e32 v122, s65
	v_cmp_eq_u32_e32 vcc_lo, 0, v119
	s_add_i32 s65, s65, 16
	ds_read_b128 v[124:127], v122
	s_or_b32 s6, vcc_lo, s6
	s_waitcnt vmcnt(2) lgkmcnt(0)
	v_mul_f64 v[130:131], v[126:127], v[120:121]
	v_mul_f64 v[120:121], v[124:125], v[120:121]
	s_waitcnt vmcnt(0)
	v_fma_f64 v[124:125], v[124:125], v[128:129], -v[130:131]
	v_fma_f64 v[120:121], v[126:127], v[128:129], v[120:121]
	v_add_f64 v[1:2], v[1:2], v[124:125]
	v_add_f64 v[3:4], v[3:4], v[120:121]
	s_andn2_b32 exec_lo, exec_lo, s6
	s_cbranch_execnz .LBB55_432
; %bb.433:
	s_or_b32 exec_lo, exec_lo, s6
.LBB55_434:
	s_or_b32 exec_lo, exec_lo, s8
	v_mov_b32_e32 v119, 0
	ds_read_b128 v[119:122], v119 offset:16
	s_waitcnt lgkmcnt(0)
	v_mul_f64 v[124:125], v[3:4], v[121:122]
	v_mul_f64 v[121:122], v[1:2], v[121:122]
	v_fma_f64 v[1:2], v[1:2], v[119:120], -v[124:125]
	v_fma_f64 v[3:4], v[3:4], v[119:120], v[121:122]
	buffer_store_dword v2, off, s[0:3], 0 offset:20
	buffer_store_dword v1, off, s[0:3], 0 offset:16
	;; [unrolled: 1-line block ×4, first 2 shown]
.LBB55_435:
	s_or_b32 exec_lo, exec_lo, s5
	s_clause 0x3
	buffer_load_dword v1, off, s[0:3], 0
	buffer_load_dword v2, off, s[0:3], 0 offset:4
	buffer_load_dword v3, off, s[0:3], 0 offset:8
	;; [unrolled: 1-line block ×3, first 2 shown]
	s_mov_b32 s6, 0
	s_mov_b32 s5, 0
	s_mov_b32 s8, exec_lo
                                        ; implicit-def: $sgpr65
	s_waitcnt vmcnt(0)
	ds_write_b128 v118, v[1:4]
	s_waitcnt lgkmcnt(0)
	s_waitcnt_vscnt null, 0x0
	s_barrier
	buffer_gl0_inv
                                        ; implicit-def: $vgpr1_vgpr2
	v_cmpx_ne_u32_e32 0, v0
	s_cbranch_execz .LBB55_443
; %bb.436:
	ds_read_b128 v[1:4], v118
	s_andn2_b32 vcc_lo, exec_lo, s64
	s_cbranch_vccnz .LBB55_438
; %bb.437:
	s_clause 0x3
	buffer_load_dword v119, v117, s[0:3], 0 offen offset:8
	buffer_load_dword v120, v117, s[0:3], 0 offen offset:12
	buffer_load_dword v121, v117, s[0:3], 0 offen
	buffer_load_dword v122, v117, s[0:3], 0 offen offset:4
	s_waitcnt vmcnt(2) lgkmcnt(0)
	v_mul_f64 v[124:125], v[3:4], v[119:120]
	v_mul_f64 v[119:120], v[1:2], v[119:120]
	s_waitcnt vmcnt(0)
	v_fma_f64 v[1:2], v[1:2], v[121:122], -v[124:125]
	v_fma_f64 v[3:4], v[3:4], v[121:122], v[119:120]
.LBB55_438:
	s_and_saveexec_b32 s5, s4
	s_cbranch_execz .LBB55_442
; %bb.439:
	v_add_nc_u32_e32 v119, -1, v0
	s_movk_i32 s65, 0x390
	s_mov_b32 s4, 0
	s_mov_b32 s66, s62
	.p2align	6
.LBB55_440:                             ; =>This Inner Loop Header: Depth=1
	v_mov_b32_e32 v122, s66
	v_add_nc_u32_e32 v119, -1, v119
	s_add_i32 s66, s66, 16
	s_clause 0x3
	buffer_load_dword v120, v122, s[0:3], 0 offen offset:8
	buffer_load_dword v121, v122, s[0:3], 0 offen offset:12
	buffer_load_dword v128, v122, s[0:3], 0 offen
	buffer_load_dword v129, v122, s[0:3], 0 offen offset:4
	v_mov_b32_e32 v122, s65
	v_cmp_eq_u32_e32 vcc_lo, 0, v119
	s_add_i32 s65, s65, 16
	ds_read_b128 v[124:127], v122
	s_or_b32 s4, vcc_lo, s4
	s_waitcnt vmcnt(2) lgkmcnt(0)
	v_mul_f64 v[130:131], v[126:127], v[120:121]
	v_mul_f64 v[120:121], v[124:125], v[120:121]
	s_waitcnt vmcnt(0)
	v_fma_f64 v[124:125], v[124:125], v[128:129], -v[130:131]
	v_fma_f64 v[120:121], v[126:127], v[128:129], v[120:121]
	v_add_f64 v[1:2], v[1:2], v[124:125]
	v_add_f64 v[3:4], v[3:4], v[120:121]
	s_andn2_b32 exec_lo, exec_lo, s4
	s_cbranch_execnz .LBB55_440
; %bb.441:
	s_or_b32 exec_lo, exec_lo, s4
.LBB55_442:
	s_or_b32 exec_lo, exec_lo, s5
	v_mov_b32_e32 v119, 0
	s_mov_b32 s5, exec_lo
	s_or_b32 s65, 0, 8
	ds_read_b128 v[119:122], v119
	s_waitcnt lgkmcnt(0)
	v_mul_f64 v[124:125], v[3:4], v[121:122]
	v_mul_f64 v[121:122], v[1:2], v[121:122]
	v_fma_f64 v[124:125], v[1:2], v[119:120], -v[124:125]
	v_fma_f64 v[1:2], v[3:4], v[119:120], v[121:122]
	buffer_store_dword v125, off, s[0:3], 0 offset:4
	buffer_store_dword v124, off, s[0:3], 0
.LBB55_443:
	s_or_b32 exec_lo, exec_lo, s8
	s_and_b32 vcc_lo, exec_lo, s6
	s_cbranch_vccnz .LBB55_445
	s_branch .LBB55_880
.LBB55_444:
	s_mov_b32 s5, 0
                                        ; implicit-def: $vgpr1_vgpr2
                                        ; implicit-def: $sgpr65
	s_cbranch_execz .LBB55_880
.LBB55_445:
	v_mov_b32_e32 v4, s62
	v_cmp_eq_u32_e64 s4, 0, v0
	v_cndmask_b32_e64 v119, 0, 1, s64
	s_clause 0x3
	buffer_load_dword v1, v4, s[0:3], 0 offen
	buffer_load_dword v2, v4, s[0:3], 0 offen offset:4
	buffer_load_dword v3, v4, s[0:3], 0 offen offset:8
	;; [unrolled: 1-line block ×3, first 2 shown]
	s_waitcnt vmcnt(0)
	ds_write_b128 v118, v[1:4]
	s_waitcnt lgkmcnt(0)
	s_waitcnt_vscnt null, 0x0
	s_barrier
	buffer_gl0_inv
	s_and_saveexec_b32 s6, s4
	s_cbranch_execz .LBB55_449
; %bb.446:
	ds_read_b128 v[1:4], v118
	s_andn2_b32 vcc_lo, exec_lo, s64
	s_cbranch_vccnz .LBB55_448
; %bb.447:
	s_clause 0x3
	buffer_load_dword v120, v117, s[0:3], 0 offen offset:8
	buffer_load_dword v121, v117, s[0:3], 0 offen offset:12
	buffer_load_dword v124, v117, s[0:3], 0 offen
	buffer_load_dword v125, v117, s[0:3], 0 offen offset:4
	s_waitcnt vmcnt(2) lgkmcnt(0)
	v_mul_f64 v[126:127], v[3:4], v[120:121]
	v_mul_f64 v[120:121], v[1:2], v[120:121]
	s_waitcnt vmcnt(0)
	v_fma_f64 v[1:2], v[1:2], v[124:125], -v[126:127]
	v_fma_f64 v[3:4], v[3:4], v[124:125], v[120:121]
.LBB55_448:
	v_mov_b32_e32 v120, 0
	ds_read_b128 v[124:127], v120 offset:16
	s_waitcnt lgkmcnt(0)
	v_mul_f64 v[120:121], v[3:4], v[126:127]
	v_mul_f64 v[126:127], v[1:2], v[126:127]
	v_fma_f64 v[1:2], v[1:2], v[124:125], -v[120:121]
	v_fma_f64 v[3:4], v[3:4], v[124:125], v[126:127]
	buffer_store_dword v2, off, s[0:3], 0 offset:20
	buffer_store_dword v1, off, s[0:3], 0 offset:16
	buffer_store_dword v4, off, s[0:3], 0 offset:28
	buffer_store_dword v3, off, s[0:3], 0 offset:24
.LBB55_449:
	s_or_b32 exec_lo, exec_lo, s6
	v_mov_b32_e32 v4, s63
	s_mov_b32 s6, exec_lo
	s_clause 0x3
	buffer_load_dword v1, v4, s[0:3], 0 offen
	buffer_load_dword v2, v4, s[0:3], 0 offen offset:4
	buffer_load_dword v3, v4, s[0:3], 0 offen offset:8
	;; [unrolled: 1-line block ×3, first 2 shown]
	s_waitcnt vmcnt(0)
	ds_write_b128 v118, v[1:4]
	s_waitcnt lgkmcnt(0)
	s_waitcnt_vscnt null, 0x0
	s_barrier
	buffer_gl0_inv
	v_cmpx_gt_u32_e32 2, v0
	s_cbranch_execz .LBB55_455
; %bb.450:
	ds_read_b128 v[1:4], v118
	v_cmp_ne_u32_e32 vcc_lo, 1, v119
	s_cbranch_vccnz .LBB55_452
; %bb.451:
	s_clause 0x3
	buffer_load_dword v120, v117, s[0:3], 0 offen offset:8
	buffer_load_dword v121, v117, s[0:3], 0 offen offset:12
	buffer_load_dword v124, v117, s[0:3], 0 offen
	buffer_load_dword v125, v117, s[0:3], 0 offen offset:4
	s_waitcnt vmcnt(2) lgkmcnt(0)
	v_mul_f64 v[126:127], v[3:4], v[120:121]
	v_mul_f64 v[120:121], v[1:2], v[120:121]
	s_waitcnt vmcnt(0)
	v_fma_f64 v[1:2], v[1:2], v[124:125], -v[126:127]
	v_fma_f64 v[3:4], v[3:4], v[124:125], v[120:121]
.LBB55_452:
	s_and_saveexec_b32 s8, s4
	s_cbranch_execz .LBB55_454
; %bb.453:
	s_clause 0x3
	buffer_load_dword v120, off, s[0:3], 0 offset:24
	buffer_load_dword v121, off, s[0:3], 0 offset:28
	;; [unrolled: 1-line block ×4, first 2 shown]
	v_mov_b32_e32 v122, 0
	ds_read_b128 v[124:127], v122 offset:912
	s_waitcnt vmcnt(2) lgkmcnt(0)
	v_mul_f64 v[130:131], v[126:127], v[120:121]
	v_mul_f64 v[120:121], v[124:125], v[120:121]
	s_waitcnt vmcnt(0)
	v_fma_f64 v[124:125], v[124:125], v[128:129], -v[130:131]
	v_fma_f64 v[120:121], v[126:127], v[128:129], v[120:121]
	v_add_f64 v[1:2], v[1:2], v[124:125]
	v_add_f64 v[3:4], v[3:4], v[120:121]
.LBB55_454:
	s_or_b32 exec_lo, exec_lo, s8
	v_mov_b32_e32 v120, 0
	ds_read_b128 v[124:127], v120 offset:32
	s_waitcnt lgkmcnt(0)
	v_mul_f64 v[120:121], v[3:4], v[126:127]
	v_mul_f64 v[126:127], v[1:2], v[126:127]
	v_fma_f64 v[1:2], v[1:2], v[124:125], -v[120:121]
	v_fma_f64 v[3:4], v[3:4], v[124:125], v[126:127]
	buffer_store_dword v2, off, s[0:3], 0 offset:36
	buffer_store_dword v1, off, s[0:3], 0 offset:32
	;; [unrolled: 1-line block ×4, first 2 shown]
.LBB55_455:
	s_or_b32 exec_lo, exec_lo, s6
	v_mov_b32_e32 v4, s61
	s_mov_b32 s6, exec_lo
	s_clause 0x3
	buffer_load_dword v1, v4, s[0:3], 0 offen
	buffer_load_dword v2, v4, s[0:3], 0 offen offset:4
	buffer_load_dword v3, v4, s[0:3], 0 offen offset:8
	;; [unrolled: 1-line block ×3, first 2 shown]
	s_waitcnt vmcnt(0)
	ds_write_b128 v118, v[1:4]
	s_waitcnt lgkmcnt(0)
	s_waitcnt_vscnt null, 0x0
	s_barrier
	buffer_gl0_inv
	v_cmpx_gt_u32_e32 3, v0
	s_cbranch_execz .LBB55_463
; %bb.456:
	ds_read_b128 v[1:4], v118
	v_cmp_ne_u32_e32 vcc_lo, 1, v119
	s_cbranch_vccnz .LBB55_458
; %bb.457:
	s_clause 0x3
	buffer_load_dword v120, v117, s[0:3], 0 offen offset:8
	buffer_load_dword v121, v117, s[0:3], 0 offen offset:12
	buffer_load_dword v124, v117, s[0:3], 0 offen
	buffer_load_dword v125, v117, s[0:3], 0 offen offset:4
	s_waitcnt vmcnt(2) lgkmcnt(0)
	v_mul_f64 v[126:127], v[3:4], v[120:121]
	v_mul_f64 v[120:121], v[1:2], v[120:121]
	s_waitcnt vmcnt(0)
	v_fma_f64 v[1:2], v[1:2], v[124:125], -v[126:127]
	v_fma_f64 v[3:4], v[3:4], v[124:125], v[120:121]
.LBB55_458:
	s_mov_b32 s8, exec_lo
	v_cmpx_ne_u32_e32 2, v0
	s_cbranch_execz .LBB55_462
; %bb.459:
	s_clause 0x3
	buffer_load_dword v120, v117, s[0:3], 0 offen offset:24
	buffer_load_dword v121, v117, s[0:3], 0 offen offset:28
	;; [unrolled: 1-line block ×4, first 2 shown]
	ds_read_b128 v[124:127], v118 offset:16
	s_waitcnt vmcnt(2) lgkmcnt(0)
	v_mul_f64 v[130:131], v[126:127], v[120:121]
	v_mul_f64 v[120:121], v[124:125], v[120:121]
	s_waitcnt vmcnt(0)
	v_fma_f64 v[124:125], v[124:125], v[128:129], -v[130:131]
	v_fma_f64 v[120:121], v[126:127], v[128:129], v[120:121]
	v_add_f64 v[1:2], v[1:2], v[124:125]
	v_add_f64 v[3:4], v[3:4], v[120:121]
	s_and_saveexec_b32 s64, s4
	s_cbranch_execz .LBB55_461
; %bb.460:
	s_clause 0x3
	buffer_load_dword v120, off, s[0:3], 0 offset:40
	buffer_load_dword v121, off, s[0:3], 0 offset:44
	;; [unrolled: 1-line block ×4, first 2 shown]
	v_mov_b32_e32 v122, 0
	ds_read_b128 v[124:127], v122 offset:928
	s_waitcnt vmcnt(2) lgkmcnt(0)
	v_mul_f64 v[130:131], v[124:125], v[120:121]
	v_mul_f64 v[120:121], v[126:127], v[120:121]
	s_waitcnt vmcnt(0)
	v_fma_f64 v[126:127], v[126:127], v[128:129], v[130:131]
	v_fma_f64 v[120:121], v[124:125], v[128:129], -v[120:121]
	v_add_f64 v[3:4], v[3:4], v[126:127]
	v_add_f64 v[1:2], v[1:2], v[120:121]
.LBB55_461:
	s_or_b32 exec_lo, exec_lo, s64
.LBB55_462:
	s_or_b32 exec_lo, exec_lo, s8
	v_mov_b32_e32 v120, 0
	ds_read_b128 v[124:127], v120 offset:48
	s_waitcnt lgkmcnt(0)
	v_mul_f64 v[120:121], v[3:4], v[126:127]
	v_mul_f64 v[126:127], v[1:2], v[126:127]
	v_fma_f64 v[1:2], v[1:2], v[124:125], -v[120:121]
	v_fma_f64 v[3:4], v[3:4], v[124:125], v[126:127]
	buffer_store_dword v2, off, s[0:3], 0 offset:52
	buffer_store_dword v1, off, s[0:3], 0 offset:48
	;; [unrolled: 1-line block ×4, first 2 shown]
.LBB55_463:
	s_or_b32 exec_lo, exec_lo, s6
	v_mov_b32_e32 v4, s60
	s_mov_b32 s4, exec_lo
	s_clause 0x3
	buffer_load_dword v1, v4, s[0:3], 0 offen
	buffer_load_dword v2, v4, s[0:3], 0 offen offset:4
	buffer_load_dword v3, v4, s[0:3], 0 offen offset:8
	;; [unrolled: 1-line block ×3, first 2 shown]
	s_waitcnt vmcnt(0)
	ds_write_b128 v118, v[1:4]
	s_waitcnt lgkmcnt(0)
	s_waitcnt_vscnt null, 0x0
	s_barrier
	buffer_gl0_inv
	v_cmpx_gt_u32_e32 4, v0
	s_cbranch_execz .LBB55_471
; %bb.464:
	ds_read_b128 v[1:4], v118
	v_cmp_ne_u32_e32 vcc_lo, 1, v119
	s_cbranch_vccnz .LBB55_466
; %bb.465:
	s_clause 0x3
	buffer_load_dword v120, v117, s[0:3], 0 offen offset:8
	buffer_load_dword v121, v117, s[0:3], 0 offen offset:12
	buffer_load_dword v124, v117, s[0:3], 0 offen
	buffer_load_dword v125, v117, s[0:3], 0 offen offset:4
	s_waitcnt vmcnt(2) lgkmcnt(0)
	v_mul_f64 v[126:127], v[3:4], v[120:121]
	v_mul_f64 v[120:121], v[1:2], v[120:121]
	s_waitcnt vmcnt(0)
	v_fma_f64 v[1:2], v[1:2], v[124:125], -v[126:127]
	v_fma_f64 v[3:4], v[3:4], v[124:125], v[120:121]
.LBB55_466:
	s_mov_b32 s6, exec_lo
	v_cmpx_ne_u32_e32 3, v0
	s_cbranch_execz .LBB55_470
; %bb.467:
	v_add_nc_u32_e32 v120, 0x390, v123
	v_add3_u32 v121, 0, v123, 16
	v_mov_b32_e32 v122, v0
	s_mov_b32 s8, 0
	.p2align	6
.LBB55_468:                             ; =>This Inner Loop Header: Depth=1
	s_clause 0x3
	buffer_load_dword v128, v121, s[0:3], 0 offen offset:8
	buffer_load_dword v129, v121, s[0:3], 0 offen offset:12
	buffer_load_dword v130, v121, s[0:3], 0 offen
	buffer_load_dword v131, v121, s[0:3], 0 offen offset:4
	ds_read_b128 v[124:127], v120
	v_add_nc_u32_e32 v122, 1, v122
	v_add_nc_u32_e32 v120, 16, v120
	;; [unrolled: 1-line block ×3, first 2 shown]
	v_cmp_lt_u32_e32 vcc_lo, 2, v122
	s_or_b32 s8, vcc_lo, s8
	s_waitcnt vmcnt(2) lgkmcnt(0)
	v_mul_f64 v[132:133], v[126:127], v[128:129]
	v_mul_f64 v[128:129], v[124:125], v[128:129]
	s_waitcnt vmcnt(0)
	v_fma_f64 v[124:125], v[124:125], v[130:131], -v[132:133]
	v_fma_f64 v[126:127], v[126:127], v[130:131], v[128:129]
	v_add_f64 v[1:2], v[1:2], v[124:125]
	v_add_f64 v[3:4], v[3:4], v[126:127]
	s_andn2_b32 exec_lo, exec_lo, s8
	s_cbranch_execnz .LBB55_468
; %bb.469:
	s_or_b32 exec_lo, exec_lo, s8
.LBB55_470:
	s_or_b32 exec_lo, exec_lo, s6
	v_mov_b32_e32 v120, 0
	ds_read_b128 v[124:127], v120 offset:64
	s_waitcnt lgkmcnt(0)
	v_mul_f64 v[120:121], v[3:4], v[126:127]
	v_mul_f64 v[126:127], v[1:2], v[126:127]
	v_fma_f64 v[1:2], v[1:2], v[124:125], -v[120:121]
	v_fma_f64 v[3:4], v[3:4], v[124:125], v[126:127]
	buffer_store_dword v2, off, s[0:3], 0 offset:68
	buffer_store_dword v1, off, s[0:3], 0 offset:64
	;; [unrolled: 1-line block ×4, first 2 shown]
.LBB55_471:
	s_or_b32 exec_lo, exec_lo, s4
	v_mov_b32_e32 v4, s59
	s_mov_b32 s4, exec_lo
	s_clause 0x3
	buffer_load_dword v1, v4, s[0:3], 0 offen
	buffer_load_dword v2, v4, s[0:3], 0 offen offset:4
	buffer_load_dword v3, v4, s[0:3], 0 offen offset:8
	;; [unrolled: 1-line block ×3, first 2 shown]
	s_waitcnt vmcnt(0)
	ds_write_b128 v118, v[1:4]
	s_waitcnt lgkmcnt(0)
	s_waitcnt_vscnt null, 0x0
	s_barrier
	buffer_gl0_inv
	v_cmpx_gt_u32_e32 5, v0
	s_cbranch_execz .LBB55_479
; %bb.472:
	ds_read_b128 v[1:4], v118
	v_cmp_ne_u32_e32 vcc_lo, 1, v119
	s_cbranch_vccnz .LBB55_474
; %bb.473:
	s_clause 0x3
	buffer_load_dword v120, v117, s[0:3], 0 offen offset:8
	buffer_load_dword v121, v117, s[0:3], 0 offen offset:12
	buffer_load_dword v124, v117, s[0:3], 0 offen
	buffer_load_dword v125, v117, s[0:3], 0 offen offset:4
	s_waitcnt vmcnt(2) lgkmcnt(0)
	v_mul_f64 v[126:127], v[3:4], v[120:121]
	v_mul_f64 v[120:121], v[1:2], v[120:121]
	s_waitcnt vmcnt(0)
	v_fma_f64 v[1:2], v[1:2], v[124:125], -v[126:127]
	v_fma_f64 v[3:4], v[3:4], v[124:125], v[120:121]
.LBB55_474:
	s_mov_b32 s6, exec_lo
	v_cmpx_ne_u32_e32 4, v0
	s_cbranch_execz .LBB55_478
; %bb.475:
	v_add_nc_u32_e32 v120, 0x390, v123
	v_add3_u32 v121, 0, v123, 16
	v_mov_b32_e32 v122, v0
	s_mov_b32 s8, 0
	.p2align	6
.LBB55_476:                             ; =>This Inner Loop Header: Depth=1
	s_clause 0x3
	buffer_load_dword v128, v121, s[0:3], 0 offen offset:8
	buffer_load_dword v129, v121, s[0:3], 0 offen offset:12
	buffer_load_dword v130, v121, s[0:3], 0 offen
	buffer_load_dword v131, v121, s[0:3], 0 offen offset:4
	ds_read_b128 v[124:127], v120
	v_add_nc_u32_e32 v122, 1, v122
	v_add_nc_u32_e32 v120, 16, v120
	;; [unrolled: 1-line block ×3, first 2 shown]
	v_cmp_lt_u32_e32 vcc_lo, 3, v122
	s_or_b32 s8, vcc_lo, s8
	s_waitcnt vmcnt(2) lgkmcnt(0)
	v_mul_f64 v[132:133], v[126:127], v[128:129]
	v_mul_f64 v[128:129], v[124:125], v[128:129]
	s_waitcnt vmcnt(0)
	v_fma_f64 v[124:125], v[124:125], v[130:131], -v[132:133]
	v_fma_f64 v[126:127], v[126:127], v[130:131], v[128:129]
	v_add_f64 v[1:2], v[1:2], v[124:125]
	v_add_f64 v[3:4], v[3:4], v[126:127]
	s_andn2_b32 exec_lo, exec_lo, s8
	s_cbranch_execnz .LBB55_476
; %bb.477:
	s_or_b32 exec_lo, exec_lo, s8
.LBB55_478:
	s_or_b32 exec_lo, exec_lo, s6
	v_mov_b32_e32 v120, 0
	ds_read_b128 v[124:127], v120 offset:80
	s_waitcnt lgkmcnt(0)
	v_mul_f64 v[120:121], v[3:4], v[126:127]
	v_mul_f64 v[126:127], v[1:2], v[126:127]
	v_fma_f64 v[1:2], v[1:2], v[124:125], -v[120:121]
	v_fma_f64 v[3:4], v[3:4], v[124:125], v[126:127]
	buffer_store_dword v2, off, s[0:3], 0 offset:84
	buffer_store_dword v1, off, s[0:3], 0 offset:80
	;; [unrolled: 1-line block ×4, first 2 shown]
.LBB55_479:
	s_or_b32 exec_lo, exec_lo, s4
	v_mov_b32_e32 v4, s58
	s_mov_b32 s4, exec_lo
	s_clause 0x3
	buffer_load_dword v1, v4, s[0:3], 0 offen
	buffer_load_dword v2, v4, s[0:3], 0 offen offset:4
	buffer_load_dword v3, v4, s[0:3], 0 offen offset:8
	;; [unrolled: 1-line block ×3, first 2 shown]
	s_waitcnt vmcnt(0)
	ds_write_b128 v118, v[1:4]
	s_waitcnt lgkmcnt(0)
	s_waitcnt_vscnt null, 0x0
	s_barrier
	buffer_gl0_inv
	v_cmpx_gt_u32_e32 6, v0
	s_cbranch_execz .LBB55_487
; %bb.480:
	ds_read_b128 v[1:4], v118
	v_cmp_ne_u32_e32 vcc_lo, 1, v119
	s_cbranch_vccnz .LBB55_482
; %bb.481:
	s_clause 0x3
	buffer_load_dword v120, v117, s[0:3], 0 offen offset:8
	buffer_load_dword v121, v117, s[0:3], 0 offen offset:12
	buffer_load_dword v124, v117, s[0:3], 0 offen
	buffer_load_dword v125, v117, s[0:3], 0 offen offset:4
	s_waitcnt vmcnt(2) lgkmcnt(0)
	v_mul_f64 v[126:127], v[3:4], v[120:121]
	v_mul_f64 v[120:121], v[1:2], v[120:121]
	s_waitcnt vmcnt(0)
	v_fma_f64 v[1:2], v[1:2], v[124:125], -v[126:127]
	v_fma_f64 v[3:4], v[3:4], v[124:125], v[120:121]
.LBB55_482:
	s_mov_b32 s6, exec_lo
	v_cmpx_ne_u32_e32 5, v0
	s_cbranch_execz .LBB55_486
; %bb.483:
	v_add_nc_u32_e32 v120, 0x390, v123
	v_add3_u32 v121, 0, v123, 16
	v_mov_b32_e32 v122, v0
	s_mov_b32 s8, 0
	.p2align	6
.LBB55_484:                             ; =>This Inner Loop Header: Depth=1
	s_clause 0x3
	buffer_load_dword v128, v121, s[0:3], 0 offen offset:8
	buffer_load_dword v129, v121, s[0:3], 0 offen offset:12
	buffer_load_dword v130, v121, s[0:3], 0 offen
	buffer_load_dword v131, v121, s[0:3], 0 offen offset:4
	ds_read_b128 v[124:127], v120
	v_add_nc_u32_e32 v122, 1, v122
	v_add_nc_u32_e32 v120, 16, v120
	;; [unrolled: 1-line block ×3, first 2 shown]
	v_cmp_lt_u32_e32 vcc_lo, 4, v122
	s_or_b32 s8, vcc_lo, s8
	s_waitcnt vmcnt(2) lgkmcnt(0)
	v_mul_f64 v[132:133], v[126:127], v[128:129]
	v_mul_f64 v[128:129], v[124:125], v[128:129]
	s_waitcnt vmcnt(0)
	v_fma_f64 v[124:125], v[124:125], v[130:131], -v[132:133]
	v_fma_f64 v[126:127], v[126:127], v[130:131], v[128:129]
	v_add_f64 v[1:2], v[1:2], v[124:125]
	v_add_f64 v[3:4], v[3:4], v[126:127]
	s_andn2_b32 exec_lo, exec_lo, s8
	s_cbranch_execnz .LBB55_484
; %bb.485:
	s_or_b32 exec_lo, exec_lo, s8
.LBB55_486:
	s_or_b32 exec_lo, exec_lo, s6
	v_mov_b32_e32 v120, 0
	ds_read_b128 v[124:127], v120 offset:96
	s_waitcnt lgkmcnt(0)
	v_mul_f64 v[120:121], v[3:4], v[126:127]
	v_mul_f64 v[126:127], v[1:2], v[126:127]
	v_fma_f64 v[1:2], v[1:2], v[124:125], -v[120:121]
	v_fma_f64 v[3:4], v[3:4], v[124:125], v[126:127]
	buffer_store_dword v2, off, s[0:3], 0 offset:100
	buffer_store_dword v1, off, s[0:3], 0 offset:96
	;; [unrolled: 1-line block ×4, first 2 shown]
.LBB55_487:
	s_or_b32 exec_lo, exec_lo, s4
	v_mov_b32_e32 v4, s57
	s_mov_b32 s4, exec_lo
	s_clause 0x3
	buffer_load_dword v1, v4, s[0:3], 0 offen
	buffer_load_dword v2, v4, s[0:3], 0 offen offset:4
	buffer_load_dword v3, v4, s[0:3], 0 offen offset:8
	;; [unrolled: 1-line block ×3, first 2 shown]
	s_waitcnt vmcnt(0)
	ds_write_b128 v118, v[1:4]
	s_waitcnt lgkmcnt(0)
	s_waitcnt_vscnt null, 0x0
	s_barrier
	buffer_gl0_inv
	v_cmpx_gt_u32_e32 7, v0
	s_cbranch_execz .LBB55_495
; %bb.488:
	ds_read_b128 v[1:4], v118
	v_cmp_ne_u32_e32 vcc_lo, 1, v119
	s_cbranch_vccnz .LBB55_490
; %bb.489:
	s_clause 0x3
	buffer_load_dword v120, v117, s[0:3], 0 offen offset:8
	buffer_load_dword v121, v117, s[0:3], 0 offen offset:12
	buffer_load_dword v124, v117, s[0:3], 0 offen
	buffer_load_dword v125, v117, s[0:3], 0 offen offset:4
	s_waitcnt vmcnt(2) lgkmcnt(0)
	v_mul_f64 v[126:127], v[3:4], v[120:121]
	v_mul_f64 v[120:121], v[1:2], v[120:121]
	s_waitcnt vmcnt(0)
	v_fma_f64 v[1:2], v[1:2], v[124:125], -v[126:127]
	v_fma_f64 v[3:4], v[3:4], v[124:125], v[120:121]
.LBB55_490:
	s_mov_b32 s6, exec_lo
	v_cmpx_ne_u32_e32 6, v0
	s_cbranch_execz .LBB55_494
; %bb.491:
	v_add_nc_u32_e32 v120, 0x390, v123
	v_add3_u32 v121, 0, v123, 16
	v_mov_b32_e32 v122, v0
	s_mov_b32 s8, 0
	.p2align	6
.LBB55_492:                             ; =>This Inner Loop Header: Depth=1
	s_clause 0x3
	buffer_load_dword v128, v121, s[0:3], 0 offen offset:8
	buffer_load_dword v129, v121, s[0:3], 0 offen offset:12
	buffer_load_dword v130, v121, s[0:3], 0 offen
	buffer_load_dword v131, v121, s[0:3], 0 offen offset:4
	ds_read_b128 v[124:127], v120
	v_add_nc_u32_e32 v122, 1, v122
	v_add_nc_u32_e32 v120, 16, v120
	;; [unrolled: 1-line block ×3, first 2 shown]
	v_cmp_lt_u32_e32 vcc_lo, 5, v122
	s_or_b32 s8, vcc_lo, s8
	s_waitcnt vmcnt(2) lgkmcnt(0)
	v_mul_f64 v[132:133], v[126:127], v[128:129]
	v_mul_f64 v[128:129], v[124:125], v[128:129]
	s_waitcnt vmcnt(0)
	v_fma_f64 v[124:125], v[124:125], v[130:131], -v[132:133]
	v_fma_f64 v[126:127], v[126:127], v[130:131], v[128:129]
	v_add_f64 v[1:2], v[1:2], v[124:125]
	v_add_f64 v[3:4], v[3:4], v[126:127]
	s_andn2_b32 exec_lo, exec_lo, s8
	s_cbranch_execnz .LBB55_492
; %bb.493:
	s_or_b32 exec_lo, exec_lo, s8
.LBB55_494:
	s_or_b32 exec_lo, exec_lo, s6
	v_mov_b32_e32 v120, 0
	ds_read_b128 v[124:127], v120 offset:112
	s_waitcnt lgkmcnt(0)
	v_mul_f64 v[120:121], v[3:4], v[126:127]
	v_mul_f64 v[126:127], v[1:2], v[126:127]
	v_fma_f64 v[1:2], v[1:2], v[124:125], -v[120:121]
	v_fma_f64 v[3:4], v[3:4], v[124:125], v[126:127]
	buffer_store_dword v2, off, s[0:3], 0 offset:116
	buffer_store_dword v1, off, s[0:3], 0 offset:112
	;; [unrolled: 1-line block ×4, first 2 shown]
.LBB55_495:
	s_or_b32 exec_lo, exec_lo, s4
	v_mov_b32_e32 v4, s56
	s_mov_b32 s4, exec_lo
	s_clause 0x3
	buffer_load_dword v1, v4, s[0:3], 0 offen
	buffer_load_dword v2, v4, s[0:3], 0 offen offset:4
	buffer_load_dword v3, v4, s[0:3], 0 offen offset:8
	;; [unrolled: 1-line block ×3, first 2 shown]
	s_waitcnt vmcnt(0)
	ds_write_b128 v118, v[1:4]
	s_waitcnt lgkmcnt(0)
	s_waitcnt_vscnt null, 0x0
	s_barrier
	buffer_gl0_inv
	v_cmpx_gt_u32_e32 8, v0
	s_cbranch_execz .LBB55_503
; %bb.496:
	ds_read_b128 v[1:4], v118
	v_cmp_ne_u32_e32 vcc_lo, 1, v119
	s_cbranch_vccnz .LBB55_498
; %bb.497:
	s_clause 0x3
	buffer_load_dword v120, v117, s[0:3], 0 offen offset:8
	buffer_load_dword v121, v117, s[0:3], 0 offen offset:12
	buffer_load_dword v124, v117, s[0:3], 0 offen
	buffer_load_dword v125, v117, s[0:3], 0 offen offset:4
	s_waitcnt vmcnt(2) lgkmcnt(0)
	v_mul_f64 v[126:127], v[3:4], v[120:121]
	v_mul_f64 v[120:121], v[1:2], v[120:121]
	s_waitcnt vmcnt(0)
	v_fma_f64 v[1:2], v[1:2], v[124:125], -v[126:127]
	v_fma_f64 v[3:4], v[3:4], v[124:125], v[120:121]
.LBB55_498:
	s_mov_b32 s6, exec_lo
	v_cmpx_ne_u32_e32 7, v0
	s_cbranch_execz .LBB55_502
; %bb.499:
	v_add_nc_u32_e32 v120, 0x390, v123
	v_add3_u32 v121, 0, v123, 16
	v_mov_b32_e32 v122, v0
	s_mov_b32 s8, 0
	.p2align	6
.LBB55_500:                             ; =>This Inner Loop Header: Depth=1
	s_clause 0x3
	buffer_load_dword v128, v121, s[0:3], 0 offen offset:8
	buffer_load_dword v129, v121, s[0:3], 0 offen offset:12
	buffer_load_dword v130, v121, s[0:3], 0 offen
	buffer_load_dword v131, v121, s[0:3], 0 offen offset:4
	ds_read_b128 v[124:127], v120
	v_add_nc_u32_e32 v122, 1, v122
	v_add_nc_u32_e32 v120, 16, v120
	;; [unrolled: 1-line block ×3, first 2 shown]
	v_cmp_lt_u32_e32 vcc_lo, 6, v122
	s_or_b32 s8, vcc_lo, s8
	s_waitcnt vmcnt(2) lgkmcnt(0)
	v_mul_f64 v[132:133], v[126:127], v[128:129]
	v_mul_f64 v[128:129], v[124:125], v[128:129]
	s_waitcnt vmcnt(0)
	v_fma_f64 v[124:125], v[124:125], v[130:131], -v[132:133]
	v_fma_f64 v[126:127], v[126:127], v[130:131], v[128:129]
	v_add_f64 v[1:2], v[1:2], v[124:125]
	v_add_f64 v[3:4], v[3:4], v[126:127]
	s_andn2_b32 exec_lo, exec_lo, s8
	s_cbranch_execnz .LBB55_500
; %bb.501:
	s_or_b32 exec_lo, exec_lo, s8
.LBB55_502:
	s_or_b32 exec_lo, exec_lo, s6
	v_mov_b32_e32 v120, 0
	ds_read_b128 v[124:127], v120 offset:128
	s_waitcnt lgkmcnt(0)
	v_mul_f64 v[120:121], v[3:4], v[126:127]
	v_mul_f64 v[126:127], v[1:2], v[126:127]
	v_fma_f64 v[1:2], v[1:2], v[124:125], -v[120:121]
	v_fma_f64 v[3:4], v[3:4], v[124:125], v[126:127]
	buffer_store_dword v2, off, s[0:3], 0 offset:132
	buffer_store_dword v1, off, s[0:3], 0 offset:128
	;; [unrolled: 1-line block ×4, first 2 shown]
.LBB55_503:
	s_or_b32 exec_lo, exec_lo, s4
	v_mov_b32_e32 v4, s55
	s_mov_b32 s4, exec_lo
	s_clause 0x3
	buffer_load_dword v1, v4, s[0:3], 0 offen
	buffer_load_dword v2, v4, s[0:3], 0 offen offset:4
	buffer_load_dword v3, v4, s[0:3], 0 offen offset:8
	buffer_load_dword v4, v4, s[0:3], 0 offen offset:12
	s_waitcnt vmcnt(0)
	ds_write_b128 v118, v[1:4]
	s_waitcnt lgkmcnt(0)
	s_waitcnt_vscnt null, 0x0
	s_barrier
	buffer_gl0_inv
	v_cmpx_gt_u32_e32 9, v0
	s_cbranch_execz .LBB55_511
; %bb.504:
	ds_read_b128 v[1:4], v118
	v_cmp_ne_u32_e32 vcc_lo, 1, v119
	s_cbranch_vccnz .LBB55_506
; %bb.505:
	s_clause 0x3
	buffer_load_dword v120, v117, s[0:3], 0 offen offset:8
	buffer_load_dword v121, v117, s[0:3], 0 offen offset:12
	buffer_load_dword v124, v117, s[0:3], 0 offen
	buffer_load_dword v125, v117, s[0:3], 0 offen offset:4
	s_waitcnt vmcnt(2) lgkmcnt(0)
	v_mul_f64 v[126:127], v[3:4], v[120:121]
	v_mul_f64 v[120:121], v[1:2], v[120:121]
	s_waitcnt vmcnt(0)
	v_fma_f64 v[1:2], v[1:2], v[124:125], -v[126:127]
	v_fma_f64 v[3:4], v[3:4], v[124:125], v[120:121]
.LBB55_506:
	s_mov_b32 s6, exec_lo
	v_cmpx_ne_u32_e32 8, v0
	s_cbranch_execz .LBB55_510
; %bb.507:
	v_add_nc_u32_e32 v120, 0x390, v123
	v_add3_u32 v121, 0, v123, 16
	v_mov_b32_e32 v122, v0
	s_mov_b32 s8, 0
	.p2align	6
.LBB55_508:                             ; =>This Inner Loop Header: Depth=1
	s_clause 0x3
	buffer_load_dword v128, v121, s[0:3], 0 offen offset:8
	buffer_load_dword v129, v121, s[0:3], 0 offen offset:12
	buffer_load_dword v130, v121, s[0:3], 0 offen
	buffer_load_dword v131, v121, s[0:3], 0 offen offset:4
	ds_read_b128 v[124:127], v120
	v_add_nc_u32_e32 v122, 1, v122
	v_add_nc_u32_e32 v120, 16, v120
	;; [unrolled: 1-line block ×3, first 2 shown]
	v_cmp_lt_u32_e32 vcc_lo, 7, v122
	s_or_b32 s8, vcc_lo, s8
	s_waitcnt vmcnt(2) lgkmcnt(0)
	v_mul_f64 v[132:133], v[126:127], v[128:129]
	v_mul_f64 v[128:129], v[124:125], v[128:129]
	s_waitcnt vmcnt(0)
	v_fma_f64 v[124:125], v[124:125], v[130:131], -v[132:133]
	v_fma_f64 v[126:127], v[126:127], v[130:131], v[128:129]
	v_add_f64 v[1:2], v[1:2], v[124:125]
	v_add_f64 v[3:4], v[3:4], v[126:127]
	s_andn2_b32 exec_lo, exec_lo, s8
	s_cbranch_execnz .LBB55_508
; %bb.509:
	s_or_b32 exec_lo, exec_lo, s8
.LBB55_510:
	s_or_b32 exec_lo, exec_lo, s6
	v_mov_b32_e32 v120, 0
	ds_read_b128 v[124:127], v120 offset:144
	s_waitcnt lgkmcnt(0)
	v_mul_f64 v[120:121], v[3:4], v[126:127]
	v_mul_f64 v[126:127], v[1:2], v[126:127]
	v_fma_f64 v[1:2], v[1:2], v[124:125], -v[120:121]
	v_fma_f64 v[3:4], v[3:4], v[124:125], v[126:127]
	buffer_store_dword v2, off, s[0:3], 0 offset:148
	buffer_store_dword v1, off, s[0:3], 0 offset:144
	;; [unrolled: 1-line block ×4, first 2 shown]
.LBB55_511:
	s_or_b32 exec_lo, exec_lo, s4
	v_mov_b32_e32 v4, s54
	s_mov_b32 s4, exec_lo
	s_clause 0x3
	buffer_load_dword v1, v4, s[0:3], 0 offen
	buffer_load_dword v2, v4, s[0:3], 0 offen offset:4
	buffer_load_dword v3, v4, s[0:3], 0 offen offset:8
	;; [unrolled: 1-line block ×3, first 2 shown]
	s_waitcnt vmcnt(0)
	ds_write_b128 v118, v[1:4]
	s_waitcnt lgkmcnt(0)
	s_waitcnt_vscnt null, 0x0
	s_barrier
	buffer_gl0_inv
	v_cmpx_gt_u32_e32 10, v0
	s_cbranch_execz .LBB55_519
; %bb.512:
	ds_read_b128 v[1:4], v118
	v_cmp_ne_u32_e32 vcc_lo, 1, v119
	s_cbranch_vccnz .LBB55_514
; %bb.513:
	s_clause 0x3
	buffer_load_dword v120, v117, s[0:3], 0 offen offset:8
	buffer_load_dword v121, v117, s[0:3], 0 offen offset:12
	buffer_load_dword v124, v117, s[0:3], 0 offen
	buffer_load_dword v125, v117, s[0:3], 0 offen offset:4
	s_waitcnt vmcnt(2) lgkmcnt(0)
	v_mul_f64 v[126:127], v[3:4], v[120:121]
	v_mul_f64 v[120:121], v[1:2], v[120:121]
	s_waitcnt vmcnt(0)
	v_fma_f64 v[1:2], v[1:2], v[124:125], -v[126:127]
	v_fma_f64 v[3:4], v[3:4], v[124:125], v[120:121]
.LBB55_514:
	s_mov_b32 s6, exec_lo
	v_cmpx_ne_u32_e32 9, v0
	s_cbranch_execz .LBB55_518
; %bb.515:
	v_add_nc_u32_e32 v120, 0x390, v123
	v_add3_u32 v121, 0, v123, 16
	v_mov_b32_e32 v122, v0
	s_mov_b32 s8, 0
	.p2align	6
.LBB55_516:                             ; =>This Inner Loop Header: Depth=1
	s_clause 0x3
	buffer_load_dword v128, v121, s[0:3], 0 offen offset:8
	buffer_load_dword v129, v121, s[0:3], 0 offen offset:12
	buffer_load_dword v130, v121, s[0:3], 0 offen
	buffer_load_dword v131, v121, s[0:3], 0 offen offset:4
	ds_read_b128 v[124:127], v120
	v_add_nc_u32_e32 v122, 1, v122
	v_add_nc_u32_e32 v120, 16, v120
	;; [unrolled: 1-line block ×3, first 2 shown]
	v_cmp_lt_u32_e32 vcc_lo, 8, v122
	s_or_b32 s8, vcc_lo, s8
	s_waitcnt vmcnt(2) lgkmcnt(0)
	v_mul_f64 v[132:133], v[126:127], v[128:129]
	v_mul_f64 v[128:129], v[124:125], v[128:129]
	s_waitcnt vmcnt(0)
	v_fma_f64 v[124:125], v[124:125], v[130:131], -v[132:133]
	v_fma_f64 v[126:127], v[126:127], v[130:131], v[128:129]
	v_add_f64 v[1:2], v[1:2], v[124:125]
	v_add_f64 v[3:4], v[3:4], v[126:127]
	s_andn2_b32 exec_lo, exec_lo, s8
	s_cbranch_execnz .LBB55_516
; %bb.517:
	s_or_b32 exec_lo, exec_lo, s8
.LBB55_518:
	s_or_b32 exec_lo, exec_lo, s6
	v_mov_b32_e32 v120, 0
	ds_read_b128 v[124:127], v120 offset:160
	s_waitcnt lgkmcnt(0)
	v_mul_f64 v[120:121], v[3:4], v[126:127]
	v_mul_f64 v[126:127], v[1:2], v[126:127]
	v_fma_f64 v[1:2], v[1:2], v[124:125], -v[120:121]
	v_fma_f64 v[3:4], v[3:4], v[124:125], v[126:127]
	buffer_store_dword v2, off, s[0:3], 0 offset:164
	buffer_store_dword v1, off, s[0:3], 0 offset:160
	;; [unrolled: 1-line block ×4, first 2 shown]
.LBB55_519:
	s_or_b32 exec_lo, exec_lo, s4
	v_mov_b32_e32 v4, s53
	s_mov_b32 s4, exec_lo
	s_clause 0x3
	buffer_load_dword v1, v4, s[0:3], 0 offen
	buffer_load_dword v2, v4, s[0:3], 0 offen offset:4
	buffer_load_dword v3, v4, s[0:3], 0 offen offset:8
	;; [unrolled: 1-line block ×3, first 2 shown]
	s_waitcnt vmcnt(0)
	ds_write_b128 v118, v[1:4]
	s_waitcnt lgkmcnt(0)
	s_waitcnt_vscnt null, 0x0
	s_barrier
	buffer_gl0_inv
	v_cmpx_gt_u32_e32 11, v0
	s_cbranch_execz .LBB55_527
; %bb.520:
	ds_read_b128 v[1:4], v118
	v_cmp_ne_u32_e32 vcc_lo, 1, v119
	s_cbranch_vccnz .LBB55_522
; %bb.521:
	s_clause 0x3
	buffer_load_dword v120, v117, s[0:3], 0 offen offset:8
	buffer_load_dword v121, v117, s[0:3], 0 offen offset:12
	buffer_load_dword v124, v117, s[0:3], 0 offen
	buffer_load_dword v125, v117, s[0:3], 0 offen offset:4
	s_waitcnt vmcnt(2) lgkmcnt(0)
	v_mul_f64 v[126:127], v[3:4], v[120:121]
	v_mul_f64 v[120:121], v[1:2], v[120:121]
	s_waitcnt vmcnt(0)
	v_fma_f64 v[1:2], v[1:2], v[124:125], -v[126:127]
	v_fma_f64 v[3:4], v[3:4], v[124:125], v[120:121]
.LBB55_522:
	s_mov_b32 s6, exec_lo
	v_cmpx_ne_u32_e32 10, v0
	s_cbranch_execz .LBB55_526
; %bb.523:
	v_add_nc_u32_e32 v120, 0x390, v123
	v_add3_u32 v121, 0, v123, 16
	v_mov_b32_e32 v122, v0
	s_mov_b32 s8, 0
	.p2align	6
.LBB55_524:                             ; =>This Inner Loop Header: Depth=1
	s_clause 0x3
	buffer_load_dword v128, v121, s[0:3], 0 offen offset:8
	buffer_load_dword v129, v121, s[0:3], 0 offen offset:12
	buffer_load_dword v130, v121, s[0:3], 0 offen
	buffer_load_dword v131, v121, s[0:3], 0 offen offset:4
	ds_read_b128 v[124:127], v120
	v_add_nc_u32_e32 v122, 1, v122
	v_add_nc_u32_e32 v120, 16, v120
	;; [unrolled: 1-line block ×3, first 2 shown]
	v_cmp_lt_u32_e32 vcc_lo, 9, v122
	s_or_b32 s8, vcc_lo, s8
	s_waitcnt vmcnt(2) lgkmcnt(0)
	v_mul_f64 v[132:133], v[126:127], v[128:129]
	v_mul_f64 v[128:129], v[124:125], v[128:129]
	s_waitcnt vmcnt(0)
	v_fma_f64 v[124:125], v[124:125], v[130:131], -v[132:133]
	v_fma_f64 v[126:127], v[126:127], v[130:131], v[128:129]
	v_add_f64 v[1:2], v[1:2], v[124:125]
	v_add_f64 v[3:4], v[3:4], v[126:127]
	s_andn2_b32 exec_lo, exec_lo, s8
	s_cbranch_execnz .LBB55_524
; %bb.525:
	s_or_b32 exec_lo, exec_lo, s8
.LBB55_526:
	s_or_b32 exec_lo, exec_lo, s6
	v_mov_b32_e32 v120, 0
	ds_read_b128 v[124:127], v120 offset:176
	s_waitcnt lgkmcnt(0)
	v_mul_f64 v[120:121], v[3:4], v[126:127]
	v_mul_f64 v[126:127], v[1:2], v[126:127]
	v_fma_f64 v[1:2], v[1:2], v[124:125], -v[120:121]
	v_fma_f64 v[3:4], v[3:4], v[124:125], v[126:127]
	buffer_store_dword v2, off, s[0:3], 0 offset:180
	buffer_store_dword v1, off, s[0:3], 0 offset:176
	;; [unrolled: 1-line block ×4, first 2 shown]
.LBB55_527:
	s_or_b32 exec_lo, exec_lo, s4
	v_mov_b32_e32 v4, s52
	s_mov_b32 s4, exec_lo
	s_clause 0x3
	buffer_load_dword v1, v4, s[0:3], 0 offen
	buffer_load_dword v2, v4, s[0:3], 0 offen offset:4
	buffer_load_dword v3, v4, s[0:3], 0 offen offset:8
	;; [unrolled: 1-line block ×3, first 2 shown]
	s_waitcnt vmcnt(0)
	ds_write_b128 v118, v[1:4]
	s_waitcnt lgkmcnt(0)
	s_waitcnt_vscnt null, 0x0
	s_barrier
	buffer_gl0_inv
	v_cmpx_gt_u32_e32 12, v0
	s_cbranch_execz .LBB55_535
; %bb.528:
	ds_read_b128 v[1:4], v118
	v_cmp_ne_u32_e32 vcc_lo, 1, v119
	s_cbranch_vccnz .LBB55_530
; %bb.529:
	s_clause 0x3
	buffer_load_dword v120, v117, s[0:3], 0 offen offset:8
	buffer_load_dword v121, v117, s[0:3], 0 offen offset:12
	buffer_load_dword v124, v117, s[0:3], 0 offen
	buffer_load_dword v125, v117, s[0:3], 0 offen offset:4
	s_waitcnt vmcnt(2) lgkmcnt(0)
	v_mul_f64 v[126:127], v[3:4], v[120:121]
	v_mul_f64 v[120:121], v[1:2], v[120:121]
	s_waitcnt vmcnt(0)
	v_fma_f64 v[1:2], v[1:2], v[124:125], -v[126:127]
	v_fma_f64 v[3:4], v[3:4], v[124:125], v[120:121]
.LBB55_530:
	s_mov_b32 s6, exec_lo
	v_cmpx_ne_u32_e32 11, v0
	s_cbranch_execz .LBB55_534
; %bb.531:
	v_add_nc_u32_e32 v120, 0x390, v123
	v_add3_u32 v121, 0, v123, 16
	v_mov_b32_e32 v122, v0
	s_mov_b32 s8, 0
	.p2align	6
.LBB55_532:                             ; =>This Inner Loop Header: Depth=1
	s_clause 0x3
	buffer_load_dword v128, v121, s[0:3], 0 offen offset:8
	buffer_load_dword v129, v121, s[0:3], 0 offen offset:12
	buffer_load_dword v130, v121, s[0:3], 0 offen
	buffer_load_dword v131, v121, s[0:3], 0 offen offset:4
	ds_read_b128 v[124:127], v120
	v_add_nc_u32_e32 v122, 1, v122
	v_add_nc_u32_e32 v120, 16, v120
	;; [unrolled: 1-line block ×3, first 2 shown]
	v_cmp_lt_u32_e32 vcc_lo, 10, v122
	s_or_b32 s8, vcc_lo, s8
	s_waitcnt vmcnt(2) lgkmcnt(0)
	v_mul_f64 v[132:133], v[126:127], v[128:129]
	v_mul_f64 v[128:129], v[124:125], v[128:129]
	s_waitcnt vmcnt(0)
	v_fma_f64 v[124:125], v[124:125], v[130:131], -v[132:133]
	v_fma_f64 v[126:127], v[126:127], v[130:131], v[128:129]
	v_add_f64 v[1:2], v[1:2], v[124:125]
	v_add_f64 v[3:4], v[3:4], v[126:127]
	s_andn2_b32 exec_lo, exec_lo, s8
	s_cbranch_execnz .LBB55_532
; %bb.533:
	s_or_b32 exec_lo, exec_lo, s8
.LBB55_534:
	s_or_b32 exec_lo, exec_lo, s6
	v_mov_b32_e32 v120, 0
	ds_read_b128 v[124:127], v120 offset:192
	s_waitcnt lgkmcnt(0)
	v_mul_f64 v[120:121], v[3:4], v[126:127]
	v_mul_f64 v[126:127], v[1:2], v[126:127]
	v_fma_f64 v[1:2], v[1:2], v[124:125], -v[120:121]
	v_fma_f64 v[3:4], v[3:4], v[124:125], v[126:127]
	buffer_store_dword v2, off, s[0:3], 0 offset:196
	buffer_store_dword v1, off, s[0:3], 0 offset:192
	;; [unrolled: 1-line block ×4, first 2 shown]
.LBB55_535:
	s_or_b32 exec_lo, exec_lo, s4
	v_mov_b32_e32 v4, s51
	s_mov_b32 s4, exec_lo
	s_clause 0x3
	buffer_load_dword v1, v4, s[0:3], 0 offen
	buffer_load_dword v2, v4, s[0:3], 0 offen offset:4
	buffer_load_dword v3, v4, s[0:3], 0 offen offset:8
	;; [unrolled: 1-line block ×3, first 2 shown]
	s_waitcnt vmcnt(0)
	ds_write_b128 v118, v[1:4]
	s_waitcnt lgkmcnt(0)
	s_waitcnt_vscnt null, 0x0
	s_barrier
	buffer_gl0_inv
	v_cmpx_gt_u32_e32 13, v0
	s_cbranch_execz .LBB55_543
; %bb.536:
	ds_read_b128 v[1:4], v118
	v_cmp_ne_u32_e32 vcc_lo, 1, v119
	s_cbranch_vccnz .LBB55_538
; %bb.537:
	s_clause 0x3
	buffer_load_dword v120, v117, s[0:3], 0 offen offset:8
	buffer_load_dword v121, v117, s[0:3], 0 offen offset:12
	buffer_load_dword v124, v117, s[0:3], 0 offen
	buffer_load_dword v125, v117, s[0:3], 0 offen offset:4
	s_waitcnt vmcnt(2) lgkmcnt(0)
	v_mul_f64 v[126:127], v[3:4], v[120:121]
	v_mul_f64 v[120:121], v[1:2], v[120:121]
	s_waitcnt vmcnt(0)
	v_fma_f64 v[1:2], v[1:2], v[124:125], -v[126:127]
	v_fma_f64 v[3:4], v[3:4], v[124:125], v[120:121]
.LBB55_538:
	s_mov_b32 s6, exec_lo
	v_cmpx_ne_u32_e32 12, v0
	s_cbranch_execz .LBB55_542
; %bb.539:
	v_add_nc_u32_e32 v120, 0x390, v123
	v_add3_u32 v121, 0, v123, 16
	v_mov_b32_e32 v122, v0
	s_mov_b32 s8, 0
	.p2align	6
.LBB55_540:                             ; =>This Inner Loop Header: Depth=1
	s_clause 0x3
	buffer_load_dword v128, v121, s[0:3], 0 offen offset:8
	buffer_load_dword v129, v121, s[0:3], 0 offen offset:12
	buffer_load_dword v130, v121, s[0:3], 0 offen
	buffer_load_dword v131, v121, s[0:3], 0 offen offset:4
	ds_read_b128 v[124:127], v120
	v_add_nc_u32_e32 v122, 1, v122
	v_add_nc_u32_e32 v120, 16, v120
	;; [unrolled: 1-line block ×3, first 2 shown]
	v_cmp_lt_u32_e32 vcc_lo, 11, v122
	s_or_b32 s8, vcc_lo, s8
	s_waitcnt vmcnt(2) lgkmcnt(0)
	v_mul_f64 v[132:133], v[126:127], v[128:129]
	v_mul_f64 v[128:129], v[124:125], v[128:129]
	s_waitcnt vmcnt(0)
	v_fma_f64 v[124:125], v[124:125], v[130:131], -v[132:133]
	v_fma_f64 v[126:127], v[126:127], v[130:131], v[128:129]
	v_add_f64 v[1:2], v[1:2], v[124:125]
	v_add_f64 v[3:4], v[3:4], v[126:127]
	s_andn2_b32 exec_lo, exec_lo, s8
	s_cbranch_execnz .LBB55_540
; %bb.541:
	s_or_b32 exec_lo, exec_lo, s8
.LBB55_542:
	s_or_b32 exec_lo, exec_lo, s6
	v_mov_b32_e32 v120, 0
	ds_read_b128 v[124:127], v120 offset:208
	s_waitcnt lgkmcnt(0)
	v_mul_f64 v[120:121], v[3:4], v[126:127]
	v_mul_f64 v[126:127], v[1:2], v[126:127]
	v_fma_f64 v[1:2], v[1:2], v[124:125], -v[120:121]
	v_fma_f64 v[3:4], v[3:4], v[124:125], v[126:127]
	buffer_store_dword v2, off, s[0:3], 0 offset:212
	buffer_store_dword v1, off, s[0:3], 0 offset:208
	;; [unrolled: 1-line block ×4, first 2 shown]
.LBB55_543:
	s_or_b32 exec_lo, exec_lo, s4
	v_mov_b32_e32 v4, s50
	s_mov_b32 s4, exec_lo
	s_clause 0x3
	buffer_load_dword v1, v4, s[0:3], 0 offen
	buffer_load_dword v2, v4, s[0:3], 0 offen offset:4
	buffer_load_dword v3, v4, s[0:3], 0 offen offset:8
	;; [unrolled: 1-line block ×3, first 2 shown]
	s_waitcnt vmcnt(0)
	ds_write_b128 v118, v[1:4]
	s_waitcnt lgkmcnt(0)
	s_waitcnt_vscnt null, 0x0
	s_barrier
	buffer_gl0_inv
	v_cmpx_gt_u32_e32 14, v0
	s_cbranch_execz .LBB55_551
; %bb.544:
	ds_read_b128 v[1:4], v118
	v_cmp_ne_u32_e32 vcc_lo, 1, v119
	s_cbranch_vccnz .LBB55_546
; %bb.545:
	s_clause 0x3
	buffer_load_dword v120, v117, s[0:3], 0 offen offset:8
	buffer_load_dword v121, v117, s[0:3], 0 offen offset:12
	buffer_load_dword v124, v117, s[0:3], 0 offen
	buffer_load_dword v125, v117, s[0:3], 0 offen offset:4
	s_waitcnt vmcnt(2) lgkmcnt(0)
	v_mul_f64 v[126:127], v[3:4], v[120:121]
	v_mul_f64 v[120:121], v[1:2], v[120:121]
	s_waitcnt vmcnt(0)
	v_fma_f64 v[1:2], v[1:2], v[124:125], -v[126:127]
	v_fma_f64 v[3:4], v[3:4], v[124:125], v[120:121]
.LBB55_546:
	s_mov_b32 s6, exec_lo
	v_cmpx_ne_u32_e32 13, v0
	s_cbranch_execz .LBB55_550
; %bb.547:
	v_add_nc_u32_e32 v120, 0x390, v123
	v_add3_u32 v121, 0, v123, 16
	v_mov_b32_e32 v122, v0
	s_mov_b32 s8, 0
	.p2align	6
.LBB55_548:                             ; =>This Inner Loop Header: Depth=1
	s_clause 0x3
	buffer_load_dword v128, v121, s[0:3], 0 offen offset:8
	buffer_load_dword v129, v121, s[0:3], 0 offen offset:12
	buffer_load_dword v130, v121, s[0:3], 0 offen
	buffer_load_dword v131, v121, s[0:3], 0 offen offset:4
	ds_read_b128 v[124:127], v120
	v_add_nc_u32_e32 v122, 1, v122
	v_add_nc_u32_e32 v120, 16, v120
	;; [unrolled: 1-line block ×3, first 2 shown]
	v_cmp_lt_u32_e32 vcc_lo, 12, v122
	s_or_b32 s8, vcc_lo, s8
	s_waitcnt vmcnt(2) lgkmcnt(0)
	v_mul_f64 v[132:133], v[126:127], v[128:129]
	v_mul_f64 v[128:129], v[124:125], v[128:129]
	s_waitcnt vmcnt(0)
	v_fma_f64 v[124:125], v[124:125], v[130:131], -v[132:133]
	v_fma_f64 v[126:127], v[126:127], v[130:131], v[128:129]
	v_add_f64 v[1:2], v[1:2], v[124:125]
	v_add_f64 v[3:4], v[3:4], v[126:127]
	s_andn2_b32 exec_lo, exec_lo, s8
	s_cbranch_execnz .LBB55_548
; %bb.549:
	s_or_b32 exec_lo, exec_lo, s8
.LBB55_550:
	s_or_b32 exec_lo, exec_lo, s6
	v_mov_b32_e32 v120, 0
	ds_read_b128 v[124:127], v120 offset:224
	s_waitcnt lgkmcnt(0)
	v_mul_f64 v[120:121], v[3:4], v[126:127]
	v_mul_f64 v[126:127], v[1:2], v[126:127]
	v_fma_f64 v[1:2], v[1:2], v[124:125], -v[120:121]
	v_fma_f64 v[3:4], v[3:4], v[124:125], v[126:127]
	buffer_store_dword v2, off, s[0:3], 0 offset:228
	buffer_store_dword v1, off, s[0:3], 0 offset:224
	;; [unrolled: 1-line block ×4, first 2 shown]
.LBB55_551:
	s_or_b32 exec_lo, exec_lo, s4
	v_mov_b32_e32 v4, s49
	s_mov_b32 s4, exec_lo
	s_clause 0x3
	buffer_load_dword v1, v4, s[0:3], 0 offen
	buffer_load_dword v2, v4, s[0:3], 0 offen offset:4
	buffer_load_dword v3, v4, s[0:3], 0 offen offset:8
	;; [unrolled: 1-line block ×3, first 2 shown]
	s_waitcnt vmcnt(0)
	ds_write_b128 v118, v[1:4]
	s_waitcnt lgkmcnt(0)
	s_waitcnt_vscnt null, 0x0
	s_barrier
	buffer_gl0_inv
	v_cmpx_gt_u32_e32 15, v0
	s_cbranch_execz .LBB55_559
; %bb.552:
	ds_read_b128 v[1:4], v118
	v_cmp_ne_u32_e32 vcc_lo, 1, v119
	s_cbranch_vccnz .LBB55_554
; %bb.553:
	s_clause 0x3
	buffer_load_dword v120, v117, s[0:3], 0 offen offset:8
	buffer_load_dword v121, v117, s[0:3], 0 offen offset:12
	buffer_load_dword v124, v117, s[0:3], 0 offen
	buffer_load_dword v125, v117, s[0:3], 0 offen offset:4
	s_waitcnt vmcnt(2) lgkmcnt(0)
	v_mul_f64 v[126:127], v[3:4], v[120:121]
	v_mul_f64 v[120:121], v[1:2], v[120:121]
	s_waitcnt vmcnt(0)
	v_fma_f64 v[1:2], v[1:2], v[124:125], -v[126:127]
	v_fma_f64 v[3:4], v[3:4], v[124:125], v[120:121]
.LBB55_554:
	s_mov_b32 s6, exec_lo
	v_cmpx_ne_u32_e32 14, v0
	s_cbranch_execz .LBB55_558
; %bb.555:
	v_add_nc_u32_e32 v120, 0x390, v123
	v_add3_u32 v121, 0, v123, 16
	v_mov_b32_e32 v122, v0
	s_mov_b32 s8, 0
	.p2align	6
.LBB55_556:                             ; =>This Inner Loop Header: Depth=1
	s_clause 0x3
	buffer_load_dword v128, v121, s[0:3], 0 offen offset:8
	buffer_load_dword v129, v121, s[0:3], 0 offen offset:12
	buffer_load_dword v130, v121, s[0:3], 0 offen
	buffer_load_dword v131, v121, s[0:3], 0 offen offset:4
	ds_read_b128 v[124:127], v120
	v_add_nc_u32_e32 v122, 1, v122
	v_add_nc_u32_e32 v120, 16, v120
	;; [unrolled: 1-line block ×3, first 2 shown]
	v_cmp_lt_u32_e32 vcc_lo, 13, v122
	s_or_b32 s8, vcc_lo, s8
	s_waitcnt vmcnt(2) lgkmcnt(0)
	v_mul_f64 v[132:133], v[126:127], v[128:129]
	v_mul_f64 v[128:129], v[124:125], v[128:129]
	s_waitcnt vmcnt(0)
	v_fma_f64 v[124:125], v[124:125], v[130:131], -v[132:133]
	v_fma_f64 v[126:127], v[126:127], v[130:131], v[128:129]
	v_add_f64 v[1:2], v[1:2], v[124:125]
	v_add_f64 v[3:4], v[3:4], v[126:127]
	s_andn2_b32 exec_lo, exec_lo, s8
	s_cbranch_execnz .LBB55_556
; %bb.557:
	s_or_b32 exec_lo, exec_lo, s8
.LBB55_558:
	s_or_b32 exec_lo, exec_lo, s6
	v_mov_b32_e32 v120, 0
	ds_read_b128 v[124:127], v120 offset:240
	s_waitcnt lgkmcnt(0)
	v_mul_f64 v[120:121], v[3:4], v[126:127]
	v_mul_f64 v[126:127], v[1:2], v[126:127]
	v_fma_f64 v[1:2], v[1:2], v[124:125], -v[120:121]
	v_fma_f64 v[3:4], v[3:4], v[124:125], v[126:127]
	buffer_store_dword v2, off, s[0:3], 0 offset:244
	buffer_store_dword v1, off, s[0:3], 0 offset:240
	;; [unrolled: 1-line block ×4, first 2 shown]
.LBB55_559:
	s_or_b32 exec_lo, exec_lo, s4
	v_mov_b32_e32 v4, s48
	s_mov_b32 s4, exec_lo
	s_clause 0x3
	buffer_load_dword v1, v4, s[0:3], 0 offen
	buffer_load_dword v2, v4, s[0:3], 0 offen offset:4
	buffer_load_dword v3, v4, s[0:3], 0 offen offset:8
	;; [unrolled: 1-line block ×3, first 2 shown]
	s_waitcnt vmcnt(0)
	ds_write_b128 v118, v[1:4]
	s_waitcnt lgkmcnt(0)
	s_waitcnt_vscnt null, 0x0
	s_barrier
	buffer_gl0_inv
	v_cmpx_gt_u32_e32 16, v0
	s_cbranch_execz .LBB55_567
; %bb.560:
	ds_read_b128 v[1:4], v118
	v_cmp_ne_u32_e32 vcc_lo, 1, v119
	s_cbranch_vccnz .LBB55_562
; %bb.561:
	s_clause 0x3
	buffer_load_dword v120, v117, s[0:3], 0 offen offset:8
	buffer_load_dword v121, v117, s[0:3], 0 offen offset:12
	buffer_load_dword v124, v117, s[0:3], 0 offen
	buffer_load_dword v125, v117, s[0:3], 0 offen offset:4
	s_waitcnt vmcnt(2) lgkmcnt(0)
	v_mul_f64 v[126:127], v[3:4], v[120:121]
	v_mul_f64 v[120:121], v[1:2], v[120:121]
	s_waitcnt vmcnt(0)
	v_fma_f64 v[1:2], v[1:2], v[124:125], -v[126:127]
	v_fma_f64 v[3:4], v[3:4], v[124:125], v[120:121]
.LBB55_562:
	s_mov_b32 s6, exec_lo
	v_cmpx_ne_u32_e32 15, v0
	s_cbranch_execz .LBB55_566
; %bb.563:
	v_add_nc_u32_e32 v120, 0x390, v123
	v_add3_u32 v121, 0, v123, 16
	v_mov_b32_e32 v122, v0
	s_mov_b32 s8, 0
	.p2align	6
.LBB55_564:                             ; =>This Inner Loop Header: Depth=1
	s_clause 0x3
	buffer_load_dword v128, v121, s[0:3], 0 offen offset:8
	buffer_load_dword v129, v121, s[0:3], 0 offen offset:12
	buffer_load_dword v130, v121, s[0:3], 0 offen
	buffer_load_dword v131, v121, s[0:3], 0 offen offset:4
	ds_read_b128 v[124:127], v120
	v_add_nc_u32_e32 v122, 1, v122
	v_add_nc_u32_e32 v120, 16, v120
	;; [unrolled: 1-line block ×3, first 2 shown]
	v_cmp_lt_u32_e32 vcc_lo, 14, v122
	s_or_b32 s8, vcc_lo, s8
	s_waitcnt vmcnt(2) lgkmcnt(0)
	v_mul_f64 v[132:133], v[126:127], v[128:129]
	v_mul_f64 v[128:129], v[124:125], v[128:129]
	s_waitcnt vmcnt(0)
	v_fma_f64 v[124:125], v[124:125], v[130:131], -v[132:133]
	v_fma_f64 v[126:127], v[126:127], v[130:131], v[128:129]
	v_add_f64 v[1:2], v[1:2], v[124:125]
	v_add_f64 v[3:4], v[3:4], v[126:127]
	s_andn2_b32 exec_lo, exec_lo, s8
	s_cbranch_execnz .LBB55_564
; %bb.565:
	s_or_b32 exec_lo, exec_lo, s8
.LBB55_566:
	s_or_b32 exec_lo, exec_lo, s6
	v_mov_b32_e32 v120, 0
	ds_read_b128 v[124:127], v120 offset:256
	s_waitcnt lgkmcnt(0)
	v_mul_f64 v[120:121], v[3:4], v[126:127]
	v_mul_f64 v[126:127], v[1:2], v[126:127]
	v_fma_f64 v[1:2], v[1:2], v[124:125], -v[120:121]
	v_fma_f64 v[3:4], v[3:4], v[124:125], v[126:127]
	buffer_store_dword v2, off, s[0:3], 0 offset:260
	buffer_store_dword v1, off, s[0:3], 0 offset:256
	;; [unrolled: 1-line block ×4, first 2 shown]
.LBB55_567:
	s_or_b32 exec_lo, exec_lo, s4
	v_mov_b32_e32 v4, s47
	s_mov_b32 s4, exec_lo
	s_clause 0x3
	buffer_load_dword v1, v4, s[0:3], 0 offen
	buffer_load_dword v2, v4, s[0:3], 0 offen offset:4
	buffer_load_dword v3, v4, s[0:3], 0 offen offset:8
	;; [unrolled: 1-line block ×3, first 2 shown]
	s_waitcnt vmcnt(0)
	ds_write_b128 v118, v[1:4]
	s_waitcnt lgkmcnt(0)
	s_waitcnt_vscnt null, 0x0
	s_barrier
	buffer_gl0_inv
	v_cmpx_gt_u32_e32 17, v0
	s_cbranch_execz .LBB55_575
; %bb.568:
	ds_read_b128 v[1:4], v118
	v_cmp_ne_u32_e32 vcc_lo, 1, v119
	s_cbranch_vccnz .LBB55_570
; %bb.569:
	s_clause 0x3
	buffer_load_dword v120, v117, s[0:3], 0 offen offset:8
	buffer_load_dword v121, v117, s[0:3], 0 offen offset:12
	buffer_load_dword v124, v117, s[0:3], 0 offen
	buffer_load_dword v125, v117, s[0:3], 0 offen offset:4
	s_waitcnt vmcnt(2) lgkmcnt(0)
	v_mul_f64 v[126:127], v[3:4], v[120:121]
	v_mul_f64 v[120:121], v[1:2], v[120:121]
	s_waitcnt vmcnt(0)
	v_fma_f64 v[1:2], v[1:2], v[124:125], -v[126:127]
	v_fma_f64 v[3:4], v[3:4], v[124:125], v[120:121]
.LBB55_570:
	s_mov_b32 s6, exec_lo
	v_cmpx_ne_u32_e32 16, v0
	s_cbranch_execz .LBB55_574
; %bb.571:
	v_add_nc_u32_e32 v120, 0x390, v123
	v_add3_u32 v121, 0, v123, 16
	v_mov_b32_e32 v122, v0
	s_mov_b32 s8, 0
	.p2align	6
.LBB55_572:                             ; =>This Inner Loop Header: Depth=1
	s_clause 0x3
	buffer_load_dword v128, v121, s[0:3], 0 offen offset:8
	buffer_load_dword v129, v121, s[0:3], 0 offen offset:12
	buffer_load_dword v130, v121, s[0:3], 0 offen
	buffer_load_dword v131, v121, s[0:3], 0 offen offset:4
	ds_read_b128 v[124:127], v120
	v_add_nc_u32_e32 v122, 1, v122
	v_add_nc_u32_e32 v120, 16, v120
	;; [unrolled: 1-line block ×3, first 2 shown]
	v_cmp_lt_u32_e32 vcc_lo, 15, v122
	s_or_b32 s8, vcc_lo, s8
	s_waitcnt vmcnt(2) lgkmcnt(0)
	v_mul_f64 v[132:133], v[126:127], v[128:129]
	v_mul_f64 v[128:129], v[124:125], v[128:129]
	s_waitcnt vmcnt(0)
	v_fma_f64 v[124:125], v[124:125], v[130:131], -v[132:133]
	v_fma_f64 v[126:127], v[126:127], v[130:131], v[128:129]
	v_add_f64 v[1:2], v[1:2], v[124:125]
	v_add_f64 v[3:4], v[3:4], v[126:127]
	s_andn2_b32 exec_lo, exec_lo, s8
	s_cbranch_execnz .LBB55_572
; %bb.573:
	s_or_b32 exec_lo, exec_lo, s8
.LBB55_574:
	s_or_b32 exec_lo, exec_lo, s6
	v_mov_b32_e32 v120, 0
	ds_read_b128 v[124:127], v120 offset:272
	s_waitcnt lgkmcnt(0)
	v_mul_f64 v[120:121], v[3:4], v[126:127]
	v_mul_f64 v[126:127], v[1:2], v[126:127]
	v_fma_f64 v[1:2], v[1:2], v[124:125], -v[120:121]
	v_fma_f64 v[3:4], v[3:4], v[124:125], v[126:127]
	buffer_store_dword v2, off, s[0:3], 0 offset:276
	buffer_store_dword v1, off, s[0:3], 0 offset:272
	;; [unrolled: 1-line block ×4, first 2 shown]
.LBB55_575:
	s_or_b32 exec_lo, exec_lo, s4
	v_mov_b32_e32 v4, s46
	s_mov_b32 s4, exec_lo
	s_clause 0x3
	buffer_load_dword v1, v4, s[0:3], 0 offen
	buffer_load_dword v2, v4, s[0:3], 0 offen offset:4
	buffer_load_dword v3, v4, s[0:3], 0 offen offset:8
	;; [unrolled: 1-line block ×3, first 2 shown]
	s_waitcnt vmcnt(0)
	ds_write_b128 v118, v[1:4]
	s_waitcnt lgkmcnt(0)
	s_waitcnt_vscnt null, 0x0
	s_barrier
	buffer_gl0_inv
	v_cmpx_gt_u32_e32 18, v0
	s_cbranch_execz .LBB55_583
; %bb.576:
	ds_read_b128 v[1:4], v118
	v_cmp_ne_u32_e32 vcc_lo, 1, v119
	s_cbranch_vccnz .LBB55_578
; %bb.577:
	s_clause 0x3
	buffer_load_dword v120, v117, s[0:3], 0 offen offset:8
	buffer_load_dword v121, v117, s[0:3], 0 offen offset:12
	buffer_load_dword v124, v117, s[0:3], 0 offen
	buffer_load_dword v125, v117, s[0:3], 0 offen offset:4
	s_waitcnt vmcnt(2) lgkmcnt(0)
	v_mul_f64 v[126:127], v[3:4], v[120:121]
	v_mul_f64 v[120:121], v[1:2], v[120:121]
	s_waitcnt vmcnt(0)
	v_fma_f64 v[1:2], v[1:2], v[124:125], -v[126:127]
	v_fma_f64 v[3:4], v[3:4], v[124:125], v[120:121]
.LBB55_578:
	s_mov_b32 s6, exec_lo
	v_cmpx_ne_u32_e32 17, v0
	s_cbranch_execz .LBB55_582
; %bb.579:
	v_add_nc_u32_e32 v120, 0x390, v123
	v_add3_u32 v121, 0, v123, 16
	v_mov_b32_e32 v122, v0
	s_mov_b32 s8, 0
	.p2align	6
.LBB55_580:                             ; =>This Inner Loop Header: Depth=1
	s_clause 0x3
	buffer_load_dword v128, v121, s[0:3], 0 offen offset:8
	buffer_load_dword v129, v121, s[0:3], 0 offen offset:12
	buffer_load_dword v130, v121, s[0:3], 0 offen
	buffer_load_dword v131, v121, s[0:3], 0 offen offset:4
	ds_read_b128 v[124:127], v120
	v_add_nc_u32_e32 v122, 1, v122
	v_add_nc_u32_e32 v120, 16, v120
	v_add_nc_u32_e32 v121, 16, v121
	v_cmp_lt_u32_e32 vcc_lo, 16, v122
	s_or_b32 s8, vcc_lo, s8
	s_waitcnt vmcnt(2) lgkmcnt(0)
	v_mul_f64 v[132:133], v[126:127], v[128:129]
	v_mul_f64 v[128:129], v[124:125], v[128:129]
	s_waitcnt vmcnt(0)
	v_fma_f64 v[124:125], v[124:125], v[130:131], -v[132:133]
	v_fma_f64 v[126:127], v[126:127], v[130:131], v[128:129]
	v_add_f64 v[1:2], v[1:2], v[124:125]
	v_add_f64 v[3:4], v[3:4], v[126:127]
	s_andn2_b32 exec_lo, exec_lo, s8
	s_cbranch_execnz .LBB55_580
; %bb.581:
	s_or_b32 exec_lo, exec_lo, s8
.LBB55_582:
	s_or_b32 exec_lo, exec_lo, s6
	v_mov_b32_e32 v120, 0
	ds_read_b128 v[124:127], v120 offset:288
	s_waitcnt lgkmcnt(0)
	v_mul_f64 v[120:121], v[3:4], v[126:127]
	v_mul_f64 v[126:127], v[1:2], v[126:127]
	v_fma_f64 v[1:2], v[1:2], v[124:125], -v[120:121]
	v_fma_f64 v[3:4], v[3:4], v[124:125], v[126:127]
	buffer_store_dword v2, off, s[0:3], 0 offset:292
	buffer_store_dword v1, off, s[0:3], 0 offset:288
	buffer_store_dword v4, off, s[0:3], 0 offset:300
	buffer_store_dword v3, off, s[0:3], 0 offset:296
.LBB55_583:
	s_or_b32 exec_lo, exec_lo, s4
	v_mov_b32_e32 v4, s45
	s_mov_b32 s4, exec_lo
	s_clause 0x3
	buffer_load_dword v1, v4, s[0:3], 0 offen
	buffer_load_dword v2, v4, s[0:3], 0 offen offset:4
	buffer_load_dword v3, v4, s[0:3], 0 offen offset:8
	;; [unrolled: 1-line block ×3, first 2 shown]
	s_waitcnt vmcnt(0)
	ds_write_b128 v118, v[1:4]
	s_waitcnt lgkmcnt(0)
	s_waitcnt_vscnt null, 0x0
	s_barrier
	buffer_gl0_inv
	v_cmpx_gt_u32_e32 19, v0
	s_cbranch_execz .LBB55_591
; %bb.584:
	ds_read_b128 v[1:4], v118
	v_cmp_ne_u32_e32 vcc_lo, 1, v119
	s_cbranch_vccnz .LBB55_586
; %bb.585:
	s_clause 0x3
	buffer_load_dword v120, v117, s[0:3], 0 offen offset:8
	buffer_load_dword v121, v117, s[0:3], 0 offen offset:12
	buffer_load_dword v124, v117, s[0:3], 0 offen
	buffer_load_dword v125, v117, s[0:3], 0 offen offset:4
	s_waitcnt vmcnt(2) lgkmcnt(0)
	v_mul_f64 v[126:127], v[3:4], v[120:121]
	v_mul_f64 v[120:121], v[1:2], v[120:121]
	s_waitcnt vmcnt(0)
	v_fma_f64 v[1:2], v[1:2], v[124:125], -v[126:127]
	v_fma_f64 v[3:4], v[3:4], v[124:125], v[120:121]
.LBB55_586:
	s_mov_b32 s6, exec_lo
	v_cmpx_ne_u32_e32 18, v0
	s_cbranch_execz .LBB55_590
; %bb.587:
	v_add_nc_u32_e32 v120, 0x390, v123
	v_add3_u32 v121, 0, v123, 16
	v_mov_b32_e32 v122, v0
	s_mov_b32 s8, 0
	.p2align	6
.LBB55_588:                             ; =>This Inner Loop Header: Depth=1
	s_clause 0x3
	buffer_load_dword v128, v121, s[0:3], 0 offen offset:8
	buffer_load_dword v129, v121, s[0:3], 0 offen offset:12
	buffer_load_dword v130, v121, s[0:3], 0 offen
	buffer_load_dword v131, v121, s[0:3], 0 offen offset:4
	ds_read_b128 v[124:127], v120
	v_add_nc_u32_e32 v122, 1, v122
	v_add_nc_u32_e32 v120, 16, v120
	;; [unrolled: 1-line block ×3, first 2 shown]
	v_cmp_lt_u32_e32 vcc_lo, 17, v122
	s_or_b32 s8, vcc_lo, s8
	s_waitcnt vmcnt(2) lgkmcnt(0)
	v_mul_f64 v[132:133], v[126:127], v[128:129]
	v_mul_f64 v[128:129], v[124:125], v[128:129]
	s_waitcnt vmcnt(0)
	v_fma_f64 v[124:125], v[124:125], v[130:131], -v[132:133]
	v_fma_f64 v[126:127], v[126:127], v[130:131], v[128:129]
	v_add_f64 v[1:2], v[1:2], v[124:125]
	v_add_f64 v[3:4], v[3:4], v[126:127]
	s_andn2_b32 exec_lo, exec_lo, s8
	s_cbranch_execnz .LBB55_588
; %bb.589:
	s_or_b32 exec_lo, exec_lo, s8
.LBB55_590:
	s_or_b32 exec_lo, exec_lo, s6
	v_mov_b32_e32 v120, 0
	ds_read_b128 v[124:127], v120 offset:304
	s_waitcnt lgkmcnt(0)
	v_mul_f64 v[120:121], v[3:4], v[126:127]
	v_mul_f64 v[126:127], v[1:2], v[126:127]
	v_fma_f64 v[1:2], v[1:2], v[124:125], -v[120:121]
	v_fma_f64 v[3:4], v[3:4], v[124:125], v[126:127]
	buffer_store_dword v2, off, s[0:3], 0 offset:308
	buffer_store_dword v1, off, s[0:3], 0 offset:304
	;; [unrolled: 1-line block ×4, first 2 shown]
.LBB55_591:
	s_or_b32 exec_lo, exec_lo, s4
	v_mov_b32_e32 v4, s44
	s_mov_b32 s4, exec_lo
	s_clause 0x3
	buffer_load_dword v1, v4, s[0:3], 0 offen
	buffer_load_dword v2, v4, s[0:3], 0 offen offset:4
	buffer_load_dword v3, v4, s[0:3], 0 offen offset:8
	;; [unrolled: 1-line block ×3, first 2 shown]
	s_waitcnt vmcnt(0)
	ds_write_b128 v118, v[1:4]
	s_waitcnt lgkmcnt(0)
	s_waitcnt_vscnt null, 0x0
	s_barrier
	buffer_gl0_inv
	v_cmpx_gt_u32_e32 20, v0
	s_cbranch_execz .LBB55_599
; %bb.592:
	ds_read_b128 v[1:4], v118
	v_cmp_ne_u32_e32 vcc_lo, 1, v119
	s_cbranch_vccnz .LBB55_594
; %bb.593:
	s_clause 0x3
	buffer_load_dword v120, v117, s[0:3], 0 offen offset:8
	buffer_load_dword v121, v117, s[0:3], 0 offen offset:12
	buffer_load_dword v124, v117, s[0:3], 0 offen
	buffer_load_dword v125, v117, s[0:3], 0 offen offset:4
	s_waitcnt vmcnt(2) lgkmcnt(0)
	v_mul_f64 v[126:127], v[3:4], v[120:121]
	v_mul_f64 v[120:121], v[1:2], v[120:121]
	s_waitcnt vmcnt(0)
	v_fma_f64 v[1:2], v[1:2], v[124:125], -v[126:127]
	v_fma_f64 v[3:4], v[3:4], v[124:125], v[120:121]
.LBB55_594:
	s_mov_b32 s6, exec_lo
	v_cmpx_ne_u32_e32 19, v0
	s_cbranch_execz .LBB55_598
; %bb.595:
	v_add_nc_u32_e32 v120, 0x390, v123
	v_add3_u32 v121, 0, v123, 16
	v_mov_b32_e32 v122, v0
	s_mov_b32 s8, 0
	.p2align	6
.LBB55_596:                             ; =>This Inner Loop Header: Depth=1
	s_clause 0x3
	buffer_load_dword v128, v121, s[0:3], 0 offen offset:8
	buffer_load_dword v129, v121, s[0:3], 0 offen offset:12
	buffer_load_dword v130, v121, s[0:3], 0 offen
	buffer_load_dword v131, v121, s[0:3], 0 offen offset:4
	ds_read_b128 v[124:127], v120
	v_add_nc_u32_e32 v122, 1, v122
	v_add_nc_u32_e32 v120, 16, v120
	v_add_nc_u32_e32 v121, 16, v121
	v_cmp_lt_u32_e32 vcc_lo, 18, v122
	s_or_b32 s8, vcc_lo, s8
	s_waitcnt vmcnt(2) lgkmcnt(0)
	v_mul_f64 v[132:133], v[126:127], v[128:129]
	v_mul_f64 v[128:129], v[124:125], v[128:129]
	s_waitcnt vmcnt(0)
	v_fma_f64 v[124:125], v[124:125], v[130:131], -v[132:133]
	v_fma_f64 v[126:127], v[126:127], v[130:131], v[128:129]
	v_add_f64 v[1:2], v[1:2], v[124:125]
	v_add_f64 v[3:4], v[3:4], v[126:127]
	s_andn2_b32 exec_lo, exec_lo, s8
	s_cbranch_execnz .LBB55_596
; %bb.597:
	s_or_b32 exec_lo, exec_lo, s8
.LBB55_598:
	s_or_b32 exec_lo, exec_lo, s6
	v_mov_b32_e32 v120, 0
	ds_read_b128 v[124:127], v120 offset:320
	s_waitcnt lgkmcnt(0)
	v_mul_f64 v[120:121], v[3:4], v[126:127]
	v_mul_f64 v[126:127], v[1:2], v[126:127]
	v_fma_f64 v[1:2], v[1:2], v[124:125], -v[120:121]
	v_fma_f64 v[3:4], v[3:4], v[124:125], v[126:127]
	buffer_store_dword v2, off, s[0:3], 0 offset:324
	buffer_store_dword v1, off, s[0:3], 0 offset:320
	;; [unrolled: 1-line block ×4, first 2 shown]
.LBB55_599:
	s_or_b32 exec_lo, exec_lo, s4
	v_mov_b32_e32 v4, s43
	s_mov_b32 s4, exec_lo
	s_clause 0x3
	buffer_load_dword v1, v4, s[0:3], 0 offen
	buffer_load_dword v2, v4, s[0:3], 0 offen offset:4
	buffer_load_dword v3, v4, s[0:3], 0 offen offset:8
	;; [unrolled: 1-line block ×3, first 2 shown]
	s_waitcnt vmcnt(0)
	ds_write_b128 v118, v[1:4]
	s_waitcnt lgkmcnt(0)
	s_waitcnt_vscnt null, 0x0
	s_barrier
	buffer_gl0_inv
	v_cmpx_gt_u32_e32 21, v0
	s_cbranch_execz .LBB55_607
; %bb.600:
	ds_read_b128 v[1:4], v118
	v_cmp_ne_u32_e32 vcc_lo, 1, v119
	s_cbranch_vccnz .LBB55_602
; %bb.601:
	s_clause 0x3
	buffer_load_dword v120, v117, s[0:3], 0 offen offset:8
	buffer_load_dword v121, v117, s[0:3], 0 offen offset:12
	buffer_load_dword v124, v117, s[0:3], 0 offen
	buffer_load_dword v125, v117, s[0:3], 0 offen offset:4
	s_waitcnt vmcnt(2) lgkmcnt(0)
	v_mul_f64 v[126:127], v[3:4], v[120:121]
	v_mul_f64 v[120:121], v[1:2], v[120:121]
	s_waitcnt vmcnt(0)
	v_fma_f64 v[1:2], v[1:2], v[124:125], -v[126:127]
	v_fma_f64 v[3:4], v[3:4], v[124:125], v[120:121]
.LBB55_602:
	s_mov_b32 s6, exec_lo
	v_cmpx_ne_u32_e32 20, v0
	s_cbranch_execz .LBB55_606
; %bb.603:
	v_add_nc_u32_e32 v120, 0x390, v123
	v_add3_u32 v121, 0, v123, 16
	v_mov_b32_e32 v122, v0
	s_mov_b32 s8, 0
	.p2align	6
.LBB55_604:                             ; =>This Inner Loop Header: Depth=1
	s_clause 0x3
	buffer_load_dword v128, v121, s[0:3], 0 offen offset:8
	buffer_load_dword v129, v121, s[0:3], 0 offen offset:12
	buffer_load_dword v130, v121, s[0:3], 0 offen
	buffer_load_dword v131, v121, s[0:3], 0 offen offset:4
	ds_read_b128 v[124:127], v120
	v_add_nc_u32_e32 v122, 1, v122
	v_add_nc_u32_e32 v120, 16, v120
	;; [unrolled: 1-line block ×3, first 2 shown]
	v_cmp_lt_u32_e32 vcc_lo, 19, v122
	s_or_b32 s8, vcc_lo, s8
	s_waitcnt vmcnt(2) lgkmcnt(0)
	v_mul_f64 v[132:133], v[126:127], v[128:129]
	v_mul_f64 v[128:129], v[124:125], v[128:129]
	s_waitcnt vmcnt(0)
	v_fma_f64 v[124:125], v[124:125], v[130:131], -v[132:133]
	v_fma_f64 v[126:127], v[126:127], v[130:131], v[128:129]
	v_add_f64 v[1:2], v[1:2], v[124:125]
	v_add_f64 v[3:4], v[3:4], v[126:127]
	s_andn2_b32 exec_lo, exec_lo, s8
	s_cbranch_execnz .LBB55_604
; %bb.605:
	s_or_b32 exec_lo, exec_lo, s8
.LBB55_606:
	s_or_b32 exec_lo, exec_lo, s6
	v_mov_b32_e32 v120, 0
	ds_read_b128 v[124:127], v120 offset:336
	s_waitcnt lgkmcnt(0)
	v_mul_f64 v[120:121], v[3:4], v[126:127]
	v_mul_f64 v[126:127], v[1:2], v[126:127]
	v_fma_f64 v[1:2], v[1:2], v[124:125], -v[120:121]
	v_fma_f64 v[3:4], v[3:4], v[124:125], v[126:127]
	buffer_store_dword v2, off, s[0:3], 0 offset:340
	buffer_store_dword v1, off, s[0:3], 0 offset:336
	;; [unrolled: 1-line block ×4, first 2 shown]
.LBB55_607:
	s_or_b32 exec_lo, exec_lo, s4
	v_mov_b32_e32 v4, s42
	s_mov_b32 s4, exec_lo
	s_clause 0x3
	buffer_load_dword v1, v4, s[0:3], 0 offen
	buffer_load_dword v2, v4, s[0:3], 0 offen offset:4
	buffer_load_dword v3, v4, s[0:3], 0 offen offset:8
	;; [unrolled: 1-line block ×3, first 2 shown]
	s_waitcnt vmcnt(0)
	ds_write_b128 v118, v[1:4]
	s_waitcnt lgkmcnt(0)
	s_waitcnt_vscnt null, 0x0
	s_barrier
	buffer_gl0_inv
	v_cmpx_gt_u32_e32 22, v0
	s_cbranch_execz .LBB55_615
; %bb.608:
	ds_read_b128 v[1:4], v118
	v_cmp_ne_u32_e32 vcc_lo, 1, v119
	s_cbranch_vccnz .LBB55_610
; %bb.609:
	s_clause 0x3
	buffer_load_dword v120, v117, s[0:3], 0 offen offset:8
	buffer_load_dword v121, v117, s[0:3], 0 offen offset:12
	buffer_load_dword v124, v117, s[0:3], 0 offen
	buffer_load_dword v125, v117, s[0:3], 0 offen offset:4
	s_waitcnt vmcnt(2) lgkmcnt(0)
	v_mul_f64 v[126:127], v[3:4], v[120:121]
	v_mul_f64 v[120:121], v[1:2], v[120:121]
	s_waitcnt vmcnt(0)
	v_fma_f64 v[1:2], v[1:2], v[124:125], -v[126:127]
	v_fma_f64 v[3:4], v[3:4], v[124:125], v[120:121]
.LBB55_610:
	s_mov_b32 s6, exec_lo
	v_cmpx_ne_u32_e32 21, v0
	s_cbranch_execz .LBB55_614
; %bb.611:
	v_add_nc_u32_e32 v120, 0x390, v123
	v_add3_u32 v121, 0, v123, 16
	v_mov_b32_e32 v122, v0
	s_mov_b32 s8, 0
	.p2align	6
.LBB55_612:                             ; =>This Inner Loop Header: Depth=1
	s_clause 0x3
	buffer_load_dword v128, v121, s[0:3], 0 offen offset:8
	buffer_load_dword v129, v121, s[0:3], 0 offen offset:12
	buffer_load_dword v130, v121, s[0:3], 0 offen
	buffer_load_dword v131, v121, s[0:3], 0 offen offset:4
	ds_read_b128 v[124:127], v120
	v_add_nc_u32_e32 v122, 1, v122
	v_add_nc_u32_e32 v120, 16, v120
	;; [unrolled: 1-line block ×3, first 2 shown]
	v_cmp_lt_u32_e32 vcc_lo, 20, v122
	s_or_b32 s8, vcc_lo, s8
	s_waitcnt vmcnt(2) lgkmcnt(0)
	v_mul_f64 v[132:133], v[126:127], v[128:129]
	v_mul_f64 v[128:129], v[124:125], v[128:129]
	s_waitcnt vmcnt(0)
	v_fma_f64 v[124:125], v[124:125], v[130:131], -v[132:133]
	v_fma_f64 v[126:127], v[126:127], v[130:131], v[128:129]
	v_add_f64 v[1:2], v[1:2], v[124:125]
	v_add_f64 v[3:4], v[3:4], v[126:127]
	s_andn2_b32 exec_lo, exec_lo, s8
	s_cbranch_execnz .LBB55_612
; %bb.613:
	s_or_b32 exec_lo, exec_lo, s8
.LBB55_614:
	s_or_b32 exec_lo, exec_lo, s6
	v_mov_b32_e32 v120, 0
	ds_read_b128 v[124:127], v120 offset:352
	s_waitcnt lgkmcnt(0)
	v_mul_f64 v[120:121], v[3:4], v[126:127]
	v_mul_f64 v[126:127], v[1:2], v[126:127]
	v_fma_f64 v[1:2], v[1:2], v[124:125], -v[120:121]
	v_fma_f64 v[3:4], v[3:4], v[124:125], v[126:127]
	buffer_store_dword v2, off, s[0:3], 0 offset:356
	buffer_store_dword v1, off, s[0:3], 0 offset:352
	;; [unrolled: 1-line block ×4, first 2 shown]
.LBB55_615:
	s_or_b32 exec_lo, exec_lo, s4
	v_mov_b32_e32 v4, s41
	s_mov_b32 s4, exec_lo
	s_clause 0x3
	buffer_load_dword v1, v4, s[0:3], 0 offen
	buffer_load_dword v2, v4, s[0:3], 0 offen offset:4
	buffer_load_dword v3, v4, s[0:3], 0 offen offset:8
	;; [unrolled: 1-line block ×3, first 2 shown]
	s_waitcnt vmcnt(0)
	ds_write_b128 v118, v[1:4]
	s_waitcnt lgkmcnt(0)
	s_waitcnt_vscnt null, 0x0
	s_barrier
	buffer_gl0_inv
	v_cmpx_gt_u32_e32 23, v0
	s_cbranch_execz .LBB55_623
; %bb.616:
	ds_read_b128 v[1:4], v118
	v_cmp_ne_u32_e32 vcc_lo, 1, v119
	s_cbranch_vccnz .LBB55_618
; %bb.617:
	s_clause 0x3
	buffer_load_dword v120, v117, s[0:3], 0 offen offset:8
	buffer_load_dword v121, v117, s[0:3], 0 offen offset:12
	buffer_load_dword v124, v117, s[0:3], 0 offen
	buffer_load_dword v125, v117, s[0:3], 0 offen offset:4
	s_waitcnt vmcnt(2) lgkmcnt(0)
	v_mul_f64 v[126:127], v[3:4], v[120:121]
	v_mul_f64 v[120:121], v[1:2], v[120:121]
	s_waitcnt vmcnt(0)
	v_fma_f64 v[1:2], v[1:2], v[124:125], -v[126:127]
	v_fma_f64 v[3:4], v[3:4], v[124:125], v[120:121]
.LBB55_618:
	s_mov_b32 s6, exec_lo
	v_cmpx_ne_u32_e32 22, v0
	s_cbranch_execz .LBB55_622
; %bb.619:
	v_add_nc_u32_e32 v120, 0x390, v123
	v_add3_u32 v121, 0, v123, 16
	v_mov_b32_e32 v122, v0
	s_mov_b32 s8, 0
	.p2align	6
.LBB55_620:                             ; =>This Inner Loop Header: Depth=1
	s_clause 0x3
	buffer_load_dword v128, v121, s[0:3], 0 offen offset:8
	buffer_load_dword v129, v121, s[0:3], 0 offen offset:12
	buffer_load_dword v130, v121, s[0:3], 0 offen
	buffer_load_dword v131, v121, s[0:3], 0 offen offset:4
	ds_read_b128 v[124:127], v120
	v_add_nc_u32_e32 v122, 1, v122
	v_add_nc_u32_e32 v120, 16, v120
	;; [unrolled: 1-line block ×3, first 2 shown]
	v_cmp_lt_u32_e32 vcc_lo, 21, v122
	s_or_b32 s8, vcc_lo, s8
	s_waitcnt vmcnt(2) lgkmcnt(0)
	v_mul_f64 v[132:133], v[126:127], v[128:129]
	v_mul_f64 v[128:129], v[124:125], v[128:129]
	s_waitcnt vmcnt(0)
	v_fma_f64 v[124:125], v[124:125], v[130:131], -v[132:133]
	v_fma_f64 v[126:127], v[126:127], v[130:131], v[128:129]
	v_add_f64 v[1:2], v[1:2], v[124:125]
	v_add_f64 v[3:4], v[3:4], v[126:127]
	s_andn2_b32 exec_lo, exec_lo, s8
	s_cbranch_execnz .LBB55_620
; %bb.621:
	s_or_b32 exec_lo, exec_lo, s8
.LBB55_622:
	s_or_b32 exec_lo, exec_lo, s6
	v_mov_b32_e32 v120, 0
	ds_read_b128 v[124:127], v120 offset:368
	s_waitcnt lgkmcnt(0)
	v_mul_f64 v[120:121], v[3:4], v[126:127]
	v_mul_f64 v[126:127], v[1:2], v[126:127]
	v_fma_f64 v[1:2], v[1:2], v[124:125], -v[120:121]
	v_fma_f64 v[3:4], v[3:4], v[124:125], v[126:127]
	buffer_store_dword v2, off, s[0:3], 0 offset:372
	buffer_store_dword v1, off, s[0:3], 0 offset:368
	;; [unrolled: 1-line block ×4, first 2 shown]
.LBB55_623:
	s_or_b32 exec_lo, exec_lo, s4
	v_mov_b32_e32 v4, s40
	s_mov_b32 s4, exec_lo
	s_clause 0x3
	buffer_load_dword v1, v4, s[0:3], 0 offen
	buffer_load_dword v2, v4, s[0:3], 0 offen offset:4
	buffer_load_dword v3, v4, s[0:3], 0 offen offset:8
	;; [unrolled: 1-line block ×3, first 2 shown]
	s_waitcnt vmcnt(0)
	ds_write_b128 v118, v[1:4]
	s_waitcnt lgkmcnt(0)
	s_waitcnt_vscnt null, 0x0
	s_barrier
	buffer_gl0_inv
	v_cmpx_gt_u32_e32 24, v0
	s_cbranch_execz .LBB55_631
; %bb.624:
	ds_read_b128 v[1:4], v118
	v_cmp_ne_u32_e32 vcc_lo, 1, v119
	s_cbranch_vccnz .LBB55_626
; %bb.625:
	s_clause 0x3
	buffer_load_dword v120, v117, s[0:3], 0 offen offset:8
	buffer_load_dword v121, v117, s[0:3], 0 offen offset:12
	buffer_load_dword v124, v117, s[0:3], 0 offen
	buffer_load_dword v125, v117, s[0:3], 0 offen offset:4
	s_waitcnt vmcnt(2) lgkmcnt(0)
	v_mul_f64 v[126:127], v[3:4], v[120:121]
	v_mul_f64 v[120:121], v[1:2], v[120:121]
	s_waitcnt vmcnt(0)
	v_fma_f64 v[1:2], v[1:2], v[124:125], -v[126:127]
	v_fma_f64 v[3:4], v[3:4], v[124:125], v[120:121]
.LBB55_626:
	s_mov_b32 s6, exec_lo
	v_cmpx_ne_u32_e32 23, v0
	s_cbranch_execz .LBB55_630
; %bb.627:
	v_add_nc_u32_e32 v120, 0x390, v123
	v_add3_u32 v121, 0, v123, 16
	v_mov_b32_e32 v122, v0
	s_mov_b32 s8, 0
	.p2align	6
.LBB55_628:                             ; =>This Inner Loop Header: Depth=1
	s_clause 0x3
	buffer_load_dword v128, v121, s[0:3], 0 offen offset:8
	buffer_load_dword v129, v121, s[0:3], 0 offen offset:12
	buffer_load_dword v130, v121, s[0:3], 0 offen
	buffer_load_dword v131, v121, s[0:3], 0 offen offset:4
	ds_read_b128 v[124:127], v120
	v_add_nc_u32_e32 v122, 1, v122
	v_add_nc_u32_e32 v120, 16, v120
	;; [unrolled: 1-line block ×3, first 2 shown]
	v_cmp_lt_u32_e32 vcc_lo, 22, v122
	s_or_b32 s8, vcc_lo, s8
	s_waitcnt vmcnt(2) lgkmcnt(0)
	v_mul_f64 v[132:133], v[126:127], v[128:129]
	v_mul_f64 v[128:129], v[124:125], v[128:129]
	s_waitcnt vmcnt(0)
	v_fma_f64 v[124:125], v[124:125], v[130:131], -v[132:133]
	v_fma_f64 v[126:127], v[126:127], v[130:131], v[128:129]
	v_add_f64 v[1:2], v[1:2], v[124:125]
	v_add_f64 v[3:4], v[3:4], v[126:127]
	s_andn2_b32 exec_lo, exec_lo, s8
	s_cbranch_execnz .LBB55_628
; %bb.629:
	s_or_b32 exec_lo, exec_lo, s8
.LBB55_630:
	s_or_b32 exec_lo, exec_lo, s6
	v_mov_b32_e32 v120, 0
	ds_read_b128 v[124:127], v120 offset:384
	s_waitcnt lgkmcnt(0)
	v_mul_f64 v[120:121], v[3:4], v[126:127]
	v_mul_f64 v[126:127], v[1:2], v[126:127]
	v_fma_f64 v[1:2], v[1:2], v[124:125], -v[120:121]
	v_fma_f64 v[3:4], v[3:4], v[124:125], v[126:127]
	buffer_store_dword v2, off, s[0:3], 0 offset:388
	buffer_store_dword v1, off, s[0:3], 0 offset:384
	;; [unrolled: 1-line block ×4, first 2 shown]
.LBB55_631:
	s_or_b32 exec_lo, exec_lo, s4
	v_mov_b32_e32 v4, s39
	s_mov_b32 s4, exec_lo
	s_clause 0x3
	buffer_load_dword v1, v4, s[0:3], 0 offen
	buffer_load_dword v2, v4, s[0:3], 0 offen offset:4
	buffer_load_dword v3, v4, s[0:3], 0 offen offset:8
	buffer_load_dword v4, v4, s[0:3], 0 offen offset:12
	s_waitcnt vmcnt(0)
	ds_write_b128 v118, v[1:4]
	s_waitcnt lgkmcnt(0)
	s_waitcnt_vscnt null, 0x0
	s_barrier
	buffer_gl0_inv
	v_cmpx_gt_u32_e32 25, v0
	s_cbranch_execz .LBB55_639
; %bb.632:
	ds_read_b128 v[1:4], v118
	v_cmp_ne_u32_e32 vcc_lo, 1, v119
	s_cbranch_vccnz .LBB55_634
; %bb.633:
	s_clause 0x3
	buffer_load_dword v120, v117, s[0:3], 0 offen offset:8
	buffer_load_dword v121, v117, s[0:3], 0 offen offset:12
	buffer_load_dword v124, v117, s[0:3], 0 offen
	buffer_load_dword v125, v117, s[0:3], 0 offen offset:4
	s_waitcnt vmcnt(2) lgkmcnt(0)
	v_mul_f64 v[126:127], v[3:4], v[120:121]
	v_mul_f64 v[120:121], v[1:2], v[120:121]
	s_waitcnt vmcnt(0)
	v_fma_f64 v[1:2], v[1:2], v[124:125], -v[126:127]
	v_fma_f64 v[3:4], v[3:4], v[124:125], v[120:121]
.LBB55_634:
	s_mov_b32 s6, exec_lo
	v_cmpx_ne_u32_e32 24, v0
	s_cbranch_execz .LBB55_638
; %bb.635:
	v_add_nc_u32_e32 v120, 0x390, v123
	v_add3_u32 v121, 0, v123, 16
	v_mov_b32_e32 v122, v0
	s_mov_b32 s8, 0
	.p2align	6
.LBB55_636:                             ; =>This Inner Loop Header: Depth=1
	s_clause 0x3
	buffer_load_dword v128, v121, s[0:3], 0 offen offset:8
	buffer_load_dword v129, v121, s[0:3], 0 offen offset:12
	buffer_load_dword v130, v121, s[0:3], 0 offen
	buffer_load_dword v131, v121, s[0:3], 0 offen offset:4
	ds_read_b128 v[124:127], v120
	v_add_nc_u32_e32 v122, 1, v122
	v_add_nc_u32_e32 v120, 16, v120
	;; [unrolled: 1-line block ×3, first 2 shown]
	v_cmp_lt_u32_e32 vcc_lo, 23, v122
	s_or_b32 s8, vcc_lo, s8
	s_waitcnt vmcnt(2) lgkmcnt(0)
	v_mul_f64 v[132:133], v[126:127], v[128:129]
	v_mul_f64 v[128:129], v[124:125], v[128:129]
	s_waitcnt vmcnt(0)
	v_fma_f64 v[124:125], v[124:125], v[130:131], -v[132:133]
	v_fma_f64 v[126:127], v[126:127], v[130:131], v[128:129]
	v_add_f64 v[1:2], v[1:2], v[124:125]
	v_add_f64 v[3:4], v[3:4], v[126:127]
	s_andn2_b32 exec_lo, exec_lo, s8
	s_cbranch_execnz .LBB55_636
; %bb.637:
	s_or_b32 exec_lo, exec_lo, s8
.LBB55_638:
	s_or_b32 exec_lo, exec_lo, s6
	v_mov_b32_e32 v120, 0
	ds_read_b128 v[124:127], v120 offset:400
	s_waitcnt lgkmcnt(0)
	v_mul_f64 v[120:121], v[3:4], v[126:127]
	v_mul_f64 v[126:127], v[1:2], v[126:127]
	v_fma_f64 v[1:2], v[1:2], v[124:125], -v[120:121]
	v_fma_f64 v[3:4], v[3:4], v[124:125], v[126:127]
	buffer_store_dword v2, off, s[0:3], 0 offset:404
	buffer_store_dword v1, off, s[0:3], 0 offset:400
	;; [unrolled: 1-line block ×4, first 2 shown]
.LBB55_639:
	s_or_b32 exec_lo, exec_lo, s4
	v_mov_b32_e32 v4, s38
	s_mov_b32 s4, exec_lo
	s_clause 0x3
	buffer_load_dword v1, v4, s[0:3], 0 offen
	buffer_load_dword v2, v4, s[0:3], 0 offen offset:4
	buffer_load_dword v3, v4, s[0:3], 0 offen offset:8
	;; [unrolled: 1-line block ×3, first 2 shown]
	s_waitcnt vmcnt(0)
	ds_write_b128 v118, v[1:4]
	s_waitcnt lgkmcnt(0)
	s_waitcnt_vscnt null, 0x0
	s_barrier
	buffer_gl0_inv
	v_cmpx_gt_u32_e32 26, v0
	s_cbranch_execz .LBB55_647
; %bb.640:
	ds_read_b128 v[1:4], v118
	v_cmp_ne_u32_e32 vcc_lo, 1, v119
	s_cbranch_vccnz .LBB55_642
; %bb.641:
	s_clause 0x3
	buffer_load_dword v120, v117, s[0:3], 0 offen offset:8
	buffer_load_dword v121, v117, s[0:3], 0 offen offset:12
	buffer_load_dword v124, v117, s[0:3], 0 offen
	buffer_load_dword v125, v117, s[0:3], 0 offen offset:4
	s_waitcnt vmcnt(2) lgkmcnt(0)
	v_mul_f64 v[126:127], v[3:4], v[120:121]
	v_mul_f64 v[120:121], v[1:2], v[120:121]
	s_waitcnt vmcnt(0)
	v_fma_f64 v[1:2], v[1:2], v[124:125], -v[126:127]
	v_fma_f64 v[3:4], v[3:4], v[124:125], v[120:121]
.LBB55_642:
	s_mov_b32 s6, exec_lo
	v_cmpx_ne_u32_e32 25, v0
	s_cbranch_execz .LBB55_646
; %bb.643:
	v_add_nc_u32_e32 v120, 0x390, v123
	v_add3_u32 v121, 0, v123, 16
	v_mov_b32_e32 v122, v0
	s_mov_b32 s8, 0
	.p2align	6
.LBB55_644:                             ; =>This Inner Loop Header: Depth=1
	s_clause 0x3
	buffer_load_dword v128, v121, s[0:3], 0 offen offset:8
	buffer_load_dword v129, v121, s[0:3], 0 offen offset:12
	buffer_load_dword v130, v121, s[0:3], 0 offen
	buffer_load_dword v131, v121, s[0:3], 0 offen offset:4
	ds_read_b128 v[124:127], v120
	v_add_nc_u32_e32 v122, 1, v122
	v_add_nc_u32_e32 v120, 16, v120
	;; [unrolled: 1-line block ×3, first 2 shown]
	v_cmp_lt_u32_e32 vcc_lo, 24, v122
	s_or_b32 s8, vcc_lo, s8
	s_waitcnt vmcnt(2) lgkmcnt(0)
	v_mul_f64 v[132:133], v[126:127], v[128:129]
	v_mul_f64 v[128:129], v[124:125], v[128:129]
	s_waitcnt vmcnt(0)
	v_fma_f64 v[124:125], v[124:125], v[130:131], -v[132:133]
	v_fma_f64 v[126:127], v[126:127], v[130:131], v[128:129]
	v_add_f64 v[1:2], v[1:2], v[124:125]
	v_add_f64 v[3:4], v[3:4], v[126:127]
	s_andn2_b32 exec_lo, exec_lo, s8
	s_cbranch_execnz .LBB55_644
; %bb.645:
	s_or_b32 exec_lo, exec_lo, s8
.LBB55_646:
	s_or_b32 exec_lo, exec_lo, s6
	v_mov_b32_e32 v120, 0
	ds_read_b128 v[124:127], v120 offset:416
	s_waitcnt lgkmcnt(0)
	v_mul_f64 v[120:121], v[3:4], v[126:127]
	v_mul_f64 v[126:127], v[1:2], v[126:127]
	v_fma_f64 v[1:2], v[1:2], v[124:125], -v[120:121]
	v_fma_f64 v[3:4], v[3:4], v[124:125], v[126:127]
	buffer_store_dword v2, off, s[0:3], 0 offset:420
	buffer_store_dword v1, off, s[0:3], 0 offset:416
	;; [unrolled: 1-line block ×4, first 2 shown]
.LBB55_647:
	s_or_b32 exec_lo, exec_lo, s4
	v_mov_b32_e32 v4, s37
	s_mov_b32 s4, exec_lo
	s_clause 0x3
	buffer_load_dword v1, v4, s[0:3], 0 offen
	buffer_load_dword v2, v4, s[0:3], 0 offen offset:4
	buffer_load_dword v3, v4, s[0:3], 0 offen offset:8
	;; [unrolled: 1-line block ×3, first 2 shown]
	s_waitcnt vmcnt(0)
	ds_write_b128 v118, v[1:4]
	s_waitcnt lgkmcnt(0)
	s_waitcnt_vscnt null, 0x0
	s_barrier
	buffer_gl0_inv
	v_cmpx_gt_u32_e32 27, v0
	s_cbranch_execz .LBB55_655
; %bb.648:
	ds_read_b128 v[1:4], v118
	v_cmp_ne_u32_e32 vcc_lo, 1, v119
	s_cbranch_vccnz .LBB55_650
; %bb.649:
	s_clause 0x3
	buffer_load_dword v120, v117, s[0:3], 0 offen offset:8
	buffer_load_dword v121, v117, s[0:3], 0 offen offset:12
	buffer_load_dword v124, v117, s[0:3], 0 offen
	buffer_load_dword v125, v117, s[0:3], 0 offen offset:4
	s_waitcnt vmcnt(2) lgkmcnt(0)
	v_mul_f64 v[126:127], v[3:4], v[120:121]
	v_mul_f64 v[120:121], v[1:2], v[120:121]
	s_waitcnt vmcnt(0)
	v_fma_f64 v[1:2], v[1:2], v[124:125], -v[126:127]
	v_fma_f64 v[3:4], v[3:4], v[124:125], v[120:121]
.LBB55_650:
	s_mov_b32 s6, exec_lo
	v_cmpx_ne_u32_e32 26, v0
	s_cbranch_execz .LBB55_654
; %bb.651:
	v_add_nc_u32_e32 v120, 0x390, v123
	v_add3_u32 v121, 0, v123, 16
	v_mov_b32_e32 v122, v0
	s_mov_b32 s8, 0
	.p2align	6
.LBB55_652:                             ; =>This Inner Loop Header: Depth=1
	s_clause 0x3
	buffer_load_dword v128, v121, s[0:3], 0 offen offset:8
	buffer_load_dword v129, v121, s[0:3], 0 offen offset:12
	buffer_load_dword v130, v121, s[0:3], 0 offen
	buffer_load_dword v131, v121, s[0:3], 0 offen offset:4
	ds_read_b128 v[124:127], v120
	v_add_nc_u32_e32 v122, 1, v122
	v_add_nc_u32_e32 v120, 16, v120
	;; [unrolled: 1-line block ×3, first 2 shown]
	v_cmp_lt_u32_e32 vcc_lo, 25, v122
	s_or_b32 s8, vcc_lo, s8
	s_waitcnt vmcnt(2) lgkmcnt(0)
	v_mul_f64 v[132:133], v[126:127], v[128:129]
	v_mul_f64 v[128:129], v[124:125], v[128:129]
	s_waitcnt vmcnt(0)
	v_fma_f64 v[124:125], v[124:125], v[130:131], -v[132:133]
	v_fma_f64 v[126:127], v[126:127], v[130:131], v[128:129]
	v_add_f64 v[1:2], v[1:2], v[124:125]
	v_add_f64 v[3:4], v[3:4], v[126:127]
	s_andn2_b32 exec_lo, exec_lo, s8
	s_cbranch_execnz .LBB55_652
; %bb.653:
	s_or_b32 exec_lo, exec_lo, s8
.LBB55_654:
	s_or_b32 exec_lo, exec_lo, s6
	v_mov_b32_e32 v120, 0
	ds_read_b128 v[124:127], v120 offset:432
	s_waitcnt lgkmcnt(0)
	v_mul_f64 v[120:121], v[3:4], v[126:127]
	v_mul_f64 v[126:127], v[1:2], v[126:127]
	v_fma_f64 v[1:2], v[1:2], v[124:125], -v[120:121]
	v_fma_f64 v[3:4], v[3:4], v[124:125], v[126:127]
	buffer_store_dword v2, off, s[0:3], 0 offset:436
	buffer_store_dword v1, off, s[0:3], 0 offset:432
	;; [unrolled: 1-line block ×4, first 2 shown]
.LBB55_655:
	s_or_b32 exec_lo, exec_lo, s4
	v_mov_b32_e32 v4, s36
	s_mov_b32 s4, exec_lo
	s_clause 0x3
	buffer_load_dword v1, v4, s[0:3], 0 offen
	buffer_load_dword v2, v4, s[0:3], 0 offen offset:4
	buffer_load_dword v3, v4, s[0:3], 0 offen offset:8
	;; [unrolled: 1-line block ×3, first 2 shown]
	s_waitcnt vmcnt(0)
	ds_write_b128 v118, v[1:4]
	s_waitcnt lgkmcnt(0)
	s_waitcnt_vscnt null, 0x0
	s_barrier
	buffer_gl0_inv
	v_cmpx_gt_u32_e32 28, v0
	s_cbranch_execz .LBB55_663
; %bb.656:
	ds_read_b128 v[1:4], v118
	v_cmp_ne_u32_e32 vcc_lo, 1, v119
	s_cbranch_vccnz .LBB55_658
; %bb.657:
	s_clause 0x3
	buffer_load_dword v120, v117, s[0:3], 0 offen offset:8
	buffer_load_dword v121, v117, s[0:3], 0 offen offset:12
	buffer_load_dword v124, v117, s[0:3], 0 offen
	buffer_load_dword v125, v117, s[0:3], 0 offen offset:4
	s_waitcnt vmcnt(2) lgkmcnt(0)
	v_mul_f64 v[126:127], v[3:4], v[120:121]
	v_mul_f64 v[120:121], v[1:2], v[120:121]
	s_waitcnt vmcnt(0)
	v_fma_f64 v[1:2], v[1:2], v[124:125], -v[126:127]
	v_fma_f64 v[3:4], v[3:4], v[124:125], v[120:121]
.LBB55_658:
	s_mov_b32 s6, exec_lo
	v_cmpx_ne_u32_e32 27, v0
	s_cbranch_execz .LBB55_662
; %bb.659:
	v_add_nc_u32_e32 v120, 0x390, v123
	v_add3_u32 v121, 0, v123, 16
	v_mov_b32_e32 v122, v0
	s_mov_b32 s8, 0
	.p2align	6
.LBB55_660:                             ; =>This Inner Loop Header: Depth=1
	s_clause 0x3
	buffer_load_dword v128, v121, s[0:3], 0 offen offset:8
	buffer_load_dword v129, v121, s[0:3], 0 offen offset:12
	buffer_load_dword v130, v121, s[0:3], 0 offen
	buffer_load_dword v131, v121, s[0:3], 0 offen offset:4
	ds_read_b128 v[124:127], v120
	v_add_nc_u32_e32 v122, 1, v122
	v_add_nc_u32_e32 v120, 16, v120
	;; [unrolled: 1-line block ×3, first 2 shown]
	v_cmp_lt_u32_e32 vcc_lo, 26, v122
	s_or_b32 s8, vcc_lo, s8
	s_waitcnt vmcnt(2) lgkmcnt(0)
	v_mul_f64 v[132:133], v[126:127], v[128:129]
	v_mul_f64 v[128:129], v[124:125], v[128:129]
	s_waitcnt vmcnt(0)
	v_fma_f64 v[124:125], v[124:125], v[130:131], -v[132:133]
	v_fma_f64 v[126:127], v[126:127], v[130:131], v[128:129]
	v_add_f64 v[1:2], v[1:2], v[124:125]
	v_add_f64 v[3:4], v[3:4], v[126:127]
	s_andn2_b32 exec_lo, exec_lo, s8
	s_cbranch_execnz .LBB55_660
; %bb.661:
	s_or_b32 exec_lo, exec_lo, s8
.LBB55_662:
	s_or_b32 exec_lo, exec_lo, s6
	v_mov_b32_e32 v120, 0
	ds_read_b128 v[124:127], v120 offset:448
	s_waitcnt lgkmcnt(0)
	v_mul_f64 v[120:121], v[3:4], v[126:127]
	v_mul_f64 v[126:127], v[1:2], v[126:127]
	v_fma_f64 v[1:2], v[1:2], v[124:125], -v[120:121]
	v_fma_f64 v[3:4], v[3:4], v[124:125], v[126:127]
	buffer_store_dword v2, off, s[0:3], 0 offset:452
	buffer_store_dword v1, off, s[0:3], 0 offset:448
	;; [unrolled: 1-line block ×4, first 2 shown]
.LBB55_663:
	s_or_b32 exec_lo, exec_lo, s4
	v_mov_b32_e32 v4, s35
	s_mov_b32 s4, exec_lo
	s_clause 0x3
	buffer_load_dword v1, v4, s[0:3], 0 offen
	buffer_load_dword v2, v4, s[0:3], 0 offen offset:4
	buffer_load_dword v3, v4, s[0:3], 0 offen offset:8
	;; [unrolled: 1-line block ×3, first 2 shown]
	s_waitcnt vmcnt(0)
	ds_write_b128 v118, v[1:4]
	s_waitcnt lgkmcnt(0)
	s_waitcnt_vscnt null, 0x0
	s_barrier
	buffer_gl0_inv
	v_cmpx_gt_u32_e32 29, v0
	s_cbranch_execz .LBB55_671
; %bb.664:
	ds_read_b128 v[1:4], v118
	v_cmp_ne_u32_e32 vcc_lo, 1, v119
	s_cbranch_vccnz .LBB55_666
; %bb.665:
	s_clause 0x3
	buffer_load_dword v120, v117, s[0:3], 0 offen offset:8
	buffer_load_dword v121, v117, s[0:3], 0 offen offset:12
	buffer_load_dword v124, v117, s[0:3], 0 offen
	buffer_load_dword v125, v117, s[0:3], 0 offen offset:4
	s_waitcnt vmcnt(2) lgkmcnt(0)
	v_mul_f64 v[126:127], v[3:4], v[120:121]
	v_mul_f64 v[120:121], v[1:2], v[120:121]
	s_waitcnt vmcnt(0)
	v_fma_f64 v[1:2], v[1:2], v[124:125], -v[126:127]
	v_fma_f64 v[3:4], v[3:4], v[124:125], v[120:121]
.LBB55_666:
	s_mov_b32 s6, exec_lo
	v_cmpx_ne_u32_e32 28, v0
	s_cbranch_execz .LBB55_670
; %bb.667:
	v_add_nc_u32_e32 v120, 0x390, v123
	v_add3_u32 v121, 0, v123, 16
	v_mov_b32_e32 v122, v0
	s_mov_b32 s8, 0
	.p2align	6
.LBB55_668:                             ; =>This Inner Loop Header: Depth=1
	s_clause 0x3
	buffer_load_dword v128, v121, s[0:3], 0 offen offset:8
	buffer_load_dword v129, v121, s[0:3], 0 offen offset:12
	buffer_load_dword v130, v121, s[0:3], 0 offen
	buffer_load_dword v131, v121, s[0:3], 0 offen offset:4
	ds_read_b128 v[124:127], v120
	v_add_nc_u32_e32 v122, 1, v122
	v_add_nc_u32_e32 v120, 16, v120
	;; [unrolled: 1-line block ×3, first 2 shown]
	v_cmp_lt_u32_e32 vcc_lo, 27, v122
	s_or_b32 s8, vcc_lo, s8
	s_waitcnt vmcnt(2) lgkmcnt(0)
	v_mul_f64 v[132:133], v[126:127], v[128:129]
	v_mul_f64 v[128:129], v[124:125], v[128:129]
	s_waitcnt vmcnt(0)
	v_fma_f64 v[124:125], v[124:125], v[130:131], -v[132:133]
	v_fma_f64 v[126:127], v[126:127], v[130:131], v[128:129]
	v_add_f64 v[1:2], v[1:2], v[124:125]
	v_add_f64 v[3:4], v[3:4], v[126:127]
	s_andn2_b32 exec_lo, exec_lo, s8
	s_cbranch_execnz .LBB55_668
; %bb.669:
	s_or_b32 exec_lo, exec_lo, s8
.LBB55_670:
	s_or_b32 exec_lo, exec_lo, s6
	v_mov_b32_e32 v120, 0
	ds_read_b128 v[124:127], v120 offset:464
	s_waitcnt lgkmcnt(0)
	v_mul_f64 v[120:121], v[3:4], v[126:127]
	v_mul_f64 v[126:127], v[1:2], v[126:127]
	v_fma_f64 v[1:2], v[1:2], v[124:125], -v[120:121]
	v_fma_f64 v[3:4], v[3:4], v[124:125], v[126:127]
	buffer_store_dword v2, off, s[0:3], 0 offset:468
	buffer_store_dword v1, off, s[0:3], 0 offset:464
	;; [unrolled: 1-line block ×4, first 2 shown]
.LBB55_671:
	s_or_b32 exec_lo, exec_lo, s4
	v_mov_b32_e32 v4, s34
	s_mov_b32 s4, exec_lo
	s_clause 0x3
	buffer_load_dword v1, v4, s[0:3], 0 offen
	buffer_load_dword v2, v4, s[0:3], 0 offen offset:4
	buffer_load_dword v3, v4, s[0:3], 0 offen offset:8
	;; [unrolled: 1-line block ×3, first 2 shown]
	s_waitcnt vmcnt(0)
	ds_write_b128 v118, v[1:4]
	s_waitcnt lgkmcnt(0)
	s_waitcnt_vscnt null, 0x0
	s_barrier
	buffer_gl0_inv
	v_cmpx_gt_u32_e32 30, v0
	s_cbranch_execz .LBB55_679
; %bb.672:
	ds_read_b128 v[1:4], v118
	v_cmp_ne_u32_e32 vcc_lo, 1, v119
	s_cbranch_vccnz .LBB55_674
; %bb.673:
	s_clause 0x3
	buffer_load_dword v120, v117, s[0:3], 0 offen offset:8
	buffer_load_dword v121, v117, s[0:3], 0 offen offset:12
	buffer_load_dword v124, v117, s[0:3], 0 offen
	buffer_load_dword v125, v117, s[0:3], 0 offen offset:4
	s_waitcnt vmcnt(2) lgkmcnt(0)
	v_mul_f64 v[126:127], v[3:4], v[120:121]
	v_mul_f64 v[120:121], v[1:2], v[120:121]
	s_waitcnt vmcnt(0)
	v_fma_f64 v[1:2], v[1:2], v[124:125], -v[126:127]
	v_fma_f64 v[3:4], v[3:4], v[124:125], v[120:121]
.LBB55_674:
	s_mov_b32 s6, exec_lo
	v_cmpx_ne_u32_e32 29, v0
	s_cbranch_execz .LBB55_678
; %bb.675:
	v_add_nc_u32_e32 v120, 0x390, v123
	v_add3_u32 v121, 0, v123, 16
	v_mov_b32_e32 v122, v0
	s_mov_b32 s8, 0
	.p2align	6
.LBB55_676:                             ; =>This Inner Loop Header: Depth=1
	s_clause 0x3
	buffer_load_dword v128, v121, s[0:3], 0 offen offset:8
	buffer_load_dword v129, v121, s[0:3], 0 offen offset:12
	buffer_load_dword v130, v121, s[0:3], 0 offen
	buffer_load_dword v131, v121, s[0:3], 0 offen offset:4
	ds_read_b128 v[124:127], v120
	v_add_nc_u32_e32 v122, 1, v122
	v_add_nc_u32_e32 v120, 16, v120
	v_add_nc_u32_e32 v121, 16, v121
	v_cmp_lt_u32_e32 vcc_lo, 28, v122
	s_or_b32 s8, vcc_lo, s8
	s_waitcnt vmcnt(2) lgkmcnt(0)
	v_mul_f64 v[132:133], v[126:127], v[128:129]
	v_mul_f64 v[128:129], v[124:125], v[128:129]
	s_waitcnt vmcnt(0)
	v_fma_f64 v[124:125], v[124:125], v[130:131], -v[132:133]
	v_fma_f64 v[126:127], v[126:127], v[130:131], v[128:129]
	v_add_f64 v[1:2], v[1:2], v[124:125]
	v_add_f64 v[3:4], v[3:4], v[126:127]
	s_andn2_b32 exec_lo, exec_lo, s8
	s_cbranch_execnz .LBB55_676
; %bb.677:
	s_or_b32 exec_lo, exec_lo, s8
.LBB55_678:
	s_or_b32 exec_lo, exec_lo, s6
	v_mov_b32_e32 v120, 0
	ds_read_b128 v[124:127], v120 offset:480
	s_waitcnt lgkmcnt(0)
	v_mul_f64 v[120:121], v[3:4], v[126:127]
	v_mul_f64 v[126:127], v[1:2], v[126:127]
	v_fma_f64 v[1:2], v[1:2], v[124:125], -v[120:121]
	v_fma_f64 v[3:4], v[3:4], v[124:125], v[126:127]
	buffer_store_dword v2, off, s[0:3], 0 offset:484
	buffer_store_dword v1, off, s[0:3], 0 offset:480
	;; [unrolled: 1-line block ×4, first 2 shown]
.LBB55_679:
	s_or_b32 exec_lo, exec_lo, s4
	v_mov_b32_e32 v4, s33
	s_mov_b32 s4, exec_lo
	s_clause 0x3
	buffer_load_dword v1, v4, s[0:3], 0 offen
	buffer_load_dword v2, v4, s[0:3], 0 offen offset:4
	buffer_load_dword v3, v4, s[0:3], 0 offen offset:8
	;; [unrolled: 1-line block ×3, first 2 shown]
	s_waitcnt vmcnt(0)
	ds_write_b128 v118, v[1:4]
	s_waitcnt lgkmcnt(0)
	s_waitcnt_vscnt null, 0x0
	s_barrier
	buffer_gl0_inv
	v_cmpx_gt_u32_e32 31, v0
	s_cbranch_execz .LBB55_687
; %bb.680:
	ds_read_b128 v[1:4], v118
	v_cmp_ne_u32_e32 vcc_lo, 1, v119
	s_cbranch_vccnz .LBB55_682
; %bb.681:
	s_clause 0x3
	buffer_load_dword v120, v117, s[0:3], 0 offen offset:8
	buffer_load_dword v121, v117, s[0:3], 0 offen offset:12
	buffer_load_dword v124, v117, s[0:3], 0 offen
	buffer_load_dword v125, v117, s[0:3], 0 offen offset:4
	s_waitcnt vmcnt(2) lgkmcnt(0)
	v_mul_f64 v[126:127], v[3:4], v[120:121]
	v_mul_f64 v[120:121], v[1:2], v[120:121]
	s_waitcnt vmcnt(0)
	v_fma_f64 v[1:2], v[1:2], v[124:125], -v[126:127]
	v_fma_f64 v[3:4], v[3:4], v[124:125], v[120:121]
.LBB55_682:
	s_mov_b32 s6, exec_lo
	v_cmpx_ne_u32_e32 30, v0
	s_cbranch_execz .LBB55_686
; %bb.683:
	v_add_nc_u32_e32 v120, 0x390, v123
	v_add3_u32 v121, 0, v123, 16
	v_mov_b32_e32 v122, v0
	s_mov_b32 s8, 0
	.p2align	6
.LBB55_684:                             ; =>This Inner Loop Header: Depth=1
	s_clause 0x3
	buffer_load_dword v128, v121, s[0:3], 0 offen offset:8
	buffer_load_dword v129, v121, s[0:3], 0 offen offset:12
	buffer_load_dword v130, v121, s[0:3], 0 offen
	buffer_load_dword v131, v121, s[0:3], 0 offen offset:4
	ds_read_b128 v[124:127], v120
	v_add_nc_u32_e32 v122, 1, v122
	v_add_nc_u32_e32 v120, 16, v120
	;; [unrolled: 1-line block ×3, first 2 shown]
	v_cmp_lt_u32_e32 vcc_lo, 29, v122
	s_or_b32 s8, vcc_lo, s8
	s_waitcnt vmcnt(2) lgkmcnt(0)
	v_mul_f64 v[132:133], v[126:127], v[128:129]
	v_mul_f64 v[128:129], v[124:125], v[128:129]
	s_waitcnt vmcnt(0)
	v_fma_f64 v[124:125], v[124:125], v[130:131], -v[132:133]
	v_fma_f64 v[126:127], v[126:127], v[130:131], v[128:129]
	v_add_f64 v[1:2], v[1:2], v[124:125]
	v_add_f64 v[3:4], v[3:4], v[126:127]
	s_andn2_b32 exec_lo, exec_lo, s8
	s_cbranch_execnz .LBB55_684
; %bb.685:
	s_or_b32 exec_lo, exec_lo, s8
.LBB55_686:
	s_or_b32 exec_lo, exec_lo, s6
	v_mov_b32_e32 v120, 0
	ds_read_b128 v[124:127], v120 offset:496
	s_waitcnt lgkmcnt(0)
	v_mul_f64 v[120:121], v[3:4], v[126:127]
	v_mul_f64 v[126:127], v[1:2], v[126:127]
	v_fma_f64 v[1:2], v[1:2], v[124:125], -v[120:121]
	v_fma_f64 v[3:4], v[3:4], v[124:125], v[126:127]
	buffer_store_dword v2, off, s[0:3], 0 offset:500
	buffer_store_dword v1, off, s[0:3], 0 offset:496
	;; [unrolled: 1-line block ×4, first 2 shown]
.LBB55_687:
	s_or_b32 exec_lo, exec_lo, s4
	v_mov_b32_e32 v4, s31
	s_mov_b32 s4, exec_lo
	s_clause 0x3
	buffer_load_dword v1, v4, s[0:3], 0 offen
	buffer_load_dword v2, v4, s[0:3], 0 offen offset:4
	buffer_load_dword v3, v4, s[0:3], 0 offen offset:8
	;; [unrolled: 1-line block ×3, first 2 shown]
	s_waitcnt vmcnt(0)
	ds_write_b128 v118, v[1:4]
	s_waitcnt lgkmcnt(0)
	s_waitcnt_vscnt null, 0x0
	s_barrier
	buffer_gl0_inv
	v_cmpx_gt_u32_e32 32, v0
	s_cbranch_execz .LBB55_695
; %bb.688:
	ds_read_b128 v[1:4], v118
	v_cmp_ne_u32_e32 vcc_lo, 1, v119
	s_cbranch_vccnz .LBB55_690
; %bb.689:
	s_clause 0x3
	buffer_load_dword v120, v117, s[0:3], 0 offen offset:8
	buffer_load_dword v121, v117, s[0:3], 0 offen offset:12
	buffer_load_dword v124, v117, s[0:3], 0 offen
	buffer_load_dword v125, v117, s[0:3], 0 offen offset:4
	s_waitcnt vmcnt(2) lgkmcnt(0)
	v_mul_f64 v[126:127], v[3:4], v[120:121]
	v_mul_f64 v[120:121], v[1:2], v[120:121]
	s_waitcnt vmcnt(0)
	v_fma_f64 v[1:2], v[1:2], v[124:125], -v[126:127]
	v_fma_f64 v[3:4], v[3:4], v[124:125], v[120:121]
.LBB55_690:
	s_mov_b32 s6, exec_lo
	v_cmpx_ne_u32_e32 31, v0
	s_cbranch_execz .LBB55_694
; %bb.691:
	v_add_nc_u32_e32 v120, 0x390, v123
	v_add3_u32 v121, 0, v123, 16
	v_mov_b32_e32 v122, v0
	s_mov_b32 s8, 0
	.p2align	6
.LBB55_692:                             ; =>This Inner Loop Header: Depth=1
	s_clause 0x3
	buffer_load_dword v128, v121, s[0:3], 0 offen offset:8
	buffer_load_dword v129, v121, s[0:3], 0 offen offset:12
	buffer_load_dword v130, v121, s[0:3], 0 offen
	buffer_load_dword v131, v121, s[0:3], 0 offen offset:4
	ds_read_b128 v[124:127], v120
	v_add_nc_u32_e32 v122, 1, v122
	v_add_nc_u32_e32 v120, 16, v120
	;; [unrolled: 1-line block ×3, first 2 shown]
	v_cmp_lt_u32_e32 vcc_lo, 30, v122
	s_or_b32 s8, vcc_lo, s8
	s_waitcnt vmcnt(2) lgkmcnt(0)
	v_mul_f64 v[132:133], v[126:127], v[128:129]
	v_mul_f64 v[128:129], v[124:125], v[128:129]
	s_waitcnt vmcnt(0)
	v_fma_f64 v[124:125], v[124:125], v[130:131], -v[132:133]
	v_fma_f64 v[126:127], v[126:127], v[130:131], v[128:129]
	v_add_f64 v[1:2], v[1:2], v[124:125]
	v_add_f64 v[3:4], v[3:4], v[126:127]
	s_andn2_b32 exec_lo, exec_lo, s8
	s_cbranch_execnz .LBB55_692
; %bb.693:
	s_or_b32 exec_lo, exec_lo, s8
.LBB55_694:
	s_or_b32 exec_lo, exec_lo, s6
	v_mov_b32_e32 v120, 0
	ds_read_b128 v[124:127], v120 offset:512
	s_waitcnt lgkmcnt(0)
	v_mul_f64 v[120:121], v[3:4], v[126:127]
	v_mul_f64 v[126:127], v[1:2], v[126:127]
	v_fma_f64 v[1:2], v[1:2], v[124:125], -v[120:121]
	v_fma_f64 v[3:4], v[3:4], v[124:125], v[126:127]
	buffer_store_dword v2, off, s[0:3], 0 offset:516
	buffer_store_dword v1, off, s[0:3], 0 offset:512
	;; [unrolled: 1-line block ×4, first 2 shown]
.LBB55_695:
	s_or_b32 exec_lo, exec_lo, s4
	v_mov_b32_e32 v4, s30
	s_mov_b32 s4, exec_lo
	s_clause 0x3
	buffer_load_dword v1, v4, s[0:3], 0 offen
	buffer_load_dword v2, v4, s[0:3], 0 offen offset:4
	buffer_load_dword v3, v4, s[0:3], 0 offen offset:8
	;; [unrolled: 1-line block ×3, first 2 shown]
	s_waitcnt vmcnt(0)
	ds_write_b128 v118, v[1:4]
	s_waitcnt lgkmcnt(0)
	s_waitcnt_vscnt null, 0x0
	s_barrier
	buffer_gl0_inv
	v_cmpx_gt_u32_e32 33, v0
	s_cbranch_execz .LBB55_703
; %bb.696:
	ds_read_b128 v[1:4], v118
	v_cmp_ne_u32_e32 vcc_lo, 1, v119
	s_cbranch_vccnz .LBB55_698
; %bb.697:
	s_clause 0x3
	buffer_load_dword v120, v117, s[0:3], 0 offen offset:8
	buffer_load_dword v121, v117, s[0:3], 0 offen offset:12
	buffer_load_dword v124, v117, s[0:3], 0 offen
	buffer_load_dword v125, v117, s[0:3], 0 offen offset:4
	s_waitcnt vmcnt(2) lgkmcnt(0)
	v_mul_f64 v[126:127], v[3:4], v[120:121]
	v_mul_f64 v[120:121], v[1:2], v[120:121]
	s_waitcnt vmcnt(0)
	v_fma_f64 v[1:2], v[1:2], v[124:125], -v[126:127]
	v_fma_f64 v[3:4], v[3:4], v[124:125], v[120:121]
.LBB55_698:
	s_mov_b32 s6, exec_lo
	v_cmpx_ne_u32_e32 32, v0
	s_cbranch_execz .LBB55_702
; %bb.699:
	v_add_nc_u32_e32 v120, 0x390, v123
	v_add3_u32 v121, 0, v123, 16
	v_mov_b32_e32 v122, v0
	s_mov_b32 s8, 0
	.p2align	6
.LBB55_700:                             ; =>This Inner Loop Header: Depth=1
	s_clause 0x3
	buffer_load_dword v128, v121, s[0:3], 0 offen offset:8
	buffer_load_dword v129, v121, s[0:3], 0 offen offset:12
	buffer_load_dword v130, v121, s[0:3], 0 offen
	buffer_load_dword v131, v121, s[0:3], 0 offen offset:4
	ds_read_b128 v[124:127], v120
	v_add_nc_u32_e32 v122, 1, v122
	v_add_nc_u32_e32 v120, 16, v120
	;; [unrolled: 1-line block ×3, first 2 shown]
	v_cmp_lt_u32_e32 vcc_lo, 31, v122
	s_or_b32 s8, vcc_lo, s8
	s_waitcnt vmcnt(2) lgkmcnt(0)
	v_mul_f64 v[132:133], v[126:127], v[128:129]
	v_mul_f64 v[128:129], v[124:125], v[128:129]
	s_waitcnt vmcnt(0)
	v_fma_f64 v[124:125], v[124:125], v[130:131], -v[132:133]
	v_fma_f64 v[126:127], v[126:127], v[130:131], v[128:129]
	v_add_f64 v[1:2], v[1:2], v[124:125]
	v_add_f64 v[3:4], v[3:4], v[126:127]
	s_andn2_b32 exec_lo, exec_lo, s8
	s_cbranch_execnz .LBB55_700
; %bb.701:
	s_or_b32 exec_lo, exec_lo, s8
.LBB55_702:
	s_or_b32 exec_lo, exec_lo, s6
	v_mov_b32_e32 v120, 0
	ds_read_b128 v[124:127], v120 offset:528
	s_waitcnt lgkmcnt(0)
	v_mul_f64 v[120:121], v[3:4], v[126:127]
	v_mul_f64 v[126:127], v[1:2], v[126:127]
	v_fma_f64 v[1:2], v[1:2], v[124:125], -v[120:121]
	v_fma_f64 v[3:4], v[3:4], v[124:125], v[126:127]
	buffer_store_dword v2, off, s[0:3], 0 offset:532
	buffer_store_dword v1, off, s[0:3], 0 offset:528
	;; [unrolled: 1-line block ×4, first 2 shown]
.LBB55_703:
	s_or_b32 exec_lo, exec_lo, s4
	v_mov_b32_e32 v4, s29
	s_mov_b32 s4, exec_lo
	s_clause 0x3
	buffer_load_dword v1, v4, s[0:3], 0 offen
	buffer_load_dword v2, v4, s[0:3], 0 offen offset:4
	buffer_load_dword v3, v4, s[0:3], 0 offen offset:8
	;; [unrolled: 1-line block ×3, first 2 shown]
	s_waitcnt vmcnt(0)
	ds_write_b128 v118, v[1:4]
	s_waitcnt lgkmcnt(0)
	s_waitcnt_vscnt null, 0x0
	s_barrier
	buffer_gl0_inv
	v_cmpx_gt_u32_e32 34, v0
	s_cbranch_execz .LBB55_711
; %bb.704:
	ds_read_b128 v[1:4], v118
	v_cmp_ne_u32_e32 vcc_lo, 1, v119
	s_cbranch_vccnz .LBB55_706
; %bb.705:
	s_clause 0x3
	buffer_load_dword v120, v117, s[0:3], 0 offen offset:8
	buffer_load_dword v121, v117, s[0:3], 0 offen offset:12
	buffer_load_dword v124, v117, s[0:3], 0 offen
	buffer_load_dword v125, v117, s[0:3], 0 offen offset:4
	s_waitcnt vmcnt(2) lgkmcnt(0)
	v_mul_f64 v[126:127], v[3:4], v[120:121]
	v_mul_f64 v[120:121], v[1:2], v[120:121]
	s_waitcnt vmcnt(0)
	v_fma_f64 v[1:2], v[1:2], v[124:125], -v[126:127]
	v_fma_f64 v[3:4], v[3:4], v[124:125], v[120:121]
.LBB55_706:
	s_mov_b32 s6, exec_lo
	v_cmpx_ne_u32_e32 33, v0
	s_cbranch_execz .LBB55_710
; %bb.707:
	v_add_nc_u32_e32 v120, 0x390, v123
	v_add3_u32 v121, 0, v123, 16
	v_mov_b32_e32 v122, v0
	s_mov_b32 s8, 0
	.p2align	6
.LBB55_708:                             ; =>This Inner Loop Header: Depth=1
	s_clause 0x3
	buffer_load_dword v128, v121, s[0:3], 0 offen offset:8
	buffer_load_dword v129, v121, s[0:3], 0 offen offset:12
	buffer_load_dword v130, v121, s[0:3], 0 offen
	buffer_load_dword v131, v121, s[0:3], 0 offen offset:4
	ds_read_b128 v[124:127], v120
	v_add_nc_u32_e32 v122, 1, v122
	v_add_nc_u32_e32 v120, 16, v120
	;; [unrolled: 1-line block ×3, first 2 shown]
	v_cmp_lt_u32_e32 vcc_lo, 32, v122
	s_or_b32 s8, vcc_lo, s8
	s_waitcnt vmcnt(2) lgkmcnt(0)
	v_mul_f64 v[132:133], v[126:127], v[128:129]
	v_mul_f64 v[128:129], v[124:125], v[128:129]
	s_waitcnt vmcnt(0)
	v_fma_f64 v[124:125], v[124:125], v[130:131], -v[132:133]
	v_fma_f64 v[126:127], v[126:127], v[130:131], v[128:129]
	v_add_f64 v[1:2], v[1:2], v[124:125]
	v_add_f64 v[3:4], v[3:4], v[126:127]
	s_andn2_b32 exec_lo, exec_lo, s8
	s_cbranch_execnz .LBB55_708
; %bb.709:
	s_or_b32 exec_lo, exec_lo, s8
.LBB55_710:
	s_or_b32 exec_lo, exec_lo, s6
	v_mov_b32_e32 v120, 0
	ds_read_b128 v[124:127], v120 offset:544
	s_waitcnt lgkmcnt(0)
	v_mul_f64 v[120:121], v[3:4], v[126:127]
	v_mul_f64 v[126:127], v[1:2], v[126:127]
	v_fma_f64 v[1:2], v[1:2], v[124:125], -v[120:121]
	v_fma_f64 v[3:4], v[3:4], v[124:125], v[126:127]
	buffer_store_dword v2, off, s[0:3], 0 offset:548
	buffer_store_dword v1, off, s[0:3], 0 offset:544
	;; [unrolled: 1-line block ×4, first 2 shown]
.LBB55_711:
	s_or_b32 exec_lo, exec_lo, s4
	v_mov_b32_e32 v4, s28
	s_mov_b32 s4, exec_lo
	s_clause 0x3
	buffer_load_dword v1, v4, s[0:3], 0 offen
	buffer_load_dword v2, v4, s[0:3], 0 offen offset:4
	buffer_load_dword v3, v4, s[0:3], 0 offen offset:8
	;; [unrolled: 1-line block ×3, first 2 shown]
	s_waitcnt vmcnt(0)
	ds_write_b128 v118, v[1:4]
	s_waitcnt lgkmcnt(0)
	s_waitcnt_vscnt null, 0x0
	s_barrier
	buffer_gl0_inv
	v_cmpx_gt_u32_e32 35, v0
	s_cbranch_execz .LBB55_719
; %bb.712:
	ds_read_b128 v[1:4], v118
	v_cmp_ne_u32_e32 vcc_lo, 1, v119
	s_cbranch_vccnz .LBB55_714
; %bb.713:
	s_clause 0x3
	buffer_load_dword v120, v117, s[0:3], 0 offen offset:8
	buffer_load_dword v121, v117, s[0:3], 0 offen offset:12
	buffer_load_dword v124, v117, s[0:3], 0 offen
	buffer_load_dword v125, v117, s[0:3], 0 offen offset:4
	s_waitcnt vmcnt(2) lgkmcnt(0)
	v_mul_f64 v[126:127], v[3:4], v[120:121]
	v_mul_f64 v[120:121], v[1:2], v[120:121]
	s_waitcnt vmcnt(0)
	v_fma_f64 v[1:2], v[1:2], v[124:125], -v[126:127]
	v_fma_f64 v[3:4], v[3:4], v[124:125], v[120:121]
.LBB55_714:
	s_mov_b32 s6, exec_lo
	v_cmpx_ne_u32_e32 34, v0
	s_cbranch_execz .LBB55_718
; %bb.715:
	v_add_nc_u32_e32 v120, 0x390, v123
	v_add3_u32 v121, 0, v123, 16
	v_mov_b32_e32 v122, v0
	s_mov_b32 s8, 0
	.p2align	6
.LBB55_716:                             ; =>This Inner Loop Header: Depth=1
	s_clause 0x3
	buffer_load_dword v128, v121, s[0:3], 0 offen offset:8
	buffer_load_dword v129, v121, s[0:3], 0 offen offset:12
	buffer_load_dword v130, v121, s[0:3], 0 offen
	buffer_load_dword v131, v121, s[0:3], 0 offen offset:4
	ds_read_b128 v[124:127], v120
	v_add_nc_u32_e32 v122, 1, v122
	v_add_nc_u32_e32 v120, 16, v120
	;; [unrolled: 1-line block ×3, first 2 shown]
	v_cmp_lt_u32_e32 vcc_lo, 33, v122
	s_or_b32 s8, vcc_lo, s8
	s_waitcnt vmcnt(2) lgkmcnt(0)
	v_mul_f64 v[132:133], v[126:127], v[128:129]
	v_mul_f64 v[128:129], v[124:125], v[128:129]
	s_waitcnt vmcnt(0)
	v_fma_f64 v[124:125], v[124:125], v[130:131], -v[132:133]
	v_fma_f64 v[126:127], v[126:127], v[130:131], v[128:129]
	v_add_f64 v[1:2], v[1:2], v[124:125]
	v_add_f64 v[3:4], v[3:4], v[126:127]
	s_andn2_b32 exec_lo, exec_lo, s8
	s_cbranch_execnz .LBB55_716
; %bb.717:
	s_or_b32 exec_lo, exec_lo, s8
.LBB55_718:
	s_or_b32 exec_lo, exec_lo, s6
	v_mov_b32_e32 v120, 0
	ds_read_b128 v[124:127], v120 offset:560
	s_waitcnt lgkmcnt(0)
	v_mul_f64 v[120:121], v[3:4], v[126:127]
	v_mul_f64 v[126:127], v[1:2], v[126:127]
	v_fma_f64 v[1:2], v[1:2], v[124:125], -v[120:121]
	v_fma_f64 v[3:4], v[3:4], v[124:125], v[126:127]
	buffer_store_dword v2, off, s[0:3], 0 offset:564
	buffer_store_dword v1, off, s[0:3], 0 offset:560
	;; [unrolled: 1-line block ×4, first 2 shown]
.LBB55_719:
	s_or_b32 exec_lo, exec_lo, s4
	v_mov_b32_e32 v4, s27
	s_mov_b32 s4, exec_lo
	s_clause 0x3
	buffer_load_dword v1, v4, s[0:3], 0 offen
	buffer_load_dword v2, v4, s[0:3], 0 offen offset:4
	buffer_load_dword v3, v4, s[0:3], 0 offen offset:8
	;; [unrolled: 1-line block ×3, first 2 shown]
	s_waitcnt vmcnt(0)
	ds_write_b128 v118, v[1:4]
	s_waitcnt lgkmcnt(0)
	s_waitcnt_vscnt null, 0x0
	s_barrier
	buffer_gl0_inv
	v_cmpx_gt_u32_e32 36, v0
	s_cbranch_execz .LBB55_727
; %bb.720:
	ds_read_b128 v[1:4], v118
	v_cmp_ne_u32_e32 vcc_lo, 1, v119
	s_cbranch_vccnz .LBB55_722
; %bb.721:
	s_clause 0x3
	buffer_load_dword v120, v117, s[0:3], 0 offen offset:8
	buffer_load_dword v121, v117, s[0:3], 0 offen offset:12
	buffer_load_dword v124, v117, s[0:3], 0 offen
	buffer_load_dword v125, v117, s[0:3], 0 offen offset:4
	s_waitcnt vmcnt(2) lgkmcnt(0)
	v_mul_f64 v[126:127], v[3:4], v[120:121]
	v_mul_f64 v[120:121], v[1:2], v[120:121]
	s_waitcnt vmcnt(0)
	v_fma_f64 v[1:2], v[1:2], v[124:125], -v[126:127]
	v_fma_f64 v[3:4], v[3:4], v[124:125], v[120:121]
.LBB55_722:
	s_mov_b32 s6, exec_lo
	v_cmpx_ne_u32_e32 35, v0
	s_cbranch_execz .LBB55_726
; %bb.723:
	v_add_nc_u32_e32 v120, 0x390, v123
	v_add3_u32 v121, 0, v123, 16
	v_mov_b32_e32 v122, v0
	s_mov_b32 s8, 0
	.p2align	6
.LBB55_724:                             ; =>This Inner Loop Header: Depth=1
	s_clause 0x3
	buffer_load_dword v128, v121, s[0:3], 0 offen offset:8
	buffer_load_dword v129, v121, s[0:3], 0 offen offset:12
	buffer_load_dword v130, v121, s[0:3], 0 offen
	buffer_load_dword v131, v121, s[0:3], 0 offen offset:4
	ds_read_b128 v[124:127], v120
	v_add_nc_u32_e32 v122, 1, v122
	v_add_nc_u32_e32 v120, 16, v120
	;; [unrolled: 1-line block ×3, first 2 shown]
	v_cmp_lt_u32_e32 vcc_lo, 34, v122
	s_or_b32 s8, vcc_lo, s8
	s_waitcnt vmcnt(2) lgkmcnt(0)
	v_mul_f64 v[132:133], v[126:127], v[128:129]
	v_mul_f64 v[128:129], v[124:125], v[128:129]
	s_waitcnt vmcnt(0)
	v_fma_f64 v[124:125], v[124:125], v[130:131], -v[132:133]
	v_fma_f64 v[126:127], v[126:127], v[130:131], v[128:129]
	v_add_f64 v[1:2], v[1:2], v[124:125]
	v_add_f64 v[3:4], v[3:4], v[126:127]
	s_andn2_b32 exec_lo, exec_lo, s8
	s_cbranch_execnz .LBB55_724
; %bb.725:
	s_or_b32 exec_lo, exec_lo, s8
.LBB55_726:
	s_or_b32 exec_lo, exec_lo, s6
	v_mov_b32_e32 v120, 0
	ds_read_b128 v[124:127], v120 offset:576
	s_waitcnt lgkmcnt(0)
	v_mul_f64 v[120:121], v[3:4], v[126:127]
	v_mul_f64 v[126:127], v[1:2], v[126:127]
	v_fma_f64 v[1:2], v[1:2], v[124:125], -v[120:121]
	v_fma_f64 v[3:4], v[3:4], v[124:125], v[126:127]
	buffer_store_dword v2, off, s[0:3], 0 offset:580
	buffer_store_dword v1, off, s[0:3], 0 offset:576
	;; [unrolled: 1-line block ×4, first 2 shown]
.LBB55_727:
	s_or_b32 exec_lo, exec_lo, s4
	v_mov_b32_e32 v4, s26
	s_mov_b32 s4, exec_lo
	s_clause 0x3
	buffer_load_dword v1, v4, s[0:3], 0 offen
	buffer_load_dword v2, v4, s[0:3], 0 offen offset:4
	buffer_load_dword v3, v4, s[0:3], 0 offen offset:8
	;; [unrolled: 1-line block ×3, first 2 shown]
	s_waitcnt vmcnt(0)
	ds_write_b128 v118, v[1:4]
	s_waitcnt lgkmcnt(0)
	s_waitcnt_vscnt null, 0x0
	s_barrier
	buffer_gl0_inv
	v_cmpx_gt_u32_e32 37, v0
	s_cbranch_execz .LBB55_735
; %bb.728:
	ds_read_b128 v[1:4], v118
	v_cmp_ne_u32_e32 vcc_lo, 1, v119
	s_cbranch_vccnz .LBB55_730
; %bb.729:
	s_clause 0x3
	buffer_load_dword v120, v117, s[0:3], 0 offen offset:8
	buffer_load_dword v121, v117, s[0:3], 0 offen offset:12
	buffer_load_dword v124, v117, s[0:3], 0 offen
	buffer_load_dword v125, v117, s[0:3], 0 offen offset:4
	s_waitcnt vmcnt(2) lgkmcnt(0)
	v_mul_f64 v[126:127], v[3:4], v[120:121]
	v_mul_f64 v[120:121], v[1:2], v[120:121]
	s_waitcnt vmcnt(0)
	v_fma_f64 v[1:2], v[1:2], v[124:125], -v[126:127]
	v_fma_f64 v[3:4], v[3:4], v[124:125], v[120:121]
.LBB55_730:
	s_mov_b32 s6, exec_lo
	v_cmpx_ne_u32_e32 36, v0
	s_cbranch_execz .LBB55_734
; %bb.731:
	v_add_nc_u32_e32 v120, 0x390, v123
	v_add3_u32 v121, 0, v123, 16
	v_mov_b32_e32 v122, v0
	s_mov_b32 s8, 0
	.p2align	6
.LBB55_732:                             ; =>This Inner Loop Header: Depth=1
	s_clause 0x3
	buffer_load_dword v128, v121, s[0:3], 0 offen offset:8
	buffer_load_dword v129, v121, s[0:3], 0 offen offset:12
	buffer_load_dword v130, v121, s[0:3], 0 offen
	buffer_load_dword v131, v121, s[0:3], 0 offen offset:4
	ds_read_b128 v[124:127], v120
	v_add_nc_u32_e32 v122, 1, v122
	v_add_nc_u32_e32 v120, 16, v120
	;; [unrolled: 1-line block ×3, first 2 shown]
	v_cmp_lt_u32_e32 vcc_lo, 35, v122
	s_or_b32 s8, vcc_lo, s8
	s_waitcnt vmcnt(2) lgkmcnt(0)
	v_mul_f64 v[132:133], v[126:127], v[128:129]
	v_mul_f64 v[128:129], v[124:125], v[128:129]
	s_waitcnt vmcnt(0)
	v_fma_f64 v[124:125], v[124:125], v[130:131], -v[132:133]
	v_fma_f64 v[126:127], v[126:127], v[130:131], v[128:129]
	v_add_f64 v[1:2], v[1:2], v[124:125]
	v_add_f64 v[3:4], v[3:4], v[126:127]
	s_andn2_b32 exec_lo, exec_lo, s8
	s_cbranch_execnz .LBB55_732
; %bb.733:
	s_or_b32 exec_lo, exec_lo, s8
.LBB55_734:
	s_or_b32 exec_lo, exec_lo, s6
	v_mov_b32_e32 v120, 0
	ds_read_b128 v[124:127], v120 offset:592
	s_waitcnt lgkmcnt(0)
	v_mul_f64 v[120:121], v[3:4], v[126:127]
	v_mul_f64 v[126:127], v[1:2], v[126:127]
	v_fma_f64 v[1:2], v[1:2], v[124:125], -v[120:121]
	v_fma_f64 v[3:4], v[3:4], v[124:125], v[126:127]
	buffer_store_dword v2, off, s[0:3], 0 offset:596
	buffer_store_dword v1, off, s[0:3], 0 offset:592
	;; [unrolled: 1-line block ×4, first 2 shown]
.LBB55_735:
	s_or_b32 exec_lo, exec_lo, s4
	v_mov_b32_e32 v4, s25
	s_mov_b32 s4, exec_lo
	s_clause 0x3
	buffer_load_dword v1, v4, s[0:3], 0 offen
	buffer_load_dword v2, v4, s[0:3], 0 offen offset:4
	buffer_load_dword v3, v4, s[0:3], 0 offen offset:8
	;; [unrolled: 1-line block ×3, first 2 shown]
	s_waitcnt vmcnt(0)
	ds_write_b128 v118, v[1:4]
	s_waitcnt lgkmcnt(0)
	s_waitcnt_vscnt null, 0x0
	s_barrier
	buffer_gl0_inv
	v_cmpx_gt_u32_e32 38, v0
	s_cbranch_execz .LBB55_743
; %bb.736:
	ds_read_b128 v[1:4], v118
	v_cmp_ne_u32_e32 vcc_lo, 1, v119
	s_cbranch_vccnz .LBB55_738
; %bb.737:
	s_clause 0x3
	buffer_load_dword v120, v117, s[0:3], 0 offen offset:8
	buffer_load_dword v121, v117, s[0:3], 0 offen offset:12
	buffer_load_dword v124, v117, s[0:3], 0 offen
	buffer_load_dword v125, v117, s[0:3], 0 offen offset:4
	s_waitcnt vmcnt(2) lgkmcnt(0)
	v_mul_f64 v[126:127], v[3:4], v[120:121]
	v_mul_f64 v[120:121], v[1:2], v[120:121]
	s_waitcnt vmcnt(0)
	v_fma_f64 v[1:2], v[1:2], v[124:125], -v[126:127]
	v_fma_f64 v[3:4], v[3:4], v[124:125], v[120:121]
.LBB55_738:
	s_mov_b32 s6, exec_lo
	v_cmpx_ne_u32_e32 37, v0
	s_cbranch_execz .LBB55_742
; %bb.739:
	v_add_nc_u32_e32 v120, 0x390, v123
	v_add3_u32 v121, 0, v123, 16
	v_mov_b32_e32 v122, v0
	s_mov_b32 s8, 0
	.p2align	6
.LBB55_740:                             ; =>This Inner Loop Header: Depth=1
	s_clause 0x3
	buffer_load_dword v128, v121, s[0:3], 0 offen offset:8
	buffer_load_dword v129, v121, s[0:3], 0 offen offset:12
	buffer_load_dword v130, v121, s[0:3], 0 offen
	buffer_load_dword v131, v121, s[0:3], 0 offen offset:4
	ds_read_b128 v[124:127], v120
	v_add_nc_u32_e32 v122, 1, v122
	v_add_nc_u32_e32 v120, 16, v120
	;; [unrolled: 1-line block ×3, first 2 shown]
	v_cmp_lt_u32_e32 vcc_lo, 36, v122
	s_or_b32 s8, vcc_lo, s8
	s_waitcnt vmcnt(2) lgkmcnt(0)
	v_mul_f64 v[132:133], v[126:127], v[128:129]
	v_mul_f64 v[128:129], v[124:125], v[128:129]
	s_waitcnt vmcnt(0)
	v_fma_f64 v[124:125], v[124:125], v[130:131], -v[132:133]
	v_fma_f64 v[126:127], v[126:127], v[130:131], v[128:129]
	v_add_f64 v[1:2], v[1:2], v[124:125]
	v_add_f64 v[3:4], v[3:4], v[126:127]
	s_andn2_b32 exec_lo, exec_lo, s8
	s_cbranch_execnz .LBB55_740
; %bb.741:
	s_or_b32 exec_lo, exec_lo, s8
.LBB55_742:
	s_or_b32 exec_lo, exec_lo, s6
	v_mov_b32_e32 v120, 0
	ds_read_b128 v[124:127], v120 offset:608
	s_waitcnt lgkmcnt(0)
	v_mul_f64 v[120:121], v[3:4], v[126:127]
	v_mul_f64 v[126:127], v[1:2], v[126:127]
	v_fma_f64 v[1:2], v[1:2], v[124:125], -v[120:121]
	v_fma_f64 v[3:4], v[3:4], v[124:125], v[126:127]
	buffer_store_dword v2, off, s[0:3], 0 offset:612
	buffer_store_dword v1, off, s[0:3], 0 offset:608
	;; [unrolled: 1-line block ×4, first 2 shown]
.LBB55_743:
	s_or_b32 exec_lo, exec_lo, s4
	v_mov_b32_e32 v4, s24
	s_mov_b32 s4, exec_lo
	s_clause 0x3
	buffer_load_dword v1, v4, s[0:3], 0 offen
	buffer_load_dword v2, v4, s[0:3], 0 offen offset:4
	buffer_load_dword v3, v4, s[0:3], 0 offen offset:8
	;; [unrolled: 1-line block ×3, first 2 shown]
	s_waitcnt vmcnt(0)
	ds_write_b128 v118, v[1:4]
	s_waitcnt lgkmcnt(0)
	s_waitcnt_vscnt null, 0x0
	s_barrier
	buffer_gl0_inv
	v_cmpx_gt_u32_e32 39, v0
	s_cbranch_execz .LBB55_751
; %bb.744:
	ds_read_b128 v[1:4], v118
	v_cmp_ne_u32_e32 vcc_lo, 1, v119
	s_cbranch_vccnz .LBB55_746
; %bb.745:
	s_clause 0x3
	buffer_load_dword v120, v117, s[0:3], 0 offen offset:8
	buffer_load_dword v121, v117, s[0:3], 0 offen offset:12
	buffer_load_dword v124, v117, s[0:3], 0 offen
	buffer_load_dword v125, v117, s[0:3], 0 offen offset:4
	s_waitcnt vmcnt(2) lgkmcnt(0)
	v_mul_f64 v[126:127], v[3:4], v[120:121]
	v_mul_f64 v[120:121], v[1:2], v[120:121]
	s_waitcnt vmcnt(0)
	v_fma_f64 v[1:2], v[1:2], v[124:125], -v[126:127]
	v_fma_f64 v[3:4], v[3:4], v[124:125], v[120:121]
.LBB55_746:
	s_mov_b32 s6, exec_lo
	v_cmpx_ne_u32_e32 38, v0
	s_cbranch_execz .LBB55_750
; %bb.747:
	v_add_nc_u32_e32 v120, 0x390, v123
	v_add3_u32 v121, 0, v123, 16
	v_mov_b32_e32 v122, v0
	s_mov_b32 s8, 0
	.p2align	6
.LBB55_748:                             ; =>This Inner Loop Header: Depth=1
	s_clause 0x3
	buffer_load_dword v128, v121, s[0:3], 0 offen offset:8
	buffer_load_dword v129, v121, s[0:3], 0 offen offset:12
	buffer_load_dword v130, v121, s[0:3], 0 offen
	buffer_load_dword v131, v121, s[0:3], 0 offen offset:4
	ds_read_b128 v[124:127], v120
	v_add_nc_u32_e32 v122, 1, v122
	v_add_nc_u32_e32 v120, 16, v120
	;; [unrolled: 1-line block ×3, first 2 shown]
	v_cmp_lt_u32_e32 vcc_lo, 37, v122
	s_or_b32 s8, vcc_lo, s8
	s_waitcnt vmcnt(2) lgkmcnt(0)
	v_mul_f64 v[132:133], v[126:127], v[128:129]
	v_mul_f64 v[128:129], v[124:125], v[128:129]
	s_waitcnt vmcnt(0)
	v_fma_f64 v[124:125], v[124:125], v[130:131], -v[132:133]
	v_fma_f64 v[126:127], v[126:127], v[130:131], v[128:129]
	v_add_f64 v[1:2], v[1:2], v[124:125]
	v_add_f64 v[3:4], v[3:4], v[126:127]
	s_andn2_b32 exec_lo, exec_lo, s8
	s_cbranch_execnz .LBB55_748
; %bb.749:
	s_or_b32 exec_lo, exec_lo, s8
.LBB55_750:
	s_or_b32 exec_lo, exec_lo, s6
	v_mov_b32_e32 v120, 0
	ds_read_b128 v[124:127], v120 offset:624
	s_waitcnt lgkmcnt(0)
	v_mul_f64 v[120:121], v[3:4], v[126:127]
	v_mul_f64 v[126:127], v[1:2], v[126:127]
	v_fma_f64 v[1:2], v[1:2], v[124:125], -v[120:121]
	v_fma_f64 v[3:4], v[3:4], v[124:125], v[126:127]
	buffer_store_dword v2, off, s[0:3], 0 offset:628
	buffer_store_dword v1, off, s[0:3], 0 offset:624
	;; [unrolled: 1-line block ×4, first 2 shown]
.LBB55_751:
	s_or_b32 exec_lo, exec_lo, s4
	v_mov_b32_e32 v4, s23
	s_mov_b32 s4, exec_lo
	s_clause 0x3
	buffer_load_dword v1, v4, s[0:3], 0 offen
	buffer_load_dword v2, v4, s[0:3], 0 offen offset:4
	buffer_load_dword v3, v4, s[0:3], 0 offen offset:8
	;; [unrolled: 1-line block ×3, first 2 shown]
	s_waitcnt vmcnt(0)
	ds_write_b128 v118, v[1:4]
	s_waitcnt lgkmcnt(0)
	s_waitcnt_vscnt null, 0x0
	s_barrier
	buffer_gl0_inv
	v_cmpx_gt_u32_e32 40, v0
	s_cbranch_execz .LBB55_759
; %bb.752:
	ds_read_b128 v[1:4], v118
	v_cmp_ne_u32_e32 vcc_lo, 1, v119
	s_cbranch_vccnz .LBB55_754
; %bb.753:
	s_clause 0x3
	buffer_load_dword v120, v117, s[0:3], 0 offen offset:8
	buffer_load_dword v121, v117, s[0:3], 0 offen offset:12
	buffer_load_dword v124, v117, s[0:3], 0 offen
	buffer_load_dword v125, v117, s[0:3], 0 offen offset:4
	s_waitcnt vmcnt(2) lgkmcnt(0)
	v_mul_f64 v[126:127], v[3:4], v[120:121]
	v_mul_f64 v[120:121], v[1:2], v[120:121]
	s_waitcnt vmcnt(0)
	v_fma_f64 v[1:2], v[1:2], v[124:125], -v[126:127]
	v_fma_f64 v[3:4], v[3:4], v[124:125], v[120:121]
.LBB55_754:
	s_mov_b32 s6, exec_lo
	v_cmpx_ne_u32_e32 39, v0
	s_cbranch_execz .LBB55_758
; %bb.755:
	v_add_nc_u32_e32 v120, 0x390, v123
	v_add3_u32 v121, 0, v123, 16
	v_mov_b32_e32 v122, v0
	s_mov_b32 s8, 0
	.p2align	6
.LBB55_756:                             ; =>This Inner Loop Header: Depth=1
	s_clause 0x3
	buffer_load_dword v128, v121, s[0:3], 0 offen offset:8
	buffer_load_dword v129, v121, s[0:3], 0 offen offset:12
	buffer_load_dword v130, v121, s[0:3], 0 offen
	buffer_load_dword v131, v121, s[0:3], 0 offen offset:4
	ds_read_b128 v[124:127], v120
	v_add_nc_u32_e32 v122, 1, v122
	v_add_nc_u32_e32 v120, 16, v120
	;; [unrolled: 1-line block ×3, first 2 shown]
	v_cmp_lt_u32_e32 vcc_lo, 38, v122
	s_or_b32 s8, vcc_lo, s8
	s_waitcnt vmcnt(2) lgkmcnt(0)
	v_mul_f64 v[132:133], v[126:127], v[128:129]
	v_mul_f64 v[128:129], v[124:125], v[128:129]
	s_waitcnt vmcnt(0)
	v_fma_f64 v[124:125], v[124:125], v[130:131], -v[132:133]
	v_fma_f64 v[126:127], v[126:127], v[130:131], v[128:129]
	v_add_f64 v[1:2], v[1:2], v[124:125]
	v_add_f64 v[3:4], v[3:4], v[126:127]
	s_andn2_b32 exec_lo, exec_lo, s8
	s_cbranch_execnz .LBB55_756
; %bb.757:
	s_or_b32 exec_lo, exec_lo, s8
.LBB55_758:
	s_or_b32 exec_lo, exec_lo, s6
	v_mov_b32_e32 v120, 0
	ds_read_b128 v[124:127], v120 offset:640
	s_waitcnt lgkmcnt(0)
	v_mul_f64 v[120:121], v[3:4], v[126:127]
	v_mul_f64 v[126:127], v[1:2], v[126:127]
	v_fma_f64 v[1:2], v[1:2], v[124:125], -v[120:121]
	v_fma_f64 v[3:4], v[3:4], v[124:125], v[126:127]
	buffer_store_dword v2, off, s[0:3], 0 offset:644
	buffer_store_dword v1, off, s[0:3], 0 offset:640
	;; [unrolled: 1-line block ×4, first 2 shown]
.LBB55_759:
	s_or_b32 exec_lo, exec_lo, s4
	v_mov_b32_e32 v4, s22
	s_mov_b32 s4, exec_lo
	s_clause 0x3
	buffer_load_dword v1, v4, s[0:3], 0 offen
	buffer_load_dword v2, v4, s[0:3], 0 offen offset:4
	buffer_load_dword v3, v4, s[0:3], 0 offen offset:8
	;; [unrolled: 1-line block ×3, first 2 shown]
	s_waitcnt vmcnt(0)
	ds_write_b128 v118, v[1:4]
	s_waitcnt lgkmcnt(0)
	s_waitcnt_vscnt null, 0x0
	s_barrier
	buffer_gl0_inv
	v_cmpx_gt_u32_e32 41, v0
	s_cbranch_execz .LBB55_767
; %bb.760:
	ds_read_b128 v[1:4], v118
	v_cmp_ne_u32_e32 vcc_lo, 1, v119
	s_cbranch_vccnz .LBB55_762
; %bb.761:
	s_clause 0x3
	buffer_load_dword v120, v117, s[0:3], 0 offen offset:8
	buffer_load_dword v121, v117, s[0:3], 0 offen offset:12
	buffer_load_dword v124, v117, s[0:3], 0 offen
	buffer_load_dword v125, v117, s[0:3], 0 offen offset:4
	s_waitcnt vmcnt(2) lgkmcnt(0)
	v_mul_f64 v[126:127], v[3:4], v[120:121]
	v_mul_f64 v[120:121], v[1:2], v[120:121]
	s_waitcnt vmcnt(0)
	v_fma_f64 v[1:2], v[1:2], v[124:125], -v[126:127]
	v_fma_f64 v[3:4], v[3:4], v[124:125], v[120:121]
.LBB55_762:
	s_mov_b32 s6, exec_lo
	v_cmpx_ne_u32_e32 40, v0
	s_cbranch_execz .LBB55_766
; %bb.763:
	v_add_nc_u32_e32 v120, 0x390, v123
	v_add3_u32 v121, 0, v123, 16
	v_mov_b32_e32 v122, v0
	s_mov_b32 s8, 0
	.p2align	6
.LBB55_764:                             ; =>This Inner Loop Header: Depth=1
	s_clause 0x3
	buffer_load_dword v128, v121, s[0:3], 0 offen offset:8
	buffer_load_dword v129, v121, s[0:3], 0 offen offset:12
	buffer_load_dword v130, v121, s[0:3], 0 offen
	buffer_load_dword v131, v121, s[0:3], 0 offen offset:4
	ds_read_b128 v[124:127], v120
	v_add_nc_u32_e32 v122, 1, v122
	v_add_nc_u32_e32 v120, 16, v120
	;; [unrolled: 1-line block ×3, first 2 shown]
	v_cmp_lt_u32_e32 vcc_lo, 39, v122
	s_or_b32 s8, vcc_lo, s8
	s_waitcnt vmcnt(2) lgkmcnt(0)
	v_mul_f64 v[132:133], v[126:127], v[128:129]
	v_mul_f64 v[128:129], v[124:125], v[128:129]
	s_waitcnt vmcnt(0)
	v_fma_f64 v[124:125], v[124:125], v[130:131], -v[132:133]
	v_fma_f64 v[126:127], v[126:127], v[130:131], v[128:129]
	v_add_f64 v[1:2], v[1:2], v[124:125]
	v_add_f64 v[3:4], v[3:4], v[126:127]
	s_andn2_b32 exec_lo, exec_lo, s8
	s_cbranch_execnz .LBB55_764
; %bb.765:
	s_or_b32 exec_lo, exec_lo, s8
.LBB55_766:
	s_or_b32 exec_lo, exec_lo, s6
	v_mov_b32_e32 v120, 0
	ds_read_b128 v[124:127], v120 offset:656
	s_waitcnt lgkmcnt(0)
	v_mul_f64 v[120:121], v[3:4], v[126:127]
	v_mul_f64 v[126:127], v[1:2], v[126:127]
	v_fma_f64 v[1:2], v[1:2], v[124:125], -v[120:121]
	v_fma_f64 v[3:4], v[3:4], v[124:125], v[126:127]
	buffer_store_dword v2, off, s[0:3], 0 offset:660
	buffer_store_dword v1, off, s[0:3], 0 offset:656
	;; [unrolled: 1-line block ×4, first 2 shown]
.LBB55_767:
	s_or_b32 exec_lo, exec_lo, s4
	v_mov_b32_e32 v4, s21
	s_mov_b32 s4, exec_lo
	s_clause 0x3
	buffer_load_dword v1, v4, s[0:3], 0 offen
	buffer_load_dword v2, v4, s[0:3], 0 offen offset:4
	buffer_load_dword v3, v4, s[0:3], 0 offen offset:8
	buffer_load_dword v4, v4, s[0:3], 0 offen offset:12
	s_waitcnt vmcnt(0)
	ds_write_b128 v118, v[1:4]
	s_waitcnt lgkmcnt(0)
	s_waitcnt_vscnt null, 0x0
	s_barrier
	buffer_gl0_inv
	v_cmpx_gt_u32_e32 42, v0
	s_cbranch_execz .LBB55_775
; %bb.768:
	ds_read_b128 v[1:4], v118
	v_cmp_ne_u32_e32 vcc_lo, 1, v119
	s_cbranch_vccnz .LBB55_770
; %bb.769:
	s_clause 0x3
	buffer_load_dword v120, v117, s[0:3], 0 offen offset:8
	buffer_load_dword v121, v117, s[0:3], 0 offen offset:12
	buffer_load_dword v124, v117, s[0:3], 0 offen
	buffer_load_dword v125, v117, s[0:3], 0 offen offset:4
	s_waitcnt vmcnt(2) lgkmcnt(0)
	v_mul_f64 v[126:127], v[3:4], v[120:121]
	v_mul_f64 v[120:121], v[1:2], v[120:121]
	s_waitcnt vmcnt(0)
	v_fma_f64 v[1:2], v[1:2], v[124:125], -v[126:127]
	v_fma_f64 v[3:4], v[3:4], v[124:125], v[120:121]
.LBB55_770:
	s_mov_b32 s6, exec_lo
	v_cmpx_ne_u32_e32 41, v0
	s_cbranch_execz .LBB55_774
; %bb.771:
	v_add_nc_u32_e32 v120, 0x390, v123
	v_add3_u32 v121, 0, v123, 16
	v_mov_b32_e32 v122, v0
	s_mov_b32 s8, 0
	.p2align	6
.LBB55_772:                             ; =>This Inner Loop Header: Depth=1
	s_clause 0x3
	buffer_load_dword v128, v121, s[0:3], 0 offen offset:8
	buffer_load_dword v129, v121, s[0:3], 0 offen offset:12
	buffer_load_dword v130, v121, s[0:3], 0 offen
	buffer_load_dword v131, v121, s[0:3], 0 offen offset:4
	ds_read_b128 v[124:127], v120
	v_add_nc_u32_e32 v122, 1, v122
	v_add_nc_u32_e32 v120, 16, v120
	;; [unrolled: 1-line block ×3, first 2 shown]
	v_cmp_lt_u32_e32 vcc_lo, 40, v122
	s_or_b32 s8, vcc_lo, s8
	s_waitcnt vmcnt(2) lgkmcnt(0)
	v_mul_f64 v[132:133], v[126:127], v[128:129]
	v_mul_f64 v[128:129], v[124:125], v[128:129]
	s_waitcnt vmcnt(0)
	v_fma_f64 v[124:125], v[124:125], v[130:131], -v[132:133]
	v_fma_f64 v[126:127], v[126:127], v[130:131], v[128:129]
	v_add_f64 v[1:2], v[1:2], v[124:125]
	v_add_f64 v[3:4], v[3:4], v[126:127]
	s_andn2_b32 exec_lo, exec_lo, s8
	s_cbranch_execnz .LBB55_772
; %bb.773:
	s_or_b32 exec_lo, exec_lo, s8
.LBB55_774:
	s_or_b32 exec_lo, exec_lo, s6
	v_mov_b32_e32 v120, 0
	ds_read_b128 v[124:127], v120 offset:672
	s_waitcnt lgkmcnt(0)
	v_mul_f64 v[120:121], v[3:4], v[126:127]
	v_mul_f64 v[126:127], v[1:2], v[126:127]
	v_fma_f64 v[1:2], v[1:2], v[124:125], -v[120:121]
	v_fma_f64 v[3:4], v[3:4], v[124:125], v[126:127]
	buffer_store_dword v2, off, s[0:3], 0 offset:676
	buffer_store_dword v1, off, s[0:3], 0 offset:672
	;; [unrolled: 1-line block ×4, first 2 shown]
.LBB55_775:
	s_or_b32 exec_lo, exec_lo, s4
	v_mov_b32_e32 v4, s20
	s_mov_b32 s4, exec_lo
	s_clause 0x3
	buffer_load_dword v1, v4, s[0:3], 0 offen
	buffer_load_dword v2, v4, s[0:3], 0 offen offset:4
	buffer_load_dword v3, v4, s[0:3], 0 offen offset:8
	;; [unrolled: 1-line block ×3, first 2 shown]
	s_waitcnt vmcnt(0)
	ds_write_b128 v118, v[1:4]
	s_waitcnt lgkmcnt(0)
	s_waitcnt_vscnt null, 0x0
	s_barrier
	buffer_gl0_inv
	v_cmpx_gt_u32_e32 43, v0
	s_cbranch_execz .LBB55_783
; %bb.776:
	ds_read_b128 v[1:4], v118
	v_cmp_ne_u32_e32 vcc_lo, 1, v119
	s_cbranch_vccnz .LBB55_778
; %bb.777:
	s_clause 0x3
	buffer_load_dword v120, v117, s[0:3], 0 offen offset:8
	buffer_load_dword v121, v117, s[0:3], 0 offen offset:12
	buffer_load_dword v124, v117, s[0:3], 0 offen
	buffer_load_dword v125, v117, s[0:3], 0 offen offset:4
	s_waitcnt vmcnt(2) lgkmcnt(0)
	v_mul_f64 v[126:127], v[3:4], v[120:121]
	v_mul_f64 v[120:121], v[1:2], v[120:121]
	s_waitcnt vmcnt(0)
	v_fma_f64 v[1:2], v[1:2], v[124:125], -v[126:127]
	v_fma_f64 v[3:4], v[3:4], v[124:125], v[120:121]
.LBB55_778:
	s_mov_b32 s6, exec_lo
	v_cmpx_ne_u32_e32 42, v0
	s_cbranch_execz .LBB55_782
; %bb.779:
	v_add_nc_u32_e32 v120, 0x390, v123
	v_add3_u32 v121, 0, v123, 16
	v_mov_b32_e32 v122, v0
	s_mov_b32 s8, 0
	.p2align	6
.LBB55_780:                             ; =>This Inner Loop Header: Depth=1
	s_clause 0x3
	buffer_load_dword v128, v121, s[0:3], 0 offen offset:8
	buffer_load_dword v129, v121, s[0:3], 0 offen offset:12
	buffer_load_dword v130, v121, s[0:3], 0 offen
	buffer_load_dword v131, v121, s[0:3], 0 offen offset:4
	ds_read_b128 v[124:127], v120
	v_add_nc_u32_e32 v122, 1, v122
	v_add_nc_u32_e32 v120, 16, v120
	;; [unrolled: 1-line block ×3, first 2 shown]
	v_cmp_lt_u32_e32 vcc_lo, 41, v122
	s_or_b32 s8, vcc_lo, s8
	s_waitcnt vmcnt(2) lgkmcnt(0)
	v_mul_f64 v[132:133], v[126:127], v[128:129]
	v_mul_f64 v[128:129], v[124:125], v[128:129]
	s_waitcnt vmcnt(0)
	v_fma_f64 v[124:125], v[124:125], v[130:131], -v[132:133]
	v_fma_f64 v[126:127], v[126:127], v[130:131], v[128:129]
	v_add_f64 v[1:2], v[1:2], v[124:125]
	v_add_f64 v[3:4], v[3:4], v[126:127]
	s_andn2_b32 exec_lo, exec_lo, s8
	s_cbranch_execnz .LBB55_780
; %bb.781:
	s_or_b32 exec_lo, exec_lo, s8
.LBB55_782:
	s_or_b32 exec_lo, exec_lo, s6
	v_mov_b32_e32 v120, 0
	ds_read_b128 v[124:127], v120 offset:688
	s_waitcnt lgkmcnt(0)
	v_mul_f64 v[120:121], v[3:4], v[126:127]
	v_mul_f64 v[126:127], v[1:2], v[126:127]
	v_fma_f64 v[1:2], v[1:2], v[124:125], -v[120:121]
	v_fma_f64 v[3:4], v[3:4], v[124:125], v[126:127]
	buffer_store_dword v2, off, s[0:3], 0 offset:692
	buffer_store_dword v1, off, s[0:3], 0 offset:688
	buffer_store_dword v4, off, s[0:3], 0 offset:700
	buffer_store_dword v3, off, s[0:3], 0 offset:696
.LBB55_783:
	s_or_b32 exec_lo, exec_lo, s4
	v_mov_b32_e32 v4, s19
	s_mov_b32 s4, exec_lo
	s_clause 0x3
	buffer_load_dword v1, v4, s[0:3], 0 offen
	buffer_load_dword v2, v4, s[0:3], 0 offen offset:4
	buffer_load_dword v3, v4, s[0:3], 0 offen offset:8
	;; [unrolled: 1-line block ×3, first 2 shown]
	s_waitcnt vmcnt(0)
	ds_write_b128 v118, v[1:4]
	s_waitcnt lgkmcnt(0)
	s_waitcnt_vscnt null, 0x0
	s_barrier
	buffer_gl0_inv
	v_cmpx_gt_u32_e32 44, v0
	s_cbranch_execz .LBB55_791
; %bb.784:
	ds_read_b128 v[1:4], v118
	v_cmp_ne_u32_e32 vcc_lo, 1, v119
	s_cbranch_vccnz .LBB55_786
; %bb.785:
	s_clause 0x3
	buffer_load_dword v120, v117, s[0:3], 0 offen offset:8
	buffer_load_dword v121, v117, s[0:3], 0 offen offset:12
	buffer_load_dword v124, v117, s[0:3], 0 offen
	buffer_load_dword v125, v117, s[0:3], 0 offen offset:4
	s_waitcnt vmcnt(2) lgkmcnt(0)
	v_mul_f64 v[126:127], v[3:4], v[120:121]
	v_mul_f64 v[120:121], v[1:2], v[120:121]
	s_waitcnt vmcnt(0)
	v_fma_f64 v[1:2], v[1:2], v[124:125], -v[126:127]
	v_fma_f64 v[3:4], v[3:4], v[124:125], v[120:121]
.LBB55_786:
	s_mov_b32 s6, exec_lo
	v_cmpx_ne_u32_e32 43, v0
	s_cbranch_execz .LBB55_790
; %bb.787:
	v_add_nc_u32_e32 v120, 0x390, v123
	v_add3_u32 v121, 0, v123, 16
	v_mov_b32_e32 v122, v0
	s_mov_b32 s8, 0
	.p2align	6
.LBB55_788:                             ; =>This Inner Loop Header: Depth=1
	s_clause 0x3
	buffer_load_dword v128, v121, s[0:3], 0 offen offset:8
	buffer_load_dword v129, v121, s[0:3], 0 offen offset:12
	buffer_load_dword v130, v121, s[0:3], 0 offen
	buffer_load_dword v131, v121, s[0:3], 0 offen offset:4
	ds_read_b128 v[124:127], v120
	v_add_nc_u32_e32 v122, 1, v122
	v_add_nc_u32_e32 v120, 16, v120
	;; [unrolled: 1-line block ×3, first 2 shown]
	v_cmp_lt_u32_e32 vcc_lo, 42, v122
	s_or_b32 s8, vcc_lo, s8
	s_waitcnt vmcnt(2) lgkmcnt(0)
	v_mul_f64 v[132:133], v[126:127], v[128:129]
	v_mul_f64 v[128:129], v[124:125], v[128:129]
	s_waitcnt vmcnt(0)
	v_fma_f64 v[124:125], v[124:125], v[130:131], -v[132:133]
	v_fma_f64 v[126:127], v[126:127], v[130:131], v[128:129]
	v_add_f64 v[1:2], v[1:2], v[124:125]
	v_add_f64 v[3:4], v[3:4], v[126:127]
	s_andn2_b32 exec_lo, exec_lo, s8
	s_cbranch_execnz .LBB55_788
; %bb.789:
	s_or_b32 exec_lo, exec_lo, s8
.LBB55_790:
	s_or_b32 exec_lo, exec_lo, s6
	v_mov_b32_e32 v120, 0
	ds_read_b128 v[124:127], v120 offset:704
	s_waitcnt lgkmcnt(0)
	v_mul_f64 v[120:121], v[3:4], v[126:127]
	v_mul_f64 v[126:127], v[1:2], v[126:127]
	v_fma_f64 v[1:2], v[1:2], v[124:125], -v[120:121]
	v_fma_f64 v[3:4], v[3:4], v[124:125], v[126:127]
	buffer_store_dword v2, off, s[0:3], 0 offset:708
	buffer_store_dword v1, off, s[0:3], 0 offset:704
	;; [unrolled: 1-line block ×4, first 2 shown]
.LBB55_791:
	s_or_b32 exec_lo, exec_lo, s4
	v_mov_b32_e32 v4, s18
	s_mov_b32 s4, exec_lo
	s_clause 0x3
	buffer_load_dword v1, v4, s[0:3], 0 offen
	buffer_load_dword v2, v4, s[0:3], 0 offen offset:4
	buffer_load_dword v3, v4, s[0:3], 0 offen offset:8
	;; [unrolled: 1-line block ×3, first 2 shown]
	s_waitcnt vmcnt(0)
	ds_write_b128 v118, v[1:4]
	s_waitcnt lgkmcnt(0)
	s_waitcnt_vscnt null, 0x0
	s_barrier
	buffer_gl0_inv
	v_cmpx_gt_u32_e32 45, v0
	s_cbranch_execz .LBB55_799
; %bb.792:
	ds_read_b128 v[1:4], v118
	v_cmp_ne_u32_e32 vcc_lo, 1, v119
	s_cbranch_vccnz .LBB55_794
; %bb.793:
	s_clause 0x3
	buffer_load_dword v120, v117, s[0:3], 0 offen offset:8
	buffer_load_dword v121, v117, s[0:3], 0 offen offset:12
	buffer_load_dword v124, v117, s[0:3], 0 offen
	buffer_load_dword v125, v117, s[0:3], 0 offen offset:4
	s_waitcnt vmcnt(2) lgkmcnt(0)
	v_mul_f64 v[126:127], v[3:4], v[120:121]
	v_mul_f64 v[120:121], v[1:2], v[120:121]
	s_waitcnt vmcnt(0)
	v_fma_f64 v[1:2], v[1:2], v[124:125], -v[126:127]
	v_fma_f64 v[3:4], v[3:4], v[124:125], v[120:121]
.LBB55_794:
	s_mov_b32 s6, exec_lo
	v_cmpx_ne_u32_e32 44, v0
	s_cbranch_execz .LBB55_798
; %bb.795:
	v_add_nc_u32_e32 v120, 0x390, v123
	v_add3_u32 v121, 0, v123, 16
	v_mov_b32_e32 v122, v0
	s_mov_b32 s8, 0
	.p2align	6
.LBB55_796:                             ; =>This Inner Loop Header: Depth=1
	s_clause 0x3
	buffer_load_dword v128, v121, s[0:3], 0 offen offset:8
	buffer_load_dword v129, v121, s[0:3], 0 offen offset:12
	buffer_load_dword v130, v121, s[0:3], 0 offen
	buffer_load_dword v131, v121, s[0:3], 0 offen offset:4
	ds_read_b128 v[124:127], v120
	v_add_nc_u32_e32 v122, 1, v122
	v_add_nc_u32_e32 v120, 16, v120
	;; [unrolled: 1-line block ×3, first 2 shown]
	v_cmp_lt_u32_e32 vcc_lo, 43, v122
	s_or_b32 s8, vcc_lo, s8
	s_waitcnt vmcnt(2) lgkmcnt(0)
	v_mul_f64 v[132:133], v[126:127], v[128:129]
	v_mul_f64 v[128:129], v[124:125], v[128:129]
	s_waitcnt vmcnt(0)
	v_fma_f64 v[124:125], v[124:125], v[130:131], -v[132:133]
	v_fma_f64 v[126:127], v[126:127], v[130:131], v[128:129]
	v_add_f64 v[1:2], v[1:2], v[124:125]
	v_add_f64 v[3:4], v[3:4], v[126:127]
	s_andn2_b32 exec_lo, exec_lo, s8
	s_cbranch_execnz .LBB55_796
; %bb.797:
	s_or_b32 exec_lo, exec_lo, s8
.LBB55_798:
	s_or_b32 exec_lo, exec_lo, s6
	v_mov_b32_e32 v120, 0
	ds_read_b128 v[124:127], v120 offset:720
	s_waitcnt lgkmcnt(0)
	v_mul_f64 v[120:121], v[3:4], v[126:127]
	v_mul_f64 v[126:127], v[1:2], v[126:127]
	v_fma_f64 v[1:2], v[1:2], v[124:125], -v[120:121]
	v_fma_f64 v[3:4], v[3:4], v[124:125], v[126:127]
	buffer_store_dword v2, off, s[0:3], 0 offset:724
	buffer_store_dword v1, off, s[0:3], 0 offset:720
	;; [unrolled: 1-line block ×4, first 2 shown]
.LBB55_799:
	s_or_b32 exec_lo, exec_lo, s4
	v_mov_b32_e32 v4, s17
	s_mov_b32 s4, exec_lo
	s_clause 0x3
	buffer_load_dword v1, v4, s[0:3], 0 offen
	buffer_load_dword v2, v4, s[0:3], 0 offen offset:4
	buffer_load_dword v3, v4, s[0:3], 0 offen offset:8
	;; [unrolled: 1-line block ×3, first 2 shown]
	s_waitcnt vmcnt(0)
	ds_write_b128 v118, v[1:4]
	s_waitcnt lgkmcnt(0)
	s_waitcnt_vscnt null, 0x0
	s_barrier
	buffer_gl0_inv
	v_cmpx_gt_u32_e32 46, v0
	s_cbranch_execz .LBB55_807
; %bb.800:
	ds_read_b128 v[1:4], v118
	v_cmp_ne_u32_e32 vcc_lo, 1, v119
	s_cbranch_vccnz .LBB55_802
; %bb.801:
	s_clause 0x3
	buffer_load_dword v120, v117, s[0:3], 0 offen offset:8
	buffer_load_dword v121, v117, s[0:3], 0 offen offset:12
	buffer_load_dword v124, v117, s[0:3], 0 offen
	buffer_load_dword v125, v117, s[0:3], 0 offen offset:4
	s_waitcnt vmcnt(2) lgkmcnt(0)
	v_mul_f64 v[126:127], v[3:4], v[120:121]
	v_mul_f64 v[120:121], v[1:2], v[120:121]
	s_waitcnt vmcnt(0)
	v_fma_f64 v[1:2], v[1:2], v[124:125], -v[126:127]
	v_fma_f64 v[3:4], v[3:4], v[124:125], v[120:121]
.LBB55_802:
	s_mov_b32 s6, exec_lo
	v_cmpx_ne_u32_e32 45, v0
	s_cbranch_execz .LBB55_806
; %bb.803:
	v_add_nc_u32_e32 v120, 0x390, v123
	v_add3_u32 v121, 0, v123, 16
	v_mov_b32_e32 v122, v0
	s_mov_b32 s8, 0
	.p2align	6
.LBB55_804:                             ; =>This Inner Loop Header: Depth=1
	s_clause 0x3
	buffer_load_dword v128, v121, s[0:3], 0 offen offset:8
	buffer_load_dword v129, v121, s[0:3], 0 offen offset:12
	buffer_load_dword v130, v121, s[0:3], 0 offen
	buffer_load_dword v131, v121, s[0:3], 0 offen offset:4
	ds_read_b128 v[124:127], v120
	v_add_nc_u32_e32 v122, 1, v122
	v_add_nc_u32_e32 v120, 16, v120
	;; [unrolled: 1-line block ×3, first 2 shown]
	v_cmp_lt_u32_e32 vcc_lo, 44, v122
	s_or_b32 s8, vcc_lo, s8
	s_waitcnt vmcnt(2) lgkmcnt(0)
	v_mul_f64 v[132:133], v[126:127], v[128:129]
	v_mul_f64 v[128:129], v[124:125], v[128:129]
	s_waitcnt vmcnt(0)
	v_fma_f64 v[124:125], v[124:125], v[130:131], -v[132:133]
	v_fma_f64 v[126:127], v[126:127], v[130:131], v[128:129]
	v_add_f64 v[1:2], v[1:2], v[124:125]
	v_add_f64 v[3:4], v[3:4], v[126:127]
	s_andn2_b32 exec_lo, exec_lo, s8
	s_cbranch_execnz .LBB55_804
; %bb.805:
	s_or_b32 exec_lo, exec_lo, s8
.LBB55_806:
	s_or_b32 exec_lo, exec_lo, s6
	v_mov_b32_e32 v120, 0
	ds_read_b128 v[124:127], v120 offset:736
	s_waitcnt lgkmcnt(0)
	v_mul_f64 v[120:121], v[3:4], v[126:127]
	v_mul_f64 v[126:127], v[1:2], v[126:127]
	v_fma_f64 v[1:2], v[1:2], v[124:125], -v[120:121]
	v_fma_f64 v[3:4], v[3:4], v[124:125], v[126:127]
	buffer_store_dword v2, off, s[0:3], 0 offset:740
	buffer_store_dword v1, off, s[0:3], 0 offset:736
	;; [unrolled: 1-line block ×4, first 2 shown]
.LBB55_807:
	s_or_b32 exec_lo, exec_lo, s4
	v_mov_b32_e32 v4, s16
	s_mov_b32 s4, exec_lo
	s_clause 0x3
	buffer_load_dword v1, v4, s[0:3], 0 offen
	buffer_load_dword v2, v4, s[0:3], 0 offen offset:4
	buffer_load_dword v3, v4, s[0:3], 0 offen offset:8
	;; [unrolled: 1-line block ×3, first 2 shown]
	s_waitcnt vmcnt(0)
	ds_write_b128 v118, v[1:4]
	s_waitcnt lgkmcnt(0)
	s_waitcnt_vscnt null, 0x0
	s_barrier
	buffer_gl0_inv
	v_cmpx_gt_u32_e32 47, v0
	s_cbranch_execz .LBB55_815
; %bb.808:
	ds_read_b128 v[1:4], v118
	v_cmp_ne_u32_e32 vcc_lo, 1, v119
	s_cbranch_vccnz .LBB55_810
; %bb.809:
	s_clause 0x3
	buffer_load_dword v120, v117, s[0:3], 0 offen offset:8
	buffer_load_dword v121, v117, s[0:3], 0 offen offset:12
	buffer_load_dword v124, v117, s[0:3], 0 offen
	buffer_load_dword v125, v117, s[0:3], 0 offen offset:4
	s_waitcnt vmcnt(2) lgkmcnt(0)
	v_mul_f64 v[126:127], v[3:4], v[120:121]
	v_mul_f64 v[120:121], v[1:2], v[120:121]
	s_waitcnt vmcnt(0)
	v_fma_f64 v[1:2], v[1:2], v[124:125], -v[126:127]
	v_fma_f64 v[3:4], v[3:4], v[124:125], v[120:121]
.LBB55_810:
	s_mov_b32 s6, exec_lo
	v_cmpx_ne_u32_e32 46, v0
	s_cbranch_execz .LBB55_814
; %bb.811:
	v_add_nc_u32_e32 v120, 0x390, v123
	v_add3_u32 v121, 0, v123, 16
	v_mov_b32_e32 v122, v0
	s_mov_b32 s8, 0
	.p2align	6
.LBB55_812:                             ; =>This Inner Loop Header: Depth=1
	s_clause 0x3
	buffer_load_dword v128, v121, s[0:3], 0 offen offset:8
	buffer_load_dword v129, v121, s[0:3], 0 offen offset:12
	buffer_load_dword v130, v121, s[0:3], 0 offen
	buffer_load_dword v131, v121, s[0:3], 0 offen offset:4
	ds_read_b128 v[124:127], v120
	v_add_nc_u32_e32 v122, 1, v122
	v_add_nc_u32_e32 v120, 16, v120
	;; [unrolled: 1-line block ×3, first 2 shown]
	v_cmp_lt_u32_e32 vcc_lo, 45, v122
	s_or_b32 s8, vcc_lo, s8
	s_waitcnt vmcnt(2) lgkmcnt(0)
	v_mul_f64 v[132:133], v[126:127], v[128:129]
	v_mul_f64 v[128:129], v[124:125], v[128:129]
	s_waitcnt vmcnt(0)
	v_fma_f64 v[124:125], v[124:125], v[130:131], -v[132:133]
	v_fma_f64 v[126:127], v[126:127], v[130:131], v[128:129]
	v_add_f64 v[1:2], v[1:2], v[124:125]
	v_add_f64 v[3:4], v[3:4], v[126:127]
	s_andn2_b32 exec_lo, exec_lo, s8
	s_cbranch_execnz .LBB55_812
; %bb.813:
	s_or_b32 exec_lo, exec_lo, s8
.LBB55_814:
	s_or_b32 exec_lo, exec_lo, s6
	v_mov_b32_e32 v120, 0
	ds_read_b128 v[124:127], v120 offset:752
	s_waitcnt lgkmcnt(0)
	v_mul_f64 v[120:121], v[3:4], v[126:127]
	v_mul_f64 v[126:127], v[1:2], v[126:127]
	v_fma_f64 v[1:2], v[1:2], v[124:125], -v[120:121]
	v_fma_f64 v[3:4], v[3:4], v[124:125], v[126:127]
	buffer_store_dword v2, off, s[0:3], 0 offset:756
	buffer_store_dword v1, off, s[0:3], 0 offset:752
	;; [unrolled: 1-line block ×4, first 2 shown]
.LBB55_815:
	s_or_b32 exec_lo, exec_lo, s4
	v_mov_b32_e32 v4, s15
	s_mov_b32 s4, exec_lo
	s_clause 0x3
	buffer_load_dword v1, v4, s[0:3], 0 offen
	buffer_load_dword v2, v4, s[0:3], 0 offen offset:4
	buffer_load_dword v3, v4, s[0:3], 0 offen offset:8
	;; [unrolled: 1-line block ×3, first 2 shown]
	s_waitcnt vmcnt(0)
	ds_write_b128 v118, v[1:4]
	s_waitcnt lgkmcnt(0)
	s_waitcnt_vscnt null, 0x0
	s_barrier
	buffer_gl0_inv
	v_cmpx_gt_u32_e32 48, v0
	s_cbranch_execz .LBB55_823
; %bb.816:
	ds_read_b128 v[1:4], v118
	v_cmp_ne_u32_e32 vcc_lo, 1, v119
	s_cbranch_vccnz .LBB55_818
; %bb.817:
	s_clause 0x3
	buffer_load_dword v120, v117, s[0:3], 0 offen offset:8
	buffer_load_dword v121, v117, s[0:3], 0 offen offset:12
	buffer_load_dword v124, v117, s[0:3], 0 offen
	buffer_load_dword v125, v117, s[0:3], 0 offen offset:4
	s_waitcnt vmcnt(2) lgkmcnt(0)
	v_mul_f64 v[126:127], v[3:4], v[120:121]
	v_mul_f64 v[120:121], v[1:2], v[120:121]
	s_waitcnt vmcnt(0)
	v_fma_f64 v[1:2], v[1:2], v[124:125], -v[126:127]
	v_fma_f64 v[3:4], v[3:4], v[124:125], v[120:121]
.LBB55_818:
	s_mov_b32 s6, exec_lo
	v_cmpx_ne_u32_e32 47, v0
	s_cbranch_execz .LBB55_822
; %bb.819:
	v_add_nc_u32_e32 v120, 0x390, v123
	v_add3_u32 v121, 0, v123, 16
	v_mov_b32_e32 v122, v0
	s_mov_b32 s8, 0
	.p2align	6
.LBB55_820:                             ; =>This Inner Loop Header: Depth=1
	s_clause 0x3
	buffer_load_dword v128, v121, s[0:3], 0 offen offset:8
	buffer_load_dword v129, v121, s[0:3], 0 offen offset:12
	buffer_load_dword v130, v121, s[0:3], 0 offen
	buffer_load_dword v131, v121, s[0:3], 0 offen offset:4
	ds_read_b128 v[124:127], v120
	v_add_nc_u32_e32 v122, 1, v122
	v_add_nc_u32_e32 v120, 16, v120
	;; [unrolled: 1-line block ×3, first 2 shown]
	v_cmp_lt_u32_e32 vcc_lo, 46, v122
	s_or_b32 s8, vcc_lo, s8
	s_waitcnt vmcnt(2) lgkmcnt(0)
	v_mul_f64 v[132:133], v[126:127], v[128:129]
	v_mul_f64 v[128:129], v[124:125], v[128:129]
	s_waitcnt vmcnt(0)
	v_fma_f64 v[124:125], v[124:125], v[130:131], -v[132:133]
	v_fma_f64 v[126:127], v[126:127], v[130:131], v[128:129]
	v_add_f64 v[1:2], v[1:2], v[124:125]
	v_add_f64 v[3:4], v[3:4], v[126:127]
	s_andn2_b32 exec_lo, exec_lo, s8
	s_cbranch_execnz .LBB55_820
; %bb.821:
	s_or_b32 exec_lo, exec_lo, s8
.LBB55_822:
	s_or_b32 exec_lo, exec_lo, s6
	v_mov_b32_e32 v120, 0
	ds_read_b128 v[124:127], v120 offset:768
	s_waitcnt lgkmcnt(0)
	v_mul_f64 v[120:121], v[3:4], v[126:127]
	v_mul_f64 v[126:127], v[1:2], v[126:127]
	v_fma_f64 v[1:2], v[1:2], v[124:125], -v[120:121]
	v_fma_f64 v[3:4], v[3:4], v[124:125], v[126:127]
	buffer_store_dword v2, off, s[0:3], 0 offset:772
	buffer_store_dword v1, off, s[0:3], 0 offset:768
	;; [unrolled: 1-line block ×4, first 2 shown]
.LBB55_823:
	s_or_b32 exec_lo, exec_lo, s4
	v_mov_b32_e32 v4, s14
	s_mov_b32 s4, exec_lo
	s_clause 0x3
	buffer_load_dword v1, v4, s[0:3], 0 offen
	buffer_load_dword v2, v4, s[0:3], 0 offen offset:4
	buffer_load_dword v3, v4, s[0:3], 0 offen offset:8
	;; [unrolled: 1-line block ×3, first 2 shown]
	s_waitcnt vmcnt(0)
	ds_write_b128 v118, v[1:4]
	s_waitcnt lgkmcnt(0)
	s_waitcnt_vscnt null, 0x0
	s_barrier
	buffer_gl0_inv
	v_cmpx_gt_u32_e32 49, v0
	s_cbranch_execz .LBB55_831
; %bb.824:
	ds_read_b128 v[1:4], v118
	v_cmp_ne_u32_e32 vcc_lo, 1, v119
	s_cbranch_vccnz .LBB55_826
; %bb.825:
	s_clause 0x3
	buffer_load_dword v120, v117, s[0:3], 0 offen offset:8
	buffer_load_dword v121, v117, s[0:3], 0 offen offset:12
	buffer_load_dword v124, v117, s[0:3], 0 offen
	buffer_load_dword v125, v117, s[0:3], 0 offen offset:4
	s_waitcnt vmcnt(2) lgkmcnt(0)
	v_mul_f64 v[126:127], v[3:4], v[120:121]
	v_mul_f64 v[120:121], v[1:2], v[120:121]
	s_waitcnt vmcnt(0)
	v_fma_f64 v[1:2], v[1:2], v[124:125], -v[126:127]
	v_fma_f64 v[3:4], v[3:4], v[124:125], v[120:121]
.LBB55_826:
	s_mov_b32 s6, exec_lo
	v_cmpx_ne_u32_e32 48, v0
	s_cbranch_execz .LBB55_830
; %bb.827:
	v_add_nc_u32_e32 v120, 0x390, v123
	v_add3_u32 v121, 0, v123, 16
	v_mov_b32_e32 v122, v0
	s_mov_b32 s8, 0
	.p2align	6
.LBB55_828:                             ; =>This Inner Loop Header: Depth=1
	s_clause 0x3
	buffer_load_dword v128, v121, s[0:3], 0 offen offset:8
	buffer_load_dword v129, v121, s[0:3], 0 offen offset:12
	buffer_load_dword v130, v121, s[0:3], 0 offen
	buffer_load_dword v131, v121, s[0:3], 0 offen offset:4
	ds_read_b128 v[124:127], v120
	v_add_nc_u32_e32 v122, 1, v122
	v_add_nc_u32_e32 v120, 16, v120
	;; [unrolled: 1-line block ×3, first 2 shown]
	v_cmp_lt_u32_e32 vcc_lo, 47, v122
	s_or_b32 s8, vcc_lo, s8
	s_waitcnt vmcnt(2) lgkmcnt(0)
	v_mul_f64 v[132:133], v[126:127], v[128:129]
	v_mul_f64 v[128:129], v[124:125], v[128:129]
	s_waitcnt vmcnt(0)
	v_fma_f64 v[124:125], v[124:125], v[130:131], -v[132:133]
	v_fma_f64 v[126:127], v[126:127], v[130:131], v[128:129]
	v_add_f64 v[1:2], v[1:2], v[124:125]
	v_add_f64 v[3:4], v[3:4], v[126:127]
	s_andn2_b32 exec_lo, exec_lo, s8
	s_cbranch_execnz .LBB55_828
; %bb.829:
	s_or_b32 exec_lo, exec_lo, s8
.LBB55_830:
	s_or_b32 exec_lo, exec_lo, s6
	v_mov_b32_e32 v120, 0
	ds_read_b128 v[124:127], v120 offset:784
	s_waitcnt lgkmcnt(0)
	v_mul_f64 v[120:121], v[3:4], v[126:127]
	v_mul_f64 v[126:127], v[1:2], v[126:127]
	v_fma_f64 v[1:2], v[1:2], v[124:125], -v[120:121]
	v_fma_f64 v[3:4], v[3:4], v[124:125], v[126:127]
	buffer_store_dword v2, off, s[0:3], 0 offset:788
	buffer_store_dword v1, off, s[0:3], 0 offset:784
	;; [unrolled: 1-line block ×4, first 2 shown]
.LBB55_831:
	s_or_b32 exec_lo, exec_lo, s4
	v_mov_b32_e32 v4, s13
	s_mov_b32 s4, exec_lo
	s_clause 0x3
	buffer_load_dword v1, v4, s[0:3], 0 offen
	buffer_load_dword v2, v4, s[0:3], 0 offen offset:4
	buffer_load_dword v3, v4, s[0:3], 0 offen offset:8
	;; [unrolled: 1-line block ×3, first 2 shown]
	s_waitcnt vmcnt(0)
	ds_write_b128 v118, v[1:4]
	s_waitcnt lgkmcnt(0)
	s_waitcnt_vscnt null, 0x0
	s_barrier
	buffer_gl0_inv
	v_cmpx_gt_u32_e32 50, v0
	s_cbranch_execz .LBB55_839
; %bb.832:
	ds_read_b128 v[1:4], v118
	v_cmp_ne_u32_e32 vcc_lo, 1, v119
	s_cbranch_vccnz .LBB55_834
; %bb.833:
	s_clause 0x3
	buffer_load_dword v120, v117, s[0:3], 0 offen offset:8
	buffer_load_dword v121, v117, s[0:3], 0 offen offset:12
	buffer_load_dword v124, v117, s[0:3], 0 offen
	buffer_load_dword v125, v117, s[0:3], 0 offen offset:4
	s_waitcnt vmcnt(2) lgkmcnt(0)
	v_mul_f64 v[126:127], v[3:4], v[120:121]
	v_mul_f64 v[120:121], v[1:2], v[120:121]
	s_waitcnt vmcnt(0)
	v_fma_f64 v[1:2], v[1:2], v[124:125], -v[126:127]
	v_fma_f64 v[3:4], v[3:4], v[124:125], v[120:121]
.LBB55_834:
	s_mov_b32 s6, exec_lo
	v_cmpx_ne_u32_e32 49, v0
	s_cbranch_execz .LBB55_838
; %bb.835:
	v_add_nc_u32_e32 v120, 0x390, v123
	v_add3_u32 v121, 0, v123, 16
	v_mov_b32_e32 v122, v0
	s_mov_b32 s8, 0
	.p2align	6
.LBB55_836:                             ; =>This Inner Loop Header: Depth=1
	s_clause 0x3
	buffer_load_dword v128, v121, s[0:3], 0 offen offset:8
	buffer_load_dword v129, v121, s[0:3], 0 offen offset:12
	buffer_load_dword v130, v121, s[0:3], 0 offen
	buffer_load_dword v131, v121, s[0:3], 0 offen offset:4
	ds_read_b128 v[124:127], v120
	v_add_nc_u32_e32 v122, 1, v122
	v_add_nc_u32_e32 v120, 16, v120
	;; [unrolled: 1-line block ×3, first 2 shown]
	v_cmp_lt_u32_e32 vcc_lo, 48, v122
	s_or_b32 s8, vcc_lo, s8
	s_waitcnt vmcnt(2) lgkmcnt(0)
	v_mul_f64 v[132:133], v[126:127], v[128:129]
	v_mul_f64 v[128:129], v[124:125], v[128:129]
	s_waitcnt vmcnt(0)
	v_fma_f64 v[124:125], v[124:125], v[130:131], -v[132:133]
	v_fma_f64 v[126:127], v[126:127], v[130:131], v[128:129]
	v_add_f64 v[1:2], v[1:2], v[124:125]
	v_add_f64 v[3:4], v[3:4], v[126:127]
	s_andn2_b32 exec_lo, exec_lo, s8
	s_cbranch_execnz .LBB55_836
; %bb.837:
	s_or_b32 exec_lo, exec_lo, s8
.LBB55_838:
	s_or_b32 exec_lo, exec_lo, s6
	v_mov_b32_e32 v120, 0
	ds_read_b128 v[124:127], v120 offset:800
	s_waitcnt lgkmcnt(0)
	v_mul_f64 v[120:121], v[3:4], v[126:127]
	v_mul_f64 v[126:127], v[1:2], v[126:127]
	v_fma_f64 v[1:2], v[1:2], v[124:125], -v[120:121]
	v_fma_f64 v[3:4], v[3:4], v[124:125], v[126:127]
	buffer_store_dword v2, off, s[0:3], 0 offset:804
	buffer_store_dword v1, off, s[0:3], 0 offset:800
	;; [unrolled: 1-line block ×4, first 2 shown]
.LBB55_839:
	s_or_b32 exec_lo, exec_lo, s4
	v_mov_b32_e32 v4, s12
	s_mov_b32 s4, exec_lo
	s_clause 0x3
	buffer_load_dword v1, v4, s[0:3], 0 offen
	buffer_load_dword v2, v4, s[0:3], 0 offen offset:4
	buffer_load_dword v3, v4, s[0:3], 0 offen offset:8
	;; [unrolled: 1-line block ×3, first 2 shown]
	s_waitcnt vmcnt(0)
	ds_write_b128 v118, v[1:4]
	s_waitcnt lgkmcnt(0)
	s_waitcnt_vscnt null, 0x0
	s_barrier
	buffer_gl0_inv
	v_cmpx_gt_u32_e32 51, v0
	s_cbranch_execz .LBB55_847
; %bb.840:
	ds_read_b128 v[1:4], v118
	v_cmp_ne_u32_e32 vcc_lo, 1, v119
	s_cbranch_vccnz .LBB55_842
; %bb.841:
	s_clause 0x3
	buffer_load_dword v120, v117, s[0:3], 0 offen offset:8
	buffer_load_dword v121, v117, s[0:3], 0 offen offset:12
	buffer_load_dword v124, v117, s[0:3], 0 offen
	buffer_load_dword v125, v117, s[0:3], 0 offen offset:4
	s_waitcnt vmcnt(2) lgkmcnt(0)
	v_mul_f64 v[126:127], v[3:4], v[120:121]
	v_mul_f64 v[120:121], v[1:2], v[120:121]
	s_waitcnt vmcnt(0)
	v_fma_f64 v[1:2], v[1:2], v[124:125], -v[126:127]
	v_fma_f64 v[3:4], v[3:4], v[124:125], v[120:121]
.LBB55_842:
	s_mov_b32 s6, exec_lo
	v_cmpx_ne_u32_e32 50, v0
	s_cbranch_execz .LBB55_846
; %bb.843:
	v_add_nc_u32_e32 v120, 0x390, v123
	v_add3_u32 v121, 0, v123, 16
	v_mov_b32_e32 v122, v0
	s_mov_b32 s8, 0
	.p2align	6
.LBB55_844:                             ; =>This Inner Loop Header: Depth=1
	s_clause 0x3
	buffer_load_dword v128, v121, s[0:3], 0 offen offset:8
	buffer_load_dword v129, v121, s[0:3], 0 offen offset:12
	buffer_load_dword v130, v121, s[0:3], 0 offen
	buffer_load_dword v131, v121, s[0:3], 0 offen offset:4
	ds_read_b128 v[124:127], v120
	v_add_nc_u32_e32 v122, 1, v122
	v_add_nc_u32_e32 v120, 16, v120
	;; [unrolled: 1-line block ×3, first 2 shown]
	v_cmp_lt_u32_e32 vcc_lo, 49, v122
	s_or_b32 s8, vcc_lo, s8
	s_waitcnt vmcnt(2) lgkmcnt(0)
	v_mul_f64 v[132:133], v[126:127], v[128:129]
	v_mul_f64 v[128:129], v[124:125], v[128:129]
	s_waitcnt vmcnt(0)
	v_fma_f64 v[124:125], v[124:125], v[130:131], -v[132:133]
	v_fma_f64 v[126:127], v[126:127], v[130:131], v[128:129]
	v_add_f64 v[1:2], v[1:2], v[124:125]
	v_add_f64 v[3:4], v[3:4], v[126:127]
	s_andn2_b32 exec_lo, exec_lo, s8
	s_cbranch_execnz .LBB55_844
; %bb.845:
	s_or_b32 exec_lo, exec_lo, s8
.LBB55_846:
	s_or_b32 exec_lo, exec_lo, s6
	v_mov_b32_e32 v120, 0
	ds_read_b128 v[124:127], v120 offset:816
	s_waitcnt lgkmcnt(0)
	v_mul_f64 v[120:121], v[3:4], v[126:127]
	v_mul_f64 v[126:127], v[1:2], v[126:127]
	v_fma_f64 v[1:2], v[1:2], v[124:125], -v[120:121]
	v_fma_f64 v[3:4], v[3:4], v[124:125], v[126:127]
	buffer_store_dword v2, off, s[0:3], 0 offset:820
	buffer_store_dword v1, off, s[0:3], 0 offset:816
	buffer_store_dword v4, off, s[0:3], 0 offset:828
	buffer_store_dword v3, off, s[0:3], 0 offset:824
.LBB55_847:
	s_or_b32 exec_lo, exec_lo, s4
	v_mov_b32_e32 v4, s11
	s_mov_b32 s4, exec_lo
	s_clause 0x3
	buffer_load_dword v1, v4, s[0:3], 0 offen
	buffer_load_dword v2, v4, s[0:3], 0 offen offset:4
	buffer_load_dword v3, v4, s[0:3], 0 offen offset:8
	;; [unrolled: 1-line block ×3, first 2 shown]
	s_waitcnt vmcnt(0)
	ds_write_b128 v118, v[1:4]
	s_waitcnt lgkmcnt(0)
	s_waitcnt_vscnt null, 0x0
	s_barrier
	buffer_gl0_inv
	v_cmpx_gt_u32_e32 52, v0
	s_cbranch_execz .LBB55_855
; %bb.848:
	ds_read_b128 v[1:4], v118
	v_cmp_ne_u32_e32 vcc_lo, 1, v119
	s_cbranch_vccnz .LBB55_850
; %bb.849:
	s_clause 0x3
	buffer_load_dword v120, v117, s[0:3], 0 offen offset:8
	buffer_load_dword v121, v117, s[0:3], 0 offen offset:12
	buffer_load_dword v124, v117, s[0:3], 0 offen
	buffer_load_dword v125, v117, s[0:3], 0 offen offset:4
	s_waitcnt vmcnt(2) lgkmcnt(0)
	v_mul_f64 v[126:127], v[3:4], v[120:121]
	v_mul_f64 v[120:121], v[1:2], v[120:121]
	s_waitcnt vmcnt(0)
	v_fma_f64 v[1:2], v[1:2], v[124:125], -v[126:127]
	v_fma_f64 v[3:4], v[3:4], v[124:125], v[120:121]
.LBB55_850:
	s_mov_b32 s6, exec_lo
	v_cmpx_ne_u32_e32 51, v0
	s_cbranch_execz .LBB55_854
; %bb.851:
	v_add_nc_u32_e32 v120, 0x390, v123
	v_add3_u32 v121, 0, v123, 16
	v_mov_b32_e32 v122, v0
	s_mov_b32 s8, 0
	.p2align	6
.LBB55_852:                             ; =>This Inner Loop Header: Depth=1
	s_clause 0x3
	buffer_load_dword v128, v121, s[0:3], 0 offen offset:8
	buffer_load_dword v129, v121, s[0:3], 0 offen offset:12
	buffer_load_dword v130, v121, s[0:3], 0 offen
	buffer_load_dword v131, v121, s[0:3], 0 offen offset:4
	ds_read_b128 v[124:127], v120
	v_add_nc_u32_e32 v122, 1, v122
	v_add_nc_u32_e32 v120, 16, v120
	;; [unrolled: 1-line block ×3, first 2 shown]
	v_cmp_lt_u32_e32 vcc_lo, 50, v122
	s_or_b32 s8, vcc_lo, s8
	s_waitcnt vmcnt(2) lgkmcnt(0)
	v_mul_f64 v[132:133], v[126:127], v[128:129]
	v_mul_f64 v[128:129], v[124:125], v[128:129]
	s_waitcnt vmcnt(0)
	v_fma_f64 v[124:125], v[124:125], v[130:131], -v[132:133]
	v_fma_f64 v[126:127], v[126:127], v[130:131], v[128:129]
	v_add_f64 v[1:2], v[1:2], v[124:125]
	v_add_f64 v[3:4], v[3:4], v[126:127]
	s_andn2_b32 exec_lo, exec_lo, s8
	s_cbranch_execnz .LBB55_852
; %bb.853:
	s_or_b32 exec_lo, exec_lo, s8
.LBB55_854:
	s_or_b32 exec_lo, exec_lo, s6
	v_mov_b32_e32 v120, 0
	ds_read_b128 v[124:127], v120 offset:832
	s_waitcnt lgkmcnt(0)
	v_mul_f64 v[120:121], v[3:4], v[126:127]
	v_mul_f64 v[126:127], v[1:2], v[126:127]
	v_fma_f64 v[1:2], v[1:2], v[124:125], -v[120:121]
	v_fma_f64 v[3:4], v[3:4], v[124:125], v[126:127]
	buffer_store_dword v2, off, s[0:3], 0 offset:836
	buffer_store_dword v1, off, s[0:3], 0 offset:832
	;; [unrolled: 1-line block ×4, first 2 shown]
.LBB55_855:
	s_or_b32 exec_lo, exec_lo, s4
	v_mov_b32_e32 v4, s10
	s_mov_b32 s4, exec_lo
	s_clause 0x3
	buffer_load_dword v1, v4, s[0:3], 0 offen
	buffer_load_dword v2, v4, s[0:3], 0 offen offset:4
	buffer_load_dword v3, v4, s[0:3], 0 offen offset:8
	;; [unrolled: 1-line block ×3, first 2 shown]
	s_waitcnt vmcnt(0)
	ds_write_b128 v118, v[1:4]
	s_waitcnt lgkmcnt(0)
	s_waitcnt_vscnt null, 0x0
	s_barrier
	buffer_gl0_inv
	v_cmpx_gt_u32_e32 53, v0
	s_cbranch_execz .LBB55_863
; %bb.856:
	ds_read_b128 v[1:4], v118
	v_cmp_ne_u32_e32 vcc_lo, 1, v119
	s_cbranch_vccnz .LBB55_858
; %bb.857:
	s_clause 0x3
	buffer_load_dword v120, v117, s[0:3], 0 offen offset:8
	buffer_load_dword v121, v117, s[0:3], 0 offen offset:12
	buffer_load_dword v124, v117, s[0:3], 0 offen
	buffer_load_dword v125, v117, s[0:3], 0 offen offset:4
	s_waitcnt vmcnt(2) lgkmcnt(0)
	v_mul_f64 v[126:127], v[3:4], v[120:121]
	v_mul_f64 v[120:121], v[1:2], v[120:121]
	s_waitcnt vmcnt(0)
	v_fma_f64 v[1:2], v[1:2], v[124:125], -v[126:127]
	v_fma_f64 v[3:4], v[3:4], v[124:125], v[120:121]
.LBB55_858:
	s_mov_b32 s6, exec_lo
	v_cmpx_ne_u32_e32 52, v0
	s_cbranch_execz .LBB55_862
; %bb.859:
	v_add_nc_u32_e32 v120, 0x390, v123
	v_add3_u32 v121, 0, v123, 16
	v_mov_b32_e32 v122, v0
	s_mov_b32 s8, 0
	.p2align	6
.LBB55_860:                             ; =>This Inner Loop Header: Depth=1
	s_clause 0x3
	buffer_load_dword v128, v121, s[0:3], 0 offen offset:8
	buffer_load_dword v129, v121, s[0:3], 0 offen offset:12
	buffer_load_dword v130, v121, s[0:3], 0 offen
	buffer_load_dword v131, v121, s[0:3], 0 offen offset:4
	ds_read_b128 v[124:127], v120
	v_add_nc_u32_e32 v122, 1, v122
	v_add_nc_u32_e32 v120, 16, v120
	v_add_nc_u32_e32 v121, 16, v121
	v_cmp_lt_u32_e32 vcc_lo, 51, v122
	s_or_b32 s8, vcc_lo, s8
	s_waitcnt vmcnt(2) lgkmcnt(0)
	v_mul_f64 v[132:133], v[126:127], v[128:129]
	v_mul_f64 v[128:129], v[124:125], v[128:129]
	s_waitcnt vmcnt(0)
	v_fma_f64 v[124:125], v[124:125], v[130:131], -v[132:133]
	v_fma_f64 v[126:127], v[126:127], v[130:131], v[128:129]
	v_add_f64 v[1:2], v[1:2], v[124:125]
	v_add_f64 v[3:4], v[3:4], v[126:127]
	s_andn2_b32 exec_lo, exec_lo, s8
	s_cbranch_execnz .LBB55_860
; %bb.861:
	s_or_b32 exec_lo, exec_lo, s8
.LBB55_862:
	s_or_b32 exec_lo, exec_lo, s6
	v_mov_b32_e32 v120, 0
	ds_read_b128 v[124:127], v120 offset:848
	s_waitcnt lgkmcnt(0)
	v_mul_f64 v[120:121], v[3:4], v[126:127]
	v_mul_f64 v[126:127], v[1:2], v[126:127]
	v_fma_f64 v[1:2], v[1:2], v[124:125], -v[120:121]
	v_fma_f64 v[3:4], v[3:4], v[124:125], v[126:127]
	buffer_store_dword v2, off, s[0:3], 0 offset:852
	buffer_store_dword v1, off, s[0:3], 0 offset:848
	;; [unrolled: 1-line block ×4, first 2 shown]
.LBB55_863:
	s_or_b32 exec_lo, exec_lo, s4
	v_mov_b32_e32 v4, s9
	v_cmp_gt_u32_e64 s4, 54, v0
	s_clause 0x3
	buffer_load_dword v1, v4, s[0:3], 0 offen
	buffer_load_dword v2, v4, s[0:3], 0 offen offset:4
	buffer_load_dword v3, v4, s[0:3], 0 offen offset:8
	;; [unrolled: 1-line block ×3, first 2 shown]
	s_waitcnt vmcnt(0)
	ds_write_b128 v118, v[1:4]
	s_waitcnt lgkmcnt(0)
	s_waitcnt_vscnt null, 0x0
	s_barrier
	buffer_gl0_inv
	s_and_saveexec_b32 s6, s4
	s_cbranch_execz .LBB55_871
; %bb.864:
	ds_read_b128 v[1:4], v118
	v_cmp_ne_u32_e32 vcc_lo, 1, v119
	s_cbranch_vccnz .LBB55_866
; %bb.865:
	s_clause 0x3
	buffer_load_dword v120, v117, s[0:3], 0 offen offset:8
	buffer_load_dword v121, v117, s[0:3], 0 offen offset:12
	buffer_load_dword v124, v117, s[0:3], 0 offen
	buffer_load_dword v125, v117, s[0:3], 0 offen offset:4
	s_waitcnt vmcnt(2) lgkmcnt(0)
	v_mul_f64 v[126:127], v[3:4], v[120:121]
	v_mul_f64 v[120:121], v[1:2], v[120:121]
	s_waitcnt vmcnt(0)
	v_fma_f64 v[1:2], v[1:2], v[124:125], -v[126:127]
	v_fma_f64 v[3:4], v[3:4], v[124:125], v[120:121]
.LBB55_866:
	s_mov_b32 s8, exec_lo
	v_cmpx_ne_u32_e32 53, v0
	s_cbranch_execz .LBB55_870
; %bb.867:
	v_add_nc_u32_e32 v120, 0x390, v123
	v_add3_u32 v121, 0, v123, 16
	v_mov_b32_e32 v122, v0
	s_mov_b32 s64, 0
	.p2align	6
.LBB55_868:                             ; =>This Inner Loop Header: Depth=1
	s_clause 0x3
	buffer_load_dword v128, v121, s[0:3], 0 offen offset:8
	buffer_load_dword v129, v121, s[0:3], 0 offen offset:12
	buffer_load_dword v130, v121, s[0:3], 0 offen
	buffer_load_dword v131, v121, s[0:3], 0 offen offset:4
	ds_read_b128 v[124:127], v120
	v_add_nc_u32_e32 v122, 1, v122
	v_add_nc_u32_e32 v120, 16, v120
	;; [unrolled: 1-line block ×3, first 2 shown]
	v_cmp_lt_u32_e32 vcc_lo, 52, v122
	s_or_b32 s64, vcc_lo, s64
	s_waitcnt vmcnt(2) lgkmcnt(0)
	v_mul_f64 v[132:133], v[126:127], v[128:129]
	v_mul_f64 v[128:129], v[124:125], v[128:129]
	s_waitcnt vmcnt(0)
	v_fma_f64 v[124:125], v[124:125], v[130:131], -v[132:133]
	v_fma_f64 v[126:127], v[126:127], v[130:131], v[128:129]
	v_add_f64 v[1:2], v[1:2], v[124:125]
	v_add_f64 v[3:4], v[3:4], v[126:127]
	s_andn2_b32 exec_lo, exec_lo, s64
	s_cbranch_execnz .LBB55_868
; %bb.869:
	s_or_b32 exec_lo, exec_lo, s64
.LBB55_870:
	s_or_b32 exec_lo, exec_lo, s8
	v_mov_b32_e32 v120, 0
	ds_read_b128 v[124:127], v120 offset:864
	s_waitcnt lgkmcnt(0)
	v_mul_f64 v[120:121], v[3:4], v[126:127]
	v_mul_f64 v[126:127], v[1:2], v[126:127]
	v_fma_f64 v[1:2], v[1:2], v[124:125], -v[120:121]
	v_fma_f64 v[3:4], v[3:4], v[124:125], v[126:127]
	buffer_store_dword v2, off, s[0:3], 0 offset:868
	buffer_store_dword v1, off, s[0:3], 0 offset:864
	;; [unrolled: 1-line block ×4, first 2 shown]
.LBB55_871:
	s_or_b32 exec_lo, exec_lo, s6
	v_mov_b32_e32 v4, s7
	s_mov_b32 s6, exec_lo
                                        ; implicit-def: $sgpr65
	s_clause 0x3
	buffer_load_dword v1, v4, s[0:3], 0 offen
	buffer_load_dword v2, v4, s[0:3], 0 offen offset:4
	buffer_load_dword v3, v4, s[0:3], 0 offen offset:8
	;; [unrolled: 1-line block ×3, first 2 shown]
	s_waitcnt vmcnt(0)
	ds_write_b128 v118, v[1:4]
	s_waitcnt lgkmcnt(0)
	s_waitcnt_vscnt null, 0x0
	s_barrier
	buffer_gl0_inv
                                        ; implicit-def: $vgpr1_vgpr2
	v_cmpx_ne_u32_e32 55, v0
	s_cbranch_execz .LBB55_879
; %bb.872:
	ds_read_b128 v[1:4], v118
	v_cmp_ne_u32_e32 vcc_lo, 1, v119
	s_cbranch_vccnz .LBB55_874
; %bb.873:
	s_clause 0x3
	buffer_load_dword v118, v117, s[0:3], 0 offen offset:8
	buffer_load_dword v119, v117, s[0:3], 0 offen offset:12
	buffer_load_dword v120, v117, s[0:3], 0 offen
	buffer_load_dword v121, v117, s[0:3], 0 offen offset:4
	s_waitcnt vmcnt(2) lgkmcnt(0)
	v_mul_f64 v[124:125], v[3:4], v[118:119]
	v_mul_f64 v[117:118], v[1:2], v[118:119]
	s_waitcnt vmcnt(0)
	v_fma_f64 v[1:2], v[1:2], v[120:121], -v[124:125]
	v_fma_f64 v[3:4], v[3:4], v[120:121], v[117:118]
.LBB55_874:
	s_and_saveexec_b32 s8, s4
	s_cbranch_execz .LBB55_878
; %bb.875:
	v_add_nc_u32_e32 v117, 0x390, v123
	v_add3_u32 v118, 0, v123, 16
	s_mov_b32 s4, 0
	.p2align	6
.LBB55_876:                             ; =>This Inner Loop Header: Depth=1
	s_clause 0x3
	buffer_load_dword v123, v118, s[0:3], 0 offen offset:8
	buffer_load_dword v124, v118, s[0:3], 0 offen offset:12
	buffer_load_dword v125, v118, s[0:3], 0 offen
	buffer_load_dword v126, v118, s[0:3], 0 offen offset:4
	ds_read_b128 v[119:122], v117
	v_add_nc_u32_e32 v0, 1, v0
	v_add_nc_u32_e32 v117, 16, v117
	;; [unrolled: 1-line block ×3, first 2 shown]
	v_cmp_lt_u32_e32 vcc_lo, 53, v0
	s_or_b32 s4, vcc_lo, s4
	s_waitcnt vmcnt(2) lgkmcnt(0)
	v_mul_f64 v[127:128], v[121:122], v[123:124]
	v_mul_f64 v[123:124], v[119:120], v[123:124]
	s_waitcnt vmcnt(0)
	v_fma_f64 v[119:120], v[119:120], v[125:126], -v[127:128]
	v_fma_f64 v[121:122], v[121:122], v[125:126], v[123:124]
	v_add_f64 v[1:2], v[1:2], v[119:120]
	v_add_f64 v[3:4], v[3:4], v[121:122]
	s_andn2_b32 exec_lo, exec_lo, s4
	s_cbranch_execnz .LBB55_876
; %bb.877:
	s_or_b32 exec_lo, exec_lo, s4
.LBB55_878:
	s_or_b32 exec_lo, exec_lo, s8
	v_mov_b32_e32 v0, 0
	s_movk_i32 s65, 0x378
	s_or_b32 s5, s5, exec_lo
	ds_read_b128 v[117:120], v0 offset:880
	s_waitcnt lgkmcnt(0)
	v_mul_f64 v[121:122], v[3:4], v[119:120]
	v_mul_f64 v[119:120], v[1:2], v[119:120]
	v_fma_f64 v[121:122], v[1:2], v[117:118], -v[121:122]
	v_fma_f64 v[1:2], v[3:4], v[117:118], v[119:120]
	buffer_store_dword v122, off, s[0:3], 0 offset:884
	buffer_store_dword v121, off, s[0:3], 0 offset:880
.LBB55_879:
	s_or_b32 exec_lo, exec_lo, s6
.LBB55_880:
	s_and_saveexec_b32 s4, s5
	s_cbranch_execz .LBB55_882
; %bb.881:
	v_mov_b32_e32 v0, s65
	buffer_store_dword v2, v0, s[0:3], 0 offen offset:4
	buffer_store_dword v1, v0, s[0:3], 0 offen
.LBB55_882:
	s_or_b32 exec_lo, exec_lo, s4
	v_mov_b32_e32 v3, s63
	v_mov_b32_e32 v124, s60
	;; [unrolled: 1-line block ×6, first 2 shown]
	s_clause 0x1b
	buffer_load_dword v0, v3, s[0:3], 0 offen
	buffer_load_dword v1, v3, s[0:3], 0 offen offset:4
	buffer_load_dword v2, v3, s[0:3], 0 offen offset:8
	buffer_load_dword v3, v3, s[0:3], 0 offen offset:12
	buffer_load_dword v117, v120, s[0:3], 0 offen
	buffer_load_dword v118, v120, s[0:3], 0 offen offset:4
	buffer_load_dword v119, v120, s[0:3], 0 offen offset:8
	buffer_load_dword v120, v120, s[0:3], 0 offen offset:12
	;; [unrolled: 4-line block ×6, first 2 shown]
	buffer_load_dword v137, off, s[0:3], 0
	buffer_load_dword v138, off, s[0:3], 0 offset:4
	buffer_load_dword v139, off, s[0:3], 0 offset:8
	;; [unrolled: 1-line block ×3, first 2 shown]
	v_mov_b32_e32 v4, s57
	v_mov_b32_e32 v153, s15
	;; [unrolled: 1-line block ×6, first 2 shown]
	s_waitcnt vmcnt(0)
	global_store_dwordx4 v[75:76], v[137:140], off
	s_clause 0x3
	buffer_load_dword v137, v4, s[0:3], 0 offen
	buffer_load_dword v138, v4, s[0:3], 0 offen offset:4
	buffer_load_dword v139, v4, s[0:3], 0 offen offset:8
	;; [unrolled: 1-line block ×3, first 2 shown]
	v_mov_b32_e32 v4, s56
	global_store_dwordx4 v[63:64], v[133:136], off
	s_clause 0x3
	buffer_load_dword v133, v4, s[0:3], 0 offen
	buffer_load_dword v134, v4, s[0:3], 0 offen offset:4
	buffer_load_dword v135, v4, s[0:3], 0 offen offset:8
	;; [unrolled: 1-line block ×3, first 2 shown]
	v_mov_b32_e32 v4, s55
	v_mov_b32_e32 v63, s54
	global_store_dwordx4 v[51:52], v[0:3], off
	s_clause 0x7
	buffer_load_dword v0, v4, s[0:3], 0 offen
	buffer_load_dword v1, v4, s[0:3], 0 offen offset:4
	buffer_load_dword v2, v4, s[0:3], 0 offen offset:8
	buffer_load_dword v3, v4, s[0:3], 0 offen offset:12
	buffer_load_dword v141, v63, s[0:3], 0 offen
	buffer_load_dword v142, v63, s[0:3], 0 offen offset:4
	buffer_load_dword v143, v63, s[0:3], 0 offen offset:8
	;; [unrolled: 1-line block ×3, first 2 shown]
	v_mov_b32_e32 v4, s53
	global_store_dwordx4 v[53:54], v[117:120], off
	s_clause 0x3
	buffer_load_dword v51, v4, s[0:3], 0 offen
	buffer_load_dword v52, v4, s[0:3], 0 offen offset:4
	buffer_load_dword v53, v4, s[0:3], 0 offen offset:8
	;; [unrolled: 1-line block ×3, first 2 shown]
	v_mov_b32_e32 v4, s52
	s_clause 0x3
	buffer_load_dword v117, v4, s[0:3], 0 offen
	buffer_load_dword v118, v4, s[0:3], 0 offen offset:4
	buffer_load_dword v119, v4, s[0:3], 0 offen offset:8
	buffer_load_dword v120, v4, s[0:3], 0 offen offset:12
	v_mov_b32_e32 v4, s51
	global_store_dwordx4 v[49:50], v[121:124], off
	s_clause 0x3
	buffer_load_dword v121, v4, s[0:3], 0 offen
	buffer_load_dword v122, v4, s[0:3], 0 offen offset:4
	buffer_load_dword v123, v4, s[0:3], 0 offen offset:8
	;; [unrolled: 1-line block ×3, first 2 shown]
	v_mov_b32_e32 v4, s50
	global_store_dwordx4 v[91:92], v[125:128], off
	s_clause 0x3
	buffer_load_dword v125, v4, s[0:3], 0 offen
	buffer_load_dword v126, v4, s[0:3], 0 offen offset:4
	buffer_load_dword v127, v4, s[0:3], 0 offen offset:8
	;; [unrolled: 1-line block ×3, first 2 shown]
	v_mov_b32_e32 v4, s49
	s_clause 0x3
	buffer_load_dword v145, v4, s[0:3], 0 offen
	buffer_load_dword v146, v4, s[0:3], 0 offen offset:4
	buffer_load_dword v147, v4, s[0:3], 0 offen offset:8
	;; [unrolled: 1-line block ×3, first 2 shown]
	v_mov_b32_e32 v4, s48
	global_store_dwordx4 v[89:90], v[129:132], off
	s_clause 0x3
	buffer_load_dword v89, v4, s[0:3], 0 offen
	buffer_load_dword v90, v4, s[0:3], 0 offen offset:4
	buffer_load_dword v91, v4, s[0:3], 0 offen offset:8
	;; [unrolled: 1-line block ×3, first 2 shown]
	v_mov_b32_e32 v4, s47
	v_mov_b32_e32 v49, s45
	s_waitcnt vmcnt(36)
	global_store_dwordx4 v[85:86], v[137:140], off
	s_clause 0x3
	buffer_load_dword v129, v4, s[0:3], 0 offen
	buffer_load_dword v130, v4, s[0:3], 0 offen offset:4
	buffer_load_dword v131, v4, s[0:3], 0 offen offset:8
	;; [unrolled: 1-line block ×3, first 2 shown]
	v_mov_b32_e32 v4, s46
	v_mov_b32_e32 v85, s40
	;; [unrolled: 1-line block ×3, first 2 shown]
	s_waitcnt vmcnt(36)
	global_store_dwordx4 v[79:80], v[133:136], off
	s_clause 0x3
	buffer_load_dword v133, v4, s[0:3], 0 offen
	buffer_load_dword v134, v4, s[0:3], 0 offen offset:4
	buffer_load_dword v135, v4, s[0:3], 0 offen offset:8
	buffer_load_dword v136, v4, s[0:3], 0 offen offset:12
	v_mov_b32_e32 v4, s44
	s_clause 0x3
	buffer_load_dword v137, v49, s[0:3], 0 offen
	buffer_load_dword v138, v49, s[0:3], 0 offen offset:4
	buffer_load_dword v139, v49, s[0:3], 0 offen offset:8
	;; [unrolled: 1-line block ×3, first 2 shown]
	v_mov_b32_e32 v49, s43
	s_waitcnt vmcnt(40)
	global_store_dwordx4 v[73:74], v[0:3], off
	s_clause 0x3
	buffer_load_dword v0, v4, s[0:3], 0 offen
	buffer_load_dword v1, v4, s[0:3], 0 offen offset:4
	buffer_load_dword v2, v4, s[0:3], 0 offen offset:8
	buffer_load_dword v3, v4, s[0:3], 0 offen offset:12
	v_mov_b32_e32 v4, s42
	s_waitcnt vmcnt(40)
	global_store_dwordx4 v[81:82], v[141:144], off
	s_clause 0x7
	buffer_load_dword v73, v49, s[0:3], 0 offen
	buffer_load_dword v74, v49, s[0:3], 0 offen offset:4
	buffer_load_dword v75, v49, s[0:3], 0 offen offset:8
	buffer_load_dword v76, v49, s[0:3], 0 offen offset:12
	buffer_load_dword v79, v4, s[0:3], 0 offen
	buffer_load_dword v80, v4, s[0:3], 0 offen offset:4
	buffer_load_dword v81, v4, s[0:3], 0 offen offset:8
	buffer_load_dword v82, v4, s[0:3], 0 offen offset:12
	v_mov_b32_e32 v4, s41
	s_waitcnt vmcnt(44)
	global_store_dwordx4 v[65:66], v[51:54], off
	s_clause 0x7
	buffer_load_dword v49, v4, s[0:3], 0 offen
	buffer_load_dword v50, v4, s[0:3], 0 offen offset:4
	buffer_load_dword v51, v4, s[0:3], 0 offen offset:8
	buffer_load_dword v52, v4, s[0:3], 0 offen offset:12
	;; [unrolled: 12-line block ×3, first 2 shown]
	v_mov_b32_e32 v4, s38
	v_mov_b32_e32 v53, s37
	s_waitcnt vmcnt(48)
	global_store_dwordx4 v[57:58], v[121:124], off
	s_clause 0x7
	buffer_load_dword v121, v4, s[0:3], 0 offen
	buffer_load_dword v122, v4, s[0:3], 0 offen offset:4
	buffer_load_dword v123, v4, s[0:3], 0 offen offset:8
	;; [unrolled: 1-line block ×3, first 2 shown]
	buffer_load_dword v141, v53, s[0:3], 0 offen
	buffer_load_dword v142, v53, s[0:3], 0 offen offset:4
	buffer_load_dword v143, v53, s[0:3], 0 offen offset:8
	;; [unrolled: 1-line block ×3, first 2 shown]
	v_mov_b32_e32 v4, s36
	s_waitcnt vmcnt(52)
	global_store_dwordx4 v[61:62], v[125:128], off
	s_clause 0x3
	buffer_load_dword v125, v4, s[0:3], 0 offen
	buffer_load_dword v126, v4, s[0:3], 0 offen offset:4
	buffer_load_dword v127, v4, s[0:3], 0 offen offset:8
	;; [unrolled: 1-line block ×3, first 2 shown]
	v_mov_b32_e32 v4, s35
	v_mov_b32_e32 v53, s34
	s_waitcnt vmcnt(52)
	global_store_dwordx4 v[71:72], v[145:148], off
	s_clause 0x7
	buffer_load_dword v145, v4, s[0:3], 0 offen
	buffer_load_dword v146, v4, s[0:3], 0 offen offset:4
	buffer_load_dword v147, v4, s[0:3], 0 offen offset:8
	;; [unrolled: 1-line block ×3, first 2 shown]
	buffer_load_dword v149, v53, s[0:3], 0 offen
	buffer_load_dword v150, v53, s[0:3], 0 offen offset:4
	buffer_load_dword v151, v53, s[0:3], 0 offen offset:8
	;; [unrolled: 1-line block ×3, first 2 shown]
	v_mov_b32_e32 v4, s33
	s_waitcnt vmcnt(56)
	global_store_dwordx4 v[69:70], v[89:92], off
	s_clause 0x3
	buffer_load_dword v67, v4, s[0:3], 0 offen
	buffer_load_dword v68, v4, s[0:3], 0 offen offset:4
	buffer_load_dword v69, v4, s[0:3], 0 offen offset:8
	;; [unrolled: 1-line block ×3, first 2 shown]
	v_mov_b32_e32 v4, s31
	v_mov_b32_e32 v53, s29
	;; [unrolled: 1-line block ×5, first 2 shown]
	s_waitcnt vmcnt(56)
	global_store_dwordx4 v[59:60], v[129:132], off
	s_clause 0x3
	buffer_load_dword v57, v4, s[0:3], 0 offen
	buffer_load_dword v58, v4, s[0:3], 0 offen offset:4
	buffer_load_dword v59, v4, s[0:3], 0 offen offset:8
	;; [unrolled: 1-line block ×3, first 2 shown]
	v_mov_b32_e32 v4, s30
	v_mov_b32_e32 v130, s21
	;; [unrolled: 1-line block ×3, first 2 shown]
	s_waitcnt vmcnt(56)
	global_store_dwordx4 v[45:46], v[133:136], off
	v_mov_b32_e32 v46, s25
	s_waitcnt vmcnt(52)
	global_store_dwordx4 v[37:38], v[137:140], off
	v_mov_b32_e32 v45, s26
	v_mov_b32_e32 v38, s19
	;; [unrolled: 1-line block ×3, first 2 shown]
	s_waitcnt vmcnt(48)
	global_store_dwordx4 v[25:26], v[0:3], off
	s_waitcnt vmcnt(44)
	global_store_dwordx4 v[9:10], v[73:76], off
	s_clause 0x3
	buffer_load_dword v0, v4, s[0:3], 0 offen
	buffer_load_dword v1, v4, s[0:3], 0 offen offset:4
	buffer_load_dword v2, v4, s[0:3], 0 offen offset:8
	;; [unrolled: 1-line block ×3, first 2 shown]
	s_waitcnt vmcnt(44)
	global_store_dwordx4 v[7:8], v[79:82], off
	s_clause 0x7
	buffer_load_dword v7, v53, s[0:3], 0 offen
	buffer_load_dword v8, v53, s[0:3], 0 offen offset:4
	buffer_load_dword v9, v53, s[0:3], 0 offen offset:8
	;; [unrolled: 1-line block ×3, first 2 shown]
	buffer_load_dword v71, v54, s[0:3], 0 offen
	buffer_load_dword v72, v54, s[0:3], 0 offen offset:4
	buffer_load_dword v73, v54, s[0:3], 0 offen offset:8
	;; [unrolled: 1-line block ×3, first 2 shown]
	s_waitcnt vmcnt(48)
	global_store_dwordx4 v[11:12], v[49:52], off
	s_clause 0x7
	buffer_load_dword v49, v61, s[0:3], 0 offen
	buffer_load_dword v50, v61, s[0:3], 0 offen offset:4
	buffer_load_dword v51, v61, s[0:3], 0 offen offset:8
	;; [unrolled: 1-line block ×3, first 2 shown]
	buffer_load_dword v79, v45, s[0:3], 0 offen
	buffer_load_dword v80, v45, s[0:3], 0 offen offset:4
	buffer_load_dword v81, v45, s[0:3], 0 offen offset:8
	;; [unrolled: 1-line block ×3, first 2 shown]
	v_mov_b32_e32 v37, s20
	v_mov_b32_e32 v26, s13
	s_waitcnt vmcnt(52)
	global_store_dwordx4 v[13:14], v[63:66], off
	s_clause 0x7
	buffer_load_dword v11, v46, s[0:3], 0 offen
	buffer_load_dword v12, v46, s[0:3], 0 offen offset:4
	buffer_load_dword v13, v46, s[0:3], 0 offen offset:8
	;; [unrolled: 1-line block ×3, first 2 shown]
	buffer_load_dword v61, v85, s[0:3], 0 offen
	buffer_load_dword v62, v85, s[0:3], 0 offen offset:4
	buffer_load_dword v63, v85, s[0:3], 0 offen offset:8
	;; [unrolled: 1-line block ×3, first 2 shown]
	v_mov_b32_e32 v136, s18
	v_mov_b32_e32 v140, s16
	;; [unrolled: 1-line block ×4, first 2 shown]
	s_waitcnt vmcnt(56)
	global_store_dwordx4 v[19:20], v[117:120], off
	s_clause 0x7
	buffer_load_dword v89, v86, s[0:3], 0 offen
	buffer_load_dword v90, v86, s[0:3], 0 offen offset:4
	buffer_load_dword v91, v86, s[0:3], 0 offen offset:8
	buffer_load_dword v92, v86, s[0:3], 0 offen offset:12
	buffer_load_dword v117, v129, s[0:3], 0 offen
	buffer_load_dword v118, v129, s[0:3], 0 offen offset:4
	buffer_load_dword v119, v129, s[0:3], 0 offen offset:8
	buffer_load_dword v120, v129, s[0:3], 0 offen offset:12
	s_waitcnt vmcnt(60)
	global_store_dwordx4 v[17:18], v[121:124], off
	s_clause 0x7
	buffer_load_dword v17, v130, s[0:3], 0 offen
	buffer_load_dword v18, v130, s[0:3], 0 offen offset:4
	buffer_load_dword v19, v130, s[0:3], 0 offen offset:8
	buffer_load_dword v20, v130, s[0:3], 0 offen offset:12
	buffer_load_dword v121, v37, s[0:3], 0 offen
	buffer_load_dword v122, v37, s[0:3], 0 offen offset:4
	buffer_load_dword v123, v37, s[0:3], 0 offen offset:8
	buffer_load_dword v124, v37, s[0:3], 0 offen offset:12
	;; [unrolled: 11-line block ×4, first 2 shown]
	global_store_dwordx4 v[23:24], v[145:148], off
	s_clause 0x7
	buffer_load_dword v21, v153, s[0:3], 0 offen
	buffer_load_dword v22, v153, s[0:3], 0 offen offset:4
	buffer_load_dword v23, v153, s[0:3], 0 offen offset:8
	buffer_load_dword v24, v153, s[0:3], 0 offen offset:12
	buffer_load_dword v141, v25, s[0:3], 0 offen
	buffer_load_dword v142, v25, s[0:3], 0 offen offset:4
	buffer_load_dword v143, v25, s[0:3], 0 offen offset:8
	;; [unrolled: 1-line block ×3, first 2 shown]
	s_waitcnt vmcnt(62)
	global_store_dwordx4 v[31:32], v[149:152], off
	s_clause 0x7
	buffer_load_dword v145, v26, s[0:3], 0 offen
	buffer_load_dword v146, v26, s[0:3], 0 offen offset:4
	buffer_load_dword v147, v26, s[0:3], 0 offen offset:8
	buffer_load_dword v148, v26, s[0:3], 0 offen offset:12
	buffer_load_dword v149, v154, s[0:3], 0 offen
	buffer_load_dword v150, v154, s[0:3], 0 offen offset:4
	buffer_load_dword v151, v154, s[0:3], 0 offen offset:8
	buffer_load_dword v152, v154, s[0:3], 0 offen offset:12
	global_store_dwordx4 v[27:28], v[67:70], off
	s_clause 0x7
	buffer_load_dword v25, v155, s[0:3], 0 offen
	buffer_load_dword v26, v155, s[0:3], 0 offen offset:4
	buffer_load_dword v27, v155, s[0:3], 0 offen offset:8
	buffer_load_dword v28, v155, s[0:3], 0 offen offset:12
	buffer_load_dword v65, v156, s[0:3], 0 offen
	buffer_load_dword v66, v156, s[0:3], 0 offen offset:4
	buffer_load_dword v67, v156, s[0:3], 0 offen offset:8
	buffer_load_dword v68, v156, s[0:3], 0 offen offset:12
	;; [unrolled: 10-line block ×3, first 2 shown]
	global_store_dwordx4 v[33:34], v[0:3], off
	s_waitcnt vmcnt(62)
	global_store_dwordx4 v[35:36], v[7:10], off
	global_store_dwordx4 v[39:40], v[71:74], off
	;; [unrolled: 1-line block ×6, first 2 shown]
	s_waitcnt vmcnt(60)
	global_store_dwordx4 v[77:78], v[89:92], off
	s_waitcnt vmcnt(56)
	global_store_dwordx4 v[83:84], v[117:120], off
	;; [unrolled: 2-line block ×16, first 2 shown]
.LBB55_883:
	s_endpgm
	.section	.rodata,"a",@progbits
	.p2align	6, 0x0
	.amdhsa_kernel _ZN9rocsolver6v33100L18trti2_kernel_smallILi56E19rocblas_complex_numIdEPS3_EEv13rocblas_fill_17rocblas_diagonal_T1_iil
		.amdhsa_group_segment_fixed_size 1792
		.amdhsa_private_segment_fixed_size 912
		.amdhsa_kernarg_size 32
		.amdhsa_user_sgpr_count 6
		.amdhsa_user_sgpr_private_segment_buffer 1
		.amdhsa_user_sgpr_dispatch_ptr 0
		.amdhsa_user_sgpr_queue_ptr 0
		.amdhsa_user_sgpr_kernarg_segment_ptr 1
		.amdhsa_user_sgpr_dispatch_id 0
		.amdhsa_user_sgpr_flat_scratch_init 0
		.amdhsa_user_sgpr_private_segment_size 0
		.amdhsa_wavefront_size32 1
		.amdhsa_uses_dynamic_stack 0
		.amdhsa_system_sgpr_private_segment_wavefront_offset 1
		.amdhsa_system_sgpr_workgroup_id_x 1
		.amdhsa_system_sgpr_workgroup_id_y 0
		.amdhsa_system_sgpr_workgroup_id_z 0
		.amdhsa_system_sgpr_workgroup_info 0
		.amdhsa_system_vgpr_workitem_id 0
		.amdhsa_next_free_vgpr 158
		.amdhsa_next_free_sgpr 89
		.amdhsa_reserve_vcc 1
		.amdhsa_reserve_flat_scratch 0
		.amdhsa_float_round_mode_32 0
		.amdhsa_float_round_mode_16_64 0
		.amdhsa_float_denorm_mode_32 3
		.amdhsa_float_denorm_mode_16_64 3
		.amdhsa_dx10_clamp 1
		.amdhsa_ieee_mode 1
		.amdhsa_fp16_overflow 0
		.amdhsa_workgroup_processor_mode 1
		.amdhsa_memory_ordered 1
		.amdhsa_forward_progress 1
		.amdhsa_shared_vgpr_count 0
		.amdhsa_exception_fp_ieee_invalid_op 0
		.amdhsa_exception_fp_denorm_src 0
		.amdhsa_exception_fp_ieee_div_zero 0
		.amdhsa_exception_fp_ieee_overflow 0
		.amdhsa_exception_fp_ieee_underflow 0
		.amdhsa_exception_fp_ieee_inexact 0
		.amdhsa_exception_int_div_zero 0
	.end_amdhsa_kernel
	.section	.text._ZN9rocsolver6v33100L18trti2_kernel_smallILi56E19rocblas_complex_numIdEPS3_EEv13rocblas_fill_17rocblas_diagonal_T1_iil,"axG",@progbits,_ZN9rocsolver6v33100L18trti2_kernel_smallILi56E19rocblas_complex_numIdEPS3_EEv13rocblas_fill_17rocblas_diagonal_T1_iil,comdat
.Lfunc_end55:
	.size	_ZN9rocsolver6v33100L18trti2_kernel_smallILi56E19rocblas_complex_numIdEPS3_EEv13rocblas_fill_17rocblas_diagonal_T1_iil, .Lfunc_end55-_ZN9rocsolver6v33100L18trti2_kernel_smallILi56E19rocblas_complex_numIdEPS3_EEv13rocblas_fill_17rocblas_diagonal_T1_iil
                                        ; -- End function
	.set _ZN9rocsolver6v33100L18trti2_kernel_smallILi56E19rocblas_complex_numIdEPS3_EEv13rocblas_fill_17rocblas_diagonal_T1_iil.num_vgpr, 158
	.set _ZN9rocsolver6v33100L18trti2_kernel_smallILi56E19rocblas_complex_numIdEPS3_EEv13rocblas_fill_17rocblas_diagonal_T1_iil.num_agpr, 0
	.set _ZN9rocsolver6v33100L18trti2_kernel_smallILi56E19rocblas_complex_numIdEPS3_EEv13rocblas_fill_17rocblas_diagonal_T1_iil.numbered_sgpr, 89
	.set _ZN9rocsolver6v33100L18trti2_kernel_smallILi56E19rocblas_complex_numIdEPS3_EEv13rocblas_fill_17rocblas_diagonal_T1_iil.num_named_barrier, 0
	.set _ZN9rocsolver6v33100L18trti2_kernel_smallILi56E19rocblas_complex_numIdEPS3_EEv13rocblas_fill_17rocblas_diagonal_T1_iil.private_seg_size, 912
	.set _ZN9rocsolver6v33100L18trti2_kernel_smallILi56E19rocblas_complex_numIdEPS3_EEv13rocblas_fill_17rocblas_diagonal_T1_iil.uses_vcc, 1
	.set _ZN9rocsolver6v33100L18trti2_kernel_smallILi56E19rocblas_complex_numIdEPS3_EEv13rocblas_fill_17rocblas_diagonal_T1_iil.uses_flat_scratch, 0
	.set _ZN9rocsolver6v33100L18trti2_kernel_smallILi56E19rocblas_complex_numIdEPS3_EEv13rocblas_fill_17rocblas_diagonal_T1_iil.has_dyn_sized_stack, 0
	.set _ZN9rocsolver6v33100L18trti2_kernel_smallILi56E19rocblas_complex_numIdEPS3_EEv13rocblas_fill_17rocblas_diagonal_T1_iil.has_recursion, 0
	.set _ZN9rocsolver6v33100L18trti2_kernel_smallILi56E19rocblas_complex_numIdEPS3_EEv13rocblas_fill_17rocblas_diagonal_T1_iil.has_indirect_call, 0
	.section	.AMDGPU.csdata,"",@progbits
; Kernel info:
; codeLenInByte = 56960
; TotalNumSgprs: 91
; NumVgprs: 158
; ScratchSize: 912
; MemoryBound: 0
; FloatMode: 240
; IeeeMode: 1
; LDSByteSize: 1792 bytes/workgroup (compile time only)
; SGPRBlocks: 0
; VGPRBlocks: 19
; NumSGPRsForWavesPerEU: 91
; NumVGPRsForWavesPerEU: 158
; Occupancy: 6
; WaveLimiterHint : 0
; COMPUTE_PGM_RSRC2:SCRATCH_EN: 1
; COMPUTE_PGM_RSRC2:USER_SGPR: 6
; COMPUTE_PGM_RSRC2:TRAP_HANDLER: 0
; COMPUTE_PGM_RSRC2:TGID_X_EN: 1
; COMPUTE_PGM_RSRC2:TGID_Y_EN: 0
; COMPUTE_PGM_RSRC2:TGID_Z_EN: 0
; COMPUTE_PGM_RSRC2:TIDIG_COMP_CNT: 0
	.section	.text._ZN9rocsolver6v33100L18trti2_kernel_smallILi57E19rocblas_complex_numIdEPS3_EEv13rocblas_fill_17rocblas_diagonal_T1_iil,"axG",@progbits,_ZN9rocsolver6v33100L18trti2_kernel_smallILi57E19rocblas_complex_numIdEPS3_EEv13rocblas_fill_17rocblas_diagonal_T1_iil,comdat
	.globl	_ZN9rocsolver6v33100L18trti2_kernel_smallILi57E19rocblas_complex_numIdEPS3_EEv13rocblas_fill_17rocblas_diagonal_T1_iil ; -- Begin function _ZN9rocsolver6v33100L18trti2_kernel_smallILi57E19rocblas_complex_numIdEPS3_EEv13rocblas_fill_17rocblas_diagonal_T1_iil
	.p2align	8
	.type	_ZN9rocsolver6v33100L18trti2_kernel_smallILi57E19rocblas_complex_numIdEPS3_EEv13rocblas_fill_17rocblas_diagonal_T1_iil,@function
_ZN9rocsolver6v33100L18trti2_kernel_smallILi57E19rocblas_complex_numIdEPS3_EEv13rocblas_fill_17rocblas_diagonal_T1_iil: ; @_ZN9rocsolver6v33100L18trti2_kernel_smallILi57E19rocblas_complex_numIdEPS3_EEv13rocblas_fill_17rocblas_diagonal_T1_iil
; %bb.0:
	s_add_u32 s0, s0, s7
	s_addc_u32 s1, s1, 0
	s_mov_b32 s7, exec_lo
	v_cmpx_gt_u32_e32 57, v0
	s_cbranch_execz .LBB56_899
; %bb.1:
	s_load_dwordx8 s[8:15], s[4:5], 0x0
	s_ashr_i32 s4, s6, 31
	v_lshlrev_b32_e32 v133, 4, v0
	s_movk_i32 s16, 0xf0
	s_movk_i32 s17, 0x100
	;; [unrolled: 1-line block ×17, first 2 shown]
	s_waitcnt lgkmcnt(0)
	s_mul_hi_u32 s5, s14, s6
	s_mul_i32 s4, s14, s4
	s_mul_i32 s7, s15, s6
	s_add_i32 s5, s5, s4
	s_mul_i32 s4, s14, s6
	s_add_i32 s5, s5, s7
	v_add3_u32 v9, s13, s13, v0
	s_lshl_b64 s[4:5], s[4:5], 4
	s_ashr_i32 s7, s12, 31
	s_mov_b32 s6, s12
	s_add_u32 s10, s10, s4
	s_addc_u32 s11, s11, s5
	s_lshl_b64 s[4:5], s[6:7], 4
	v_add_nc_u32_e32 v11, s13, v9
	v_ashrrev_i32_e32 v10, 31, v9
	s_add_u32 s4, s10, s4
	s_addc_u32 s5, s11, s5
	v_add_co_u32 v49, s10, s4, v133
	s_mov_b32 s6, s13
	s_ashr_i32 s7, s13, 31
	v_ashrrev_i32_e32 v12, 31, v11
	v_lshlrev_b64 v[9:10], 4, v[9:10]
	v_add_co_ci_u32_e64 v50, null, s5, 0, s10
	s_lshl_b64 s[6:7], s[6:7], 4
	v_add_nc_u32_e32 v17, s13, v11
	v_add_co_u32 v51, vcc_lo, v49, s6
	v_lshlrev_b64 v[11:12], 4, v[11:12]
	v_add_co_ci_u32_e64 v52, null, s7, v50, vcc_lo
	v_add_co_u32 v131, vcc_lo, s4, v9
	v_add_co_ci_u32_e64 v132, null, s5, v10, vcc_lo
	s_clause 0x1
	global_load_dwordx4 v[1:4], v133, s[4:5]
	global_load_dwordx4 v[5:8], v[51:52], off
	v_add_co_u32 v129, vcc_lo, s4, v11
	v_add_co_ci_u32_e64 v130, null, s5, v12, vcc_lo
	global_load_dwordx4 v[9:12], v[131:132], off
	v_ashrrev_i32_e32 v18, 31, v17
	v_add_nc_u32_e32 v21, s13, v17
	global_load_dwordx4 v[13:16], v[129:130], off
	s_cmpk_lg_i32 s9, 0x84
	s_movk_i32 s6, 0x70
	v_lshlrev_b64 v[18:19], 4, v[17:18]
	v_add_nc_u32_e32 v23, s13, v21
	v_ashrrev_i32_e32 v22, 31, v21
	s_movk_i32 s7, 0x80
	s_movk_i32 s10, 0x90
	;; [unrolled: 1-line block ×3, first 2 shown]
	v_add_co_u32 v125, vcc_lo, s4, v18
	v_add_co_ci_u32_e64 v126, null, s5, v19, vcc_lo
	v_add_nc_u32_e32 v25, s13, v23
	v_lshlrev_b64 v[21:22], 4, v[21:22]
	v_ashrrev_i32_e32 v24, 31, v23
	global_load_dwordx4 v[17:20], v[125:126], off
	s_movk_i32 s12, 0xb0
	v_add_nc_u32_e32 v27, s13, v25
	v_ashrrev_i32_e32 v26, 31, v25
	v_lshlrev_b64 v[23:24], 4, v[23:24]
	v_add_co_u32 v127, vcc_lo, s4, v21
	v_add_nc_u32_e32 v29, s13, v27
	v_ashrrev_i32_e32 v28, 31, v27
	v_add_co_ci_u32_e64 v128, null, s5, v22, vcc_lo
	v_lshlrev_b64 v[21:22], 4, v[25:26]
	v_add_nc_u32_e32 v33, s13, v29
	v_ashrrev_i32_e32 v30, 31, v29
	v_lshlrev_b64 v[31:32], 4, v[27:28]
	v_add_co_u32 v123, vcc_lo, s4, v23
	v_add_nc_u32_e32 v37, s13, v33
	v_ashrrev_i32_e32 v34, 31, v33
	v_lshlrev_b64 v[29:30], 4, v[29:30]
	v_add_co_ci_u32_e64 v124, null, s5, v24, vcc_lo
	v_add_nc_u32_e32 v41, s13, v37
	v_ashrrev_i32_e32 v38, 31, v37
	v_add_co_u32 v121, vcc_lo, s4, v21
	v_lshlrev_b64 v[39:40], 4, v[33:34]
	v_add_nc_u32_e32 v45, s13, v41
	v_ashrrev_i32_e32 v42, 31, v41
	v_add_co_ci_u32_e64 v122, null, s5, v22, vcc_lo
	v_add_co_u32 v119, vcc_lo, s4, v31
	v_add_nc_u32_e32 v53, s13, v45
	v_ashrrev_i32_e32 v46, 31, v45
	v_lshlrev_b64 v[37:38], 4, v[37:38]
	v_add_co_ci_u32_e64 v120, null, s5, v32, vcc_lo
	v_add_co_u32 v109, vcc_lo, s4, v29
	v_lshlrev_b64 v[47:48], 4, v[41:42]
	v_add_nc_u32_e32 v57, s13, v53
	v_add_co_ci_u32_e64 v110, null, s5, v30, vcc_lo
	v_add_co_u32 v107, vcc_lo, s4, v39
	v_lshlrev_b64 v[55:56], 4, v[45:46]
	v_ashrrev_i32_e32 v54, 31, v53
	v_add_co_ci_u32_e64 v108, null, s5, v40, vcc_lo
	v_add_co_u32 v103, vcc_lo, s4, v37
	v_ashrrev_i32_e32 v58, 31, v57
	v_add_co_ci_u32_e64 v104, null, s5, v38, vcc_lo
	v_add_co_u32 v99, vcc_lo, s4, v47
	v_add_co_ci_u32_e64 v100, null, s5, v48, vcc_lo
	v_lshlrev_b64 v[53:54], 4, v[53:54]
	v_add_co_u32 v101, vcc_lo, s4, v55
	v_add_co_ci_u32_e64 v102, null, s5, v56, vcc_lo
	v_lshlrev_b64 v[55:56], 4, v[57:58]
	s_clause 0x1
	global_load_dwordx4 v[21:24], v[127:128], off
	global_load_dwordx4 v[25:28], v[123:124], off
	v_add_co_u32 v95, vcc_lo, s4, v53
	s_clause 0x1
	global_load_dwordx4 v[29:32], v[121:122], off
	global_load_dwordx4 v[33:36], v[119:120], off
	v_add_co_ci_u32_e64 v96, null, s5, v54, vcc_lo
	v_add_co_u32 v91, vcc_lo, s4, v55
	s_clause 0x1
	global_load_dwordx4 v[37:40], v[109:110], off
	global_load_dwordx4 v[41:44], v[107:108], off
	v_add_co_ci_u32_e64 v92, null, s5, v56, vcc_lo
	s_clause 0x1
	global_load_dwordx4 v[45:48], v[103:104], off
	global_load_dwordx4 v[134:137], v[99:100], off
	v_add_nc_u32_e32 v59, s13, v57
	s_movk_i32 s14, 0xd0
	s_movk_i32 s15, 0xe0
	s_movk_i32 s65, 0x200
	s_movk_i32 s66, 0x210
	v_add_nc_u32_e32 v57, s13, v59
	v_ashrrev_i32_e32 v60, 31, v59
	s_movk_i32 s67, 0x220
	s_movk_i32 s68, 0x230
	;; [unrolled: 1-line block ×3, first 2 shown]
	v_ashrrev_i32_e32 v58, 31, v57
	v_lshlrev_b64 v[53:54], 4, v[59:60]
	v_add_nc_u32_e32 v59, s13, v57
	s_movk_i32 s70, 0x250
	s_movk_i32 s71, 0x260
	v_lshlrev_b64 v[55:56], 4, v[57:58]
	s_movk_i32 s72, 0x270
	v_add_co_u32 v87, vcc_lo, s4, v53
	v_add_co_ci_u32_e64 v88, null, s5, v54, vcc_lo
	v_add_co_u32 v83, vcc_lo, s4, v55
	v_add_co_ci_u32_e64 v84, null, s5, v56, vcc_lo
	v_ashrrev_i32_e32 v60, 31, v59
	v_add_nc_u32_e32 v57, s13, v59
	s_movk_i32 s73, 0x280
	s_movk_i32 s74, 0x290
	;; [unrolled: 1-line block ×3, first 2 shown]
	v_lshlrev_b64 v[53:54], 4, v[59:60]
	v_ashrrev_i32_e32 v58, 31, v57
	v_add_nc_u32_e32 v59, s13, v57
	s_movk_i32 s76, 0x2b0
	s_movk_i32 s77, 0x2c0
	;; [unrolled: 1-line block ×3, first 2 shown]
	v_lshlrev_b64 v[55:56], 4, v[57:58]
	v_ashrrev_i32_e32 v60, 31, v59
	v_add_nc_u32_e32 v57, s13, v59
	v_add_co_u32 v79, vcc_lo, s4, v53
	v_add_co_ci_u32_e64 v80, null, s5, v54, vcc_lo
	v_lshlrev_b64 v[53:54], 4, v[59:60]
	v_add_nc_u32_e32 v59, s13, v57
	v_ashrrev_i32_e32 v58, 31, v57
	v_add_co_u32 v71, vcc_lo, s4, v55
	v_add_co_ci_u32_e64 v72, null, s5, v56, vcc_lo
	v_ashrrev_i32_e32 v60, 31, v59
	v_add_nc_u32_e32 v63, s13, v59
	v_lshlrev_b64 v[55:56], 4, v[57:58]
	v_add_co_u32 v57, vcc_lo, s4, v53
	v_add_co_ci_u32_e64 v58, null, s5, v54, vcc_lo
	v_lshlrev_b64 v[53:54], 4, v[59:60]
	v_ashrrev_i32_e32 v64, 31, v63
	v_add_nc_u32_e32 v59, s13, v63
	v_add_co_u32 v61, vcc_lo, s4, v55
	v_add_co_ci_u32_e64 v62, null, s5, v56, vcc_lo
	v_lshlrev_b64 v[55:56], 4, v[63:64]
	v_add_nc_u32_e32 v63, s13, v59
	v_ashrrev_i32_e32 v60, 31, v59
	v_add_co_u32 v53, vcc_lo, s4, v53
	v_add_co_ci_u32_e64 v54, null, s5, v54, vcc_lo
	v_add_nc_u32_e32 v65, s13, v63
	v_ashrrev_i32_e32 v64, 31, v63
	v_lshlrev_b64 v[59:60], 4, v[59:60]
	v_add_co_u32 v55, vcc_lo, s4, v55
	v_add_nc_u32_e32 v67, s13, v65
	v_ashrrev_i32_e32 v66, 31, v65
	v_lshlrev_b64 v[63:64], 4, v[63:64]
	v_add_co_ci_u32_e64 v56, null, s5, v56, vcc_lo
	v_add_nc_u32_e32 v69, s13, v67
	v_ashrrev_i32_e32 v68, 31, v67
	v_lshlrev_b64 v[65:66], 4, v[65:66]
	v_add_co_u32 v59, vcc_lo, s4, v59
	v_ashrrev_i32_e32 v70, 31, v69
	v_lshlrev_b64 v[67:68], 4, v[67:68]
	v_add_co_ci_u32_e64 v60, null, s5, v60, vcc_lo
	v_add_co_u32 v63, vcc_lo, s4, v63
	v_add_nc_u32_e32 v73, s13, v69
	v_lshlrev_b64 v[69:70], 4, v[69:70]
	v_add_co_ci_u32_e64 v64, null, s5, v64, vcc_lo
	v_add_co_u32 v65, vcc_lo, s4, v65
	v_add_co_ci_u32_e64 v66, null, s5, v66, vcc_lo
	v_add_co_u32 v67, vcc_lo, s4, v67
	;; [unrolled: 2-line block ×3, first 2 shown]
	v_add_co_ci_u32_e64 v70, null, s5, v70, vcc_lo
	v_add_nc_u32_e32 v75, s13, v73
	v_ashrrev_i32_e32 v74, 31, v73
	s_movk_i32 s79, 0x2e0
	s_movk_i32 s80, 0x2f0
	;; [unrolled: 1-line block ×3, first 2 shown]
	v_ashrrev_i32_e32 v76, 31, v75
	v_lshlrev_b64 v[73:74], 4, v[73:74]
	v_add_nc_u32_e32 v77, s13, v75
	s_movk_i32 s82, 0x310
	s_movk_i32 s83, 0x320
	v_lshlrev_b64 v[75:76], 4, v[75:76]
	s_movk_i32 s84, 0x330
	v_add_co_u32 v73, vcc_lo, s4, v73
	v_add_co_ci_u32_e64 v74, null, s5, v74, vcc_lo
	v_add_co_u32 v75, vcc_lo, s4, v75
	v_add_co_ci_u32_e64 v76, null, s5, v76, vcc_lo
	v_add_nc_u32_e32 v81, s13, v77
	v_ashrrev_i32_e32 v78, 31, v77
	s_movk_i32 s85, 0x340
	s_movk_i32 s86, 0x350
	;; [unrolled: 1-line block ×3, first 2 shown]
	v_add_nc_u32_e32 v85, s13, v81
	v_ashrrev_i32_e32 v82, 31, v81
	v_lshlrev_b64 v[77:78], 4, v[77:78]
	s_movk_i32 s88, 0x370
	s_cselect_b32 s64, -1, 0
	v_add_nc_u32_e32 v89, s13, v85
	v_ashrrev_i32_e32 v86, 31, v85
	v_lshlrev_b64 v[81:82], 4, v[81:82]
	v_add_co_u32 v77, vcc_lo, s4, v77
	v_add_nc_u32_e32 v93, s13, v89
	v_ashrrev_i32_e32 v90, 31, v89
	v_lshlrev_b64 v[85:86], 4, v[85:86]
	v_add_co_ci_u32_e64 v78, null, s5, v78, vcc_lo
	v_add_nc_u32_e32 v97, s13, v93
	v_ashrrev_i32_e32 v94, 31, v93
	v_lshlrev_b64 v[89:90], 4, v[89:90]
	v_add_co_u32 v81, vcc_lo, s4, v81
	v_add_nc_u32_e32 v105, s13, v97
	v_ashrrev_i32_e32 v98, 31, v97
	v_lshlrev_b64 v[93:94], 4, v[93:94]
	v_add_co_ci_u32_e64 v82, null, s5, v82, vcc_lo
	v_add_nc_u32_e32 v111, s13, v105
	v_ashrrev_i32_e32 v106, 31, v105
	v_add_co_u32 v85, vcc_lo, s4, v85
	v_lshlrev_b64 v[97:98], 4, v[97:98]
	v_add_nc_u32_e32 v113, s13, v111
	v_ashrrev_i32_e32 v112, 31, v111
	v_add_co_ci_u32_e64 v86, null, s5, v86, vcc_lo
	v_add_co_u32 v89, vcc_lo, s4, v89
	v_add_nc_u32_e32 v115, s13, v113
	v_ashrrev_i32_e32 v114, 31, v113
	v_lshlrev_b64 v[105:106], 4, v[105:106]
	v_add_co_ci_u32_e64 v90, null, s5, v90, vcc_lo
	v_add_nc_u32_e32 v142, s13, v115
	v_ashrrev_i32_e32 v116, 31, v115
	v_add_co_u32 v93, vcc_lo, s4, v93
	v_lshlrev_b64 v[111:112], 4, v[111:112]
	v_ashrrev_i32_e32 v143, 31, v142
	v_add_co_ci_u32_e64 v94, null, s5, v94, vcc_lo
	v_add_co_u32 v97, vcc_lo, s4, v97
	v_lshlrev_b64 v[113:114], 4, v[113:114]
	v_add_co_ci_u32_e64 v98, null, s5, v98, vcc_lo
	v_add_co_u32 v105, vcc_lo, s4, v105
	v_lshlrev_b64 v[115:116], 4, v[115:116]
	;; [unrolled: 3-line block ×3, first 2 shown]
	s_waitcnt vmcnt(12)
	buffer_store_dword v4, off, s[0:3], 0 offset:12
	buffer_store_dword v3, off, s[0:3], 0 offset:8
	buffer_store_dword v2, off, s[0:3], 0 offset:4
	buffer_store_dword v1, off, s[0:3], 0
	global_load_dwordx4 v[1:4], v[101:102], off
	s_waitcnt vmcnt(12)
	buffer_store_dword v8, off, s[0:3], 0 offset:28
	buffer_store_dword v7, off, s[0:3], 0 offset:24
	buffer_store_dword v6, off, s[0:3], 0 offset:20
	buffer_store_dword v5, off, s[0:3], 0 offset:16
	global_load_dwordx4 v[5:8], v[95:96], off
	s_waitcnt vmcnt(12)
	buffer_store_dword v12, off, s[0:3], 0 offset:44
	buffer_store_dword v11, off, s[0:3], 0 offset:40
	buffer_store_dword v10, off, s[0:3], 0 offset:36
	buffer_store_dword v9, off, s[0:3], 0 offset:32
	;; [unrolled: 6-line block ×12, first 2 shown]
	global_load_dwordx4 v[134:137], v[63:64], off
	v_add_co_ci_u32_e64 v112, null, s5, v112, vcc_lo
	v_add_co_u32 v113, vcc_lo, s4, v113
	v_add_co_ci_u32_e64 v114, null, s5, v114, vcc_lo
	v_add_co_u32 v115, vcc_lo, s4, v115
	;; [unrolled: 2-line block ×3, first 2 shown]
	v_add_co_ci_u32_e64 v118, null, s5, v118, vcc_lo
	s_cmpk_eq_i32 s9, 0x84
	s_movk_i32 s89, 0x380
	s_waitcnt vmcnt(12)
	buffer_store_dword v4, off, s[0:3], 0 offset:220
	buffer_store_dword v3, off, s[0:3], 0 offset:216
	buffer_store_dword v2, off, s[0:3], 0 offset:212
	buffer_store_dword v1, off, s[0:3], 0 offset:208
	global_load_dwordx4 v[1:4], v[65:66], off
	s_waitcnt vmcnt(12)
	buffer_store_dword v8, off, s[0:3], 0 offset:236
	buffer_store_dword v7, off, s[0:3], 0 offset:232
	buffer_store_dword v6, off, s[0:3], 0 offset:228
	buffer_store_dword v5, off, s[0:3], 0 offset:224
	global_load_dwordx4 v[5:8], v[67:68], off
	;; [unrolled: 6-line block ×7, first 2 shown]
	s_waitcnt vmcnt(12)
	buffer_store_dword v32, off, s[0:3], 0 offset:332
	buffer_store_dword v31, off, s[0:3], 0 offset:328
	;; [unrolled: 1-line block ×4, first 2 shown]
	s_waitcnt vmcnt(11)
	buffer_store_dword v36, off, s[0:3], 0 offset:348
	buffer_store_dword v35, off, s[0:3], 0 offset:344
	;; [unrolled: 1-line block ×4, first 2 shown]
	s_clause 0x1
	global_load_dwordx4 v[29:32], v[85:86], off
	global_load_dwordx4 v[33:36], v[89:90], off
	s_waitcnt vmcnt(12)
	buffer_store_dword v40, off, s[0:3], 0 offset:364
	buffer_store_dword v39, off, s[0:3], 0 offset:360
	;; [unrolled: 1-line block ×4, first 2 shown]
	s_waitcnt vmcnt(11)
	buffer_store_dword v44, off, s[0:3], 0 offset:380
	buffer_store_dword v43, off, s[0:3], 0 offset:376
	;; [unrolled: 1-line block ×4, first 2 shown]
	s_clause 0x1
	global_load_dwordx4 v[37:40], v[93:94], off
	global_load_dwordx4 v[41:44], v[97:98], off
	s_waitcnt vmcnt(12)
	buffer_store_dword v48, off, s[0:3], 0 offset:396
	buffer_store_dword v47, off, s[0:3], 0 offset:392
	buffer_store_dword v46, off, s[0:3], 0 offset:388
	buffer_store_dword v45, off, s[0:3], 0 offset:384
	global_load_dwordx4 v[45:48], v[105:106], off
	s_waitcnt vmcnt(12)
	buffer_store_dword v137, off, s[0:3], 0 offset:412
	buffer_store_dword v136, off, s[0:3], 0 offset:408
	buffer_store_dword v135, off, s[0:3], 0 offset:404
	buffer_store_dword v134, off, s[0:3], 0 offset:400
	;; [unrolled: 6-line block ×5, first 2 shown]
	v_add_nc_u32_e32 v7, s13, v142
	global_load_dwordx4 v[142:145], v[117:118], off
	s_waitcnt vmcnt(12)
	buffer_store_dword v16, off, s[0:3], 0 offset:476
	buffer_store_dword v15, off, s[0:3], 0 offset:472
	;; [unrolled: 1-line block ×4, first 2 shown]
	s_waitcnt vmcnt(11)
	buffer_store_dword v20, off, s[0:3], 0 offset:492
	buffer_store_dword v19, off, s[0:3], 0 offset:488
	;; [unrolled: 1-line block ×4, first 2 shown]
	v_ashrrev_i32_e32 v8, 31, v7
	v_lshlrev_b64 v[5:6], 4, v[7:8]
	v_add_nc_u32_e32 v7, s13, v7
	v_add_co_u32 v5, vcc_lo, s4, v5
	v_add_co_ci_u32_e64 v6, null, s5, v6, vcc_lo
	v_add_nc_u32_e32 v9, s13, v7
	v_ashrrev_i32_e32 v8, 31, v7
	global_load_dwordx4 v[146:149], v[5:6], off
	s_waitcnt vmcnt(11)
	buffer_store_dword v24, off, s[0:3], 0 offset:508
	buffer_store_dword v23, off, s[0:3], 0 offset:504
	;; [unrolled: 1-line block ×4, first 2 shown]
	v_add_nc_u32_e32 v11, s13, v9
	v_ashrrev_i32_e32 v10, 31, v9
	v_lshlrev_b64 v[7:8], 4, v[7:8]
	s_waitcnt vmcnt(10)
	buffer_store_dword v28, off, s[0:3], 0 offset:524
	buffer_store_dword v27, off, s[0:3], 0 offset:520
	buffer_store_dword v26, off, s[0:3], 0 offset:516
	buffer_store_dword v25, off, s[0:3], 0 offset:512
	s_waitcnt vmcnt(9)
	buffer_store_dword v32, off, s[0:3], 0 offset:540
	buffer_store_dword v31, off, s[0:3], 0 offset:536
	buffer_store_dword v30, off, s[0:3], 0 offset:532
	buffer_store_dword v29, off, s[0:3], 0 offset:528
	s_waitcnt vmcnt(8)
	buffer_store_dword v36, off, s[0:3], 0 offset:556
	buffer_store_dword v35, off, s[0:3], 0 offset:552
	buffer_store_dword v34, off, s[0:3], 0 offset:548
	buffer_store_dword v33, off, s[0:3], 0 offset:544
	s_waitcnt vmcnt(7)
	buffer_store_dword v40, off, s[0:3], 0 offset:572
	buffer_store_dword v39, off, s[0:3], 0 offset:568
	buffer_store_dword v38, off, s[0:3], 0 offset:564
	buffer_store_dword v37, off, s[0:3], 0 offset:560
	s_waitcnt vmcnt(6)
	buffer_store_dword v44, off, s[0:3], 0 offset:588
	buffer_store_dword v43, off, s[0:3], 0 offset:584
	buffer_store_dword v42, off, s[0:3], 0 offset:580
	buffer_store_dword v41, off, s[0:3], 0 offset:576
	s_waitcnt vmcnt(5)
	buffer_store_dword v48, off, s[0:3], 0 offset:604
	buffer_store_dword v47, off, s[0:3], 0 offset:600
	buffer_store_dword v46, off, s[0:3], 0 offset:596
	buffer_store_dword v45, off, s[0:3], 0 offset:592
	s_waitcnt vmcnt(4)
	buffer_store_dword v137, off, s[0:3], 0 offset:620
	buffer_store_dword v136, off, s[0:3], 0 offset:616
	buffer_store_dword v135, off, s[0:3], 0 offset:612
	buffer_store_dword v134, off, s[0:3], 0 offset:608
	s_waitcnt vmcnt(3)
	buffer_store_dword v4, off, s[0:3], 0 offset:636
	buffer_store_dword v3, off, s[0:3], 0 offset:632
	buffer_store_dword v2, off, s[0:3], 0 offset:628
	buffer_store_dword v1, off, s[0:3], 0 offset:624
	s_waitcnt vmcnt(2)
	buffer_store_dword v141, off, s[0:3], 0 offset:652
	buffer_store_dword v140, off, s[0:3], 0 offset:648
	buffer_store_dword v139, off, s[0:3], 0 offset:644
	buffer_store_dword v138, off, s[0:3], 0 offset:640
	v_add_nc_u32_e32 v13, s13, v11
	v_ashrrev_i32_e32 v12, 31, v11
	v_lshlrev_b64 v[9:10], 4, v[9:10]
	v_add_co_u32 v7, vcc_lo, s4, v7
	v_add_nc_u32_e32 v15, s13, v13
	v_ashrrev_i32_e32 v14, 31, v13
	v_lshlrev_b64 v[11:12], 4, v[11:12]
	v_add_co_ci_u32_e64 v8, null, s5, v8, vcc_lo
	v_add_nc_u32_e32 v17, s13, v15
	v_ashrrev_i32_e32 v16, 31, v15
	v_lshlrev_b64 v[13:14], 4, v[13:14]
	v_add_co_u32 v9, vcc_lo, s4, v9
	v_ashrrev_i32_e32 v18, 31, v17
	v_lshlrev_b64 v[15:16], 4, v[15:16]
	v_add_co_ci_u32_e64 v10, null, s5, v10, vcc_lo
	v_add_co_u32 v11, vcc_lo, s4, v11
	v_lshlrev_b64 v[18:19], 4, v[17:18]
	v_add_co_ci_u32_e64 v12, null, s5, v12, vcc_lo
	v_add_co_u32 v13, vcc_lo, s4, v13
	v_add_co_ci_u32_e64 v14, null, s5, v14, vcc_lo
	v_add_co_u32 v15, vcc_lo, s4, v15
	v_add_nc_u32_e32 v20, s13, v17
	v_add_co_ci_u32_e64 v16, null, s5, v16, vcc_lo
	v_add_co_u32 v17, vcc_lo, s4, v18
	v_add_co_ci_u32_e64 v18, null, s5, v19, vcc_lo
	s_clause 0x3
	global_load_dwordx4 v[1:4], v[7:8], off
	global_load_dwordx4 v[23:26], v[9:10], off
	;; [unrolled: 1-line block ×4, first 2 shown]
	s_waitcnt vmcnt(5)
	buffer_store_dword v145, off, s[0:3], 0 offset:668
	s_clause 0x1
	global_load_dwordx4 v[35:38], v[15:16], off
	global_load_dwordx4 v[39:42], v[17:18], off
	v_add_nc_u32_e32 v47, s13, v20
	v_ashrrev_i32_e32 v21, 31, v20
	buffer_store_dword v144, off, s[0:3], 0 offset:664
	buffer_store_dword v143, off, s[0:3], 0 offset:660
	;; [unrolled: 1-line block ×3, first 2 shown]
	v_ashrrev_i32_e32 v48, 31, v47
	v_lshlrev_b64 v[19:20], 4, v[20:21]
	v_lshlrev_b64 v[21:22], 4, v[47:48]
	v_add_co_u32 v19, vcc_lo, s4, v19
	v_add_co_ci_u32_e64 v20, null, s5, v20, vcc_lo
	v_add_co_u32 v21, vcc_lo, s4, v21
	v_add_co_ci_u32_e64 v22, null, s5, v22, vcc_lo
	global_load_dwordx4 v[43:46], v[19:20], off
	s_waitcnt vmcnt(7)
	buffer_store_dword v149, off, s[0:3], 0 offset:684
	buffer_store_dword v148, off, s[0:3], 0 offset:680
	;; [unrolled: 1-line block ×4, first 2 shown]
	global_load_dwordx4 v[134:137], v[21:22], off
	s_waitcnt vmcnt(7)
	buffer_store_dword v4, off, s[0:3], 0 offset:700
	buffer_store_dword v3, off, s[0:3], 0 offset:696
	buffer_store_dword v2, off, s[0:3], 0 offset:692
	buffer_store_dword v1, off, s[0:3], 0 offset:688
	s_waitcnt vmcnt(6)
	buffer_store_dword v26, off, s[0:3], 0 offset:716
	buffer_store_dword v25, off, s[0:3], 0 offset:712
	buffer_store_dword v24, off, s[0:3], 0 offset:708
	buffer_store_dword v23, off, s[0:3], 0 offset:704
	;; [unrolled: 5-line block ×5, first 2 shown]
	v_add_nc_u32_e32 v1, s13, v47
	s_waitcnt vmcnt(2)
	buffer_store_dword v42, off, s[0:3], 0 offset:780
	buffer_store_dword v41, off, s[0:3], 0 offset:776
	;; [unrolled: 1-line block ×4, first 2 shown]
	s_waitcnt vmcnt(1)
	buffer_store_dword v46, off, s[0:3], 0 offset:796
	buffer_store_dword v45, off, s[0:3], 0 offset:792
	v_add_nc_u32_e32 v3, s13, v1
	v_ashrrev_i32_e32 v2, 31, v1
	buffer_store_dword v44, off, s[0:3], 0 offset:788
	buffer_store_dword v43, off, s[0:3], 0 offset:784
	v_add_nc_u32_e32 v25, s13, v3
	v_ashrrev_i32_e32 v4, 31, v3
	v_lshlrev_b64 v[1:2], 4, v[1:2]
	s_waitcnt vmcnt(0)
	buffer_store_dword v137, off, s[0:3], 0 offset:812
	v_add_nc_u32_e32 v27, s13, v25
	v_ashrrev_i32_e32 v26, 31, v25
	v_lshlrev_b64 v[3:4], 4, v[3:4]
	v_add_co_u32 v23, vcc_lo, s4, v1
	v_ashrrev_i32_e32 v28, 31, v27
	v_add_nc_u32_e32 v33, s13, v27
	v_lshlrev_b64 v[29:30], 4, v[25:26]
	v_add_co_ci_u32_e64 v24, null, s5, v2, vcc_lo
	v_lshlrev_b64 v[31:32], 4, v[27:28]
	v_add_nc_u32_e32 v47, s13, v33
	v_add_co_u32 v25, vcc_lo, s4, v3
	v_ashrrev_i32_e32 v34, 31, v33
	v_add_co_ci_u32_e64 v26, null, s5, v4, vcc_lo
	v_add_co_u32 v27, vcc_lo, s4, v29
	v_ashrrev_i32_e32 v48, 31, v47
	v_add_co_ci_u32_e64 v28, null, s5, v30, vcc_lo
	v_add_co_u32 v29, vcc_lo, s4, v31
	v_add_co_ci_u32_e64 v30, null, s5, v32, vcc_lo
	v_lshlrev_b64 v[31:32], 4, v[33:34]
	v_lshlrev_b64 v[47:48], 4, v[47:48]
	s_clause 0x3
	global_load_dwordx4 v[1:4], v[23:24], off
	global_load_dwordx4 v[35:38], v[25:26], off
	;; [unrolled: 1-line block ×4, first 2 shown]
	s_movk_i32 s13, 0xc0
	v_add_co_u32 v33, vcc_lo, s4, v31
	v_add_co_ci_u32_e64 v34, null, s5, v32, vcc_lo
	v_add_co_u32 v31, vcc_lo, s4, v47
	v_add_co_ci_u32_e64 v32, null, s5, v48, vcc_lo
	global_load_dwordx4 v[137:140], v[33:34], off
	buffer_store_dword v136, off, s[0:3], 0 offset:808
	buffer_store_dword v135, off, s[0:3], 0 offset:804
	;; [unrolled: 1-line block ×3, first 2 shown]
	s_movk_i32 s4, 0x50
	global_load_dwordx4 v[141:144], v[31:32], off
	s_movk_i32 s5, 0x60
	s_waitcnt vmcnt(5)
	buffer_store_dword v4, off, s[0:3], 0 offset:828
	buffer_store_dword v3, off, s[0:3], 0 offset:824
	buffer_store_dword v2, off, s[0:3], 0 offset:820
	buffer_store_dword v1, off, s[0:3], 0 offset:816
	s_waitcnt vmcnt(4)
	buffer_store_dword v38, off, s[0:3], 0 offset:844
	buffer_store_dword v37, off, s[0:3], 0 offset:840
	buffer_store_dword v36, off, s[0:3], 0 offset:836
	buffer_store_dword v35, off, s[0:3], 0 offset:832
	;; [unrolled: 5-line block ×6, first 2 shown]
	s_cbranch_scc1 .LBB56_7
; %bb.2:
	v_lshl_add_u32 v41, v0, 4, 0
                                        ; implicit-def: $vgpr37_vgpr38
                                        ; implicit-def: $vgpr3_vgpr4
	s_clause 0x3
	buffer_load_dword v35, v41, s[0:3], 0 offen
	buffer_load_dword v36, v41, s[0:3], 0 offen offset:4
	buffer_load_dword v39, v41, s[0:3], 0 offen offset:8
	;; [unrolled: 1-line block ×3, first 2 shown]
	s_waitcnt vmcnt(0)
	v_cmp_ngt_f64_e64 s9, |v[35:36]|, |v[39:40]|
	s_and_saveexec_b32 s34, s9
	s_xor_b32 s9, exec_lo, s34
	s_cbranch_execz .LBB56_4
; %bb.3:
	v_div_scale_f64 v[1:2], null, v[39:40], v[39:40], v[35:36]
	v_div_scale_f64 v[42:43], vcc_lo, v[35:36], v[39:40], v[35:36]
	v_rcp_f64_e32 v[3:4], v[1:2]
	v_fma_f64 v[37:38], -v[1:2], v[3:4], 1.0
	v_fma_f64 v[3:4], v[3:4], v[37:38], v[3:4]
	v_fma_f64 v[37:38], -v[1:2], v[3:4], 1.0
	v_fma_f64 v[3:4], v[3:4], v[37:38], v[3:4]
	v_mul_f64 v[37:38], v[42:43], v[3:4]
	v_fma_f64 v[1:2], -v[1:2], v[37:38], v[42:43]
	v_div_fmas_f64 v[1:2], v[1:2], v[3:4], v[37:38]
	v_div_fixup_f64 v[1:2], v[1:2], v[39:40], v[35:36]
	v_fma_f64 v[3:4], v[35:36], v[1:2], v[39:40]
	v_div_scale_f64 v[35:36], null, v[3:4], v[3:4], 1.0
	v_div_scale_f64 v[42:43], vcc_lo, 1.0, v[3:4], 1.0
	v_rcp_f64_e32 v[37:38], v[35:36]
	v_fma_f64 v[39:40], -v[35:36], v[37:38], 1.0
	v_fma_f64 v[37:38], v[37:38], v[39:40], v[37:38]
	v_fma_f64 v[39:40], -v[35:36], v[37:38], 1.0
	v_fma_f64 v[37:38], v[37:38], v[39:40], v[37:38]
	v_mul_f64 v[39:40], v[42:43], v[37:38]
	v_fma_f64 v[35:36], -v[35:36], v[39:40], v[42:43]
	v_div_fmas_f64 v[35:36], v[35:36], v[37:38], v[39:40]
                                        ; implicit-def: $vgpr39_vgpr40
	v_div_fixup_f64 v[3:4], v[35:36], v[3:4], 1.0
                                        ; implicit-def: $vgpr35_vgpr36
	v_mul_f64 v[37:38], v[1:2], v[3:4]
	v_xor_b32_e32 v4, 0x80000000, v4
	v_xor_b32_e32 v2, 0x80000000, v38
	v_mov_b32_e32 v1, v37
.LBB56_4:
	s_andn2_saveexec_b32 s9, s9
	s_cbranch_execz .LBB56_6
; %bb.5:
	v_div_scale_f64 v[1:2], null, v[35:36], v[35:36], v[39:40]
	v_div_scale_f64 v[42:43], vcc_lo, v[39:40], v[35:36], v[39:40]
	v_rcp_f64_e32 v[3:4], v[1:2]
	v_fma_f64 v[37:38], -v[1:2], v[3:4], 1.0
	v_fma_f64 v[3:4], v[3:4], v[37:38], v[3:4]
	v_fma_f64 v[37:38], -v[1:2], v[3:4], 1.0
	v_fma_f64 v[3:4], v[3:4], v[37:38], v[3:4]
	v_mul_f64 v[37:38], v[42:43], v[3:4]
	v_fma_f64 v[1:2], -v[1:2], v[37:38], v[42:43]
	v_div_fmas_f64 v[1:2], v[1:2], v[3:4], v[37:38]
	v_div_fixup_f64 v[1:2], v[1:2], v[35:36], v[39:40]
	v_fma_f64 v[3:4], v[39:40], v[1:2], v[35:36]
	v_div_scale_f64 v[35:36], null, v[3:4], v[3:4], 1.0
	v_rcp_f64_e32 v[37:38], v[35:36]
	v_fma_f64 v[39:40], -v[35:36], v[37:38], 1.0
	v_fma_f64 v[37:38], v[37:38], v[39:40], v[37:38]
	v_fma_f64 v[39:40], -v[35:36], v[37:38], 1.0
	v_fma_f64 v[37:38], v[37:38], v[39:40], v[37:38]
	v_div_scale_f64 v[39:40], vcc_lo, 1.0, v[3:4], 1.0
	v_mul_f64 v[42:43], v[39:40], v[37:38]
	v_fma_f64 v[35:36], -v[35:36], v[42:43], v[39:40]
	v_div_fmas_f64 v[35:36], v[35:36], v[37:38], v[42:43]
	v_div_fixup_f64 v[37:38], v[35:36], v[3:4], 1.0
	v_mul_f64 v[3:4], v[1:2], -v[37:38]
	v_xor_b32_e32 v2, 0x80000000, v38
	v_mov_b32_e32 v1, v37
.LBB56_6:
	s_or_b32 exec_lo, exec_lo, s9
	buffer_store_dword v4, v41, s[0:3], 0 offen offset:12
	v_xor_b32_e32 v4, 0x80000000, v4
	buffer_store_dword v38, v41, s[0:3], 0 offen offset:4
	buffer_store_dword v37, v41, s[0:3], 0 offen
	buffer_store_dword v3, v41, s[0:3], 0 offen offset:8
	s_branch .LBB56_8
.LBB56_7:
	v_mov_b32_e32 v1, 0
	v_mov_b32_e32 v3, 0
	;; [unrolled: 1-line block ×4, first 2 shown]
.LBB56_8:
	v_add_nc_u32_e32 v36, 0x390, v133
	v_mov_b32_e32 v35, v133
	s_mov_b32 s63, 16
	s_mov_b32 s62, 32
	;; [unrolled: 1-line block ×55, first 2 shown]
	s_cmpk_eq_i32 s8, 0x79
	ds_write_b128 v133, v[1:4]
	s_cbranch_scc1 .LBB56_452
; %bb.9:
	v_mov_b32_e32 v4, s7
	v_cmp_eq_u32_e64 s4, 56, v0
	s_clause 0x3
	buffer_load_dword v1, v4, s[0:3], 0 offen
	buffer_load_dword v2, v4, s[0:3], 0 offen offset:4
	buffer_load_dword v3, v4, s[0:3], 0 offen offset:8
	;; [unrolled: 1-line block ×3, first 2 shown]
	s_waitcnt vmcnt(0)
	ds_write_b128 v36, v[1:4]
	s_waitcnt lgkmcnt(0)
	s_waitcnt_vscnt null, 0x0
	s_barrier
	buffer_gl0_inv
	s_and_saveexec_b32 s5, s4
	s_cbranch_execz .LBB56_13
; %bb.10:
	ds_read_b128 v[1:4], v36
	s_andn2_b32 vcc_lo, exec_lo, s64
	s_cbranch_vccnz .LBB56_12
; %bb.11:
	s_clause 0x3
	buffer_load_dword v37, v35, s[0:3], 0 offen offset:8
	buffer_load_dword v38, v35, s[0:3], 0 offen offset:12
	buffer_load_dword v39, v35, s[0:3], 0 offen
	buffer_load_dword v40, v35, s[0:3], 0 offen offset:4
	s_waitcnt vmcnt(2) lgkmcnt(0)
	v_mul_f64 v[41:42], v[3:4], v[37:38]
	v_mul_f64 v[37:38], v[1:2], v[37:38]
	s_waitcnt vmcnt(0)
	v_fma_f64 v[1:2], v[1:2], v[39:40], -v[41:42]
	v_fma_f64 v[3:4], v[3:4], v[39:40], v[37:38]
.LBB56_12:
	v_mov_b32_e32 v37, 0
	ds_read_b128 v[37:40], v37 offset:880
	s_waitcnt lgkmcnt(0)
	v_mul_f64 v[41:42], v[3:4], v[39:40]
	v_mul_f64 v[39:40], v[1:2], v[39:40]
	v_fma_f64 v[1:2], v[1:2], v[37:38], -v[41:42]
	v_fma_f64 v[3:4], v[3:4], v[37:38], v[39:40]
	buffer_store_dword v2, off, s[0:3], 0 offset:884
	buffer_store_dword v1, off, s[0:3], 0 offset:880
	;; [unrolled: 1-line block ×4, first 2 shown]
.LBB56_13:
	s_or_b32 exec_lo, exec_lo, s5
	v_mov_b32_e32 v4, s9
	v_cmp_lt_u32_e64 s5, 54, v0
	s_clause 0x3
	buffer_load_dword v1, v4, s[0:3], 0 offen
	buffer_load_dword v2, v4, s[0:3], 0 offen offset:4
	buffer_load_dword v3, v4, s[0:3], 0 offen offset:8
	buffer_load_dword v4, v4, s[0:3], 0 offen offset:12
	s_waitcnt vmcnt(0)
	ds_write_b128 v36, v[1:4]
	s_waitcnt lgkmcnt(0)
	s_waitcnt_vscnt null, 0x0
	s_barrier
	buffer_gl0_inv
	s_and_saveexec_b32 s8, s5
	s_cbranch_execz .LBB56_19
; %bb.14:
	ds_read_b128 v[1:4], v36
	s_andn2_b32 vcc_lo, exec_lo, s64
	s_cbranch_vccnz .LBB56_16
; %bb.15:
	s_clause 0x3
	buffer_load_dword v37, v35, s[0:3], 0 offen offset:8
	buffer_load_dword v38, v35, s[0:3], 0 offen offset:12
	buffer_load_dword v39, v35, s[0:3], 0 offen
	buffer_load_dword v40, v35, s[0:3], 0 offen offset:4
	s_waitcnt vmcnt(2) lgkmcnt(0)
	v_mul_f64 v[41:42], v[3:4], v[37:38]
	v_mul_f64 v[37:38], v[1:2], v[37:38]
	s_waitcnt vmcnt(0)
	v_fma_f64 v[1:2], v[1:2], v[39:40], -v[41:42]
	v_fma_f64 v[3:4], v[3:4], v[39:40], v[37:38]
.LBB56_16:
	s_and_saveexec_b32 s65, s4
	s_cbranch_execz .LBB56_18
; %bb.17:
	s_clause 0x3
	buffer_load_dword v41, off, s[0:3], 0 offset:888
	buffer_load_dword v42, off, s[0:3], 0 offset:892
	;; [unrolled: 1-line block ×4, first 2 shown]
	v_mov_b32_e32 v37, 0
	ds_read_b128 v[37:40], v37 offset:1792
	s_waitcnt vmcnt(2) lgkmcnt(0)
	v_mul_f64 v[45:46], v[37:38], v[41:42]
	v_mul_f64 v[41:42], v[39:40], v[41:42]
	s_waitcnt vmcnt(0)
	v_fma_f64 v[39:40], v[39:40], v[43:44], v[45:46]
	v_fma_f64 v[37:38], v[37:38], v[43:44], -v[41:42]
	v_add_f64 v[3:4], v[3:4], v[39:40]
	v_add_f64 v[1:2], v[1:2], v[37:38]
.LBB56_18:
	s_or_b32 exec_lo, exec_lo, s65
	v_mov_b32_e32 v37, 0
	ds_read_b128 v[37:40], v37 offset:864
	s_waitcnt lgkmcnt(0)
	v_mul_f64 v[41:42], v[3:4], v[39:40]
	v_mul_f64 v[39:40], v[1:2], v[39:40]
	v_fma_f64 v[1:2], v[1:2], v[37:38], -v[41:42]
	v_fma_f64 v[3:4], v[3:4], v[37:38], v[39:40]
	buffer_store_dword v2, off, s[0:3], 0 offset:868
	buffer_store_dword v1, off, s[0:3], 0 offset:864
	;; [unrolled: 1-line block ×4, first 2 shown]
.LBB56_19:
	s_or_b32 exec_lo, exec_lo, s8
	v_mov_b32_e32 v4, s10
	v_cmp_lt_u32_e64 s4, 53, v0
	s_clause 0x3
	buffer_load_dword v1, v4, s[0:3], 0 offen
	buffer_load_dword v2, v4, s[0:3], 0 offen offset:4
	buffer_load_dword v3, v4, s[0:3], 0 offen offset:8
	;; [unrolled: 1-line block ×3, first 2 shown]
	s_waitcnt vmcnt(0)
	ds_write_b128 v36, v[1:4]
	s_waitcnt lgkmcnt(0)
	s_waitcnt_vscnt null, 0x0
	s_barrier
	buffer_gl0_inv
	s_and_saveexec_b32 s8, s4
	s_cbranch_execz .LBB56_27
; %bb.20:
	ds_read_b128 v[1:4], v36
	s_andn2_b32 vcc_lo, exec_lo, s64
	s_cbranch_vccnz .LBB56_22
; %bb.21:
	s_clause 0x3
	buffer_load_dword v37, v35, s[0:3], 0 offen offset:8
	buffer_load_dword v38, v35, s[0:3], 0 offen offset:12
	buffer_load_dword v39, v35, s[0:3], 0 offen
	buffer_load_dword v40, v35, s[0:3], 0 offen offset:4
	s_waitcnt vmcnt(2) lgkmcnt(0)
	v_mul_f64 v[41:42], v[3:4], v[37:38]
	v_mul_f64 v[37:38], v[1:2], v[37:38]
	s_waitcnt vmcnt(0)
	v_fma_f64 v[1:2], v[1:2], v[39:40], -v[41:42]
	v_fma_f64 v[3:4], v[3:4], v[39:40], v[37:38]
.LBB56_22:
	s_and_saveexec_b32 s65, s5
	s_cbranch_execz .LBB56_26
; %bb.23:
	v_subrev_nc_u32_e32 v37, 54, v0
	s_movk_i32 s66, 0x6f0
	s_mov_b32 s5, 0
	s_mov_b32 s67, s9
	.p2align	6
.LBB56_24:                              ; =>This Inner Loop Header: Depth=1
	v_mov_b32_e32 v38, s67
	v_add_nc_u32_e32 v37, -1, v37
	s_add_i32 s67, s67, 16
	s_clause 0x3
	buffer_load_dword v42, v38, s[0:3], 0 offen offset:8
	buffer_load_dword v43, v38, s[0:3], 0 offen offset:12
	buffer_load_dword v44, v38, s[0:3], 0 offen
	buffer_load_dword v45, v38, s[0:3], 0 offen offset:4
	v_mov_b32_e32 v38, s66
	v_cmp_eq_u32_e32 vcc_lo, 0, v37
	s_add_i32 s66, s66, 16
	ds_read_b128 v[38:41], v38
	s_or_b32 s5, vcc_lo, s5
	s_waitcnt vmcnt(2) lgkmcnt(0)
	v_mul_f64 v[46:47], v[40:41], v[42:43]
	v_mul_f64 v[42:43], v[38:39], v[42:43]
	s_waitcnt vmcnt(0)
	v_fma_f64 v[38:39], v[38:39], v[44:45], -v[46:47]
	v_fma_f64 v[40:41], v[40:41], v[44:45], v[42:43]
	v_add_f64 v[1:2], v[1:2], v[38:39]
	v_add_f64 v[3:4], v[3:4], v[40:41]
	s_andn2_b32 exec_lo, exec_lo, s5
	s_cbranch_execnz .LBB56_24
; %bb.25:
	s_or_b32 exec_lo, exec_lo, s5
.LBB56_26:
	s_or_b32 exec_lo, exec_lo, s65
	v_mov_b32_e32 v37, 0
	ds_read_b128 v[37:40], v37 offset:848
	s_waitcnt lgkmcnt(0)
	v_mul_f64 v[41:42], v[3:4], v[39:40]
	v_mul_f64 v[39:40], v[1:2], v[39:40]
	v_fma_f64 v[1:2], v[1:2], v[37:38], -v[41:42]
	v_fma_f64 v[3:4], v[3:4], v[37:38], v[39:40]
	buffer_store_dword v2, off, s[0:3], 0 offset:852
	buffer_store_dword v1, off, s[0:3], 0 offset:848
	;; [unrolled: 1-line block ×4, first 2 shown]
.LBB56_27:
	s_or_b32 exec_lo, exec_lo, s8
	v_mov_b32_e32 v4, s11
	v_cmp_lt_u32_e64 s5, 52, v0
	s_clause 0x3
	buffer_load_dword v1, v4, s[0:3], 0 offen
	buffer_load_dword v2, v4, s[0:3], 0 offen offset:4
	buffer_load_dword v3, v4, s[0:3], 0 offen offset:8
	;; [unrolled: 1-line block ×3, first 2 shown]
	s_waitcnt vmcnt(0)
	ds_write_b128 v36, v[1:4]
	s_waitcnt lgkmcnt(0)
	s_waitcnt_vscnt null, 0x0
	s_barrier
	buffer_gl0_inv
	s_and_saveexec_b32 s8, s5
	s_cbranch_execz .LBB56_35
; %bb.28:
	ds_read_b128 v[1:4], v36
	s_andn2_b32 vcc_lo, exec_lo, s64
	s_cbranch_vccnz .LBB56_30
; %bb.29:
	s_clause 0x3
	buffer_load_dword v37, v35, s[0:3], 0 offen offset:8
	buffer_load_dword v38, v35, s[0:3], 0 offen offset:12
	buffer_load_dword v39, v35, s[0:3], 0 offen
	buffer_load_dword v40, v35, s[0:3], 0 offen offset:4
	s_waitcnt vmcnt(2) lgkmcnt(0)
	v_mul_f64 v[41:42], v[3:4], v[37:38]
	v_mul_f64 v[37:38], v[1:2], v[37:38]
	s_waitcnt vmcnt(0)
	v_fma_f64 v[1:2], v[1:2], v[39:40], -v[41:42]
	v_fma_f64 v[3:4], v[3:4], v[39:40], v[37:38]
.LBB56_30:
	s_and_saveexec_b32 s65, s4
	s_cbranch_execz .LBB56_34
; %bb.31:
	v_subrev_nc_u32_e32 v37, 53, v0
	s_movk_i32 s66, 0x6e0
	s_mov_b32 s4, 0
	s_mov_b32 s67, s10
	.p2align	6
.LBB56_32:                              ; =>This Inner Loop Header: Depth=1
	v_mov_b32_e32 v38, s67
	v_add_nc_u32_e32 v37, -1, v37
	s_add_i32 s67, s67, 16
	s_clause 0x3
	buffer_load_dword v42, v38, s[0:3], 0 offen offset:8
	buffer_load_dword v43, v38, s[0:3], 0 offen offset:12
	buffer_load_dword v44, v38, s[0:3], 0 offen
	buffer_load_dword v45, v38, s[0:3], 0 offen offset:4
	v_mov_b32_e32 v38, s66
	v_cmp_eq_u32_e32 vcc_lo, 0, v37
	s_add_i32 s66, s66, 16
	ds_read_b128 v[38:41], v38
	s_or_b32 s4, vcc_lo, s4
	s_waitcnt vmcnt(2) lgkmcnt(0)
	v_mul_f64 v[46:47], v[40:41], v[42:43]
	v_mul_f64 v[42:43], v[38:39], v[42:43]
	s_waitcnt vmcnt(0)
	v_fma_f64 v[38:39], v[38:39], v[44:45], -v[46:47]
	v_fma_f64 v[40:41], v[40:41], v[44:45], v[42:43]
	v_add_f64 v[1:2], v[1:2], v[38:39]
	v_add_f64 v[3:4], v[3:4], v[40:41]
	s_andn2_b32 exec_lo, exec_lo, s4
	s_cbranch_execnz .LBB56_32
; %bb.33:
	s_or_b32 exec_lo, exec_lo, s4
.LBB56_34:
	s_or_b32 exec_lo, exec_lo, s65
	v_mov_b32_e32 v37, 0
	ds_read_b128 v[37:40], v37 offset:832
	s_waitcnt lgkmcnt(0)
	v_mul_f64 v[41:42], v[3:4], v[39:40]
	v_mul_f64 v[39:40], v[1:2], v[39:40]
	v_fma_f64 v[1:2], v[1:2], v[37:38], -v[41:42]
	v_fma_f64 v[3:4], v[3:4], v[37:38], v[39:40]
	buffer_store_dword v2, off, s[0:3], 0 offset:836
	buffer_store_dword v1, off, s[0:3], 0 offset:832
	;; [unrolled: 1-line block ×4, first 2 shown]
.LBB56_35:
	s_or_b32 exec_lo, exec_lo, s8
	v_mov_b32_e32 v4, s12
	v_cmp_lt_u32_e64 s4, 51, v0
	s_clause 0x3
	buffer_load_dword v1, v4, s[0:3], 0 offen
	buffer_load_dword v2, v4, s[0:3], 0 offen offset:4
	buffer_load_dword v3, v4, s[0:3], 0 offen offset:8
	;; [unrolled: 1-line block ×3, first 2 shown]
	s_waitcnt vmcnt(0)
	ds_write_b128 v36, v[1:4]
	s_waitcnt lgkmcnt(0)
	s_waitcnt_vscnt null, 0x0
	s_barrier
	buffer_gl0_inv
	s_and_saveexec_b32 s8, s4
	s_cbranch_execz .LBB56_43
; %bb.36:
	ds_read_b128 v[1:4], v36
	s_andn2_b32 vcc_lo, exec_lo, s64
	s_cbranch_vccnz .LBB56_38
; %bb.37:
	s_clause 0x3
	buffer_load_dword v37, v35, s[0:3], 0 offen offset:8
	buffer_load_dword v38, v35, s[0:3], 0 offen offset:12
	buffer_load_dword v39, v35, s[0:3], 0 offen
	buffer_load_dword v40, v35, s[0:3], 0 offen offset:4
	s_waitcnt vmcnt(2) lgkmcnt(0)
	v_mul_f64 v[41:42], v[3:4], v[37:38]
	v_mul_f64 v[37:38], v[1:2], v[37:38]
	s_waitcnt vmcnt(0)
	v_fma_f64 v[1:2], v[1:2], v[39:40], -v[41:42]
	v_fma_f64 v[3:4], v[3:4], v[39:40], v[37:38]
.LBB56_38:
	s_and_saveexec_b32 s65, s5
	s_cbranch_execz .LBB56_42
; %bb.39:
	v_subrev_nc_u32_e32 v37, 52, v0
	s_movk_i32 s66, 0x6d0
	s_mov_b32 s5, 0
	s_mov_b32 s67, s11
	.p2align	6
.LBB56_40:                              ; =>This Inner Loop Header: Depth=1
	v_mov_b32_e32 v38, s67
	v_add_nc_u32_e32 v37, -1, v37
	s_add_i32 s67, s67, 16
	s_clause 0x3
	buffer_load_dword v42, v38, s[0:3], 0 offen offset:8
	buffer_load_dword v43, v38, s[0:3], 0 offen offset:12
	buffer_load_dword v44, v38, s[0:3], 0 offen
	buffer_load_dword v45, v38, s[0:3], 0 offen offset:4
	v_mov_b32_e32 v38, s66
	v_cmp_eq_u32_e32 vcc_lo, 0, v37
	s_add_i32 s66, s66, 16
	ds_read_b128 v[38:41], v38
	s_or_b32 s5, vcc_lo, s5
	s_waitcnt vmcnt(2) lgkmcnt(0)
	v_mul_f64 v[46:47], v[40:41], v[42:43]
	v_mul_f64 v[42:43], v[38:39], v[42:43]
	s_waitcnt vmcnt(0)
	v_fma_f64 v[38:39], v[38:39], v[44:45], -v[46:47]
	v_fma_f64 v[40:41], v[40:41], v[44:45], v[42:43]
	v_add_f64 v[1:2], v[1:2], v[38:39]
	v_add_f64 v[3:4], v[3:4], v[40:41]
	s_andn2_b32 exec_lo, exec_lo, s5
	s_cbranch_execnz .LBB56_40
; %bb.41:
	s_or_b32 exec_lo, exec_lo, s5
.LBB56_42:
	s_or_b32 exec_lo, exec_lo, s65
	v_mov_b32_e32 v37, 0
	ds_read_b128 v[37:40], v37 offset:816
	s_waitcnt lgkmcnt(0)
	v_mul_f64 v[41:42], v[3:4], v[39:40]
	v_mul_f64 v[39:40], v[1:2], v[39:40]
	v_fma_f64 v[1:2], v[1:2], v[37:38], -v[41:42]
	v_fma_f64 v[3:4], v[3:4], v[37:38], v[39:40]
	buffer_store_dword v2, off, s[0:3], 0 offset:820
	buffer_store_dword v1, off, s[0:3], 0 offset:816
	;; [unrolled: 1-line block ×4, first 2 shown]
.LBB56_43:
	s_or_b32 exec_lo, exec_lo, s8
	v_mov_b32_e32 v4, s13
	v_cmp_lt_u32_e64 s5, 50, v0
	s_clause 0x3
	buffer_load_dword v1, v4, s[0:3], 0 offen
	buffer_load_dword v2, v4, s[0:3], 0 offen offset:4
	buffer_load_dword v3, v4, s[0:3], 0 offen offset:8
	;; [unrolled: 1-line block ×3, first 2 shown]
	s_waitcnt vmcnt(0)
	ds_write_b128 v36, v[1:4]
	s_waitcnt lgkmcnt(0)
	s_waitcnt_vscnt null, 0x0
	s_barrier
	buffer_gl0_inv
	s_and_saveexec_b32 s8, s5
	s_cbranch_execz .LBB56_51
; %bb.44:
	ds_read_b128 v[1:4], v36
	s_andn2_b32 vcc_lo, exec_lo, s64
	s_cbranch_vccnz .LBB56_46
; %bb.45:
	s_clause 0x3
	buffer_load_dword v37, v35, s[0:3], 0 offen offset:8
	buffer_load_dword v38, v35, s[0:3], 0 offen offset:12
	buffer_load_dword v39, v35, s[0:3], 0 offen
	buffer_load_dword v40, v35, s[0:3], 0 offen offset:4
	s_waitcnt vmcnt(2) lgkmcnt(0)
	v_mul_f64 v[41:42], v[3:4], v[37:38]
	v_mul_f64 v[37:38], v[1:2], v[37:38]
	s_waitcnt vmcnt(0)
	v_fma_f64 v[1:2], v[1:2], v[39:40], -v[41:42]
	v_fma_f64 v[3:4], v[3:4], v[39:40], v[37:38]
.LBB56_46:
	s_and_saveexec_b32 s65, s4
	s_cbranch_execz .LBB56_50
; %bb.47:
	v_subrev_nc_u32_e32 v37, 51, v0
	s_movk_i32 s66, 0x6c0
	s_mov_b32 s4, 0
	s_mov_b32 s67, s12
	.p2align	6
.LBB56_48:                              ; =>This Inner Loop Header: Depth=1
	v_mov_b32_e32 v38, s67
	v_add_nc_u32_e32 v37, -1, v37
	s_add_i32 s67, s67, 16
	s_clause 0x3
	buffer_load_dword v42, v38, s[0:3], 0 offen offset:8
	buffer_load_dword v43, v38, s[0:3], 0 offen offset:12
	buffer_load_dword v44, v38, s[0:3], 0 offen
	buffer_load_dword v45, v38, s[0:3], 0 offen offset:4
	v_mov_b32_e32 v38, s66
	v_cmp_eq_u32_e32 vcc_lo, 0, v37
	s_add_i32 s66, s66, 16
	ds_read_b128 v[38:41], v38
	s_or_b32 s4, vcc_lo, s4
	s_waitcnt vmcnt(2) lgkmcnt(0)
	v_mul_f64 v[46:47], v[40:41], v[42:43]
	v_mul_f64 v[42:43], v[38:39], v[42:43]
	s_waitcnt vmcnt(0)
	v_fma_f64 v[38:39], v[38:39], v[44:45], -v[46:47]
	v_fma_f64 v[40:41], v[40:41], v[44:45], v[42:43]
	v_add_f64 v[1:2], v[1:2], v[38:39]
	v_add_f64 v[3:4], v[3:4], v[40:41]
	s_andn2_b32 exec_lo, exec_lo, s4
	s_cbranch_execnz .LBB56_48
; %bb.49:
	s_or_b32 exec_lo, exec_lo, s4
.LBB56_50:
	s_or_b32 exec_lo, exec_lo, s65
	v_mov_b32_e32 v37, 0
	ds_read_b128 v[37:40], v37 offset:800
	s_waitcnt lgkmcnt(0)
	v_mul_f64 v[41:42], v[3:4], v[39:40]
	v_mul_f64 v[39:40], v[1:2], v[39:40]
	v_fma_f64 v[1:2], v[1:2], v[37:38], -v[41:42]
	v_fma_f64 v[3:4], v[3:4], v[37:38], v[39:40]
	buffer_store_dword v2, off, s[0:3], 0 offset:804
	buffer_store_dword v1, off, s[0:3], 0 offset:800
	;; [unrolled: 1-line block ×4, first 2 shown]
.LBB56_51:
	s_or_b32 exec_lo, exec_lo, s8
	v_mov_b32_e32 v4, s14
	v_cmp_lt_u32_e64 s4, 49, v0
	s_clause 0x3
	buffer_load_dword v1, v4, s[0:3], 0 offen
	buffer_load_dword v2, v4, s[0:3], 0 offen offset:4
	buffer_load_dword v3, v4, s[0:3], 0 offen offset:8
	;; [unrolled: 1-line block ×3, first 2 shown]
	s_waitcnt vmcnt(0)
	ds_write_b128 v36, v[1:4]
	s_waitcnt lgkmcnt(0)
	s_waitcnt_vscnt null, 0x0
	s_barrier
	buffer_gl0_inv
	s_and_saveexec_b32 s8, s4
	s_cbranch_execz .LBB56_59
; %bb.52:
	ds_read_b128 v[1:4], v36
	s_andn2_b32 vcc_lo, exec_lo, s64
	s_cbranch_vccnz .LBB56_54
; %bb.53:
	s_clause 0x3
	buffer_load_dword v37, v35, s[0:3], 0 offen offset:8
	buffer_load_dword v38, v35, s[0:3], 0 offen offset:12
	buffer_load_dword v39, v35, s[0:3], 0 offen
	buffer_load_dword v40, v35, s[0:3], 0 offen offset:4
	s_waitcnt vmcnt(2) lgkmcnt(0)
	v_mul_f64 v[41:42], v[3:4], v[37:38]
	v_mul_f64 v[37:38], v[1:2], v[37:38]
	s_waitcnt vmcnt(0)
	v_fma_f64 v[1:2], v[1:2], v[39:40], -v[41:42]
	v_fma_f64 v[3:4], v[3:4], v[39:40], v[37:38]
.LBB56_54:
	s_and_saveexec_b32 s65, s5
	s_cbranch_execz .LBB56_58
; %bb.55:
	v_subrev_nc_u32_e32 v37, 50, v0
	s_movk_i32 s66, 0x6b0
	s_mov_b32 s5, 0
	s_mov_b32 s67, s13
	.p2align	6
.LBB56_56:                              ; =>This Inner Loop Header: Depth=1
	v_mov_b32_e32 v38, s67
	v_add_nc_u32_e32 v37, -1, v37
	s_add_i32 s67, s67, 16
	s_clause 0x3
	buffer_load_dword v42, v38, s[0:3], 0 offen offset:8
	buffer_load_dword v43, v38, s[0:3], 0 offen offset:12
	buffer_load_dword v44, v38, s[0:3], 0 offen
	buffer_load_dword v45, v38, s[0:3], 0 offen offset:4
	v_mov_b32_e32 v38, s66
	v_cmp_eq_u32_e32 vcc_lo, 0, v37
	s_add_i32 s66, s66, 16
	ds_read_b128 v[38:41], v38
	s_or_b32 s5, vcc_lo, s5
	s_waitcnt vmcnt(2) lgkmcnt(0)
	v_mul_f64 v[46:47], v[40:41], v[42:43]
	v_mul_f64 v[42:43], v[38:39], v[42:43]
	s_waitcnt vmcnt(0)
	v_fma_f64 v[38:39], v[38:39], v[44:45], -v[46:47]
	v_fma_f64 v[40:41], v[40:41], v[44:45], v[42:43]
	v_add_f64 v[1:2], v[1:2], v[38:39]
	v_add_f64 v[3:4], v[3:4], v[40:41]
	s_andn2_b32 exec_lo, exec_lo, s5
	s_cbranch_execnz .LBB56_56
; %bb.57:
	s_or_b32 exec_lo, exec_lo, s5
.LBB56_58:
	s_or_b32 exec_lo, exec_lo, s65
	v_mov_b32_e32 v37, 0
	ds_read_b128 v[37:40], v37 offset:784
	s_waitcnt lgkmcnt(0)
	v_mul_f64 v[41:42], v[3:4], v[39:40]
	v_mul_f64 v[39:40], v[1:2], v[39:40]
	v_fma_f64 v[1:2], v[1:2], v[37:38], -v[41:42]
	v_fma_f64 v[3:4], v[3:4], v[37:38], v[39:40]
	buffer_store_dword v2, off, s[0:3], 0 offset:788
	buffer_store_dword v1, off, s[0:3], 0 offset:784
	;; [unrolled: 1-line block ×4, first 2 shown]
.LBB56_59:
	s_or_b32 exec_lo, exec_lo, s8
	v_mov_b32_e32 v4, s15
	v_cmp_lt_u32_e64 s5, 48, v0
	s_clause 0x3
	buffer_load_dword v1, v4, s[0:3], 0 offen
	buffer_load_dword v2, v4, s[0:3], 0 offen offset:4
	buffer_load_dword v3, v4, s[0:3], 0 offen offset:8
	;; [unrolled: 1-line block ×3, first 2 shown]
	s_waitcnt vmcnt(0)
	ds_write_b128 v36, v[1:4]
	s_waitcnt lgkmcnt(0)
	s_waitcnt_vscnt null, 0x0
	s_barrier
	buffer_gl0_inv
	s_and_saveexec_b32 s8, s5
	s_cbranch_execz .LBB56_67
; %bb.60:
	ds_read_b128 v[1:4], v36
	s_andn2_b32 vcc_lo, exec_lo, s64
	s_cbranch_vccnz .LBB56_62
; %bb.61:
	s_clause 0x3
	buffer_load_dword v37, v35, s[0:3], 0 offen offset:8
	buffer_load_dword v38, v35, s[0:3], 0 offen offset:12
	buffer_load_dword v39, v35, s[0:3], 0 offen
	buffer_load_dword v40, v35, s[0:3], 0 offen offset:4
	s_waitcnt vmcnt(2) lgkmcnt(0)
	v_mul_f64 v[41:42], v[3:4], v[37:38]
	v_mul_f64 v[37:38], v[1:2], v[37:38]
	s_waitcnt vmcnt(0)
	v_fma_f64 v[1:2], v[1:2], v[39:40], -v[41:42]
	v_fma_f64 v[3:4], v[3:4], v[39:40], v[37:38]
.LBB56_62:
	s_and_saveexec_b32 s65, s4
	s_cbranch_execz .LBB56_66
; %bb.63:
	v_subrev_nc_u32_e32 v37, 49, v0
	s_movk_i32 s66, 0x6a0
	s_mov_b32 s4, 0
	s_mov_b32 s67, s14
	.p2align	6
.LBB56_64:                              ; =>This Inner Loop Header: Depth=1
	v_mov_b32_e32 v38, s67
	v_add_nc_u32_e32 v37, -1, v37
	s_add_i32 s67, s67, 16
	s_clause 0x3
	buffer_load_dword v42, v38, s[0:3], 0 offen offset:8
	buffer_load_dword v43, v38, s[0:3], 0 offen offset:12
	buffer_load_dword v44, v38, s[0:3], 0 offen
	buffer_load_dword v45, v38, s[0:3], 0 offen offset:4
	v_mov_b32_e32 v38, s66
	v_cmp_eq_u32_e32 vcc_lo, 0, v37
	s_add_i32 s66, s66, 16
	ds_read_b128 v[38:41], v38
	s_or_b32 s4, vcc_lo, s4
	s_waitcnt vmcnt(2) lgkmcnt(0)
	v_mul_f64 v[46:47], v[40:41], v[42:43]
	v_mul_f64 v[42:43], v[38:39], v[42:43]
	s_waitcnt vmcnt(0)
	v_fma_f64 v[38:39], v[38:39], v[44:45], -v[46:47]
	v_fma_f64 v[40:41], v[40:41], v[44:45], v[42:43]
	v_add_f64 v[1:2], v[1:2], v[38:39]
	v_add_f64 v[3:4], v[3:4], v[40:41]
	s_andn2_b32 exec_lo, exec_lo, s4
	s_cbranch_execnz .LBB56_64
; %bb.65:
	s_or_b32 exec_lo, exec_lo, s4
.LBB56_66:
	s_or_b32 exec_lo, exec_lo, s65
	v_mov_b32_e32 v37, 0
	ds_read_b128 v[37:40], v37 offset:768
	s_waitcnt lgkmcnt(0)
	v_mul_f64 v[41:42], v[3:4], v[39:40]
	v_mul_f64 v[39:40], v[1:2], v[39:40]
	v_fma_f64 v[1:2], v[1:2], v[37:38], -v[41:42]
	v_fma_f64 v[3:4], v[3:4], v[37:38], v[39:40]
	buffer_store_dword v2, off, s[0:3], 0 offset:772
	buffer_store_dword v1, off, s[0:3], 0 offset:768
	;; [unrolled: 1-line block ×4, first 2 shown]
.LBB56_67:
	s_or_b32 exec_lo, exec_lo, s8
	v_mov_b32_e32 v4, s16
	v_cmp_lt_u32_e64 s4, 47, v0
	s_clause 0x3
	buffer_load_dword v1, v4, s[0:3], 0 offen
	buffer_load_dword v2, v4, s[0:3], 0 offen offset:4
	buffer_load_dword v3, v4, s[0:3], 0 offen offset:8
	;; [unrolled: 1-line block ×3, first 2 shown]
	s_waitcnt vmcnt(0)
	ds_write_b128 v36, v[1:4]
	s_waitcnt lgkmcnt(0)
	s_waitcnt_vscnt null, 0x0
	s_barrier
	buffer_gl0_inv
	s_and_saveexec_b32 s8, s4
	s_cbranch_execz .LBB56_75
; %bb.68:
	ds_read_b128 v[1:4], v36
	s_andn2_b32 vcc_lo, exec_lo, s64
	s_cbranch_vccnz .LBB56_70
; %bb.69:
	s_clause 0x3
	buffer_load_dword v37, v35, s[0:3], 0 offen offset:8
	buffer_load_dword v38, v35, s[0:3], 0 offen offset:12
	buffer_load_dword v39, v35, s[0:3], 0 offen
	buffer_load_dword v40, v35, s[0:3], 0 offen offset:4
	s_waitcnt vmcnt(2) lgkmcnt(0)
	v_mul_f64 v[41:42], v[3:4], v[37:38]
	v_mul_f64 v[37:38], v[1:2], v[37:38]
	s_waitcnt vmcnt(0)
	v_fma_f64 v[1:2], v[1:2], v[39:40], -v[41:42]
	v_fma_f64 v[3:4], v[3:4], v[39:40], v[37:38]
.LBB56_70:
	s_and_saveexec_b32 s65, s5
	s_cbranch_execz .LBB56_74
; %bb.71:
	v_subrev_nc_u32_e32 v37, 48, v0
	s_movk_i32 s66, 0x690
	s_mov_b32 s5, 0
	s_mov_b32 s67, s15
	.p2align	6
.LBB56_72:                              ; =>This Inner Loop Header: Depth=1
	v_mov_b32_e32 v38, s67
	v_add_nc_u32_e32 v37, -1, v37
	s_add_i32 s67, s67, 16
	s_clause 0x3
	buffer_load_dword v42, v38, s[0:3], 0 offen offset:8
	buffer_load_dword v43, v38, s[0:3], 0 offen offset:12
	buffer_load_dword v44, v38, s[0:3], 0 offen
	buffer_load_dword v45, v38, s[0:3], 0 offen offset:4
	v_mov_b32_e32 v38, s66
	v_cmp_eq_u32_e32 vcc_lo, 0, v37
	s_add_i32 s66, s66, 16
	ds_read_b128 v[38:41], v38
	s_or_b32 s5, vcc_lo, s5
	s_waitcnt vmcnt(2) lgkmcnt(0)
	v_mul_f64 v[46:47], v[40:41], v[42:43]
	v_mul_f64 v[42:43], v[38:39], v[42:43]
	s_waitcnt vmcnt(0)
	v_fma_f64 v[38:39], v[38:39], v[44:45], -v[46:47]
	v_fma_f64 v[40:41], v[40:41], v[44:45], v[42:43]
	v_add_f64 v[1:2], v[1:2], v[38:39]
	v_add_f64 v[3:4], v[3:4], v[40:41]
	s_andn2_b32 exec_lo, exec_lo, s5
	s_cbranch_execnz .LBB56_72
; %bb.73:
	s_or_b32 exec_lo, exec_lo, s5
.LBB56_74:
	s_or_b32 exec_lo, exec_lo, s65
	v_mov_b32_e32 v37, 0
	ds_read_b128 v[37:40], v37 offset:752
	s_waitcnt lgkmcnt(0)
	v_mul_f64 v[41:42], v[3:4], v[39:40]
	v_mul_f64 v[39:40], v[1:2], v[39:40]
	v_fma_f64 v[1:2], v[1:2], v[37:38], -v[41:42]
	v_fma_f64 v[3:4], v[3:4], v[37:38], v[39:40]
	buffer_store_dword v2, off, s[0:3], 0 offset:756
	buffer_store_dword v1, off, s[0:3], 0 offset:752
	buffer_store_dword v4, off, s[0:3], 0 offset:764
	buffer_store_dword v3, off, s[0:3], 0 offset:760
.LBB56_75:
	s_or_b32 exec_lo, exec_lo, s8
	v_mov_b32_e32 v4, s17
	v_cmp_lt_u32_e64 s5, 46, v0
	s_clause 0x3
	buffer_load_dword v1, v4, s[0:3], 0 offen
	buffer_load_dword v2, v4, s[0:3], 0 offen offset:4
	buffer_load_dword v3, v4, s[0:3], 0 offen offset:8
	;; [unrolled: 1-line block ×3, first 2 shown]
	s_waitcnt vmcnt(0)
	ds_write_b128 v36, v[1:4]
	s_waitcnt lgkmcnt(0)
	s_waitcnt_vscnt null, 0x0
	s_barrier
	buffer_gl0_inv
	s_and_saveexec_b32 s8, s5
	s_cbranch_execz .LBB56_83
; %bb.76:
	ds_read_b128 v[1:4], v36
	s_andn2_b32 vcc_lo, exec_lo, s64
	s_cbranch_vccnz .LBB56_78
; %bb.77:
	s_clause 0x3
	buffer_load_dword v37, v35, s[0:3], 0 offen offset:8
	buffer_load_dword v38, v35, s[0:3], 0 offen offset:12
	buffer_load_dword v39, v35, s[0:3], 0 offen
	buffer_load_dword v40, v35, s[0:3], 0 offen offset:4
	s_waitcnt vmcnt(2) lgkmcnt(0)
	v_mul_f64 v[41:42], v[3:4], v[37:38]
	v_mul_f64 v[37:38], v[1:2], v[37:38]
	s_waitcnt vmcnt(0)
	v_fma_f64 v[1:2], v[1:2], v[39:40], -v[41:42]
	v_fma_f64 v[3:4], v[3:4], v[39:40], v[37:38]
.LBB56_78:
	s_and_saveexec_b32 s65, s4
	s_cbranch_execz .LBB56_82
; %bb.79:
	v_subrev_nc_u32_e32 v37, 47, v0
	s_movk_i32 s66, 0x680
	s_mov_b32 s4, 0
	s_mov_b32 s67, s16
	.p2align	6
.LBB56_80:                              ; =>This Inner Loop Header: Depth=1
	v_mov_b32_e32 v38, s67
	v_add_nc_u32_e32 v37, -1, v37
	s_add_i32 s67, s67, 16
	s_clause 0x3
	buffer_load_dword v42, v38, s[0:3], 0 offen offset:8
	buffer_load_dword v43, v38, s[0:3], 0 offen offset:12
	buffer_load_dword v44, v38, s[0:3], 0 offen
	buffer_load_dword v45, v38, s[0:3], 0 offen offset:4
	v_mov_b32_e32 v38, s66
	v_cmp_eq_u32_e32 vcc_lo, 0, v37
	s_add_i32 s66, s66, 16
	ds_read_b128 v[38:41], v38
	s_or_b32 s4, vcc_lo, s4
	s_waitcnt vmcnt(2) lgkmcnt(0)
	v_mul_f64 v[46:47], v[40:41], v[42:43]
	v_mul_f64 v[42:43], v[38:39], v[42:43]
	s_waitcnt vmcnt(0)
	v_fma_f64 v[38:39], v[38:39], v[44:45], -v[46:47]
	v_fma_f64 v[40:41], v[40:41], v[44:45], v[42:43]
	v_add_f64 v[1:2], v[1:2], v[38:39]
	v_add_f64 v[3:4], v[3:4], v[40:41]
	s_andn2_b32 exec_lo, exec_lo, s4
	s_cbranch_execnz .LBB56_80
; %bb.81:
	s_or_b32 exec_lo, exec_lo, s4
.LBB56_82:
	s_or_b32 exec_lo, exec_lo, s65
	v_mov_b32_e32 v37, 0
	ds_read_b128 v[37:40], v37 offset:736
	s_waitcnt lgkmcnt(0)
	v_mul_f64 v[41:42], v[3:4], v[39:40]
	v_mul_f64 v[39:40], v[1:2], v[39:40]
	v_fma_f64 v[1:2], v[1:2], v[37:38], -v[41:42]
	v_fma_f64 v[3:4], v[3:4], v[37:38], v[39:40]
	buffer_store_dword v2, off, s[0:3], 0 offset:740
	buffer_store_dword v1, off, s[0:3], 0 offset:736
	;; [unrolled: 1-line block ×4, first 2 shown]
.LBB56_83:
	s_or_b32 exec_lo, exec_lo, s8
	v_mov_b32_e32 v4, s18
	v_cmp_lt_u32_e64 s4, 45, v0
	s_clause 0x3
	buffer_load_dword v1, v4, s[0:3], 0 offen
	buffer_load_dword v2, v4, s[0:3], 0 offen offset:4
	buffer_load_dword v3, v4, s[0:3], 0 offen offset:8
	;; [unrolled: 1-line block ×3, first 2 shown]
	s_waitcnt vmcnt(0)
	ds_write_b128 v36, v[1:4]
	s_waitcnt lgkmcnt(0)
	s_waitcnt_vscnt null, 0x0
	s_barrier
	buffer_gl0_inv
	s_and_saveexec_b32 s8, s4
	s_cbranch_execz .LBB56_91
; %bb.84:
	ds_read_b128 v[1:4], v36
	s_andn2_b32 vcc_lo, exec_lo, s64
	s_cbranch_vccnz .LBB56_86
; %bb.85:
	s_clause 0x3
	buffer_load_dword v37, v35, s[0:3], 0 offen offset:8
	buffer_load_dword v38, v35, s[0:3], 0 offen offset:12
	buffer_load_dword v39, v35, s[0:3], 0 offen
	buffer_load_dword v40, v35, s[0:3], 0 offen offset:4
	s_waitcnt vmcnt(2) lgkmcnt(0)
	v_mul_f64 v[41:42], v[3:4], v[37:38]
	v_mul_f64 v[37:38], v[1:2], v[37:38]
	s_waitcnt vmcnt(0)
	v_fma_f64 v[1:2], v[1:2], v[39:40], -v[41:42]
	v_fma_f64 v[3:4], v[3:4], v[39:40], v[37:38]
.LBB56_86:
	s_and_saveexec_b32 s65, s5
	s_cbranch_execz .LBB56_90
; %bb.87:
	v_subrev_nc_u32_e32 v37, 46, v0
	s_movk_i32 s66, 0x670
	s_mov_b32 s5, 0
	s_mov_b32 s67, s17
	.p2align	6
.LBB56_88:                              ; =>This Inner Loop Header: Depth=1
	v_mov_b32_e32 v38, s67
	v_add_nc_u32_e32 v37, -1, v37
	s_add_i32 s67, s67, 16
	s_clause 0x3
	buffer_load_dword v42, v38, s[0:3], 0 offen offset:8
	buffer_load_dword v43, v38, s[0:3], 0 offen offset:12
	buffer_load_dword v44, v38, s[0:3], 0 offen
	buffer_load_dword v45, v38, s[0:3], 0 offen offset:4
	v_mov_b32_e32 v38, s66
	v_cmp_eq_u32_e32 vcc_lo, 0, v37
	s_add_i32 s66, s66, 16
	ds_read_b128 v[38:41], v38
	s_or_b32 s5, vcc_lo, s5
	s_waitcnt vmcnt(2) lgkmcnt(0)
	v_mul_f64 v[46:47], v[40:41], v[42:43]
	v_mul_f64 v[42:43], v[38:39], v[42:43]
	s_waitcnt vmcnt(0)
	v_fma_f64 v[38:39], v[38:39], v[44:45], -v[46:47]
	v_fma_f64 v[40:41], v[40:41], v[44:45], v[42:43]
	v_add_f64 v[1:2], v[1:2], v[38:39]
	v_add_f64 v[3:4], v[3:4], v[40:41]
	s_andn2_b32 exec_lo, exec_lo, s5
	s_cbranch_execnz .LBB56_88
; %bb.89:
	s_or_b32 exec_lo, exec_lo, s5
.LBB56_90:
	s_or_b32 exec_lo, exec_lo, s65
	v_mov_b32_e32 v37, 0
	ds_read_b128 v[37:40], v37 offset:720
	s_waitcnt lgkmcnt(0)
	v_mul_f64 v[41:42], v[3:4], v[39:40]
	v_mul_f64 v[39:40], v[1:2], v[39:40]
	v_fma_f64 v[1:2], v[1:2], v[37:38], -v[41:42]
	v_fma_f64 v[3:4], v[3:4], v[37:38], v[39:40]
	buffer_store_dword v2, off, s[0:3], 0 offset:724
	buffer_store_dword v1, off, s[0:3], 0 offset:720
	buffer_store_dword v4, off, s[0:3], 0 offset:732
	buffer_store_dword v3, off, s[0:3], 0 offset:728
.LBB56_91:
	s_or_b32 exec_lo, exec_lo, s8
	v_mov_b32_e32 v4, s19
	v_cmp_lt_u32_e64 s5, 44, v0
	s_clause 0x3
	buffer_load_dword v1, v4, s[0:3], 0 offen
	buffer_load_dword v2, v4, s[0:3], 0 offen offset:4
	buffer_load_dword v3, v4, s[0:3], 0 offen offset:8
	;; [unrolled: 1-line block ×3, first 2 shown]
	s_waitcnt vmcnt(0)
	ds_write_b128 v36, v[1:4]
	s_waitcnt lgkmcnt(0)
	s_waitcnt_vscnt null, 0x0
	s_barrier
	buffer_gl0_inv
	s_and_saveexec_b32 s8, s5
	s_cbranch_execz .LBB56_99
; %bb.92:
	ds_read_b128 v[1:4], v36
	s_andn2_b32 vcc_lo, exec_lo, s64
	s_cbranch_vccnz .LBB56_94
; %bb.93:
	s_clause 0x3
	buffer_load_dword v37, v35, s[0:3], 0 offen offset:8
	buffer_load_dword v38, v35, s[0:3], 0 offen offset:12
	buffer_load_dword v39, v35, s[0:3], 0 offen
	buffer_load_dword v40, v35, s[0:3], 0 offen offset:4
	s_waitcnt vmcnt(2) lgkmcnt(0)
	v_mul_f64 v[41:42], v[3:4], v[37:38]
	v_mul_f64 v[37:38], v[1:2], v[37:38]
	s_waitcnt vmcnt(0)
	v_fma_f64 v[1:2], v[1:2], v[39:40], -v[41:42]
	v_fma_f64 v[3:4], v[3:4], v[39:40], v[37:38]
.LBB56_94:
	s_and_saveexec_b32 s65, s4
	s_cbranch_execz .LBB56_98
; %bb.95:
	v_subrev_nc_u32_e32 v37, 45, v0
	s_movk_i32 s66, 0x660
	s_mov_b32 s4, 0
	s_mov_b32 s67, s18
	.p2align	6
.LBB56_96:                              ; =>This Inner Loop Header: Depth=1
	v_mov_b32_e32 v38, s67
	v_add_nc_u32_e32 v37, -1, v37
	s_add_i32 s67, s67, 16
	s_clause 0x3
	buffer_load_dword v42, v38, s[0:3], 0 offen offset:8
	buffer_load_dword v43, v38, s[0:3], 0 offen offset:12
	buffer_load_dword v44, v38, s[0:3], 0 offen
	buffer_load_dword v45, v38, s[0:3], 0 offen offset:4
	v_mov_b32_e32 v38, s66
	v_cmp_eq_u32_e32 vcc_lo, 0, v37
	s_add_i32 s66, s66, 16
	ds_read_b128 v[38:41], v38
	s_or_b32 s4, vcc_lo, s4
	s_waitcnt vmcnt(2) lgkmcnt(0)
	v_mul_f64 v[46:47], v[40:41], v[42:43]
	v_mul_f64 v[42:43], v[38:39], v[42:43]
	s_waitcnt vmcnt(0)
	v_fma_f64 v[38:39], v[38:39], v[44:45], -v[46:47]
	v_fma_f64 v[40:41], v[40:41], v[44:45], v[42:43]
	v_add_f64 v[1:2], v[1:2], v[38:39]
	v_add_f64 v[3:4], v[3:4], v[40:41]
	s_andn2_b32 exec_lo, exec_lo, s4
	s_cbranch_execnz .LBB56_96
; %bb.97:
	s_or_b32 exec_lo, exec_lo, s4
.LBB56_98:
	s_or_b32 exec_lo, exec_lo, s65
	v_mov_b32_e32 v37, 0
	ds_read_b128 v[37:40], v37 offset:704
	s_waitcnt lgkmcnt(0)
	v_mul_f64 v[41:42], v[3:4], v[39:40]
	v_mul_f64 v[39:40], v[1:2], v[39:40]
	v_fma_f64 v[1:2], v[1:2], v[37:38], -v[41:42]
	v_fma_f64 v[3:4], v[3:4], v[37:38], v[39:40]
	buffer_store_dword v2, off, s[0:3], 0 offset:708
	buffer_store_dword v1, off, s[0:3], 0 offset:704
	;; [unrolled: 1-line block ×4, first 2 shown]
.LBB56_99:
	s_or_b32 exec_lo, exec_lo, s8
	v_mov_b32_e32 v4, s20
	v_cmp_lt_u32_e64 s4, 43, v0
	s_clause 0x3
	buffer_load_dword v1, v4, s[0:3], 0 offen
	buffer_load_dword v2, v4, s[0:3], 0 offen offset:4
	buffer_load_dword v3, v4, s[0:3], 0 offen offset:8
	;; [unrolled: 1-line block ×3, first 2 shown]
	s_waitcnt vmcnt(0)
	ds_write_b128 v36, v[1:4]
	s_waitcnt lgkmcnt(0)
	s_waitcnt_vscnt null, 0x0
	s_barrier
	buffer_gl0_inv
	s_and_saveexec_b32 s8, s4
	s_cbranch_execz .LBB56_107
; %bb.100:
	ds_read_b128 v[1:4], v36
	s_andn2_b32 vcc_lo, exec_lo, s64
	s_cbranch_vccnz .LBB56_102
; %bb.101:
	s_clause 0x3
	buffer_load_dword v37, v35, s[0:3], 0 offen offset:8
	buffer_load_dword v38, v35, s[0:3], 0 offen offset:12
	buffer_load_dword v39, v35, s[0:3], 0 offen
	buffer_load_dword v40, v35, s[0:3], 0 offen offset:4
	s_waitcnt vmcnt(2) lgkmcnt(0)
	v_mul_f64 v[41:42], v[3:4], v[37:38]
	v_mul_f64 v[37:38], v[1:2], v[37:38]
	s_waitcnt vmcnt(0)
	v_fma_f64 v[1:2], v[1:2], v[39:40], -v[41:42]
	v_fma_f64 v[3:4], v[3:4], v[39:40], v[37:38]
.LBB56_102:
	s_and_saveexec_b32 s65, s5
	s_cbranch_execz .LBB56_106
; %bb.103:
	v_subrev_nc_u32_e32 v37, 44, v0
	s_movk_i32 s66, 0x650
	s_mov_b32 s5, 0
	s_mov_b32 s67, s19
	.p2align	6
.LBB56_104:                             ; =>This Inner Loop Header: Depth=1
	v_mov_b32_e32 v38, s67
	v_add_nc_u32_e32 v37, -1, v37
	s_add_i32 s67, s67, 16
	s_clause 0x3
	buffer_load_dword v42, v38, s[0:3], 0 offen offset:8
	buffer_load_dword v43, v38, s[0:3], 0 offen offset:12
	buffer_load_dword v44, v38, s[0:3], 0 offen
	buffer_load_dword v45, v38, s[0:3], 0 offen offset:4
	v_mov_b32_e32 v38, s66
	v_cmp_eq_u32_e32 vcc_lo, 0, v37
	s_add_i32 s66, s66, 16
	ds_read_b128 v[38:41], v38
	s_or_b32 s5, vcc_lo, s5
	s_waitcnt vmcnt(2) lgkmcnt(0)
	v_mul_f64 v[46:47], v[40:41], v[42:43]
	v_mul_f64 v[42:43], v[38:39], v[42:43]
	s_waitcnt vmcnt(0)
	v_fma_f64 v[38:39], v[38:39], v[44:45], -v[46:47]
	v_fma_f64 v[40:41], v[40:41], v[44:45], v[42:43]
	v_add_f64 v[1:2], v[1:2], v[38:39]
	v_add_f64 v[3:4], v[3:4], v[40:41]
	s_andn2_b32 exec_lo, exec_lo, s5
	s_cbranch_execnz .LBB56_104
; %bb.105:
	s_or_b32 exec_lo, exec_lo, s5
.LBB56_106:
	s_or_b32 exec_lo, exec_lo, s65
	v_mov_b32_e32 v37, 0
	ds_read_b128 v[37:40], v37 offset:688
	s_waitcnt lgkmcnt(0)
	v_mul_f64 v[41:42], v[3:4], v[39:40]
	v_mul_f64 v[39:40], v[1:2], v[39:40]
	v_fma_f64 v[1:2], v[1:2], v[37:38], -v[41:42]
	v_fma_f64 v[3:4], v[3:4], v[37:38], v[39:40]
	buffer_store_dword v2, off, s[0:3], 0 offset:692
	buffer_store_dword v1, off, s[0:3], 0 offset:688
	;; [unrolled: 1-line block ×4, first 2 shown]
.LBB56_107:
	s_or_b32 exec_lo, exec_lo, s8
	v_mov_b32_e32 v4, s21
	v_cmp_lt_u32_e64 s5, 42, v0
	s_clause 0x3
	buffer_load_dword v1, v4, s[0:3], 0 offen
	buffer_load_dword v2, v4, s[0:3], 0 offen offset:4
	buffer_load_dword v3, v4, s[0:3], 0 offen offset:8
	;; [unrolled: 1-line block ×3, first 2 shown]
	s_waitcnt vmcnt(0)
	ds_write_b128 v36, v[1:4]
	s_waitcnt lgkmcnt(0)
	s_waitcnt_vscnt null, 0x0
	s_barrier
	buffer_gl0_inv
	s_and_saveexec_b32 s8, s5
	s_cbranch_execz .LBB56_115
; %bb.108:
	ds_read_b128 v[1:4], v36
	s_andn2_b32 vcc_lo, exec_lo, s64
	s_cbranch_vccnz .LBB56_110
; %bb.109:
	s_clause 0x3
	buffer_load_dword v37, v35, s[0:3], 0 offen offset:8
	buffer_load_dword v38, v35, s[0:3], 0 offen offset:12
	buffer_load_dword v39, v35, s[0:3], 0 offen
	buffer_load_dword v40, v35, s[0:3], 0 offen offset:4
	s_waitcnt vmcnt(2) lgkmcnt(0)
	v_mul_f64 v[41:42], v[3:4], v[37:38]
	v_mul_f64 v[37:38], v[1:2], v[37:38]
	s_waitcnt vmcnt(0)
	v_fma_f64 v[1:2], v[1:2], v[39:40], -v[41:42]
	v_fma_f64 v[3:4], v[3:4], v[39:40], v[37:38]
.LBB56_110:
	s_and_saveexec_b32 s65, s4
	s_cbranch_execz .LBB56_114
; %bb.111:
	v_subrev_nc_u32_e32 v37, 43, v0
	s_movk_i32 s66, 0x640
	s_mov_b32 s4, 0
	s_mov_b32 s67, s20
	.p2align	6
.LBB56_112:                             ; =>This Inner Loop Header: Depth=1
	v_mov_b32_e32 v38, s67
	v_add_nc_u32_e32 v37, -1, v37
	s_add_i32 s67, s67, 16
	s_clause 0x3
	buffer_load_dword v42, v38, s[0:3], 0 offen offset:8
	buffer_load_dword v43, v38, s[0:3], 0 offen offset:12
	buffer_load_dword v44, v38, s[0:3], 0 offen
	buffer_load_dword v45, v38, s[0:3], 0 offen offset:4
	v_mov_b32_e32 v38, s66
	v_cmp_eq_u32_e32 vcc_lo, 0, v37
	s_add_i32 s66, s66, 16
	ds_read_b128 v[38:41], v38
	s_or_b32 s4, vcc_lo, s4
	s_waitcnt vmcnt(2) lgkmcnt(0)
	v_mul_f64 v[46:47], v[40:41], v[42:43]
	v_mul_f64 v[42:43], v[38:39], v[42:43]
	s_waitcnt vmcnt(0)
	v_fma_f64 v[38:39], v[38:39], v[44:45], -v[46:47]
	v_fma_f64 v[40:41], v[40:41], v[44:45], v[42:43]
	v_add_f64 v[1:2], v[1:2], v[38:39]
	v_add_f64 v[3:4], v[3:4], v[40:41]
	s_andn2_b32 exec_lo, exec_lo, s4
	s_cbranch_execnz .LBB56_112
; %bb.113:
	s_or_b32 exec_lo, exec_lo, s4
.LBB56_114:
	s_or_b32 exec_lo, exec_lo, s65
	v_mov_b32_e32 v37, 0
	ds_read_b128 v[37:40], v37 offset:672
	s_waitcnt lgkmcnt(0)
	v_mul_f64 v[41:42], v[3:4], v[39:40]
	v_mul_f64 v[39:40], v[1:2], v[39:40]
	v_fma_f64 v[1:2], v[1:2], v[37:38], -v[41:42]
	v_fma_f64 v[3:4], v[3:4], v[37:38], v[39:40]
	buffer_store_dword v2, off, s[0:3], 0 offset:676
	buffer_store_dword v1, off, s[0:3], 0 offset:672
	;; [unrolled: 1-line block ×4, first 2 shown]
.LBB56_115:
	s_or_b32 exec_lo, exec_lo, s8
	v_mov_b32_e32 v4, s22
	v_cmp_lt_u32_e64 s4, 41, v0
	s_clause 0x3
	buffer_load_dword v1, v4, s[0:3], 0 offen
	buffer_load_dword v2, v4, s[0:3], 0 offen offset:4
	buffer_load_dword v3, v4, s[0:3], 0 offen offset:8
	;; [unrolled: 1-line block ×3, first 2 shown]
	s_waitcnt vmcnt(0)
	ds_write_b128 v36, v[1:4]
	s_waitcnt lgkmcnt(0)
	s_waitcnt_vscnt null, 0x0
	s_barrier
	buffer_gl0_inv
	s_and_saveexec_b32 s8, s4
	s_cbranch_execz .LBB56_123
; %bb.116:
	ds_read_b128 v[1:4], v36
	s_andn2_b32 vcc_lo, exec_lo, s64
	s_cbranch_vccnz .LBB56_118
; %bb.117:
	s_clause 0x3
	buffer_load_dword v37, v35, s[0:3], 0 offen offset:8
	buffer_load_dword v38, v35, s[0:3], 0 offen offset:12
	buffer_load_dword v39, v35, s[0:3], 0 offen
	buffer_load_dword v40, v35, s[0:3], 0 offen offset:4
	s_waitcnt vmcnt(2) lgkmcnt(0)
	v_mul_f64 v[41:42], v[3:4], v[37:38]
	v_mul_f64 v[37:38], v[1:2], v[37:38]
	s_waitcnt vmcnt(0)
	v_fma_f64 v[1:2], v[1:2], v[39:40], -v[41:42]
	v_fma_f64 v[3:4], v[3:4], v[39:40], v[37:38]
.LBB56_118:
	s_and_saveexec_b32 s65, s5
	s_cbranch_execz .LBB56_122
; %bb.119:
	v_subrev_nc_u32_e32 v37, 42, v0
	s_movk_i32 s66, 0x630
	s_mov_b32 s5, 0
	s_mov_b32 s67, s21
	.p2align	6
.LBB56_120:                             ; =>This Inner Loop Header: Depth=1
	v_mov_b32_e32 v38, s67
	v_add_nc_u32_e32 v37, -1, v37
	s_add_i32 s67, s67, 16
	s_clause 0x3
	buffer_load_dword v42, v38, s[0:3], 0 offen offset:8
	buffer_load_dword v43, v38, s[0:3], 0 offen offset:12
	buffer_load_dword v44, v38, s[0:3], 0 offen
	buffer_load_dword v45, v38, s[0:3], 0 offen offset:4
	v_mov_b32_e32 v38, s66
	v_cmp_eq_u32_e32 vcc_lo, 0, v37
	s_add_i32 s66, s66, 16
	ds_read_b128 v[38:41], v38
	s_or_b32 s5, vcc_lo, s5
	s_waitcnt vmcnt(2) lgkmcnt(0)
	v_mul_f64 v[46:47], v[40:41], v[42:43]
	v_mul_f64 v[42:43], v[38:39], v[42:43]
	s_waitcnt vmcnt(0)
	v_fma_f64 v[38:39], v[38:39], v[44:45], -v[46:47]
	v_fma_f64 v[40:41], v[40:41], v[44:45], v[42:43]
	v_add_f64 v[1:2], v[1:2], v[38:39]
	v_add_f64 v[3:4], v[3:4], v[40:41]
	s_andn2_b32 exec_lo, exec_lo, s5
	s_cbranch_execnz .LBB56_120
; %bb.121:
	s_or_b32 exec_lo, exec_lo, s5
.LBB56_122:
	s_or_b32 exec_lo, exec_lo, s65
	v_mov_b32_e32 v37, 0
	ds_read_b128 v[37:40], v37 offset:656
	s_waitcnt lgkmcnt(0)
	v_mul_f64 v[41:42], v[3:4], v[39:40]
	v_mul_f64 v[39:40], v[1:2], v[39:40]
	v_fma_f64 v[1:2], v[1:2], v[37:38], -v[41:42]
	v_fma_f64 v[3:4], v[3:4], v[37:38], v[39:40]
	buffer_store_dword v2, off, s[0:3], 0 offset:660
	buffer_store_dword v1, off, s[0:3], 0 offset:656
	;; [unrolled: 1-line block ×4, first 2 shown]
.LBB56_123:
	s_or_b32 exec_lo, exec_lo, s8
	v_mov_b32_e32 v4, s23
	v_cmp_lt_u32_e64 s5, 40, v0
	s_clause 0x3
	buffer_load_dword v1, v4, s[0:3], 0 offen
	buffer_load_dword v2, v4, s[0:3], 0 offen offset:4
	buffer_load_dword v3, v4, s[0:3], 0 offen offset:8
	;; [unrolled: 1-line block ×3, first 2 shown]
	s_waitcnt vmcnt(0)
	ds_write_b128 v36, v[1:4]
	s_waitcnt lgkmcnt(0)
	s_waitcnt_vscnt null, 0x0
	s_barrier
	buffer_gl0_inv
	s_and_saveexec_b32 s8, s5
	s_cbranch_execz .LBB56_131
; %bb.124:
	ds_read_b128 v[1:4], v36
	s_andn2_b32 vcc_lo, exec_lo, s64
	s_cbranch_vccnz .LBB56_126
; %bb.125:
	s_clause 0x3
	buffer_load_dword v37, v35, s[0:3], 0 offen offset:8
	buffer_load_dword v38, v35, s[0:3], 0 offen offset:12
	buffer_load_dword v39, v35, s[0:3], 0 offen
	buffer_load_dword v40, v35, s[0:3], 0 offen offset:4
	s_waitcnt vmcnt(2) lgkmcnt(0)
	v_mul_f64 v[41:42], v[3:4], v[37:38]
	v_mul_f64 v[37:38], v[1:2], v[37:38]
	s_waitcnt vmcnt(0)
	v_fma_f64 v[1:2], v[1:2], v[39:40], -v[41:42]
	v_fma_f64 v[3:4], v[3:4], v[39:40], v[37:38]
.LBB56_126:
	s_and_saveexec_b32 s65, s4
	s_cbranch_execz .LBB56_130
; %bb.127:
	v_subrev_nc_u32_e32 v37, 41, v0
	s_movk_i32 s66, 0x620
	s_mov_b32 s4, 0
	s_mov_b32 s67, s22
	.p2align	6
.LBB56_128:                             ; =>This Inner Loop Header: Depth=1
	v_mov_b32_e32 v38, s67
	v_add_nc_u32_e32 v37, -1, v37
	s_add_i32 s67, s67, 16
	s_clause 0x3
	buffer_load_dword v42, v38, s[0:3], 0 offen offset:8
	buffer_load_dword v43, v38, s[0:3], 0 offen offset:12
	buffer_load_dword v44, v38, s[0:3], 0 offen
	buffer_load_dword v45, v38, s[0:3], 0 offen offset:4
	v_mov_b32_e32 v38, s66
	v_cmp_eq_u32_e32 vcc_lo, 0, v37
	s_add_i32 s66, s66, 16
	ds_read_b128 v[38:41], v38
	s_or_b32 s4, vcc_lo, s4
	s_waitcnt vmcnt(2) lgkmcnt(0)
	v_mul_f64 v[46:47], v[40:41], v[42:43]
	v_mul_f64 v[42:43], v[38:39], v[42:43]
	s_waitcnt vmcnt(0)
	v_fma_f64 v[38:39], v[38:39], v[44:45], -v[46:47]
	v_fma_f64 v[40:41], v[40:41], v[44:45], v[42:43]
	v_add_f64 v[1:2], v[1:2], v[38:39]
	v_add_f64 v[3:4], v[3:4], v[40:41]
	s_andn2_b32 exec_lo, exec_lo, s4
	s_cbranch_execnz .LBB56_128
; %bb.129:
	s_or_b32 exec_lo, exec_lo, s4
.LBB56_130:
	s_or_b32 exec_lo, exec_lo, s65
	v_mov_b32_e32 v37, 0
	ds_read_b128 v[37:40], v37 offset:640
	s_waitcnt lgkmcnt(0)
	v_mul_f64 v[41:42], v[3:4], v[39:40]
	v_mul_f64 v[39:40], v[1:2], v[39:40]
	v_fma_f64 v[1:2], v[1:2], v[37:38], -v[41:42]
	v_fma_f64 v[3:4], v[3:4], v[37:38], v[39:40]
	buffer_store_dword v2, off, s[0:3], 0 offset:644
	buffer_store_dword v1, off, s[0:3], 0 offset:640
	;; [unrolled: 1-line block ×4, first 2 shown]
.LBB56_131:
	s_or_b32 exec_lo, exec_lo, s8
	v_mov_b32_e32 v4, s24
	v_cmp_lt_u32_e64 s4, 39, v0
	s_clause 0x3
	buffer_load_dword v1, v4, s[0:3], 0 offen
	buffer_load_dword v2, v4, s[0:3], 0 offen offset:4
	buffer_load_dword v3, v4, s[0:3], 0 offen offset:8
	;; [unrolled: 1-line block ×3, first 2 shown]
	s_waitcnt vmcnt(0)
	ds_write_b128 v36, v[1:4]
	s_waitcnt lgkmcnt(0)
	s_waitcnt_vscnt null, 0x0
	s_barrier
	buffer_gl0_inv
	s_and_saveexec_b32 s8, s4
	s_cbranch_execz .LBB56_139
; %bb.132:
	ds_read_b128 v[1:4], v36
	s_andn2_b32 vcc_lo, exec_lo, s64
	s_cbranch_vccnz .LBB56_134
; %bb.133:
	s_clause 0x3
	buffer_load_dword v37, v35, s[0:3], 0 offen offset:8
	buffer_load_dword v38, v35, s[0:3], 0 offen offset:12
	buffer_load_dword v39, v35, s[0:3], 0 offen
	buffer_load_dword v40, v35, s[0:3], 0 offen offset:4
	s_waitcnt vmcnt(2) lgkmcnt(0)
	v_mul_f64 v[41:42], v[3:4], v[37:38]
	v_mul_f64 v[37:38], v[1:2], v[37:38]
	s_waitcnt vmcnt(0)
	v_fma_f64 v[1:2], v[1:2], v[39:40], -v[41:42]
	v_fma_f64 v[3:4], v[3:4], v[39:40], v[37:38]
.LBB56_134:
	s_and_saveexec_b32 s65, s5
	s_cbranch_execz .LBB56_138
; %bb.135:
	v_subrev_nc_u32_e32 v37, 40, v0
	s_movk_i32 s66, 0x610
	s_mov_b32 s5, 0
	s_mov_b32 s67, s23
	.p2align	6
.LBB56_136:                             ; =>This Inner Loop Header: Depth=1
	v_mov_b32_e32 v38, s67
	v_add_nc_u32_e32 v37, -1, v37
	s_add_i32 s67, s67, 16
	s_clause 0x3
	buffer_load_dword v42, v38, s[0:3], 0 offen offset:8
	buffer_load_dword v43, v38, s[0:3], 0 offen offset:12
	buffer_load_dword v44, v38, s[0:3], 0 offen
	buffer_load_dword v45, v38, s[0:3], 0 offen offset:4
	v_mov_b32_e32 v38, s66
	v_cmp_eq_u32_e32 vcc_lo, 0, v37
	s_add_i32 s66, s66, 16
	ds_read_b128 v[38:41], v38
	s_or_b32 s5, vcc_lo, s5
	s_waitcnt vmcnt(2) lgkmcnt(0)
	v_mul_f64 v[46:47], v[40:41], v[42:43]
	v_mul_f64 v[42:43], v[38:39], v[42:43]
	s_waitcnt vmcnt(0)
	v_fma_f64 v[38:39], v[38:39], v[44:45], -v[46:47]
	v_fma_f64 v[40:41], v[40:41], v[44:45], v[42:43]
	v_add_f64 v[1:2], v[1:2], v[38:39]
	v_add_f64 v[3:4], v[3:4], v[40:41]
	s_andn2_b32 exec_lo, exec_lo, s5
	s_cbranch_execnz .LBB56_136
; %bb.137:
	s_or_b32 exec_lo, exec_lo, s5
.LBB56_138:
	s_or_b32 exec_lo, exec_lo, s65
	v_mov_b32_e32 v37, 0
	ds_read_b128 v[37:40], v37 offset:624
	s_waitcnt lgkmcnt(0)
	v_mul_f64 v[41:42], v[3:4], v[39:40]
	v_mul_f64 v[39:40], v[1:2], v[39:40]
	v_fma_f64 v[1:2], v[1:2], v[37:38], -v[41:42]
	v_fma_f64 v[3:4], v[3:4], v[37:38], v[39:40]
	buffer_store_dword v2, off, s[0:3], 0 offset:628
	buffer_store_dword v1, off, s[0:3], 0 offset:624
	;; [unrolled: 1-line block ×4, first 2 shown]
.LBB56_139:
	s_or_b32 exec_lo, exec_lo, s8
	v_mov_b32_e32 v4, s25
	v_cmp_lt_u32_e64 s5, 38, v0
	s_clause 0x3
	buffer_load_dword v1, v4, s[0:3], 0 offen
	buffer_load_dword v2, v4, s[0:3], 0 offen offset:4
	buffer_load_dword v3, v4, s[0:3], 0 offen offset:8
	;; [unrolled: 1-line block ×3, first 2 shown]
	s_waitcnt vmcnt(0)
	ds_write_b128 v36, v[1:4]
	s_waitcnt lgkmcnt(0)
	s_waitcnt_vscnt null, 0x0
	s_barrier
	buffer_gl0_inv
	s_and_saveexec_b32 s8, s5
	s_cbranch_execz .LBB56_147
; %bb.140:
	ds_read_b128 v[1:4], v36
	s_andn2_b32 vcc_lo, exec_lo, s64
	s_cbranch_vccnz .LBB56_142
; %bb.141:
	s_clause 0x3
	buffer_load_dword v37, v35, s[0:3], 0 offen offset:8
	buffer_load_dword v38, v35, s[0:3], 0 offen offset:12
	buffer_load_dword v39, v35, s[0:3], 0 offen
	buffer_load_dword v40, v35, s[0:3], 0 offen offset:4
	s_waitcnt vmcnt(2) lgkmcnt(0)
	v_mul_f64 v[41:42], v[3:4], v[37:38]
	v_mul_f64 v[37:38], v[1:2], v[37:38]
	s_waitcnt vmcnt(0)
	v_fma_f64 v[1:2], v[1:2], v[39:40], -v[41:42]
	v_fma_f64 v[3:4], v[3:4], v[39:40], v[37:38]
.LBB56_142:
	s_and_saveexec_b32 s65, s4
	s_cbranch_execz .LBB56_146
; %bb.143:
	v_subrev_nc_u32_e32 v37, 39, v0
	s_movk_i32 s66, 0x600
	s_mov_b32 s4, 0
	s_mov_b32 s67, s24
	.p2align	6
.LBB56_144:                             ; =>This Inner Loop Header: Depth=1
	v_mov_b32_e32 v38, s67
	v_add_nc_u32_e32 v37, -1, v37
	s_add_i32 s67, s67, 16
	s_clause 0x3
	buffer_load_dword v42, v38, s[0:3], 0 offen offset:8
	buffer_load_dword v43, v38, s[0:3], 0 offen offset:12
	buffer_load_dword v44, v38, s[0:3], 0 offen
	buffer_load_dword v45, v38, s[0:3], 0 offen offset:4
	v_mov_b32_e32 v38, s66
	v_cmp_eq_u32_e32 vcc_lo, 0, v37
	s_add_i32 s66, s66, 16
	ds_read_b128 v[38:41], v38
	s_or_b32 s4, vcc_lo, s4
	s_waitcnt vmcnt(2) lgkmcnt(0)
	v_mul_f64 v[46:47], v[40:41], v[42:43]
	v_mul_f64 v[42:43], v[38:39], v[42:43]
	s_waitcnt vmcnt(0)
	v_fma_f64 v[38:39], v[38:39], v[44:45], -v[46:47]
	v_fma_f64 v[40:41], v[40:41], v[44:45], v[42:43]
	v_add_f64 v[1:2], v[1:2], v[38:39]
	v_add_f64 v[3:4], v[3:4], v[40:41]
	s_andn2_b32 exec_lo, exec_lo, s4
	s_cbranch_execnz .LBB56_144
; %bb.145:
	s_or_b32 exec_lo, exec_lo, s4
.LBB56_146:
	s_or_b32 exec_lo, exec_lo, s65
	v_mov_b32_e32 v37, 0
	ds_read_b128 v[37:40], v37 offset:608
	s_waitcnt lgkmcnt(0)
	v_mul_f64 v[41:42], v[3:4], v[39:40]
	v_mul_f64 v[39:40], v[1:2], v[39:40]
	v_fma_f64 v[1:2], v[1:2], v[37:38], -v[41:42]
	v_fma_f64 v[3:4], v[3:4], v[37:38], v[39:40]
	buffer_store_dword v2, off, s[0:3], 0 offset:612
	buffer_store_dword v1, off, s[0:3], 0 offset:608
	;; [unrolled: 1-line block ×4, first 2 shown]
.LBB56_147:
	s_or_b32 exec_lo, exec_lo, s8
	v_mov_b32_e32 v4, s26
	v_cmp_lt_u32_e64 s4, 37, v0
	s_clause 0x3
	buffer_load_dword v1, v4, s[0:3], 0 offen
	buffer_load_dword v2, v4, s[0:3], 0 offen offset:4
	buffer_load_dword v3, v4, s[0:3], 0 offen offset:8
	;; [unrolled: 1-line block ×3, first 2 shown]
	s_waitcnt vmcnt(0)
	ds_write_b128 v36, v[1:4]
	s_waitcnt lgkmcnt(0)
	s_waitcnt_vscnt null, 0x0
	s_barrier
	buffer_gl0_inv
	s_and_saveexec_b32 s8, s4
	s_cbranch_execz .LBB56_155
; %bb.148:
	ds_read_b128 v[1:4], v36
	s_andn2_b32 vcc_lo, exec_lo, s64
	s_cbranch_vccnz .LBB56_150
; %bb.149:
	s_clause 0x3
	buffer_load_dword v37, v35, s[0:3], 0 offen offset:8
	buffer_load_dword v38, v35, s[0:3], 0 offen offset:12
	buffer_load_dword v39, v35, s[0:3], 0 offen
	buffer_load_dword v40, v35, s[0:3], 0 offen offset:4
	s_waitcnt vmcnt(2) lgkmcnt(0)
	v_mul_f64 v[41:42], v[3:4], v[37:38]
	v_mul_f64 v[37:38], v[1:2], v[37:38]
	s_waitcnt vmcnt(0)
	v_fma_f64 v[1:2], v[1:2], v[39:40], -v[41:42]
	v_fma_f64 v[3:4], v[3:4], v[39:40], v[37:38]
.LBB56_150:
	s_and_saveexec_b32 s65, s5
	s_cbranch_execz .LBB56_154
; %bb.151:
	v_subrev_nc_u32_e32 v37, 38, v0
	s_movk_i32 s66, 0x5f0
	s_mov_b32 s5, 0
	s_mov_b32 s67, s25
	.p2align	6
.LBB56_152:                             ; =>This Inner Loop Header: Depth=1
	v_mov_b32_e32 v38, s67
	v_add_nc_u32_e32 v37, -1, v37
	s_add_i32 s67, s67, 16
	s_clause 0x3
	buffer_load_dword v42, v38, s[0:3], 0 offen offset:8
	buffer_load_dword v43, v38, s[0:3], 0 offen offset:12
	buffer_load_dword v44, v38, s[0:3], 0 offen
	buffer_load_dword v45, v38, s[0:3], 0 offen offset:4
	v_mov_b32_e32 v38, s66
	v_cmp_eq_u32_e32 vcc_lo, 0, v37
	s_add_i32 s66, s66, 16
	ds_read_b128 v[38:41], v38
	s_or_b32 s5, vcc_lo, s5
	s_waitcnt vmcnt(2) lgkmcnt(0)
	v_mul_f64 v[46:47], v[40:41], v[42:43]
	v_mul_f64 v[42:43], v[38:39], v[42:43]
	s_waitcnt vmcnt(0)
	v_fma_f64 v[38:39], v[38:39], v[44:45], -v[46:47]
	v_fma_f64 v[40:41], v[40:41], v[44:45], v[42:43]
	v_add_f64 v[1:2], v[1:2], v[38:39]
	v_add_f64 v[3:4], v[3:4], v[40:41]
	s_andn2_b32 exec_lo, exec_lo, s5
	s_cbranch_execnz .LBB56_152
; %bb.153:
	s_or_b32 exec_lo, exec_lo, s5
.LBB56_154:
	s_or_b32 exec_lo, exec_lo, s65
	v_mov_b32_e32 v37, 0
	ds_read_b128 v[37:40], v37 offset:592
	s_waitcnt lgkmcnt(0)
	v_mul_f64 v[41:42], v[3:4], v[39:40]
	v_mul_f64 v[39:40], v[1:2], v[39:40]
	v_fma_f64 v[1:2], v[1:2], v[37:38], -v[41:42]
	v_fma_f64 v[3:4], v[3:4], v[37:38], v[39:40]
	buffer_store_dword v2, off, s[0:3], 0 offset:596
	buffer_store_dword v1, off, s[0:3], 0 offset:592
	;; [unrolled: 1-line block ×4, first 2 shown]
.LBB56_155:
	s_or_b32 exec_lo, exec_lo, s8
	v_mov_b32_e32 v4, s27
	v_cmp_lt_u32_e64 s5, 36, v0
	s_clause 0x3
	buffer_load_dword v1, v4, s[0:3], 0 offen
	buffer_load_dword v2, v4, s[0:3], 0 offen offset:4
	buffer_load_dword v3, v4, s[0:3], 0 offen offset:8
	;; [unrolled: 1-line block ×3, first 2 shown]
	s_waitcnt vmcnt(0)
	ds_write_b128 v36, v[1:4]
	s_waitcnt lgkmcnt(0)
	s_waitcnt_vscnt null, 0x0
	s_barrier
	buffer_gl0_inv
	s_and_saveexec_b32 s8, s5
	s_cbranch_execz .LBB56_163
; %bb.156:
	ds_read_b128 v[1:4], v36
	s_andn2_b32 vcc_lo, exec_lo, s64
	s_cbranch_vccnz .LBB56_158
; %bb.157:
	s_clause 0x3
	buffer_load_dword v37, v35, s[0:3], 0 offen offset:8
	buffer_load_dword v38, v35, s[0:3], 0 offen offset:12
	buffer_load_dword v39, v35, s[0:3], 0 offen
	buffer_load_dword v40, v35, s[0:3], 0 offen offset:4
	s_waitcnt vmcnt(2) lgkmcnt(0)
	v_mul_f64 v[41:42], v[3:4], v[37:38]
	v_mul_f64 v[37:38], v[1:2], v[37:38]
	s_waitcnt vmcnt(0)
	v_fma_f64 v[1:2], v[1:2], v[39:40], -v[41:42]
	v_fma_f64 v[3:4], v[3:4], v[39:40], v[37:38]
.LBB56_158:
	s_and_saveexec_b32 s65, s4
	s_cbranch_execz .LBB56_162
; %bb.159:
	v_subrev_nc_u32_e32 v37, 37, v0
	s_movk_i32 s66, 0x5e0
	s_mov_b32 s4, 0
	s_mov_b32 s67, s26
	.p2align	6
.LBB56_160:                             ; =>This Inner Loop Header: Depth=1
	v_mov_b32_e32 v38, s67
	v_add_nc_u32_e32 v37, -1, v37
	s_add_i32 s67, s67, 16
	s_clause 0x3
	buffer_load_dword v42, v38, s[0:3], 0 offen offset:8
	buffer_load_dword v43, v38, s[0:3], 0 offen offset:12
	buffer_load_dword v44, v38, s[0:3], 0 offen
	buffer_load_dword v45, v38, s[0:3], 0 offen offset:4
	v_mov_b32_e32 v38, s66
	v_cmp_eq_u32_e32 vcc_lo, 0, v37
	s_add_i32 s66, s66, 16
	ds_read_b128 v[38:41], v38
	s_or_b32 s4, vcc_lo, s4
	s_waitcnt vmcnt(2) lgkmcnt(0)
	v_mul_f64 v[46:47], v[40:41], v[42:43]
	v_mul_f64 v[42:43], v[38:39], v[42:43]
	s_waitcnt vmcnt(0)
	v_fma_f64 v[38:39], v[38:39], v[44:45], -v[46:47]
	v_fma_f64 v[40:41], v[40:41], v[44:45], v[42:43]
	v_add_f64 v[1:2], v[1:2], v[38:39]
	v_add_f64 v[3:4], v[3:4], v[40:41]
	s_andn2_b32 exec_lo, exec_lo, s4
	s_cbranch_execnz .LBB56_160
; %bb.161:
	s_or_b32 exec_lo, exec_lo, s4
.LBB56_162:
	s_or_b32 exec_lo, exec_lo, s65
	v_mov_b32_e32 v37, 0
	ds_read_b128 v[37:40], v37 offset:576
	s_waitcnt lgkmcnt(0)
	v_mul_f64 v[41:42], v[3:4], v[39:40]
	v_mul_f64 v[39:40], v[1:2], v[39:40]
	v_fma_f64 v[1:2], v[1:2], v[37:38], -v[41:42]
	v_fma_f64 v[3:4], v[3:4], v[37:38], v[39:40]
	buffer_store_dword v2, off, s[0:3], 0 offset:580
	buffer_store_dword v1, off, s[0:3], 0 offset:576
	;; [unrolled: 1-line block ×4, first 2 shown]
.LBB56_163:
	s_or_b32 exec_lo, exec_lo, s8
	v_mov_b32_e32 v4, s28
	v_cmp_lt_u32_e64 s4, 35, v0
	s_clause 0x3
	buffer_load_dword v1, v4, s[0:3], 0 offen
	buffer_load_dword v2, v4, s[0:3], 0 offen offset:4
	buffer_load_dword v3, v4, s[0:3], 0 offen offset:8
	;; [unrolled: 1-line block ×3, first 2 shown]
	s_waitcnt vmcnt(0)
	ds_write_b128 v36, v[1:4]
	s_waitcnt lgkmcnt(0)
	s_waitcnt_vscnt null, 0x0
	s_barrier
	buffer_gl0_inv
	s_and_saveexec_b32 s8, s4
	s_cbranch_execz .LBB56_171
; %bb.164:
	ds_read_b128 v[1:4], v36
	s_andn2_b32 vcc_lo, exec_lo, s64
	s_cbranch_vccnz .LBB56_166
; %bb.165:
	s_clause 0x3
	buffer_load_dword v37, v35, s[0:3], 0 offen offset:8
	buffer_load_dword v38, v35, s[0:3], 0 offen offset:12
	buffer_load_dword v39, v35, s[0:3], 0 offen
	buffer_load_dword v40, v35, s[0:3], 0 offen offset:4
	s_waitcnt vmcnt(2) lgkmcnt(0)
	v_mul_f64 v[41:42], v[3:4], v[37:38]
	v_mul_f64 v[37:38], v[1:2], v[37:38]
	s_waitcnt vmcnt(0)
	v_fma_f64 v[1:2], v[1:2], v[39:40], -v[41:42]
	v_fma_f64 v[3:4], v[3:4], v[39:40], v[37:38]
.LBB56_166:
	s_and_saveexec_b32 s65, s5
	s_cbranch_execz .LBB56_170
; %bb.167:
	v_subrev_nc_u32_e32 v37, 36, v0
	s_movk_i32 s66, 0x5d0
	s_mov_b32 s5, 0
	s_mov_b32 s67, s27
	.p2align	6
.LBB56_168:                             ; =>This Inner Loop Header: Depth=1
	v_mov_b32_e32 v38, s67
	v_add_nc_u32_e32 v37, -1, v37
	s_add_i32 s67, s67, 16
	s_clause 0x3
	buffer_load_dword v42, v38, s[0:3], 0 offen offset:8
	buffer_load_dword v43, v38, s[0:3], 0 offen offset:12
	buffer_load_dword v44, v38, s[0:3], 0 offen
	buffer_load_dword v45, v38, s[0:3], 0 offen offset:4
	v_mov_b32_e32 v38, s66
	v_cmp_eq_u32_e32 vcc_lo, 0, v37
	s_add_i32 s66, s66, 16
	ds_read_b128 v[38:41], v38
	s_or_b32 s5, vcc_lo, s5
	s_waitcnt vmcnt(2) lgkmcnt(0)
	v_mul_f64 v[46:47], v[40:41], v[42:43]
	v_mul_f64 v[42:43], v[38:39], v[42:43]
	s_waitcnt vmcnt(0)
	v_fma_f64 v[38:39], v[38:39], v[44:45], -v[46:47]
	v_fma_f64 v[40:41], v[40:41], v[44:45], v[42:43]
	v_add_f64 v[1:2], v[1:2], v[38:39]
	v_add_f64 v[3:4], v[3:4], v[40:41]
	s_andn2_b32 exec_lo, exec_lo, s5
	s_cbranch_execnz .LBB56_168
; %bb.169:
	s_or_b32 exec_lo, exec_lo, s5
.LBB56_170:
	s_or_b32 exec_lo, exec_lo, s65
	v_mov_b32_e32 v37, 0
	ds_read_b128 v[37:40], v37 offset:560
	s_waitcnt lgkmcnt(0)
	v_mul_f64 v[41:42], v[3:4], v[39:40]
	v_mul_f64 v[39:40], v[1:2], v[39:40]
	v_fma_f64 v[1:2], v[1:2], v[37:38], -v[41:42]
	v_fma_f64 v[3:4], v[3:4], v[37:38], v[39:40]
	buffer_store_dword v2, off, s[0:3], 0 offset:564
	buffer_store_dword v1, off, s[0:3], 0 offset:560
	buffer_store_dword v4, off, s[0:3], 0 offset:572
	buffer_store_dword v3, off, s[0:3], 0 offset:568
.LBB56_171:
	s_or_b32 exec_lo, exec_lo, s8
	v_mov_b32_e32 v4, s29
	v_cmp_lt_u32_e64 s5, 34, v0
	s_clause 0x3
	buffer_load_dword v1, v4, s[0:3], 0 offen
	buffer_load_dword v2, v4, s[0:3], 0 offen offset:4
	buffer_load_dword v3, v4, s[0:3], 0 offen offset:8
	;; [unrolled: 1-line block ×3, first 2 shown]
	s_waitcnt vmcnt(0)
	ds_write_b128 v36, v[1:4]
	s_waitcnt lgkmcnt(0)
	s_waitcnt_vscnt null, 0x0
	s_barrier
	buffer_gl0_inv
	s_and_saveexec_b32 s8, s5
	s_cbranch_execz .LBB56_179
; %bb.172:
	ds_read_b128 v[1:4], v36
	s_andn2_b32 vcc_lo, exec_lo, s64
	s_cbranch_vccnz .LBB56_174
; %bb.173:
	s_clause 0x3
	buffer_load_dword v37, v35, s[0:3], 0 offen offset:8
	buffer_load_dword v38, v35, s[0:3], 0 offen offset:12
	buffer_load_dword v39, v35, s[0:3], 0 offen
	buffer_load_dword v40, v35, s[0:3], 0 offen offset:4
	s_waitcnt vmcnt(2) lgkmcnt(0)
	v_mul_f64 v[41:42], v[3:4], v[37:38]
	v_mul_f64 v[37:38], v[1:2], v[37:38]
	s_waitcnt vmcnt(0)
	v_fma_f64 v[1:2], v[1:2], v[39:40], -v[41:42]
	v_fma_f64 v[3:4], v[3:4], v[39:40], v[37:38]
.LBB56_174:
	s_and_saveexec_b32 s65, s4
	s_cbranch_execz .LBB56_178
; %bb.175:
	v_subrev_nc_u32_e32 v37, 35, v0
	s_movk_i32 s66, 0x5c0
	s_mov_b32 s4, 0
	s_mov_b32 s67, s28
	.p2align	6
.LBB56_176:                             ; =>This Inner Loop Header: Depth=1
	v_mov_b32_e32 v38, s67
	v_add_nc_u32_e32 v37, -1, v37
	s_add_i32 s67, s67, 16
	s_clause 0x3
	buffer_load_dword v42, v38, s[0:3], 0 offen offset:8
	buffer_load_dword v43, v38, s[0:3], 0 offen offset:12
	buffer_load_dword v44, v38, s[0:3], 0 offen
	buffer_load_dword v45, v38, s[0:3], 0 offen offset:4
	v_mov_b32_e32 v38, s66
	v_cmp_eq_u32_e32 vcc_lo, 0, v37
	s_add_i32 s66, s66, 16
	ds_read_b128 v[38:41], v38
	s_or_b32 s4, vcc_lo, s4
	s_waitcnt vmcnt(2) lgkmcnt(0)
	v_mul_f64 v[46:47], v[40:41], v[42:43]
	v_mul_f64 v[42:43], v[38:39], v[42:43]
	s_waitcnt vmcnt(0)
	v_fma_f64 v[38:39], v[38:39], v[44:45], -v[46:47]
	v_fma_f64 v[40:41], v[40:41], v[44:45], v[42:43]
	v_add_f64 v[1:2], v[1:2], v[38:39]
	v_add_f64 v[3:4], v[3:4], v[40:41]
	s_andn2_b32 exec_lo, exec_lo, s4
	s_cbranch_execnz .LBB56_176
; %bb.177:
	s_or_b32 exec_lo, exec_lo, s4
.LBB56_178:
	s_or_b32 exec_lo, exec_lo, s65
	v_mov_b32_e32 v37, 0
	ds_read_b128 v[37:40], v37 offset:544
	s_waitcnt lgkmcnt(0)
	v_mul_f64 v[41:42], v[3:4], v[39:40]
	v_mul_f64 v[39:40], v[1:2], v[39:40]
	v_fma_f64 v[1:2], v[1:2], v[37:38], -v[41:42]
	v_fma_f64 v[3:4], v[3:4], v[37:38], v[39:40]
	buffer_store_dword v2, off, s[0:3], 0 offset:548
	buffer_store_dword v1, off, s[0:3], 0 offset:544
	;; [unrolled: 1-line block ×4, first 2 shown]
.LBB56_179:
	s_or_b32 exec_lo, exec_lo, s8
	v_mov_b32_e32 v4, s30
	v_cmp_lt_u32_e64 s4, 33, v0
	s_clause 0x3
	buffer_load_dword v1, v4, s[0:3], 0 offen
	buffer_load_dword v2, v4, s[0:3], 0 offen offset:4
	buffer_load_dword v3, v4, s[0:3], 0 offen offset:8
	;; [unrolled: 1-line block ×3, first 2 shown]
	s_waitcnt vmcnt(0)
	ds_write_b128 v36, v[1:4]
	s_waitcnt lgkmcnt(0)
	s_waitcnt_vscnt null, 0x0
	s_barrier
	buffer_gl0_inv
	s_and_saveexec_b32 s8, s4
	s_cbranch_execz .LBB56_187
; %bb.180:
	ds_read_b128 v[1:4], v36
	s_andn2_b32 vcc_lo, exec_lo, s64
	s_cbranch_vccnz .LBB56_182
; %bb.181:
	s_clause 0x3
	buffer_load_dword v37, v35, s[0:3], 0 offen offset:8
	buffer_load_dword v38, v35, s[0:3], 0 offen offset:12
	buffer_load_dword v39, v35, s[0:3], 0 offen
	buffer_load_dword v40, v35, s[0:3], 0 offen offset:4
	s_waitcnt vmcnt(2) lgkmcnt(0)
	v_mul_f64 v[41:42], v[3:4], v[37:38]
	v_mul_f64 v[37:38], v[1:2], v[37:38]
	s_waitcnt vmcnt(0)
	v_fma_f64 v[1:2], v[1:2], v[39:40], -v[41:42]
	v_fma_f64 v[3:4], v[3:4], v[39:40], v[37:38]
.LBB56_182:
	s_and_saveexec_b32 s65, s5
	s_cbranch_execz .LBB56_186
; %bb.183:
	v_subrev_nc_u32_e32 v37, 34, v0
	s_movk_i32 s66, 0x5b0
	s_mov_b32 s5, 0
	s_mov_b32 s67, s29
	.p2align	6
.LBB56_184:                             ; =>This Inner Loop Header: Depth=1
	v_mov_b32_e32 v38, s67
	v_add_nc_u32_e32 v37, -1, v37
	s_add_i32 s67, s67, 16
	s_clause 0x3
	buffer_load_dword v42, v38, s[0:3], 0 offen offset:8
	buffer_load_dword v43, v38, s[0:3], 0 offen offset:12
	buffer_load_dword v44, v38, s[0:3], 0 offen
	buffer_load_dword v45, v38, s[0:3], 0 offen offset:4
	v_mov_b32_e32 v38, s66
	v_cmp_eq_u32_e32 vcc_lo, 0, v37
	s_add_i32 s66, s66, 16
	ds_read_b128 v[38:41], v38
	s_or_b32 s5, vcc_lo, s5
	s_waitcnt vmcnt(2) lgkmcnt(0)
	v_mul_f64 v[46:47], v[40:41], v[42:43]
	v_mul_f64 v[42:43], v[38:39], v[42:43]
	s_waitcnt vmcnt(0)
	v_fma_f64 v[38:39], v[38:39], v[44:45], -v[46:47]
	v_fma_f64 v[40:41], v[40:41], v[44:45], v[42:43]
	v_add_f64 v[1:2], v[1:2], v[38:39]
	v_add_f64 v[3:4], v[3:4], v[40:41]
	s_andn2_b32 exec_lo, exec_lo, s5
	s_cbranch_execnz .LBB56_184
; %bb.185:
	s_or_b32 exec_lo, exec_lo, s5
.LBB56_186:
	s_or_b32 exec_lo, exec_lo, s65
	v_mov_b32_e32 v37, 0
	ds_read_b128 v[37:40], v37 offset:528
	s_waitcnt lgkmcnt(0)
	v_mul_f64 v[41:42], v[3:4], v[39:40]
	v_mul_f64 v[39:40], v[1:2], v[39:40]
	v_fma_f64 v[1:2], v[1:2], v[37:38], -v[41:42]
	v_fma_f64 v[3:4], v[3:4], v[37:38], v[39:40]
	buffer_store_dword v2, off, s[0:3], 0 offset:532
	buffer_store_dword v1, off, s[0:3], 0 offset:528
	buffer_store_dword v4, off, s[0:3], 0 offset:540
	buffer_store_dword v3, off, s[0:3], 0 offset:536
.LBB56_187:
	s_or_b32 exec_lo, exec_lo, s8
	v_mov_b32_e32 v4, s31
	v_cmp_lt_u32_e64 s5, 32, v0
	s_clause 0x3
	buffer_load_dword v1, v4, s[0:3], 0 offen
	buffer_load_dword v2, v4, s[0:3], 0 offen offset:4
	buffer_load_dword v3, v4, s[0:3], 0 offen offset:8
	;; [unrolled: 1-line block ×3, first 2 shown]
	s_waitcnt vmcnt(0)
	ds_write_b128 v36, v[1:4]
	s_waitcnt lgkmcnt(0)
	s_waitcnt_vscnt null, 0x0
	s_barrier
	buffer_gl0_inv
	s_and_saveexec_b32 s8, s5
	s_cbranch_execz .LBB56_195
; %bb.188:
	ds_read_b128 v[1:4], v36
	s_andn2_b32 vcc_lo, exec_lo, s64
	s_cbranch_vccnz .LBB56_190
; %bb.189:
	s_clause 0x3
	buffer_load_dword v37, v35, s[0:3], 0 offen offset:8
	buffer_load_dword v38, v35, s[0:3], 0 offen offset:12
	buffer_load_dword v39, v35, s[0:3], 0 offen
	buffer_load_dword v40, v35, s[0:3], 0 offen offset:4
	s_waitcnt vmcnt(2) lgkmcnt(0)
	v_mul_f64 v[41:42], v[3:4], v[37:38]
	v_mul_f64 v[37:38], v[1:2], v[37:38]
	s_waitcnt vmcnt(0)
	v_fma_f64 v[1:2], v[1:2], v[39:40], -v[41:42]
	v_fma_f64 v[3:4], v[3:4], v[39:40], v[37:38]
.LBB56_190:
	s_and_saveexec_b32 s65, s4
	s_cbranch_execz .LBB56_194
; %bb.191:
	v_subrev_nc_u32_e32 v37, 33, v0
	s_movk_i32 s66, 0x5a0
	s_mov_b32 s4, 0
	s_mov_b32 s67, s30
	.p2align	6
.LBB56_192:                             ; =>This Inner Loop Header: Depth=1
	v_mov_b32_e32 v38, s67
	v_add_nc_u32_e32 v37, -1, v37
	s_add_i32 s67, s67, 16
	s_clause 0x3
	buffer_load_dword v42, v38, s[0:3], 0 offen offset:8
	buffer_load_dword v43, v38, s[0:3], 0 offen offset:12
	buffer_load_dword v44, v38, s[0:3], 0 offen
	buffer_load_dword v45, v38, s[0:3], 0 offen offset:4
	v_mov_b32_e32 v38, s66
	v_cmp_eq_u32_e32 vcc_lo, 0, v37
	s_add_i32 s66, s66, 16
	ds_read_b128 v[38:41], v38
	s_or_b32 s4, vcc_lo, s4
	s_waitcnt vmcnt(2) lgkmcnt(0)
	v_mul_f64 v[46:47], v[40:41], v[42:43]
	v_mul_f64 v[42:43], v[38:39], v[42:43]
	s_waitcnt vmcnt(0)
	v_fma_f64 v[38:39], v[38:39], v[44:45], -v[46:47]
	v_fma_f64 v[40:41], v[40:41], v[44:45], v[42:43]
	v_add_f64 v[1:2], v[1:2], v[38:39]
	v_add_f64 v[3:4], v[3:4], v[40:41]
	s_andn2_b32 exec_lo, exec_lo, s4
	s_cbranch_execnz .LBB56_192
; %bb.193:
	s_or_b32 exec_lo, exec_lo, s4
.LBB56_194:
	s_or_b32 exec_lo, exec_lo, s65
	v_mov_b32_e32 v37, 0
	ds_read_b128 v[37:40], v37 offset:512
	s_waitcnt lgkmcnt(0)
	v_mul_f64 v[41:42], v[3:4], v[39:40]
	v_mul_f64 v[39:40], v[1:2], v[39:40]
	v_fma_f64 v[1:2], v[1:2], v[37:38], -v[41:42]
	v_fma_f64 v[3:4], v[3:4], v[37:38], v[39:40]
	buffer_store_dword v2, off, s[0:3], 0 offset:516
	buffer_store_dword v1, off, s[0:3], 0 offset:512
	;; [unrolled: 1-line block ×4, first 2 shown]
.LBB56_195:
	s_or_b32 exec_lo, exec_lo, s8
	v_mov_b32_e32 v4, s33
	v_cmp_lt_u32_e64 s4, 31, v0
	s_clause 0x3
	buffer_load_dword v1, v4, s[0:3], 0 offen
	buffer_load_dword v2, v4, s[0:3], 0 offen offset:4
	buffer_load_dword v3, v4, s[0:3], 0 offen offset:8
	;; [unrolled: 1-line block ×3, first 2 shown]
	s_waitcnt vmcnt(0)
	ds_write_b128 v36, v[1:4]
	s_waitcnt lgkmcnt(0)
	s_waitcnt_vscnt null, 0x0
	s_barrier
	buffer_gl0_inv
	s_and_saveexec_b32 s8, s4
	s_cbranch_execz .LBB56_203
; %bb.196:
	ds_read_b128 v[1:4], v36
	s_andn2_b32 vcc_lo, exec_lo, s64
	s_cbranch_vccnz .LBB56_198
; %bb.197:
	s_clause 0x3
	buffer_load_dword v37, v35, s[0:3], 0 offen offset:8
	buffer_load_dword v38, v35, s[0:3], 0 offen offset:12
	buffer_load_dword v39, v35, s[0:3], 0 offen
	buffer_load_dword v40, v35, s[0:3], 0 offen offset:4
	s_waitcnt vmcnt(2) lgkmcnt(0)
	v_mul_f64 v[41:42], v[3:4], v[37:38]
	v_mul_f64 v[37:38], v[1:2], v[37:38]
	s_waitcnt vmcnt(0)
	v_fma_f64 v[1:2], v[1:2], v[39:40], -v[41:42]
	v_fma_f64 v[3:4], v[3:4], v[39:40], v[37:38]
.LBB56_198:
	s_and_saveexec_b32 s65, s5
	s_cbranch_execz .LBB56_202
; %bb.199:
	v_subrev_nc_u32_e32 v37, 32, v0
	s_movk_i32 s66, 0x590
	s_mov_b32 s5, 0
	s_mov_b32 s67, s31
	.p2align	6
.LBB56_200:                             ; =>This Inner Loop Header: Depth=1
	v_mov_b32_e32 v38, s67
	v_add_nc_u32_e32 v37, -1, v37
	s_add_i32 s67, s67, 16
	s_clause 0x3
	buffer_load_dword v42, v38, s[0:3], 0 offen offset:8
	buffer_load_dword v43, v38, s[0:3], 0 offen offset:12
	buffer_load_dword v44, v38, s[0:3], 0 offen
	buffer_load_dword v45, v38, s[0:3], 0 offen offset:4
	v_mov_b32_e32 v38, s66
	v_cmp_eq_u32_e32 vcc_lo, 0, v37
	s_add_i32 s66, s66, 16
	ds_read_b128 v[38:41], v38
	s_or_b32 s5, vcc_lo, s5
	s_waitcnt vmcnt(2) lgkmcnt(0)
	v_mul_f64 v[46:47], v[40:41], v[42:43]
	v_mul_f64 v[42:43], v[38:39], v[42:43]
	s_waitcnt vmcnt(0)
	v_fma_f64 v[38:39], v[38:39], v[44:45], -v[46:47]
	v_fma_f64 v[40:41], v[40:41], v[44:45], v[42:43]
	v_add_f64 v[1:2], v[1:2], v[38:39]
	v_add_f64 v[3:4], v[3:4], v[40:41]
	s_andn2_b32 exec_lo, exec_lo, s5
	s_cbranch_execnz .LBB56_200
; %bb.201:
	s_or_b32 exec_lo, exec_lo, s5
.LBB56_202:
	s_or_b32 exec_lo, exec_lo, s65
	v_mov_b32_e32 v37, 0
	ds_read_b128 v[37:40], v37 offset:496
	s_waitcnt lgkmcnt(0)
	v_mul_f64 v[41:42], v[3:4], v[39:40]
	v_mul_f64 v[39:40], v[1:2], v[39:40]
	v_fma_f64 v[1:2], v[1:2], v[37:38], -v[41:42]
	v_fma_f64 v[3:4], v[3:4], v[37:38], v[39:40]
	buffer_store_dword v2, off, s[0:3], 0 offset:500
	buffer_store_dword v1, off, s[0:3], 0 offset:496
	;; [unrolled: 1-line block ×4, first 2 shown]
.LBB56_203:
	s_or_b32 exec_lo, exec_lo, s8
	v_mov_b32_e32 v4, s34
	v_cmp_lt_u32_e64 s5, 30, v0
	s_clause 0x3
	buffer_load_dword v1, v4, s[0:3], 0 offen
	buffer_load_dword v2, v4, s[0:3], 0 offen offset:4
	buffer_load_dword v3, v4, s[0:3], 0 offen offset:8
	;; [unrolled: 1-line block ×3, first 2 shown]
	s_waitcnt vmcnt(0)
	ds_write_b128 v36, v[1:4]
	s_waitcnt lgkmcnt(0)
	s_waitcnt_vscnt null, 0x0
	s_barrier
	buffer_gl0_inv
	s_and_saveexec_b32 s8, s5
	s_cbranch_execz .LBB56_211
; %bb.204:
	ds_read_b128 v[1:4], v36
	s_andn2_b32 vcc_lo, exec_lo, s64
	s_cbranch_vccnz .LBB56_206
; %bb.205:
	s_clause 0x3
	buffer_load_dword v37, v35, s[0:3], 0 offen offset:8
	buffer_load_dword v38, v35, s[0:3], 0 offen offset:12
	buffer_load_dword v39, v35, s[0:3], 0 offen
	buffer_load_dword v40, v35, s[0:3], 0 offen offset:4
	s_waitcnt vmcnt(2) lgkmcnt(0)
	v_mul_f64 v[41:42], v[3:4], v[37:38]
	v_mul_f64 v[37:38], v[1:2], v[37:38]
	s_waitcnt vmcnt(0)
	v_fma_f64 v[1:2], v[1:2], v[39:40], -v[41:42]
	v_fma_f64 v[3:4], v[3:4], v[39:40], v[37:38]
.LBB56_206:
	s_and_saveexec_b32 s65, s4
	s_cbranch_execz .LBB56_210
; %bb.207:
	v_subrev_nc_u32_e32 v37, 31, v0
	s_movk_i32 s66, 0x580
	s_mov_b32 s4, 0
	s_mov_b32 s67, s33
	.p2align	6
.LBB56_208:                             ; =>This Inner Loop Header: Depth=1
	v_mov_b32_e32 v38, s67
	v_add_nc_u32_e32 v37, -1, v37
	s_add_i32 s67, s67, 16
	s_clause 0x3
	buffer_load_dword v42, v38, s[0:3], 0 offen offset:8
	buffer_load_dword v43, v38, s[0:3], 0 offen offset:12
	buffer_load_dword v44, v38, s[0:3], 0 offen
	buffer_load_dword v45, v38, s[0:3], 0 offen offset:4
	v_mov_b32_e32 v38, s66
	v_cmp_eq_u32_e32 vcc_lo, 0, v37
	s_add_i32 s66, s66, 16
	ds_read_b128 v[38:41], v38
	s_or_b32 s4, vcc_lo, s4
	s_waitcnt vmcnt(2) lgkmcnt(0)
	v_mul_f64 v[46:47], v[40:41], v[42:43]
	v_mul_f64 v[42:43], v[38:39], v[42:43]
	s_waitcnt vmcnt(0)
	v_fma_f64 v[38:39], v[38:39], v[44:45], -v[46:47]
	v_fma_f64 v[40:41], v[40:41], v[44:45], v[42:43]
	v_add_f64 v[1:2], v[1:2], v[38:39]
	v_add_f64 v[3:4], v[3:4], v[40:41]
	s_andn2_b32 exec_lo, exec_lo, s4
	s_cbranch_execnz .LBB56_208
; %bb.209:
	s_or_b32 exec_lo, exec_lo, s4
.LBB56_210:
	s_or_b32 exec_lo, exec_lo, s65
	v_mov_b32_e32 v37, 0
	ds_read_b128 v[37:40], v37 offset:480
	s_waitcnt lgkmcnt(0)
	v_mul_f64 v[41:42], v[3:4], v[39:40]
	v_mul_f64 v[39:40], v[1:2], v[39:40]
	v_fma_f64 v[1:2], v[1:2], v[37:38], -v[41:42]
	v_fma_f64 v[3:4], v[3:4], v[37:38], v[39:40]
	buffer_store_dword v2, off, s[0:3], 0 offset:484
	buffer_store_dword v1, off, s[0:3], 0 offset:480
	;; [unrolled: 1-line block ×4, first 2 shown]
.LBB56_211:
	s_or_b32 exec_lo, exec_lo, s8
	v_mov_b32_e32 v4, s35
	v_cmp_lt_u32_e64 s4, 29, v0
	s_clause 0x3
	buffer_load_dword v1, v4, s[0:3], 0 offen
	buffer_load_dword v2, v4, s[0:3], 0 offen offset:4
	buffer_load_dword v3, v4, s[0:3], 0 offen offset:8
	;; [unrolled: 1-line block ×3, first 2 shown]
	s_waitcnt vmcnt(0)
	ds_write_b128 v36, v[1:4]
	s_waitcnt lgkmcnt(0)
	s_waitcnt_vscnt null, 0x0
	s_barrier
	buffer_gl0_inv
	s_and_saveexec_b32 s8, s4
	s_cbranch_execz .LBB56_219
; %bb.212:
	ds_read_b128 v[1:4], v36
	s_andn2_b32 vcc_lo, exec_lo, s64
	s_cbranch_vccnz .LBB56_214
; %bb.213:
	s_clause 0x3
	buffer_load_dword v37, v35, s[0:3], 0 offen offset:8
	buffer_load_dword v38, v35, s[0:3], 0 offen offset:12
	buffer_load_dword v39, v35, s[0:3], 0 offen
	buffer_load_dword v40, v35, s[0:3], 0 offen offset:4
	s_waitcnt vmcnt(2) lgkmcnt(0)
	v_mul_f64 v[41:42], v[3:4], v[37:38]
	v_mul_f64 v[37:38], v[1:2], v[37:38]
	s_waitcnt vmcnt(0)
	v_fma_f64 v[1:2], v[1:2], v[39:40], -v[41:42]
	v_fma_f64 v[3:4], v[3:4], v[39:40], v[37:38]
.LBB56_214:
	s_and_saveexec_b32 s65, s5
	s_cbranch_execz .LBB56_218
; %bb.215:
	v_subrev_nc_u32_e32 v37, 30, v0
	s_movk_i32 s66, 0x570
	s_mov_b32 s5, 0
	s_mov_b32 s67, s34
	.p2align	6
.LBB56_216:                             ; =>This Inner Loop Header: Depth=1
	v_mov_b32_e32 v38, s67
	v_add_nc_u32_e32 v37, -1, v37
	s_add_i32 s67, s67, 16
	s_clause 0x3
	buffer_load_dword v42, v38, s[0:3], 0 offen offset:8
	buffer_load_dword v43, v38, s[0:3], 0 offen offset:12
	buffer_load_dword v44, v38, s[0:3], 0 offen
	buffer_load_dword v45, v38, s[0:3], 0 offen offset:4
	v_mov_b32_e32 v38, s66
	v_cmp_eq_u32_e32 vcc_lo, 0, v37
	s_add_i32 s66, s66, 16
	ds_read_b128 v[38:41], v38
	s_or_b32 s5, vcc_lo, s5
	s_waitcnt vmcnt(2) lgkmcnt(0)
	v_mul_f64 v[46:47], v[40:41], v[42:43]
	v_mul_f64 v[42:43], v[38:39], v[42:43]
	s_waitcnt vmcnt(0)
	v_fma_f64 v[38:39], v[38:39], v[44:45], -v[46:47]
	v_fma_f64 v[40:41], v[40:41], v[44:45], v[42:43]
	v_add_f64 v[1:2], v[1:2], v[38:39]
	v_add_f64 v[3:4], v[3:4], v[40:41]
	s_andn2_b32 exec_lo, exec_lo, s5
	s_cbranch_execnz .LBB56_216
; %bb.217:
	s_or_b32 exec_lo, exec_lo, s5
.LBB56_218:
	s_or_b32 exec_lo, exec_lo, s65
	v_mov_b32_e32 v37, 0
	ds_read_b128 v[37:40], v37 offset:464
	s_waitcnt lgkmcnt(0)
	v_mul_f64 v[41:42], v[3:4], v[39:40]
	v_mul_f64 v[39:40], v[1:2], v[39:40]
	v_fma_f64 v[1:2], v[1:2], v[37:38], -v[41:42]
	v_fma_f64 v[3:4], v[3:4], v[37:38], v[39:40]
	buffer_store_dword v2, off, s[0:3], 0 offset:468
	buffer_store_dword v1, off, s[0:3], 0 offset:464
	;; [unrolled: 1-line block ×4, first 2 shown]
.LBB56_219:
	s_or_b32 exec_lo, exec_lo, s8
	v_mov_b32_e32 v4, s36
	v_cmp_lt_u32_e64 s5, 28, v0
	s_clause 0x3
	buffer_load_dword v1, v4, s[0:3], 0 offen
	buffer_load_dword v2, v4, s[0:3], 0 offen offset:4
	buffer_load_dword v3, v4, s[0:3], 0 offen offset:8
	;; [unrolled: 1-line block ×3, first 2 shown]
	s_waitcnt vmcnt(0)
	ds_write_b128 v36, v[1:4]
	s_waitcnt lgkmcnt(0)
	s_waitcnt_vscnt null, 0x0
	s_barrier
	buffer_gl0_inv
	s_and_saveexec_b32 s8, s5
	s_cbranch_execz .LBB56_227
; %bb.220:
	ds_read_b128 v[1:4], v36
	s_andn2_b32 vcc_lo, exec_lo, s64
	s_cbranch_vccnz .LBB56_222
; %bb.221:
	s_clause 0x3
	buffer_load_dword v37, v35, s[0:3], 0 offen offset:8
	buffer_load_dword v38, v35, s[0:3], 0 offen offset:12
	buffer_load_dword v39, v35, s[0:3], 0 offen
	buffer_load_dword v40, v35, s[0:3], 0 offen offset:4
	s_waitcnt vmcnt(2) lgkmcnt(0)
	v_mul_f64 v[41:42], v[3:4], v[37:38]
	v_mul_f64 v[37:38], v[1:2], v[37:38]
	s_waitcnt vmcnt(0)
	v_fma_f64 v[1:2], v[1:2], v[39:40], -v[41:42]
	v_fma_f64 v[3:4], v[3:4], v[39:40], v[37:38]
.LBB56_222:
	s_and_saveexec_b32 s65, s4
	s_cbranch_execz .LBB56_226
; %bb.223:
	v_subrev_nc_u32_e32 v37, 29, v0
	s_movk_i32 s66, 0x560
	s_mov_b32 s4, 0
	s_mov_b32 s67, s35
	.p2align	6
.LBB56_224:                             ; =>This Inner Loop Header: Depth=1
	v_mov_b32_e32 v38, s67
	v_add_nc_u32_e32 v37, -1, v37
	s_add_i32 s67, s67, 16
	s_clause 0x3
	buffer_load_dword v42, v38, s[0:3], 0 offen offset:8
	buffer_load_dword v43, v38, s[0:3], 0 offen offset:12
	buffer_load_dword v44, v38, s[0:3], 0 offen
	buffer_load_dword v45, v38, s[0:3], 0 offen offset:4
	v_mov_b32_e32 v38, s66
	v_cmp_eq_u32_e32 vcc_lo, 0, v37
	s_add_i32 s66, s66, 16
	ds_read_b128 v[38:41], v38
	s_or_b32 s4, vcc_lo, s4
	s_waitcnt vmcnt(2) lgkmcnt(0)
	v_mul_f64 v[46:47], v[40:41], v[42:43]
	v_mul_f64 v[42:43], v[38:39], v[42:43]
	s_waitcnt vmcnt(0)
	v_fma_f64 v[38:39], v[38:39], v[44:45], -v[46:47]
	v_fma_f64 v[40:41], v[40:41], v[44:45], v[42:43]
	v_add_f64 v[1:2], v[1:2], v[38:39]
	v_add_f64 v[3:4], v[3:4], v[40:41]
	s_andn2_b32 exec_lo, exec_lo, s4
	s_cbranch_execnz .LBB56_224
; %bb.225:
	s_or_b32 exec_lo, exec_lo, s4
.LBB56_226:
	s_or_b32 exec_lo, exec_lo, s65
	v_mov_b32_e32 v37, 0
	ds_read_b128 v[37:40], v37 offset:448
	s_waitcnt lgkmcnt(0)
	v_mul_f64 v[41:42], v[3:4], v[39:40]
	v_mul_f64 v[39:40], v[1:2], v[39:40]
	v_fma_f64 v[1:2], v[1:2], v[37:38], -v[41:42]
	v_fma_f64 v[3:4], v[3:4], v[37:38], v[39:40]
	buffer_store_dword v2, off, s[0:3], 0 offset:452
	buffer_store_dword v1, off, s[0:3], 0 offset:448
	;; [unrolled: 1-line block ×4, first 2 shown]
.LBB56_227:
	s_or_b32 exec_lo, exec_lo, s8
	v_mov_b32_e32 v4, s37
	v_cmp_lt_u32_e64 s4, 27, v0
	s_clause 0x3
	buffer_load_dword v1, v4, s[0:3], 0 offen
	buffer_load_dword v2, v4, s[0:3], 0 offen offset:4
	buffer_load_dword v3, v4, s[0:3], 0 offen offset:8
	;; [unrolled: 1-line block ×3, first 2 shown]
	s_waitcnt vmcnt(0)
	ds_write_b128 v36, v[1:4]
	s_waitcnt lgkmcnt(0)
	s_waitcnt_vscnt null, 0x0
	s_barrier
	buffer_gl0_inv
	s_and_saveexec_b32 s8, s4
	s_cbranch_execz .LBB56_235
; %bb.228:
	ds_read_b128 v[1:4], v36
	s_andn2_b32 vcc_lo, exec_lo, s64
	s_cbranch_vccnz .LBB56_230
; %bb.229:
	s_clause 0x3
	buffer_load_dword v37, v35, s[0:3], 0 offen offset:8
	buffer_load_dword v38, v35, s[0:3], 0 offen offset:12
	buffer_load_dword v39, v35, s[0:3], 0 offen
	buffer_load_dword v40, v35, s[0:3], 0 offen offset:4
	s_waitcnt vmcnt(2) lgkmcnt(0)
	v_mul_f64 v[41:42], v[3:4], v[37:38]
	v_mul_f64 v[37:38], v[1:2], v[37:38]
	s_waitcnt vmcnt(0)
	v_fma_f64 v[1:2], v[1:2], v[39:40], -v[41:42]
	v_fma_f64 v[3:4], v[3:4], v[39:40], v[37:38]
.LBB56_230:
	s_and_saveexec_b32 s65, s5
	s_cbranch_execz .LBB56_234
; %bb.231:
	v_subrev_nc_u32_e32 v37, 28, v0
	s_movk_i32 s66, 0x550
	s_mov_b32 s5, 0
	s_mov_b32 s67, s36
	.p2align	6
.LBB56_232:                             ; =>This Inner Loop Header: Depth=1
	v_mov_b32_e32 v38, s67
	v_add_nc_u32_e32 v37, -1, v37
	s_add_i32 s67, s67, 16
	s_clause 0x3
	buffer_load_dword v42, v38, s[0:3], 0 offen offset:8
	buffer_load_dword v43, v38, s[0:3], 0 offen offset:12
	buffer_load_dword v44, v38, s[0:3], 0 offen
	buffer_load_dword v45, v38, s[0:3], 0 offen offset:4
	v_mov_b32_e32 v38, s66
	v_cmp_eq_u32_e32 vcc_lo, 0, v37
	s_add_i32 s66, s66, 16
	ds_read_b128 v[38:41], v38
	s_or_b32 s5, vcc_lo, s5
	s_waitcnt vmcnt(2) lgkmcnt(0)
	v_mul_f64 v[46:47], v[40:41], v[42:43]
	v_mul_f64 v[42:43], v[38:39], v[42:43]
	s_waitcnt vmcnt(0)
	v_fma_f64 v[38:39], v[38:39], v[44:45], -v[46:47]
	v_fma_f64 v[40:41], v[40:41], v[44:45], v[42:43]
	v_add_f64 v[1:2], v[1:2], v[38:39]
	v_add_f64 v[3:4], v[3:4], v[40:41]
	s_andn2_b32 exec_lo, exec_lo, s5
	s_cbranch_execnz .LBB56_232
; %bb.233:
	s_or_b32 exec_lo, exec_lo, s5
.LBB56_234:
	s_or_b32 exec_lo, exec_lo, s65
	v_mov_b32_e32 v37, 0
	ds_read_b128 v[37:40], v37 offset:432
	s_waitcnt lgkmcnt(0)
	v_mul_f64 v[41:42], v[3:4], v[39:40]
	v_mul_f64 v[39:40], v[1:2], v[39:40]
	v_fma_f64 v[1:2], v[1:2], v[37:38], -v[41:42]
	v_fma_f64 v[3:4], v[3:4], v[37:38], v[39:40]
	buffer_store_dword v2, off, s[0:3], 0 offset:436
	buffer_store_dword v1, off, s[0:3], 0 offset:432
	;; [unrolled: 1-line block ×4, first 2 shown]
.LBB56_235:
	s_or_b32 exec_lo, exec_lo, s8
	v_mov_b32_e32 v4, s38
	v_cmp_lt_u32_e64 s5, 26, v0
	s_clause 0x3
	buffer_load_dword v1, v4, s[0:3], 0 offen
	buffer_load_dword v2, v4, s[0:3], 0 offen offset:4
	buffer_load_dword v3, v4, s[0:3], 0 offen offset:8
	;; [unrolled: 1-line block ×3, first 2 shown]
	s_waitcnt vmcnt(0)
	ds_write_b128 v36, v[1:4]
	s_waitcnt lgkmcnt(0)
	s_waitcnt_vscnt null, 0x0
	s_barrier
	buffer_gl0_inv
	s_and_saveexec_b32 s8, s5
	s_cbranch_execz .LBB56_243
; %bb.236:
	ds_read_b128 v[1:4], v36
	s_andn2_b32 vcc_lo, exec_lo, s64
	s_cbranch_vccnz .LBB56_238
; %bb.237:
	s_clause 0x3
	buffer_load_dword v37, v35, s[0:3], 0 offen offset:8
	buffer_load_dword v38, v35, s[0:3], 0 offen offset:12
	buffer_load_dword v39, v35, s[0:3], 0 offen
	buffer_load_dword v40, v35, s[0:3], 0 offen offset:4
	s_waitcnt vmcnt(2) lgkmcnt(0)
	v_mul_f64 v[41:42], v[3:4], v[37:38]
	v_mul_f64 v[37:38], v[1:2], v[37:38]
	s_waitcnt vmcnt(0)
	v_fma_f64 v[1:2], v[1:2], v[39:40], -v[41:42]
	v_fma_f64 v[3:4], v[3:4], v[39:40], v[37:38]
.LBB56_238:
	s_and_saveexec_b32 s65, s4
	s_cbranch_execz .LBB56_242
; %bb.239:
	v_subrev_nc_u32_e32 v37, 27, v0
	s_movk_i32 s66, 0x540
	s_mov_b32 s4, 0
	s_mov_b32 s67, s37
	.p2align	6
.LBB56_240:                             ; =>This Inner Loop Header: Depth=1
	v_mov_b32_e32 v38, s67
	v_add_nc_u32_e32 v37, -1, v37
	s_add_i32 s67, s67, 16
	s_clause 0x3
	buffer_load_dword v42, v38, s[0:3], 0 offen offset:8
	buffer_load_dword v43, v38, s[0:3], 0 offen offset:12
	buffer_load_dword v44, v38, s[0:3], 0 offen
	buffer_load_dword v45, v38, s[0:3], 0 offen offset:4
	v_mov_b32_e32 v38, s66
	v_cmp_eq_u32_e32 vcc_lo, 0, v37
	s_add_i32 s66, s66, 16
	ds_read_b128 v[38:41], v38
	s_or_b32 s4, vcc_lo, s4
	s_waitcnt vmcnt(2) lgkmcnt(0)
	v_mul_f64 v[46:47], v[40:41], v[42:43]
	v_mul_f64 v[42:43], v[38:39], v[42:43]
	s_waitcnt vmcnt(0)
	v_fma_f64 v[38:39], v[38:39], v[44:45], -v[46:47]
	v_fma_f64 v[40:41], v[40:41], v[44:45], v[42:43]
	v_add_f64 v[1:2], v[1:2], v[38:39]
	v_add_f64 v[3:4], v[3:4], v[40:41]
	s_andn2_b32 exec_lo, exec_lo, s4
	s_cbranch_execnz .LBB56_240
; %bb.241:
	s_or_b32 exec_lo, exec_lo, s4
.LBB56_242:
	s_or_b32 exec_lo, exec_lo, s65
	v_mov_b32_e32 v37, 0
	ds_read_b128 v[37:40], v37 offset:416
	s_waitcnt lgkmcnt(0)
	v_mul_f64 v[41:42], v[3:4], v[39:40]
	v_mul_f64 v[39:40], v[1:2], v[39:40]
	v_fma_f64 v[1:2], v[1:2], v[37:38], -v[41:42]
	v_fma_f64 v[3:4], v[3:4], v[37:38], v[39:40]
	buffer_store_dword v2, off, s[0:3], 0 offset:420
	buffer_store_dword v1, off, s[0:3], 0 offset:416
	;; [unrolled: 1-line block ×4, first 2 shown]
.LBB56_243:
	s_or_b32 exec_lo, exec_lo, s8
	v_mov_b32_e32 v4, s39
	v_cmp_lt_u32_e64 s4, 25, v0
	s_clause 0x3
	buffer_load_dword v1, v4, s[0:3], 0 offen
	buffer_load_dword v2, v4, s[0:3], 0 offen offset:4
	buffer_load_dword v3, v4, s[0:3], 0 offen offset:8
	;; [unrolled: 1-line block ×3, first 2 shown]
	s_waitcnt vmcnt(0)
	ds_write_b128 v36, v[1:4]
	s_waitcnt lgkmcnt(0)
	s_waitcnt_vscnt null, 0x0
	s_barrier
	buffer_gl0_inv
	s_and_saveexec_b32 s8, s4
	s_cbranch_execz .LBB56_251
; %bb.244:
	ds_read_b128 v[1:4], v36
	s_andn2_b32 vcc_lo, exec_lo, s64
	s_cbranch_vccnz .LBB56_246
; %bb.245:
	s_clause 0x3
	buffer_load_dword v37, v35, s[0:3], 0 offen offset:8
	buffer_load_dword v38, v35, s[0:3], 0 offen offset:12
	buffer_load_dword v39, v35, s[0:3], 0 offen
	buffer_load_dword v40, v35, s[0:3], 0 offen offset:4
	s_waitcnt vmcnt(2) lgkmcnt(0)
	v_mul_f64 v[41:42], v[3:4], v[37:38]
	v_mul_f64 v[37:38], v[1:2], v[37:38]
	s_waitcnt vmcnt(0)
	v_fma_f64 v[1:2], v[1:2], v[39:40], -v[41:42]
	v_fma_f64 v[3:4], v[3:4], v[39:40], v[37:38]
.LBB56_246:
	s_and_saveexec_b32 s65, s5
	s_cbranch_execz .LBB56_250
; %bb.247:
	v_subrev_nc_u32_e32 v37, 26, v0
	s_movk_i32 s66, 0x530
	s_mov_b32 s5, 0
	s_mov_b32 s67, s38
	.p2align	6
.LBB56_248:                             ; =>This Inner Loop Header: Depth=1
	v_mov_b32_e32 v38, s67
	v_add_nc_u32_e32 v37, -1, v37
	s_add_i32 s67, s67, 16
	s_clause 0x3
	buffer_load_dword v42, v38, s[0:3], 0 offen offset:8
	buffer_load_dword v43, v38, s[0:3], 0 offen offset:12
	buffer_load_dword v44, v38, s[0:3], 0 offen
	buffer_load_dword v45, v38, s[0:3], 0 offen offset:4
	v_mov_b32_e32 v38, s66
	v_cmp_eq_u32_e32 vcc_lo, 0, v37
	s_add_i32 s66, s66, 16
	ds_read_b128 v[38:41], v38
	s_or_b32 s5, vcc_lo, s5
	s_waitcnt vmcnt(2) lgkmcnt(0)
	v_mul_f64 v[46:47], v[40:41], v[42:43]
	v_mul_f64 v[42:43], v[38:39], v[42:43]
	s_waitcnt vmcnt(0)
	v_fma_f64 v[38:39], v[38:39], v[44:45], -v[46:47]
	v_fma_f64 v[40:41], v[40:41], v[44:45], v[42:43]
	v_add_f64 v[1:2], v[1:2], v[38:39]
	v_add_f64 v[3:4], v[3:4], v[40:41]
	s_andn2_b32 exec_lo, exec_lo, s5
	s_cbranch_execnz .LBB56_248
; %bb.249:
	s_or_b32 exec_lo, exec_lo, s5
.LBB56_250:
	s_or_b32 exec_lo, exec_lo, s65
	v_mov_b32_e32 v37, 0
	ds_read_b128 v[37:40], v37 offset:400
	s_waitcnt lgkmcnt(0)
	v_mul_f64 v[41:42], v[3:4], v[39:40]
	v_mul_f64 v[39:40], v[1:2], v[39:40]
	v_fma_f64 v[1:2], v[1:2], v[37:38], -v[41:42]
	v_fma_f64 v[3:4], v[3:4], v[37:38], v[39:40]
	buffer_store_dword v2, off, s[0:3], 0 offset:404
	buffer_store_dword v1, off, s[0:3], 0 offset:400
	;; [unrolled: 1-line block ×4, first 2 shown]
.LBB56_251:
	s_or_b32 exec_lo, exec_lo, s8
	v_mov_b32_e32 v4, s40
	v_cmp_lt_u32_e64 s5, 24, v0
	s_clause 0x3
	buffer_load_dword v1, v4, s[0:3], 0 offen
	buffer_load_dword v2, v4, s[0:3], 0 offen offset:4
	buffer_load_dword v3, v4, s[0:3], 0 offen offset:8
	;; [unrolled: 1-line block ×3, first 2 shown]
	s_waitcnt vmcnt(0)
	ds_write_b128 v36, v[1:4]
	s_waitcnt lgkmcnt(0)
	s_waitcnt_vscnt null, 0x0
	s_barrier
	buffer_gl0_inv
	s_and_saveexec_b32 s8, s5
	s_cbranch_execz .LBB56_259
; %bb.252:
	ds_read_b128 v[1:4], v36
	s_andn2_b32 vcc_lo, exec_lo, s64
	s_cbranch_vccnz .LBB56_254
; %bb.253:
	s_clause 0x3
	buffer_load_dword v37, v35, s[0:3], 0 offen offset:8
	buffer_load_dword v38, v35, s[0:3], 0 offen offset:12
	buffer_load_dword v39, v35, s[0:3], 0 offen
	buffer_load_dword v40, v35, s[0:3], 0 offen offset:4
	s_waitcnt vmcnt(2) lgkmcnt(0)
	v_mul_f64 v[41:42], v[3:4], v[37:38]
	v_mul_f64 v[37:38], v[1:2], v[37:38]
	s_waitcnt vmcnt(0)
	v_fma_f64 v[1:2], v[1:2], v[39:40], -v[41:42]
	v_fma_f64 v[3:4], v[3:4], v[39:40], v[37:38]
.LBB56_254:
	s_and_saveexec_b32 s65, s4
	s_cbranch_execz .LBB56_258
; %bb.255:
	v_subrev_nc_u32_e32 v37, 25, v0
	s_movk_i32 s66, 0x520
	s_mov_b32 s4, 0
	s_mov_b32 s67, s39
	.p2align	6
.LBB56_256:                             ; =>This Inner Loop Header: Depth=1
	v_mov_b32_e32 v38, s67
	v_add_nc_u32_e32 v37, -1, v37
	s_add_i32 s67, s67, 16
	s_clause 0x3
	buffer_load_dword v42, v38, s[0:3], 0 offen offset:8
	buffer_load_dword v43, v38, s[0:3], 0 offen offset:12
	buffer_load_dword v44, v38, s[0:3], 0 offen
	buffer_load_dword v45, v38, s[0:3], 0 offen offset:4
	v_mov_b32_e32 v38, s66
	v_cmp_eq_u32_e32 vcc_lo, 0, v37
	s_add_i32 s66, s66, 16
	ds_read_b128 v[38:41], v38
	s_or_b32 s4, vcc_lo, s4
	s_waitcnt vmcnt(2) lgkmcnt(0)
	v_mul_f64 v[46:47], v[40:41], v[42:43]
	v_mul_f64 v[42:43], v[38:39], v[42:43]
	s_waitcnt vmcnt(0)
	v_fma_f64 v[38:39], v[38:39], v[44:45], -v[46:47]
	v_fma_f64 v[40:41], v[40:41], v[44:45], v[42:43]
	v_add_f64 v[1:2], v[1:2], v[38:39]
	v_add_f64 v[3:4], v[3:4], v[40:41]
	s_andn2_b32 exec_lo, exec_lo, s4
	s_cbranch_execnz .LBB56_256
; %bb.257:
	s_or_b32 exec_lo, exec_lo, s4
.LBB56_258:
	s_or_b32 exec_lo, exec_lo, s65
	v_mov_b32_e32 v37, 0
	ds_read_b128 v[37:40], v37 offset:384
	s_waitcnt lgkmcnt(0)
	v_mul_f64 v[41:42], v[3:4], v[39:40]
	v_mul_f64 v[39:40], v[1:2], v[39:40]
	v_fma_f64 v[1:2], v[1:2], v[37:38], -v[41:42]
	v_fma_f64 v[3:4], v[3:4], v[37:38], v[39:40]
	buffer_store_dword v2, off, s[0:3], 0 offset:388
	buffer_store_dword v1, off, s[0:3], 0 offset:384
	;; [unrolled: 1-line block ×4, first 2 shown]
.LBB56_259:
	s_or_b32 exec_lo, exec_lo, s8
	v_mov_b32_e32 v4, s41
	v_cmp_lt_u32_e64 s4, 23, v0
	s_clause 0x3
	buffer_load_dword v1, v4, s[0:3], 0 offen
	buffer_load_dword v2, v4, s[0:3], 0 offen offset:4
	buffer_load_dword v3, v4, s[0:3], 0 offen offset:8
	;; [unrolled: 1-line block ×3, first 2 shown]
	s_waitcnt vmcnt(0)
	ds_write_b128 v36, v[1:4]
	s_waitcnt lgkmcnt(0)
	s_waitcnt_vscnt null, 0x0
	s_barrier
	buffer_gl0_inv
	s_and_saveexec_b32 s8, s4
	s_cbranch_execz .LBB56_267
; %bb.260:
	ds_read_b128 v[1:4], v36
	s_andn2_b32 vcc_lo, exec_lo, s64
	s_cbranch_vccnz .LBB56_262
; %bb.261:
	s_clause 0x3
	buffer_load_dword v37, v35, s[0:3], 0 offen offset:8
	buffer_load_dword v38, v35, s[0:3], 0 offen offset:12
	buffer_load_dword v39, v35, s[0:3], 0 offen
	buffer_load_dword v40, v35, s[0:3], 0 offen offset:4
	s_waitcnt vmcnt(2) lgkmcnt(0)
	v_mul_f64 v[41:42], v[3:4], v[37:38]
	v_mul_f64 v[37:38], v[1:2], v[37:38]
	s_waitcnt vmcnt(0)
	v_fma_f64 v[1:2], v[1:2], v[39:40], -v[41:42]
	v_fma_f64 v[3:4], v[3:4], v[39:40], v[37:38]
.LBB56_262:
	s_and_saveexec_b32 s65, s5
	s_cbranch_execz .LBB56_266
; %bb.263:
	v_subrev_nc_u32_e32 v37, 24, v0
	s_movk_i32 s66, 0x510
	s_mov_b32 s5, 0
	s_mov_b32 s67, s40
	.p2align	6
.LBB56_264:                             ; =>This Inner Loop Header: Depth=1
	v_mov_b32_e32 v38, s67
	v_add_nc_u32_e32 v37, -1, v37
	s_add_i32 s67, s67, 16
	s_clause 0x3
	buffer_load_dword v42, v38, s[0:3], 0 offen offset:8
	buffer_load_dword v43, v38, s[0:3], 0 offen offset:12
	buffer_load_dword v44, v38, s[0:3], 0 offen
	buffer_load_dword v45, v38, s[0:3], 0 offen offset:4
	v_mov_b32_e32 v38, s66
	v_cmp_eq_u32_e32 vcc_lo, 0, v37
	s_add_i32 s66, s66, 16
	ds_read_b128 v[38:41], v38
	s_or_b32 s5, vcc_lo, s5
	s_waitcnt vmcnt(2) lgkmcnt(0)
	v_mul_f64 v[46:47], v[40:41], v[42:43]
	v_mul_f64 v[42:43], v[38:39], v[42:43]
	s_waitcnt vmcnt(0)
	v_fma_f64 v[38:39], v[38:39], v[44:45], -v[46:47]
	v_fma_f64 v[40:41], v[40:41], v[44:45], v[42:43]
	v_add_f64 v[1:2], v[1:2], v[38:39]
	v_add_f64 v[3:4], v[3:4], v[40:41]
	s_andn2_b32 exec_lo, exec_lo, s5
	s_cbranch_execnz .LBB56_264
; %bb.265:
	s_or_b32 exec_lo, exec_lo, s5
.LBB56_266:
	s_or_b32 exec_lo, exec_lo, s65
	v_mov_b32_e32 v37, 0
	ds_read_b128 v[37:40], v37 offset:368
	s_waitcnt lgkmcnt(0)
	v_mul_f64 v[41:42], v[3:4], v[39:40]
	v_mul_f64 v[39:40], v[1:2], v[39:40]
	v_fma_f64 v[1:2], v[1:2], v[37:38], -v[41:42]
	v_fma_f64 v[3:4], v[3:4], v[37:38], v[39:40]
	buffer_store_dword v2, off, s[0:3], 0 offset:372
	buffer_store_dword v1, off, s[0:3], 0 offset:368
	;; [unrolled: 1-line block ×4, first 2 shown]
.LBB56_267:
	s_or_b32 exec_lo, exec_lo, s8
	v_mov_b32_e32 v4, s42
	v_cmp_lt_u32_e64 s5, 22, v0
	s_clause 0x3
	buffer_load_dword v1, v4, s[0:3], 0 offen
	buffer_load_dword v2, v4, s[0:3], 0 offen offset:4
	buffer_load_dword v3, v4, s[0:3], 0 offen offset:8
	;; [unrolled: 1-line block ×3, first 2 shown]
	s_waitcnt vmcnt(0)
	ds_write_b128 v36, v[1:4]
	s_waitcnt lgkmcnt(0)
	s_waitcnt_vscnt null, 0x0
	s_barrier
	buffer_gl0_inv
	s_and_saveexec_b32 s8, s5
	s_cbranch_execz .LBB56_275
; %bb.268:
	ds_read_b128 v[1:4], v36
	s_andn2_b32 vcc_lo, exec_lo, s64
	s_cbranch_vccnz .LBB56_270
; %bb.269:
	s_clause 0x3
	buffer_load_dword v37, v35, s[0:3], 0 offen offset:8
	buffer_load_dword v38, v35, s[0:3], 0 offen offset:12
	buffer_load_dword v39, v35, s[0:3], 0 offen
	buffer_load_dword v40, v35, s[0:3], 0 offen offset:4
	s_waitcnt vmcnt(2) lgkmcnt(0)
	v_mul_f64 v[41:42], v[3:4], v[37:38]
	v_mul_f64 v[37:38], v[1:2], v[37:38]
	s_waitcnt vmcnt(0)
	v_fma_f64 v[1:2], v[1:2], v[39:40], -v[41:42]
	v_fma_f64 v[3:4], v[3:4], v[39:40], v[37:38]
.LBB56_270:
	s_and_saveexec_b32 s65, s4
	s_cbranch_execz .LBB56_274
; %bb.271:
	v_subrev_nc_u32_e32 v37, 23, v0
	s_movk_i32 s66, 0x500
	s_mov_b32 s4, 0
	s_mov_b32 s67, s41
	.p2align	6
.LBB56_272:                             ; =>This Inner Loop Header: Depth=1
	v_mov_b32_e32 v38, s67
	v_add_nc_u32_e32 v37, -1, v37
	s_add_i32 s67, s67, 16
	s_clause 0x3
	buffer_load_dword v42, v38, s[0:3], 0 offen offset:8
	buffer_load_dword v43, v38, s[0:3], 0 offen offset:12
	buffer_load_dword v44, v38, s[0:3], 0 offen
	buffer_load_dword v45, v38, s[0:3], 0 offen offset:4
	v_mov_b32_e32 v38, s66
	v_cmp_eq_u32_e32 vcc_lo, 0, v37
	s_add_i32 s66, s66, 16
	ds_read_b128 v[38:41], v38
	s_or_b32 s4, vcc_lo, s4
	s_waitcnt vmcnt(2) lgkmcnt(0)
	v_mul_f64 v[46:47], v[40:41], v[42:43]
	v_mul_f64 v[42:43], v[38:39], v[42:43]
	s_waitcnt vmcnt(0)
	v_fma_f64 v[38:39], v[38:39], v[44:45], -v[46:47]
	v_fma_f64 v[40:41], v[40:41], v[44:45], v[42:43]
	v_add_f64 v[1:2], v[1:2], v[38:39]
	v_add_f64 v[3:4], v[3:4], v[40:41]
	s_andn2_b32 exec_lo, exec_lo, s4
	s_cbranch_execnz .LBB56_272
; %bb.273:
	s_or_b32 exec_lo, exec_lo, s4
.LBB56_274:
	s_or_b32 exec_lo, exec_lo, s65
	v_mov_b32_e32 v37, 0
	ds_read_b128 v[37:40], v37 offset:352
	s_waitcnt lgkmcnt(0)
	v_mul_f64 v[41:42], v[3:4], v[39:40]
	v_mul_f64 v[39:40], v[1:2], v[39:40]
	v_fma_f64 v[1:2], v[1:2], v[37:38], -v[41:42]
	v_fma_f64 v[3:4], v[3:4], v[37:38], v[39:40]
	buffer_store_dword v2, off, s[0:3], 0 offset:356
	buffer_store_dword v1, off, s[0:3], 0 offset:352
	;; [unrolled: 1-line block ×4, first 2 shown]
.LBB56_275:
	s_or_b32 exec_lo, exec_lo, s8
	v_mov_b32_e32 v4, s43
	v_cmp_lt_u32_e64 s4, 21, v0
	s_clause 0x3
	buffer_load_dword v1, v4, s[0:3], 0 offen
	buffer_load_dword v2, v4, s[0:3], 0 offen offset:4
	buffer_load_dword v3, v4, s[0:3], 0 offen offset:8
	;; [unrolled: 1-line block ×3, first 2 shown]
	s_waitcnt vmcnt(0)
	ds_write_b128 v36, v[1:4]
	s_waitcnt lgkmcnt(0)
	s_waitcnt_vscnt null, 0x0
	s_barrier
	buffer_gl0_inv
	s_and_saveexec_b32 s8, s4
	s_cbranch_execz .LBB56_283
; %bb.276:
	ds_read_b128 v[1:4], v36
	s_andn2_b32 vcc_lo, exec_lo, s64
	s_cbranch_vccnz .LBB56_278
; %bb.277:
	s_clause 0x3
	buffer_load_dword v37, v35, s[0:3], 0 offen offset:8
	buffer_load_dword v38, v35, s[0:3], 0 offen offset:12
	buffer_load_dword v39, v35, s[0:3], 0 offen
	buffer_load_dword v40, v35, s[0:3], 0 offen offset:4
	s_waitcnt vmcnt(2) lgkmcnt(0)
	v_mul_f64 v[41:42], v[3:4], v[37:38]
	v_mul_f64 v[37:38], v[1:2], v[37:38]
	s_waitcnt vmcnt(0)
	v_fma_f64 v[1:2], v[1:2], v[39:40], -v[41:42]
	v_fma_f64 v[3:4], v[3:4], v[39:40], v[37:38]
.LBB56_278:
	s_and_saveexec_b32 s65, s5
	s_cbranch_execz .LBB56_282
; %bb.279:
	v_subrev_nc_u32_e32 v37, 22, v0
	s_movk_i32 s66, 0x4f0
	s_mov_b32 s5, 0
	s_mov_b32 s67, s42
	.p2align	6
.LBB56_280:                             ; =>This Inner Loop Header: Depth=1
	v_mov_b32_e32 v38, s67
	v_add_nc_u32_e32 v37, -1, v37
	s_add_i32 s67, s67, 16
	s_clause 0x3
	buffer_load_dword v42, v38, s[0:3], 0 offen offset:8
	buffer_load_dword v43, v38, s[0:3], 0 offen offset:12
	buffer_load_dword v44, v38, s[0:3], 0 offen
	buffer_load_dword v45, v38, s[0:3], 0 offen offset:4
	v_mov_b32_e32 v38, s66
	v_cmp_eq_u32_e32 vcc_lo, 0, v37
	s_add_i32 s66, s66, 16
	ds_read_b128 v[38:41], v38
	s_or_b32 s5, vcc_lo, s5
	s_waitcnt vmcnt(2) lgkmcnt(0)
	v_mul_f64 v[46:47], v[40:41], v[42:43]
	v_mul_f64 v[42:43], v[38:39], v[42:43]
	s_waitcnt vmcnt(0)
	v_fma_f64 v[38:39], v[38:39], v[44:45], -v[46:47]
	v_fma_f64 v[40:41], v[40:41], v[44:45], v[42:43]
	v_add_f64 v[1:2], v[1:2], v[38:39]
	v_add_f64 v[3:4], v[3:4], v[40:41]
	s_andn2_b32 exec_lo, exec_lo, s5
	s_cbranch_execnz .LBB56_280
; %bb.281:
	s_or_b32 exec_lo, exec_lo, s5
.LBB56_282:
	s_or_b32 exec_lo, exec_lo, s65
	v_mov_b32_e32 v37, 0
	ds_read_b128 v[37:40], v37 offset:336
	s_waitcnt lgkmcnt(0)
	v_mul_f64 v[41:42], v[3:4], v[39:40]
	v_mul_f64 v[39:40], v[1:2], v[39:40]
	v_fma_f64 v[1:2], v[1:2], v[37:38], -v[41:42]
	v_fma_f64 v[3:4], v[3:4], v[37:38], v[39:40]
	buffer_store_dword v2, off, s[0:3], 0 offset:340
	buffer_store_dword v1, off, s[0:3], 0 offset:336
	;; [unrolled: 1-line block ×4, first 2 shown]
.LBB56_283:
	s_or_b32 exec_lo, exec_lo, s8
	v_mov_b32_e32 v4, s44
	v_cmp_lt_u32_e64 s5, 20, v0
	s_clause 0x3
	buffer_load_dword v1, v4, s[0:3], 0 offen
	buffer_load_dword v2, v4, s[0:3], 0 offen offset:4
	buffer_load_dword v3, v4, s[0:3], 0 offen offset:8
	;; [unrolled: 1-line block ×3, first 2 shown]
	s_waitcnt vmcnt(0)
	ds_write_b128 v36, v[1:4]
	s_waitcnt lgkmcnt(0)
	s_waitcnt_vscnt null, 0x0
	s_barrier
	buffer_gl0_inv
	s_and_saveexec_b32 s8, s5
	s_cbranch_execz .LBB56_291
; %bb.284:
	ds_read_b128 v[1:4], v36
	s_andn2_b32 vcc_lo, exec_lo, s64
	s_cbranch_vccnz .LBB56_286
; %bb.285:
	s_clause 0x3
	buffer_load_dword v37, v35, s[0:3], 0 offen offset:8
	buffer_load_dword v38, v35, s[0:3], 0 offen offset:12
	buffer_load_dword v39, v35, s[0:3], 0 offen
	buffer_load_dword v40, v35, s[0:3], 0 offen offset:4
	s_waitcnt vmcnt(2) lgkmcnt(0)
	v_mul_f64 v[41:42], v[3:4], v[37:38]
	v_mul_f64 v[37:38], v[1:2], v[37:38]
	s_waitcnt vmcnt(0)
	v_fma_f64 v[1:2], v[1:2], v[39:40], -v[41:42]
	v_fma_f64 v[3:4], v[3:4], v[39:40], v[37:38]
.LBB56_286:
	s_and_saveexec_b32 s65, s4
	s_cbranch_execz .LBB56_290
; %bb.287:
	v_subrev_nc_u32_e32 v37, 21, v0
	s_movk_i32 s66, 0x4e0
	s_mov_b32 s4, 0
	s_mov_b32 s67, s43
	.p2align	6
.LBB56_288:                             ; =>This Inner Loop Header: Depth=1
	v_mov_b32_e32 v38, s67
	v_add_nc_u32_e32 v37, -1, v37
	s_add_i32 s67, s67, 16
	s_clause 0x3
	buffer_load_dword v42, v38, s[0:3], 0 offen offset:8
	buffer_load_dword v43, v38, s[0:3], 0 offen offset:12
	buffer_load_dword v44, v38, s[0:3], 0 offen
	buffer_load_dword v45, v38, s[0:3], 0 offen offset:4
	v_mov_b32_e32 v38, s66
	v_cmp_eq_u32_e32 vcc_lo, 0, v37
	s_add_i32 s66, s66, 16
	ds_read_b128 v[38:41], v38
	s_or_b32 s4, vcc_lo, s4
	s_waitcnt vmcnt(2) lgkmcnt(0)
	v_mul_f64 v[46:47], v[40:41], v[42:43]
	v_mul_f64 v[42:43], v[38:39], v[42:43]
	s_waitcnt vmcnt(0)
	v_fma_f64 v[38:39], v[38:39], v[44:45], -v[46:47]
	v_fma_f64 v[40:41], v[40:41], v[44:45], v[42:43]
	v_add_f64 v[1:2], v[1:2], v[38:39]
	v_add_f64 v[3:4], v[3:4], v[40:41]
	s_andn2_b32 exec_lo, exec_lo, s4
	s_cbranch_execnz .LBB56_288
; %bb.289:
	s_or_b32 exec_lo, exec_lo, s4
.LBB56_290:
	s_or_b32 exec_lo, exec_lo, s65
	v_mov_b32_e32 v37, 0
	ds_read_b128 v[37:40], v37 offset:320
	s_waitcnt lgkmcnt(0)
	v_mul_f64 v[41:42], v[3:4], v[39:40]
	v_mul_f64 v[39:40], v[1:2], v[39:40]
	v_fma_f64 v[1:2], v[1:2], v[37:38], -v[41:42]
	v_fma_f64 v[3:4], v[3:4], v[37:38], v[39:40]
	buffer_store_dword v2, off, s[0:3], 0 offset:324
	buffer_store_dword v1, off, s[0:3], 0 offset:320
	buffer_store_dword v4, off, s[0:3], 0 offset:332
	buffer_store_dword v3, off, s[0:3], 0 offset:328
.LBB56_291:
	s_or_b32 exec_lo, exec_lo, s8
	v_mov_b32_e32 v4, s45
	v_cmp_lt_u32_e64 s4, 19, v0
	s_clause 0x3
	buffer_load_dword v1, v4, s[0:3], 0 offen
	buffer_load_dword v2, v4, s[0:3], 0 offen offset:4
	buffer_load_dword v3, v4, s[0:3], 0 offen offset:8
	;; [unrolled: 1-line block ×3, first 2 shown]
	s_waitcnt vmcnt(0)
	ds_write_b128 v36, v[1:4]
	s_waitcnt lgkmcnt(0)
	s_waitcnt_vscnt null, 0x0
	s_barrier
	buffer_gl0_inv
	s_and_saveexec_b32 s8, s4
	s_cbranch_execz .LBB56_299
; %bb.292:
	ds_read_b128 v[1:4], v36
	s_andn2_b32 vcc_lo, exec_lo, s64
	s_cbranch_vccnz .LBB56_294
; %bb.293:
	s_clause 0x3
	buffer_load_dword v37, v35, s[0:3], 0 offen offset:8
	buffer_load_dword v38, v35, s[0:3], 0 offen offset:12
	buffer_load_dword v39, v35, s[0:3], 0 offen
	buffer_load_dword v40, v35, s[0:3], 0 offen offset:4
	s_waitcnt vmcnt(2) lgkmcnt(0)
	v_mul_f64 v[41:42], v[3:4], v[37:38]
	v_mul_f64 v[37:38], v[1:2], v[37:38]
	s_waitcnt vmcnt(0)
	v_fma_f64 v[1:2], v[1:2], v[39:40], -v[41:42]
	v_fma_f64 v[3:4], v[3:4], v[39:40], v[37:38]
.LBB56_294:
	s_and_saveexec_b32 s65, s5
	s_cbranch_execz .LBB56_298
; %bb.295:
	v_subrev_nc_u32_e32 v37, 20, v0
	s_movk_i32 s66, 0x4d0
	s_mov_b32 s5, 0
	s_mov_b32 s67, s44
	.p2align	6
.LBB56_296:                             ; =>This Inner Loop Header: Depth=1
	v_mov_b32_e32 v38, s67
	v_add_nc_u32_e32 v37, -1, v37
	s_add_i32 s67, s67, 16
	s_clause 0x3
	buffer_load_dword v42, v38, s[0:3], 0 offen offset:8
	buffer_load_dword v43, v38, s[0:3], 0 offen offset:12
	buffer_load_dword v44, v38, s[0:3], 0 offen
	buffer_load_dword v45, v38, s[0:3], 0 offen offset:4
	v_mov_b32_e32 v38, s66
	v_cmp_eq_u32_e32 vcc_lo, 0, v37
	s_add_i32 s66, s66, 16
	ds_read_b128 v[38:41], v38
	s_or_b32 s5, vcc_lo, s5
	s_waitcnt vmcnt(2) lgkmcnt(0)
	v_mul_f64 v[46:47], v[40:41], v[42:43]
	v_mul_f64 v[42:43], v[38:39], v[42:43]
	s_waitcnt vmcnt(0)
	v_fma_f64 v[38:39], v[38:39], v[44:45], -v[46:47]
	v_fma_f64 v[40:41], v[40:41], v[44:45], v[42:43]
	v_add_f64 v[1:2], v[1:2], v[38:39]
	v_add_f64 v[3:4], v[3:4], v[40:41]
	s_andn2_b32 exec_lo, exec_lo, s5
	s_cbranch_execnz .LBB56_296
; %bb.297:
	s_or_b32 exec_lo, exec_lo, s5
.LBB56_298:
	s_or_b32 exec_lo, exec_lo, s65
	v_mov_b32_e32 v37, 0
	ds_read_b128 v[37:40], v37 offset:304
	s_waitcnt lgkmcnt(0)
	v_mul_f64 v[41:42], v[3:4], v[39:40]
	v_mul_f64 v[39:40], v[1:2], v[39:40]
	v_fma_f64 v[1:2], v[1:2], v[37:38], -v[41:42]
	v_fma_f64 v[3:4], v[3:4], v[37:38], v[39:40]
	buffer_store_dword v2, off, s[0:3], 0 offset:308
	buffer_store_dword v1, off, s[0:3], 0 offset:304
	;; [unrolled: 1-line block ×4, first 2 shown]
.LBB56_299:
	s_or_b32 exec_lo, exec_lo, s8
	v_mov_b32_e32 v4, s46
	v_cmp_lt_u32_e64 s5, 18, v0
	s_clause 0x3
	buffer_load_dword v1, v4, s[0:3], 0 offen
	buffer_load_dword v2, v4, s[0:3], 0 offen offset:4
	buffer_load_dword v3, v4, s[0:3], 0 offen offset:8
	buffer_load_dword v4, v4, s[0:3], 0 offen offset:12
	s_waitcnt vmcnt(0)
	ds_write_b128 v36, v[1:4]
	s_waitcnt lgkmcnt(0)
	s_waitcnt_vscnt null, 0x0
	s_barrier
	buffer_gl0_inv
	s_and_saveexec_b32 s8, s5
	s_cbranch_execz .LBB56_307
; %bb.300:
	ds_read_b128 v[1:4], v36
	s_andn2_b32 vcc_lo, exec_lo, s64
	s_cbranch_vccnz .LBB56_302
; %bb.301:
	s_clause 0x3
	buffer_load_dword v37, v35, s[0:3], 0 offen offset:8
	buffer_load_dword v38, v35, s[0:3], 0 offen offset:12
	buffer_load_dword v39, v35, s[0:3], 0 offen
	buffer_load_dword v40, v35, s[0:3], 0 offen offset:4
	s_waitcnt vmcnt(2) lgkmcnt(0)
	v_mul_f64 v[41:42], v[3:4], v[37:38]
	v_mul_f64 v[37:38], v[1:2], v[37:38]
	s_waitcnt vmcnt(0)
	v_fma_f64 v[1:2], v[1:2], v[39:40], -v[41:42]
	v_fma_f64 v[3:4], v[3:4], v[39:40], v[37:38]
.LBB56_302:
	s_and_saveexec_b32 s65, s4
	s_cbranch_execz .LBB56_306
; %bb.303:
	v_subrev_nc_u32_e32 v37, 19, v0
	s_movk_i32 s66, 0x4c0
	s_mov_b32 s4, 0
	s_mov_b32 s67, s45
	.p2align	6
.LBB56_304:                             ; =>This Inner Loop Header: Depth=1
	v_mov_b32_e32 v38, s67
	v_add_nc_u32_e32 v37, -1, v37
	s_add_i32 s67, s67, 16
	s_clause 0x3
	buffer_load_dword v42, v38, s[0:3], 0 offen offset:8
	buffer_load_dword v43, v38, s[0:3], 0 offen offset:12
	buffer_load_dword v44, v38, s[0:3], 0 offen
	buffer_load_dword v45, v38, s[0:3], 0 offen offset:4
	v_mov_b32_e32 v38, s66
	v_cmp_eq_u32_e32 vcc_lo, 0, v37
	s_add_i32 s66, s66, 16
	ds_read_b128 v[38:41], v38
	s_or_b32 s4, vcc_lo, s4
	s_waitcnt vmcnt(2) lgkmcnt(0)
	v_mul_f64 v[46:47], v[40:41], v[42:43]
	v_mul_f64 v[42:43], v[38:39], v[42:43]
	s_waitcnt vmcnt(0)
	v_fma_f64 v[38:39], v[38:39], v[44:45], -v[46:47]
	v_fma_f64 v[40:41], v[40:41], v[44:45], v[42:43]
	v_add_f64 v[1:2], v[1:2], v[38:39]
	v_add_f64 v[3:4], v[3:4], v[40:41]
	s_andn2_b32 exec_lo, exec_lo, s4
	s_cbranch_execnz .LBB56_304
; %bb.305:
	s_or_b32 exec_lo, exec_lo, s4
.LBB56_306:
	s_or_b32 exec_lo, exec_lo, s65
	v_mov_b32_e32 v37, 0
	ds_read_b128 v[37:40], v37 offset:288
	s_waitcnt lgkmcnt(0)
	v_mul_f64 v[41:42], v[3:4], v[39:40]
	v_mul_f64 v[39:40], v[1:2], v[39:40]
	v_fma_f64 v[1:2], v[1:2], v[37:38], -v[41:42]
	v_fma_f64 v[3:4], v[3:4], v[37:38], v[39:40]
	buffer_store_dword v2, off, s[0:3], 0 offset:292
	buffer_store_dword v1, off, s[0:3], 0 offset:288
	;; [unrolled: 1-line block ×4, first 2 shown]
.LBB56_307:
	s_or_b32 exec_lo, exec_lo, s8
	v_mov_b32_e32 v4, s47
	v_cmp_lt_u32_e64 s4, 17, v0
	s_clause 0x3
	buffer_load_dword v1, v4, s[0:3], 0 offen
	buffer_load_dword v2, v4, s[0:3], 0 offen offset:4
	buffer_load_dword v3, v4, s[0:3], 0 offen offset:8
	;; [unrolled: 1-line block ×3, first 2 shown]
	s_waitcnt vmcnt(0)
	ds_write_b128 v36, v[1:4]
	s_waitcnt lgkmcnt(0)
	s_waitcnt_vscnt null, 0x0
	s_barrier
	buffer_gl0_inv
	s_and_saveexec_b32 s8, s4
	s_cbranch_execz .LBB56_315
; %bb.308:
	ds_read_b128 v[1:4], v36
	s_andn2_b32 vcc_lo, exec_lo, s64
	s_cbranch_vccnz .LBB56_310
; %bb.309:
	s_clause 0x3
	buffer_load_dword v37, v35, s[0:3], 0 offen offset:8
	buffer_load_dword v38, v35, s[0:3], 0 offen offset:12
	buffer_load_dword v39, v35, s[0:3], 0 offen
	buffer_load_dword v40, v35, s[0:3], 0 offen offset:4
	s_waitcnt vmcnt(2) lgkmcnt(0)
	v_mul_f64 v[41:42], v[3:4], v[37:38]
	v_mul_f64 v[37:38], v[1:2], v[37:38]
	s_waitcnt vmcnt(0)
	v_fma_f64 v[1:2], v[1:2], v[39:40], -v[41:42]
	v_fma_f64 v[3:4], v[3:4], v[39:40], v[37:38]
.LBB56_310:
	s_and_saveexec_b32 s65, s5
	s_cbranch_execz .LBB56_314
; %bb.311:
	v_subrev_nc_u32_e32 v37, 18, v0
	s_movk_i32 s66, 0x4b0
	s_mov_b32 s5, 0
	s_mov_b32 s67, s46
	.p2align	6
.LBB56_312:                             ; =>This Inner Loop Header: Depth=1
	v_mov_b32_e32 v38, s67
	v_add_nc_u32_e32 v37, -1, v37
	s_add_i32 s67, s67, 16
	s_clause 0x3
	buffer_load_dword v42, v38, s[0:3], 0 offen offset:8
	buffer_load_dword v43, v38, s[0:3], 0 offen offset:12
	buffer_load_dword v44, v38, s[0:3], 0 offen
	buffer_load_dword v45, v38, s[0:3], 0 offen offset:4
	v_mov_b32_e32 v38, s66
	v_cmp_eq_u32_e32 vcc_lo, 0, v37
	s_add_i32 s66, s66, 16
	ds_read_b128 v[38:41], v38
	s_or_b32 s5, vcc_lo, s5
	s_waitcnt vmcnt(2) lgkmcnt(0)
	v_mul_f64 v[46:47], v[40:41], v[42:43]
	v_mul_f64 v[42:43], v[38:39], v[42:43]
	s_waitcnt vmcnt(0)
	v_fma_f64 v[38:39], v[38:39], v[44:45], -v[46:47]
	v_fma_f64 v[40:41], v[40:41], v[44:45], v[42:43]
	v_add_f64 v[1:2], v[1:2], v[38:39]
	v_add_f64 v[3:4], v[3:4], v[40:41]
	s_andn2_b32 exec_lo, exec_lo, s5
	s_cbranch_execnz .LBB56_312
; %bb.313:
	s_or_b32 exec_lo, exec_lo, s5
.LBB56_314:
	s_or_b32 exec_lo, exec_lo, s65
	v_mov_b32_e32 v37, 0
	ds_read_b128 v[37:40], v37 offset:272
	s_waitcnt lgkmcnt(0)
	v_mul_f64 v[41:42], v[3:4], v[39:40]
	v_mul_f64 v[39:40], v[1:2], v[39:40]
	v_fma_f64 v[1:2], v[1:2], v[37:38], -v[41:42]
	v_fma_f64 v[3:4], v[3:4], v[37:38], v[39:40]
	buffer_store_dword v2, off, s[0:3], 0 offset:276
	buffer_store_dword v1, off, s[0:3], 0 offset:272
	;; [unrolled: 1-line block ×4, first 2 shown]
.LBB56_315:
	s_or_b32 exec_lo, exec_lo, s8
	v_mov_b32_e32 v4, s48
	v_cmp_lt_u32_e64 s5, 16, v0
	s_clause 0x3
	buffer_load_dword v1, v4, s[0:3], 0 offen
	buffer_load_dword v2, v4, s[0:3], 0 offen offset:4
	buffer_load_dword v3, v4, s[0:3], 0 offen offset:8
	;; [unrolled: 1-line block ×3, first 2 shown]
	s_waitcnt vmcnt(0)
	ds_write_b128 v36, v[1:4]
	s_waitcnt lgkmcnt(0)
	s_waitcnt_vscnt null, 0x0
	s_barrier
	buffer_gl0_inv
	s_and_saveexec_b32 s8, s5
	s_cbranch_execz .LBB56_323
; %bb.316:
	ds_read_b128 v[1:4], v36
	s_andn2_b32 vcc_lo, exec_lo, s64
	s_cbranch_vccnz .LBB56_318
; %bb.317:
	s_clause 0x3
	buffer_load_dword v37, v35, s[0:3], 0 offen offset:8
	buffer_load_dword v38, v35, s[0:3], 0 offen offset:12
	buffer_load_dword v39, v35, s[0:3], 0 offen
	buffer_load_dword v40, v35, s[0:3], 0 offen offset:4
	s_waitcnt vmcnt(2) lgkmcnt(0)
	v_mul_f64 v[41:42], v[3:4], v[37:38]
	v_mul_f64 v[37:38], v[1:2], v[37:38]
	s_waitcnt vmcnt(0)
	v_fma_f64 v[1:2], v[1:2], v[39:40], -v[41:42]
	v_fma_f64 v[3:4], v[3:4], v[39:40], v[37:38]
.LBB56_318:
	s_and_saveexec_b32 s65, s4
	s_cbranch_execz .LBB56_322
; %bb.319:
	v_subrev_nc_u32_e32 v37, 17, v0
	s_movk_i32 s66, 0x4a0
	s_mov_b32 s4, 0
	s_mov_b32 s67, s47
	.p2align	6
.LBB56_320:                             ; =>This Inner Loop Header: Depth=1
	v_mov_b32_e32 v38, s67
	v_add_nc_u32_e32 v37, -1, v37
	s_add_i32 s67, s67, 16
	s_clause 0x3
	buffer_load_dword v42, v38, s[0:3], 0 offen offset:8
	buffer_load_dword v43, v38, s[0:3], 0 offen offset:12
	buffer_load_dword v44, v38, s[0:3], 0 offen
	buffer_load_dword v45, v38, s[0:3], 0 offen offset:4
	v_mov_b32_e32 v38, s66
	v_cmp_eq_u32_e32 vcc_lo, 0, v37
	s_add_i32 s66, s66, 16
	ds_read_b128 v[38:41], v38
	s_or_b32 s4, vcc_lo, s4
	s_waitcnt vmcnt(2) lgkmcnt(0)
	v_mul_f64 v[46:47], v[40:41], v[42:43]
	v_mul_f64 v[42:43], v[38:39], v[42:43]
	s_waitcnt vmcnt(0)
	v_fma_f64 v[38:39], v[38:39], v[44:45], -v[46:47]
	v_fma_f64 v[40:41], v[40:41], v[44:45], v[42:43]
	v_add_f64 v[1:2], v[1:2], v[38:39]
	v_add_f64 v[3:4], v[3:4], v[40:41]
	s_andn2_b32 exec_lo, exec_lo, s4
	s_cbranch_execnz .LBB56_320
; %bb.321:
	s_or_b32 exec_lo, exec_lo, s4
.LBB56_322:
	s_or_b32 exec_lo, exec_lo, s65
	v_mov_b32_e32 v37, 0
	ds_read_b128 v[37:40], v37 offset:256
	s_waitcnt lgkmcnt(0)
	v_mul_f64 v[41:42], v[3:4], v[39:40]
	v_mul_f64 v[39:40], v[1:2], v[39:40]
	v_fma_f64 v[1:2], v[1:2], v[37:38], -v[41:42]
	v_fma_f64 v[3:4], v[3:4], v[37:38], v[39:40]
	buffer_store_dword v2, off, s[0:3], 0 offset:260
	buffer_store_dword v1, off, s[0:3], 0 offset:256
	;; [unrolled: 1-line block ×4, first 2 shown]
.LBB56_323:
	s_or_b32 exec_lo, exec_lo, s8
	v_mov_b32_e32 v4, s49
	v_cmp_lt_u32_e64 s4, 15, v0
	s_clause 0x3
	buffer_load_dword v1, v4, s[0:3], 0 offen
	buffer_load_dword v2, v4, s[0:3], 0 offen offset:4
	buffer_load_dword v3, v4, s[0:3], 0 offen offset:8
	;; [unrolled: 1-line block ×3, first 2 shown]
	s_waitcnt vmcnt(0)
	ds_write_b128 v36, v[1:4]
	s_waitcnt lgkmcnt(0)
	s_waitcnt_vscnt null, 0x0
	s_barrier
	buffer_gl0_inv
	s_and_saveexec_b32 s8, s4
	s_cbranch_execz .LBB56_331
; %bb.324:
	ds_read_b128 v[1:4], v36
	s_andn2_b32 vcc_lo, exec_lo, s64
	s_cbranch_vccnz .LBB56_326
; %bb.325:
	s_clause 0x3
	buffer_load_dword v37, v35, s[0:3], 0 offen offset:8
	buffer_load_dword v38, v35, s[0:3], 0 offen offset:12
	buffer_load_dword v39, v35, s[0:3], 0 offen
	buffer_load_dword v40, v35, s[0:3], 0 offen offset:4
	s_waitcnt vmcnt(2) lgkmcnt(0)
	v_mul_f64 v[41:42], v[3:4], v[37:38]
	v_mul_f64 v[37:38], v[1:2], v[37:38]
	s_waitcnt vmcnt(0)
	v_fma_f64 v[1:2], v[1:2], v[39:40], -v[41:42]
	v_fma_f64 v[3:4], v[3:4], v[39:40], v[37:38]
.LBB56_326:
	s_and_saveexec_b32 s65, s5
	s_cbranch_execz .LBB56_330
; %bb.327:
	v_add_nc_u32_e32 v37, -16, v0
	s_movk_i32 s66, 0x490
	s_mov_b32 s5, 0
	s_mov_b32 s67, s48
	.p2align	6
.LBB56_328:                             ; =>This Inner Loop Header: Depth=1
	v_mov_b32_e32 v38, s67
	v_add_nc_u32_e32 v37, -1, v37
	s_add_i32 s67, s67, 16
	s_clause 0x3
	buffer_load_dword v42, v38, s[0:3], 0 offen offset:8
	buffer_load_dword v43, v38, s[0:3], 0 offen offset:12
	buffer_load_dword v44, v38, s[0:3], 0 offen
	buffer_load_dword v45, v38, s[0:3], 0 offen offset:4
	v_mov_b32_e32 v38, s66
	v_cmp_eq_u32_e32 vcc_lo, 0, v37
	s_add_i32 s66, s66, 16
	ds_read_b128 v[38:41], v38
	s_or_b32 s5, vcc_lo, s5
	s_waitcnt vmcnt(2) lgkmcnt(0)
	v_mul_f64 v[46:47], v[40:41], v[42:43]
	v_mul_f64 v[42:43], v[38:39], v[42:43]
	s_waitcnt vmcnt(0)
	v_fma_f64 v[38:39], v[38:39], v[44:45], -v[46:47]
	v_fma_f64 v[40:41], v[40:41], v[44:45], v[42:43]
	v_add_f64 v[1:2], v[1:2], v[38:39]
	v_add_f64 v[3:4], v[3:4], v[40:41]
	s_andn2_b32 exec_lo, exec_lo, s5
	s_cbranch_execnz .LBB56_328
; %bb.329:
	s_or_b32 exec_lo, exec_lo, s5
.LBB56_330:
	s_or_b32 exec_lo, exec_lo, s65
	v_mov_b32_e32 v37, 0
	ds_read_b128 v[37:40], v37 offset:240
	s_waitcnt lgkmcnt(0)
	v_mul_f64 v[41:42], v[3:4], v[39:40]
	v_mul_f64 v[39:40], v[1:2], v[39:40]
	v_fma_f64 v[1:2], v[1:2], v[37:38], -v[41:42]
	v_fma_f64 v[3:4], v[3:4], v[37:38], v[39:40]
	buffer_store_dword v2, off, s[0:3], 0 offset:244
	buffer_store_dword v1, off, s[0:3], 0 offset:240
	;; [unrolled: 1-line block ×4, first 2 shown]
.LBB56_331:
	s_or_b32 exec_lo, exec_lo, s8
	v_mov_b32_e32 v4, s50
	v_cmp_lt_u32_e64 s5, 14, v0
	s_clause 0x3
	buffer_load_dword v1, v4, s[0:3], 0 offen
	buffer_load_dword v2, v4, s[0:3], 0 offen offset:4
	buffer_load_dword v3, v4, s[0:3], 0 offen offset:8
	;; [unrolled: 1-line block ×3, first 2 shown]
	s_waitcnt vmcnt(0)
	ds_write_b128 v36, v[1:4]
	s_waitcnt lgkmcnt(0)
	s_waitcnt_vscnt null, 0x0
	s_barrier
	buffer_gl0_inv
	s_and_saveexec_b32 s8, s5
	s_cbranch_execz .LBB56_339
; %bb.332:
	ds_read_b128 v[1:4], v36
	s_andn2_b32 vcc_lo, exec_lo, s64
	s_cbranch_vccnz .LBB56_334
; %bb.333:
	s_clause 0x3
	buffer_load_dword v37, v35, s[0:3], 0 offen offset:8
	buffer_load_dword v38, v35, s[0:3], 0 offen offset:12
	buffer_load_dword v39, v35, s[0:3], 0 offen
	buffer_load_dword v40, v35, s[0:3], 0 offen offset:4
	s_waitcnt vmcnt(2) lgkmcnt(0)
	v_mul_f64 v[41:42], v[3:4], v[37:38]
	v_mul_f64 v[37:38], v[1:2], v[37:38]
	s_waitcnt vmcnt(0)
	v_fma_f64 v[1:2], v[1:2], v[39:40], -v[41:42]
	v_fma_f64 v[3:4], v[3:4], v[39:40], v[37:38]
.LBB56_334:
	s_and_saveexec_b32 s65, s4
	s_cbranch_execz .LBB56_338
; %bb.335:
	v_add_nc_u32_e32 v37, -15, v0
	s_movk_i32 s66, 0x480
	s_mov_b32 s4, 0
	s_mov_b32 s67, s49
	.p2align	6
.LBB56_336:                             ; =>This Inner Loop Header: Depth=1
	v_mov_b32_e32 v38, s67
	v_add_nc_u32_e32 v37, -1, v37
	s_add_i32 s67, s67, 16
	s_clause 0x3
	buffer_load_dword v42, v38, s[0:3], 0 offen offset:8
	buffer_load_dword v43, v38, s[0:3], 0 offen offset:12
	buffer_load_dword v44, v38, s[0:3], 0 offen
	buffer_load_dword v45, v38, s[0:3], 0 offen offset:4
	v_mov_b32_e32 v38, s66
	v_cmp_eq_u32_e32 vcc_lo, 0, v37
	s_add_i32 s66, s66, 16
	ds_read_b128 v[38:41], v38
	s_or_b32 s4, vcc_lo, s4
	s_waitcnt vmcnt(2) lgkmcnt(0)
	v_mul_f64 v[46:47], v[40:41], v[42:43]
	v_mul_f64 v[42:43], v[38:39], v[42:43]
	s_waitcnt vmcnt(0)
	v_fma_f64 v[38:39], v[38:39], v[44:45], -v[46:47]
	v_fma_f64 v[40:41], v[40:41], v[44:45], v[42:43]
	v_add_f64 v[1:2], v[1:2], v[38:39]
	v_add_f64 v[3:4], v[3:4], v[40:41]
	s_andn2_b32 exec_lo, exec_lo, s4
	s_cbranch_execnz .LBB56_336
; %bb.337:
	s_or_b32 exec_lo, exec_lo, s4
.LBB56_338:
	s_or_b32 exec_lo, exec_lo, s65
	v_mov_b32_e32 v37, 0
	ds_read_b128 v[37:40], v37 offset:224
	s_waitcnt lgkmcnt(0)
	v_mul_f64 v[41:42], v[3:4], v[39:40]
	v_mul_f64 v[39:40], v[1:2], v[39:40]
	v_fma_f64 v[1:2], v[1:2], v[37:38], -v[41:42]
	v_fma_f64 v[3:4], v[3:4], v[37:38], v[39:40]
	buffer_store_dword v2, off, s[0:3], 0 offset:228
	buffer_store_dword v1, off, s[0:3], 0 offset:224
	;; [unrolled: 1-line block ×4, first 2 shown]
.LBB56_339:
	s_or_b32 exec_lo, exec_lo, s8
	v_mov_b32_e32 v4, s51
	v_cmp_lt_u32_e64 s4, 13, v0
	s_clause 0x3
	buffer_load_dword v1, v4, s[0:3], 0 offen
	buffer_load_dword v2, v4, s[0:3], 0 offen offset:4
	buffer_load_dword v3, v4, s[0:3], 0 offen offset:8
	;; [unrolled: 1-line block ×3, first 2 shown]
	s_waitcnt vmcnt(0)
	ds_write_b128 v36, v[1:4]
	s_waitcnt lgkmcnt(0)
	s_waitcnt_vscnt null, 0x0
	s_barrier
	buffer_gl0_inv
	s_and_saveexec_b32 s8, s4
	s_cbranch_execz .LBB56_347
; %bb.340:
	ds_read_b128 v[1:4], v36
	s_andn2_b32 vcc_lo, exec_lo, s64
	s_cbranch_vccnz .LBB56_342
; %bb.341:
	s_clause 0x3
	buffer_load_dword v37, v35, s[0:3], 0 offen offset:8
	buffer_load_dword v38, v35, s[0:3], 0 offen offset:12
	buffer_load_dword v39, v35, s[0:3], 0 offen
	buffer_load_dword v40, v35, s[0:3], 0 offen offset:4
	s_waitcnt vmcnt(2) lgkmcnt(0)
	v_mul_f64 v[41:42], v[3:4], v[37:38]
	v_mul_f64 v[37:38], v[1:2], v[37:38]
	s_waitcnt vmcnt(0)
	v_fma_f64 v[1:2], v[1:2], v[39:40], -v[41:42]
	v_fma_f64 v[3:4], v[3:4], v[39:40], v[37:38]
.LBB56_342:
	s_and_saveexec_b32 s65, s5
	s_cbranch_execz .LBB56_346
; %bb.343:
	v_add_nc_u32_e32 v37, -14, v0
	s_movk_i32 s66, 0x470
	s_mov_b32 s5, 0
	s_mov_b32 s67, s50
	.p2align	6
.LBB56_344:                             ; =>This Inner Loop Header: Depth=1
	v_mov_b32_e32 v38, s67
	v_add_nc_u32_e32 v37, -1, v37
	s_add_i32 s67, s67, 16
	s_clause 0x3
	buffer_load_dword v42, v38, s[0:3], 0 offen offset:8
	buffer_load_dword v43, v38, s[0:3], 0 offen offset:12
	buffer_load_dword v44, v38, s[0:3], 0 offen
	buffer_load_dword v45, v38, s[0:3], 0 offen offset:4
	v_mov_b32_e32 v38, s66
	v_cmp_eq_u32_e32 vcc_lo, 0, v37
	s_add_i32 s66, s66, 16
	ds_read_b128 v[38:41], v38
	s_or_b32 s5, vcc_lo, s5
	s_waitcnt vmcnt(2) lgkmcnt(0)
	v_mul_f64 v[46:47], v[40:41], v[42:43]
	v_mul_f64 v[42:43], v[38:39], v[42:43]
	s_waitcnt vmcnt(0)
	v_fma_f64 v[38:39], v[38:39], v[44:45], -v[46:47]
	v_fma_f64 v[40:41], v[40:41], v[44:45], v[42:43]
	v_add_f64 v[1:2], v[1:2], v[38:39]
	v_add_f64 v[3:4], v[3:4], v[40:41]
	s_andn2_b32 exec_lo, exec_lo, s5
	s_cbranch_execnz .LBB56_344
; %bb.345:
	s_or_b32 exec_lo, exec_lo, s5
.LBB56_346:
	s_or_b32 exec_lo, exec_lo, s65
	v_mov_b32_e32 v37, 0
	ds_read_b128 v[37:40], v37 offset:208
	s_waitcnt lgkmcnt(0)
	v_mul_f64 v[41:42], v[3:4], v[39:40]
	v_mul_f64 v[39:40], v[1:2], v[39:40]
	v_fma_f64 v[1:2], v[1:2], v[37:38], -v[41:42]
	v_fma_f64 v[3:4], v[3:4], v[37:38], v[39:40]
	buffer_store_dword v2, off, s[0:3], 0 offset:212
	buffer_store_dword v1, off, s[0:3], 0 offset:208
	;; [unrolled: 1-line block ×4, first 2 shown]
.LBB56_347:
	s_or_b32 exec_lo, exec_lo, s8
	v_mov_b32_e32 v4, s52
	v_cmp_lt_u32_e64 s5, 12, v0
	s_clause 0x3
	buffer_load_dword v1, v4, s[0:3], 0 offen
	buffer_load_dword v2, v4, s[0:3], 0 offen offset:4
	buffer_load_dword v3, v4, s[0:3], 0 offen offset:8
	buffer_load_dword v4, v4, s[0:3], 0 offen offset:12
	s_waitcnt vmcnt(0)
	ds_write_b128 v36, v[1:4]
	s_waitcnt lgkmcnt(0)
	s_waitcnt_vscnt null, 0x0
	s_barrier
	buffer_gl0_inv
	s_and_saveexec_b32 s8, s5
	s_cbranch_execz .LBB56_355
; %bb.348:
	ds_read_b128 v[1:4], v36
	s_andn2_b32 vcc_lo, exec_lo, s64
	s_cbranch_vccnz .LBB56_350
; %bb.349:
	s_clause 0x3
	buffer_load_dword v37, v35, s[0:3], 0 offen offset:8
	buffer_load_dword v38, v35, s[0:3], 0 offen offset:12
	buffer_load_dword v39, v35, s[0:3], 0 offen
	buffer_load_dword v40, v35, s[0:3], 0 offen offset:4
	s_waitcnt vmcnt(2) lgkmcnt(0)
	v_mul_f64 v[41:42], v[3:4], v[37:38]
	v_mul_f64 v[37:38], v[1:2], v[37:38]
	s_waitcnt vmcnt(0)
	v_fma_f64 v[1:2], v[1:2], v[39:40], -v[41:42]
	v_fma_f64 v[3:4], v[3:4], v[39:40], v[37:38]
.LBB56_350:
	s_and_saveexec_b32 s65, s4
	s_cbranch_execz .LBB56_354
; %bb.351:
	v_add_nc_u32_e32 v37, -13, v0
	s_movk_i32 s66, 0x460
	s_mov_b32 s4, 0
	s_mov_b32 s67, s51
	.p2align	6
.LBB56_352:                             ; =>This Inner Loop Header: Depth=1
	v_mov_b32_e32 v38, s67
	v_add_nc_u32_e32 v37, -1, v37
	s_add_i32 s67, s67, 16
	s_clause 0x3
	buffer_load_dword v42, v38, s[0:3], 0 offen offset:8
	buffer_load_dword v43, v38, s[0:3], 0 offen offset:12
	buffer_load_dword v44, v38, s[0:3], 0 offen
	buffer_load_dword v45, v38, s[0:3], 0 offen offset:4
	v_mov_b32_e32 v38, s66
	v_cmp_eq_u32_e32 vcc_lo, 0, v37
	s_add_i32 s66, s66, 16
	ds_read_b128 v[38:41], v38
	s_or_b32 s4, vcc_lo, s4
	s_waitcnt vmcnt(2) lgkmcnt(0)
	v_mul_f64 v[46:47], v[40:41], v[42:43]
	v_mul_f64 v[42:43], v[38:39], v[42:43]
	s_waitcnt vmcnt(0)
	v_fma_f64 v[38:39], v[38:39], v[44:45], -v[46:47]
	v_fma_f64 v[40:41], v[40:41], v[44:45], v[42:43]
	v_add_f64 v[1:2], v[1:2], v[38:39]
	v_add_f64 v[3:4], v[3:4], v[40:41]
	s_andn2_b32 exec_lo, exec_lo, s4
	s_cbranch_execnz .LBB56_352
; %bb.353:
	s_or_b32 exec_lo, exec_lo, s4
.LBB56_354:
	s_or_b32 exec_lo, exec_lo, s65
	v_mov_b32_e32 v37, 0
	ds_read_b128 v[37:40], v37 offset:192
	s_waitcnt lgkmcnt(0)
	v_mul_f64 v[41:42], v[3:4], v[39:40]
	v_mul_f64 v[39:40], v[1:2], v[39:40]
	v_fma_f64 v[1:2], v[1:2], v[37:38], -v[41:42]
	v_fma_f64 v[3:4], v[3:4], v[37:38], v[39:40]
	buffer_store_dword v2, off, s[0:3], 0 offset:196
	buffer_store_dword v1, off, s[0:3], 0 offset:192
	;; [unrolled: 1-line block ×4, first 2 shown]
.LBB56_355:
	s_or_b32 exec_lo, exec_lo, s8
	v_mov_b32_e32 v4, s53
	v_cmp_lt_u32_e64 s4, 11, v0
	s_clause 0x3
	buffer_load_dword v1, v4, s[0:3], 0 offen
	buffer_load_dword v2, v4, s[0:3], 0 offen offset:4
	buffer_load_dword v3, v4, s[0:3], 0 offen offset:8
	;; [unrolled: 1-line block ×3, first 2 shown]
	s_waitcnt vmcnt(0)
	ds_write_b128 v36, v[1:4]
	s_waitcnt lgkmcnt(0)
	s_waitcnt_vscnt null, 0x0
	s_barrier
	buffer_gl0_inv
	s_and_saveexec_b32 s8, s4
	s_cbranch_execz .LBB56_363
; %bb.356:
	ds_read_b128 v[1:4], v36
	s_andn2_b32 vcc_lo, exec_lo, s64
	s_cbranch_vccnz .LBB56_358
; %bb.357:
	s_clause 0x3
	buffer_load_dword v37, v35, s[0:3], 0 offen offset:8
	buffer_load_dword v38, v35, s[0:3], 0 offen offset:12
	buffer_load_dword v39, v35, s[0:3], 0 offen
	buffer_load_dword v40, v35, s[0:3], 0 offen offset:4
	s_waitcnt vmcnt(2) lgkmcnt(0)
	v_mul_f64 v[41:42], v[3:4], v[37:38]
	v_mul_f64 v[37:38], v[1:2], v[37:38]
	s_waitcnt vmcnt(0)
	v_fma_f64 v[1:2], v[1:2], v[39:40], -v[41:42]
	v_fma_f64 v[3:4], v[3:4], v[39:40], v[37:38]
.LBB56_358:
	s_and_saveexec_b32 s65, s5
	s_cbranch_execz .LBB56_362
; %bb.359:
	v_add_nc_u32_e32 v37, -12, v0
	s_movk_i32 s66, 0x450
	s_mov_b32 s5, 0
	s_mov_b32 s67, s52
	.p2align	6
.LBB56_360:                             ; =>This Inner Loop Header: Depth=1
	v_mov_b32_e32 v38, s67
	v_add_nc_u32_e32 v37, -1, v37
	s_add_i32 s67, s67, 16
	s_clause 0x3
	buffer_load_dword v42, v38, s[0:3], 0 offen offset:8
	buffer_load_dword v43, v38, s[0:3], 0 offen offset:12
	buffer_load_dword v44, v38, s[0:3], 0 offen
	buffer_load_dword v45, v38, s[0:3], 0 offen offset:4
	v_mov_b32_e32 v38, s66
	v_cmp_eq_u32_e32 vcc_lo, 0, v37
	s_add_i32 s66, s66, 16
	ds_read_b128 v[38:41], v38
	s_or_b32 s5, vcc_lo, s5
	s_waitcnt vmcnt(2) lgkmcnt(0)
	v_mul_f64 v[46:47], v[40:41], v[42:43]
	v_mul_f64 v[42:43], v[38:39], v[42:43]
	s_waitcnt vmcnt(0)
	v_fma_f64 v[38:39], v[38:39], v[44:45], -v[46:47]
	v_fma_f64 v[40:41], v[40:41], v[44:45], v[42:43]
	v_add_f64 v[1:2], v[1:2], v[38:39]
	v_add_f64 v[3:4], v[3:4], v[40:41]
	s_andn2_b32 exec_lo, exec_lo, s5
	s_cbranch_execnz .LBB56_360
; %bb.361:
	s_or_b32 exec_lo, exec_lo, s5
.LBB56_362:
	s_or_b32 exec_lo, exec_lo, s65
	v_mov_b32_e32 v37, 0
	ds_read_b128 v[37:40], v37 offset:176
	s_waitcnt lgkmcnt(0)
	v_mul_f64 v[41:42], v[3:4], v[39:40]
	v_mul_f64 v[39:40], v[1:2], v[39:40]
	v_fma_f64 v[1:2], v[1:2], v[37:38], -v[41:42]
	v_fma_f64 v[3:4], v[3:4], v[37:38], v[39:40]
	buffer_store_dword v2, off, s[0:3], 0 offset:180
	buffer_store_dword v1, off, s[0:3], 0 offset:176
	;; [unrolled: 1-line block ×4, first 2 shown]
.LBB56_363:
	s_or_b32 exec_lo, exec_lo, s8
	v_mov_b32_e32 v4, s54
	v_cmp_lt_u32_e64 s5, 10, v0
	s_clause 0x3
	buffer_load_dword v1, v4, s[0:3], 0 offen
	buffer_load_dword v2, v4, s[0:3], 0 offen offset:4
	buffer_load_dword v3, v4, s[0:3], 0 offen offset:8
	;; [unrolled: 1-line block ×3, first 2 shown]
	s_waitcnt vmcnt(0)
	ds_write_b128 v36, v[1:4]
	s_waitcnt lgkmcnt(0)
	s_waitcnt_vscnt null, 0x0
	s_barrier
	buffer_gl0_inv
	s_and_saveexec_b32 s8, s5
	s_cbranch_execz .LBB56_371
; %bb.364:
	ds_read_b128 v[1:4], v36
	s_andn2_b32 vcc_lo, exec_lo, s64
	s_cbranch_vccnz .LBB56_366
; %bb.365:
	s_clause 0x3
	buffer_load_dword v37, v35, s[0:3], 0 offen offset:8
	buffer_load_dword v38, v35, s[0:3], 0 offen offset:12
	buffer_load_dword v39, v35, s[0:3], 0 offen
	buffer_load_dword v40, v35, s[0:3], 0 offen offset:4
	s_waitcnt vmcnt(2) lgkmcnt(0)
	v_mul_f64 v[41:42], v[3:4], v[37:38]
	v_mul_f64 v[37:38], v[1:2], v[37:38]
	s_waitcnt vmcnt(0)
	v_fma_f64 v[1:2], v[1:2], v[39:40], -v[41:42]
	v_fma_f64 v[3:4], v[3:4], v[39:40], v[37:38]
.LBB56_366:
	s_and_saveexec_b32 s65, s4
	s_cbranch_execz .LBB56_370
; %bb.367:
	v_add_nc_u32_e32 v37, -11, v0
	s_movk_i32 s66, 0x440
	s_mov_b32 s4, 0
	s_mov_b32 s67, s53
	.p2align	6
.LBB56_368:                             ; =>This Inner Loop Header: Depth=1
	v_mov_b32_e32 v38, s67
	v_add_nc_u32_e32 v37, -1, v37
	s_add_i32 s67, s67, 16
	s_clause 0x3
	buffer_load_dword v42, v38, s[0:3], 0 offen offset:8
	buffer_load_dword v43, v38, s[0:3], 0 offen offset:12
	buffer_load_dword v44, v38, s[0:3], 0 offen
	buffer_load_dword v45, v38, s[0:3], 0 offen offset:4
	v_mov_b32_e32 v38, s66
	v_cmp_eq_u32_e32 vcc_lo, 0, v37
	s_add_i32 s66, s66, 16
	ds_read_b128 v[38:41], v38
	s_or_b32 s4, vcc_lo, s4
	s_waitcnt vmcnt(2) lgkmcnt(0)
	v_mul_f64 v[46:47], v[40:41], v[42:43]
	v_mul_f64 v[42:43], v[38:39], v[42:43]
	s_waitcnt vmcnt(0)
	v_fma_f64 v[38:39], v[38:39], v[44:45], -v[46:47]
	v_fma_f64 v[40:41], v[40:41], v[44:45], v[42:43]
	v_add_f64 v[1:2], v[1:2], v[38:39]
	v_add_f64 v[3:4], v[3:4], v[40:41]
	s_andn2_b32 exec_lo, exec_lo, s4
	s_cbranch_execnz .LBB56_368
; %bb.369:
	s_or_b32 exec_lo, exec_lo, s4
.LBB56_370:
	s_or_b32 exec_lo, exec_lo, s65
	v_mov_b32_e32 v37, 0
	ds_read_b128 v[37:40], v37 offset:160
	s_waitcnt lgkmcnt(0)
	v_mul_f64 v[41:42], v[3:4], v[39:40]
	v_mul_f64 v[39:40], v[1:2], v[39:40]
	v_fma_f64 v[1:2], v[1:2], v[37:38], -v[41:42]
	v_fma_f64 v[3:4], v[3:4], v[37:38], v[39:40]
	buffer_store_dword v2, off, s[0:3], 0 offset:164
	buffer_store_dword v1, off, s[0:3], 0 offset:160
	buffer_store_dword v4, off, s[0:3], 0 offset:172
	buffer_store_dword v3, off, s[0:3], 0 offset:168
.LBB56_371:
	s_or_b32 exec_lo, exec_lo, s8
	v_mov_b32_e32 v4, s55
	v_cmp_lt_u32_e64 s4, 9, v0
	s_clause 0x3
	buffer_load_dword v1, v4, s[0:3], 0 offen
	buffer_load_dword v2, v4, s[0:3], 0 offen offset:4
	buffer_load_dword v3, v4, s[0:3], 0 offen offset:8
	;; [unrolled: 1-line block ×3, first 2 shown]
	s_waitcnt vmcnt(0)
	ds_write_b128 v36, v[1:4]
	s_waitcnt lgkmcnt(0)
	s_waitcnt_vscnt null, 0x0
	s_barrier
	buffer_gl0_inv
	s_and_saveexec_b32 s8, s4
	s_cbranch_execz .LBB56_379
; %bb.372:
	ds_read_b128 v[1:4], v36
	s_andn2_b32 vcc_lo, exec_lo, s64
	s_cbranch_vccnz .LBB56_374
; %bb.373:
	s_clause 0x3
	buffer_load_dword v37, v35, s[0:3], 0 offen offset:8
	buffer_load_dword v38, v35, s[0:3], 0 offen offset:12
	buffer_load_dword v39, v35, s[0:3], 0 offen
	buffer_load_dword v40, v35, s[0:3], 0 offen offset:4
	s_waitcnt vmcnt(2) lgkmcnt(0)
	v_mul_f64 v[41:42], v[3:4], v[37:38]
	v_mul_f64 v[37:38], v[1:2], v[37:38]
	s_waitcnt vmcnt(0)
	v_fma_f64 v[1:2], v[1:2], v[39:40], -v[41:42]
	v_fma_f64 v[3:4], v[3:4], v[39:40], v[37:38]
.LBB56_374:
	s_and_saveexec_b32 s65, s5
	s_cbranch_execz .LBB56_378
; %bb.375:
	v_add_nc_u32_e32 v37, -10, v0
	s_movk_i32 s66, 0x430
	s_mov_b32 s5, 0
	s_mov_b32 s67, s54
	.p2align	6
.LBB56_376:                             ; =>This Inner Loop Header: Depth=1
	v_mov_b32_e32 v38, s67
	v_add_nc_u32_e32 v37, -1, v37
	s_add_i32 s67, s67, 16
	s_clause 0x3
	buffer_load_dword v42, v38, s[0:3], 0 offen offset:8
	buffer_load_dword v43, v38, s[0:3], 0 offen offset:12
	buffer_load_dword v44, v38, s[0:3], 0 offen
	buffer_load_dword v45, v38, s[0:3], 0 offen offset:4
	v_mov_b32_e32 v38, s66
	v_cmp_eq_u32_e32 vcc_lo, 0, v37
	s_add_i32 s66, s66, 16
	ds_read_b128 v[38:41], v38
	s_or_b32 s5, vcc_lo, s5
	s_waitcnt vmcnt(2) lgkmcnt(0)
	v_mul_f64 v[46:47], v[40:41], v[42:43]
	v_mul_f64 v[42:43], v[38:39], v[42:43]
	s_waitcnt vmcnt(0)
	v_fma_f64 v[38:39], v[38:39], v[44:45], -v[46:47]
	v_fma_f64 v[40:41], v[40:41], v[44:45], v[42:43]
	v_add_f64 v[1:2], v[1:2], v[38:39]
	v_add_f64 v[3:4], v[3:4], v[40:41]
	s_andn2_b32 exec_lo, exec_lo, s5
	s_cbranch_execnz .LBB56_376
; %bb.377:
	s_or_b32 exec_lo, exec_lo, s5
.LBB56_378:
	s_or_b32 exec_lo, exec_lo, s65
	v_mov_b32_e32 v37, 0
	ds_read_b128 v[37:40], v37 offset:144
	s_waitcnt lgkmcnt(0)
	v_mul_f64 v[41:42], v[3:4], v[39:40]
	v_mul_f64 v[39:40], v[1:2], v[39:40]
	v_fma_f64 v[1:2], v[1:2], v[37:38], -v[41:42]
	v_fma_f64 v[3:4], v[3:4], v[37:38], v[39:40]
	buffer_store_dword v2, off, s[0:3], 0 offset:148
	buffer_store_dword v1, off, s[0:3], 0 offset:144
	;; [unrolled: 1-line block ×4, first 2 shown]
.LBB56_379:
	s_or_b32 exec_lo, exec_lo, s8
	v_mov_b32_e32 v4, s56
	v_cmp_lt_u32_e64 s5, 8, v0
	s_clause 0x3
	buffer_load_dword v1, v4, s[0:3], 0 offen
	buffer_load_dword v2, v4, s[0:3], 0 offen offset:4
	buffer_load_dword v3, v4, s[0:3], 0 offen offset:8
	;; [unrolled: 1-line block ×3, first 2 shown]
	s_waitcnt vmcnt(0)
	ds_write_b128 v36, v[1:4]
	s_waitcnt lgkmcnt(0)
	s_waitcnt_vscnt null, 0x0
	s_barrier
	buffer_gl0_inv
	s_and_saveexec_b32 s8, s5
	s_cbranch_execz .LBB56_387
; %bb.380:
	ds_read_b128 v[1:4], v36
	s_andn2_b32 vcc_lo, exec_lo, s64
	s_cbranch_vccnz .LBB56_382
; %bb.381:
	s_clause 0x3
	buffer_load_dword v37, v35, s[0:3], 0 offen offset:8
	buffer_load_dword v38, v35, s[0:3], 0 offen offset:12
	buffer_load_dword v39, v35, s[0:3], 0 offen
	buffer_load_dword v40, v35, s[0:3], 0 offen offset:4
	s_waitcnt vmcnt(2) lgkmcnt(0)
	v_mul_f64 v[41:42], v[3:4], v[37:38]
	v_mul_f64 v[37:38], v[1:2], v[37:38]
	s_waitcnt vmcnt(0)
	v_fma_f64 v[1:2], v[1:2], v[39:40], -v[41:42]
	v_fma_f64 v[3:4], v[3:4], v[39:40], v[37:38]
.LBB56_382:
	s_and_saveexec_b32 s65, s4
	s_cbranch_execz .LBB56_386
; %bb.383:
	v_add_nc_u32_e32 v37, -9, v0
	s_movk_i32 s66, 0x420
	s_mov_b32 s4, 0
	s_mov_b32 s67, s55
	.p2align	6
.LBB56_384:                             ; =>This Inner Loop Header: Depth=1
	v_mov_b32_e32 v38, s67
	v_add_nc_u32_e32 v37, -1, v37
	s_add_i32 s67, s67, 16
	s_clause 0x3
	buffer_load_dword v42, v38, s[0:3], 0 offen offset:8
	buffer_load_dword v43, v38, s[0:3], 0 offen offset:12
	buffer_load_dword v44, v38, s[0:3], 0 offen
	buffer_load_dword v45, v38, s[0:3], 0 offen offset:4
	v_mov_b32_e32 v38, s66
	v_cmp_eq_u32_e32 vcc_lo, 0, v37
	s_add_i32 s66, s66, 16
	ds_read_b128 v[38:41], v38
	s_or_b32 s4, vcc_lo, s4
	s_waitcnt vmcnt(2) lgkmcnt(0)
	v_mul_f64 v[46:47], v[40:41], v[42:43]
	v_mul_f64 v[42:43], v[38:39], v[42:43]
	s_waitcnt vmcnt(0)
	v_fma_f64 v[38:39], v[38:39], v[44:45], -v[46:47]
	v_fma_f64 v[40:41], v[40:41], v[44:45], v[42:43]
	v_add_f64 v[1:2], v[1:2], v[38:39]
	v_add_f64 v[3:4], v[3:4], v[40:41]
	s_andn2_b32 exec_lo, exec_lo, s4
	s_cbranch_execnz .LBB56_384
; %bb.385:
	s_or_b32 exec_lo, exec_lo, s4
.LBB56_386:
	s_or_b32 exec_lo, exec_lo, s65
	v_mov_b32_e32 v37, 0
	ds_read_b128 v[37:40], v37 offset:128
	s_waitcnt lgkmcnt(0)
	v_mul_f64 v[41:42], v[3:4], v[39:40]
	v_mul_f64 v[39:40], v[1:2], v[39:40]
	v_fma_f64 v[1:2], v[1:2], v[37:38], -v[41:42]
	v_fma_f64 v[3:4], v[3:4], v[37:38], v[39:40]
	buffer_store_dword v2, off, s[0:3], 0 offset:132
	buffer_store_dword v1, off, s[0:3], 0 offset:128
	;; [unrolled: 1-line block ×4, first 2 shown]
.LBB56_387:
	s_or_b32 exec_lo, exec_lo, s8
	v_mov_b32_e32 v4, s57
	v_cmp_lt_u32_e64 s4, 7, v0
	s_clause 0x3
	buffer_load_dword v1, v4, s[0:3], 0 offen
	buffer_load_dword v2, v4, s[0:3], 0 offen offset:4
	buffer_load_dword v3, v4, s[0:3], 0 offen offset:8
	;; [unrolled: 1-line block ×3, first 2 shown]
	s_waitcnt vmcnt(0)
	ds_write_b128 v36, v[1:4]
	s_waitcnt lgkmcnt(0)
	s_waitcnt_vscnt null, 0x0
	s_barrier
	buffer_gl0_inv
	s_and_saveexec_b32 s8, s4
	s_cbranch_execz .LBB56_395
; %bb.388:
	ds_read_b128 v[1:4], v36
	s_andn2_b32 vcc_lo, exec_lo, s64
	s_cbranch_vccnz .LBB56_390
; %bb.389:
	s_clause 0x3
	buffer_load_dword v37, v35, s[0:3], 0 offen offset:8
	buffer_load_dword v38, v35, s[0:3], 0 offen offset:12
	buffer_load_dword v39, v35, s[0:3], 0 offen
	buffer_load_dword v40, v35, s[0:3], 0 offen offset:4
	s_waitcnt vmcnt(2) lgkmcnt(0)
	v_mul_f64 v[41:42], v[3:4], v[37:38]
	v_mul_f64 v[37:38], v[1:2], v[37:38]
	s_waitcnt vmcnt(0)
	v_fma_f64 v[1:2], v[1:2], v[39:40], -v[41:42]
	v_fma_f64 v[3:4], v[3:4], v[39:40], v[37:38]
.LBB56_390:
	s_and_saveexec_b32 s65, s5
	s_cbranch_execz .LBB56_394
; %bb.391:
	v_add_nc_u32_e32 v37, -8, v0
	s_movk_i32 s66, 0x410
	s_mov_b32 s5, 0
	s_mov_b32 s67, s56
	.p2align	6
.LBB56_392:                             ; =>This Inner Loop Header: Depth=1
	v_mov_b32_e32 v38, s67
	v_add_nc_u32_e32 v37, -1, v37
	s_add_i32 s67, s67, 16
	s_clause 0x3
	buffer_load_dword v42, v38, s[0:3], 0 offen offset:8
	buffer_load_dword v43, v38, s[0:3], 0 offen offset:12
	buffer_load_dword v44, v38, s[0:3], 0 offen
	buffer_load_dword v45, v38, s[0:3], 0 offen offset:4
	v_mov_b32_e32 v38, s66
	v_cmp_eq_u32_e32 vcc_lo, 0, v37
	s_add_i32 s66, s66, 16
	ds_read_b128 v[38:41], v38
	s_or_b32 s5, vcc_lo, s5
	s_waitcnt vmcnt(2) lgkmcnt(0)
	v_mul_f64 v[46:47], v[40:41], v[42:43]
	v_mul_f64 v[42:43], v[38:39], v[42:43]
	s_waitcnt vmcnt(0)
	v_fma_f64 v[38:39], v[38:39], v[44:45], -v[46:47]
	v_fma_f64 v[40:41], v[40:41], v[44:45], v[42:43]
	v_add_f64 v[1:2], v[1:2], v[38:39]
	v_add_f64 v[3:4], v[3:4], v[40:41]
	s_andn2_b32 exec_lo, exec_lo, s5
	s_cbranch_execnz .LBB56_392
; %bb.393:
	s_or_b32 exec_lo, exec_lo, s5
.LBB56_394:
	s_or_b32 exec_lo, exec_lo, s65
	v_mov_b32_e32 v37, 0
	ds_read_b128 v[37:40], v37 offset:112
	s_waitcnt lgkmcnt(0)
	v_mul_f64 v[41:42], v[3:4], v[39:40]
	v_mul_f64 v[39:40], v[1:2], v[39:40]
	v_fma_f64 v[1:2], v[1:2], v[37:38], -v[41:42]
	v_fma_f64 v[3:4], v[3:4], v[37:38], v[39:40]
	buffer_store_dword v2, off, s[0:3], 0 offset:116
	buffer_store_dword v1, off, s[0:3], 0 offset:112
	;; [unrolled: 1-line block ×4, first 2 shown]
.LBB56_395:
	s_or_b32 exec_lo, exec_lo, s8
	v_mov_b32_e32 v4, s58
	v_cmp_lt_u32_e64 s5, 6, v0
	s_clause 0x3
	buffer_load_dword v1, v4, s[0:3], 0 offen
	buffer_load_dword v2, v4, s[0:3], 0 offen offset:4
	buffer_load_dword v3, v4, s[0:3], 0 offen offset:8
	;; [unrolled: 1-line block ×3, first 2 shown]
	s_waitcnt vmcnt(0)
	ds_write_b128 v36, v[1:4]
	s_waitcnt lgkmcnt(0)
	s_waitcnt_vscnt null, 0x0
	s_barrier
	buffer_gl0_inv
	s_and_saveexec_b32 s8, s5
	s_cbranch_execz .LBB56_403
; %bb.396:
	ds_read_b128 v[1:4], v36
	s_andn2_b32 vcc_lo, exec_lo, s64
	s_cbranch_vccnz .LBB56_398
; %bb.397:
	s_clause 0x3
	buffer_load_dword v37, v35, s[0:3], 0 offen offset:8
	buffer_load_dword v38, v35, s[0:3], 0 offen offset:12
	buffer_load_dword v39, v35, s[0:3], 0 offen
	buffer_load_dword v40, v35, s[0:3], 0 offen offset:4
	s_waitcnt vmcnt(2) lgkmcnt(0)
	v_mul_f64 v[41:42], v[3:4], v[37:38]
	v_mul_f64 v[37:38], v[1:2], v[37:38]
	s_waitcnt vmcnt(0)
	v_fma_f64 v[1:2], v[1:2], v[39:40], -v[41:42]
	v_fma_f64 v[3:4], v[3:4], v[39:40], v[37:38]
.LBB56_398:
	s_and_saveexec_b32 s65, s4
	s_cbranch_execz .LBB56_402
; %bb.399:
	v_add_nc_u32_e32 v37, -7, v0
	s_movk_i32 s66, 0x400
	s_mov_b32 s4, 0
	s_mov_b32 s67, s57
	.p2align	6
.LBB56_400:                             ; =>This Inner Loop Header: Depth=1
	v_mov_b32_e32 v38, s67
	v_add_nc_u32_e32 v37, -1, v37
	s_add_i32 s67, s67, 16
	s_clause 0x3
	buffer_load_dword v42, v38, s[0:3], 0 offen offset:8
	buffer_load_dword v43, v38, s[0:3], 0 offen offset:12
	buffer_load_dword v44, v38, s[0:3], 0 offen
	buffer_load_dword v45, v38, s[0:3], 0 offen offset:4
	v_mov_b32_e32 v38, s66
	v_cmp_eq_u32_e32 vcc_lo, 0, v37
	s_add_i32 s66, s66, 16
	ds_read_b128 v[38:41], v38
	s_or_b32 s4, vcc_lo, s4
	s_waitcnt vmcnt(2) lgkmcnt(0)
	v_mul_f64 v[46:47], v[40:41], v[42:43]
	v_mul_f64 v[42:43], v[38:39], v[42:43]
	s_waitcnt vmcnt(0)
	v_fma_f64 v[38:39], v[38:39], v[44:45], -v[46:47]
	v_fma_f64 v[40:41], v[40:41], v[44:45], v[42:43]
	v_add_f64 v[1:2], v[1:2], v[38:39]
	v_add_f64 v[3:4], v[3:4], v[40:41]
	s_andn2_b32 exec_lo, exec_lo, s4
	s_cbranch_execnz .LBB56_400
; %bb.401:
	s_or_b32 exec_lo, exec_lo, s4
.LBB56_402:
	s_or_b32 exec_lo, exec_lo, s65
	v_mov_b32_e32 v37, 0
	ds_read_b128 v[37:40], v37 offset:96
	s_waitcnt lgkmcnt(0)
	v_mul_f64 v[41:42], v[3:4], v[39:40]
	v_mul_f64 v[39:40], v[1:2], v[39:40]
	v_fma_f64 v[1:2], v[1:2], v[37:38], -v[41:42]
	v_fma_f64 v[3:4], v[3:4], v[37:38], v[39:40]
	buffer_store_dword v2, off, s[0:3], 0 offset:100
	buffer_store_dword v1, off, s[0:3], 0 offset:96
	;; [unrolled: 1-line block ×4, first 2 shown]
.LBB56_403:
	s_or_b32 exec_lo, exec_lo, s8
	v_mov_b32_e32 v4, s59
	v_cmp_lt_u32_e64 s4, 5, v0
	s_clause 0x3
	buffer_load_dword v1, v4, s[0:3], 0 offen
	buffer_load_dword v2, v4, s[0:3], 0 offen offset:4
	buffer_load_dword v3, v4, s[0:3], 0 offen offset:8
	;; [unrolled: 1-line block ×3, first 2 shown]
	s_waitcnt vmcnt(0)
	ds_write_b128 v36, v[1:4]
	s_waitcnt lgkmcnt(0)
	s_waitcnt_vscnt null, 0x0
	s_barrier
	buffer_gl0_inv
	s_and_saveexec_b32 s8, s4
	s_cbranch_execz .LBB56_411
; %bb.404:
	ds_read_b128 v[1:4], v36
	s_andn2_b32 vcc_lo, exec_lo, s64
	s_cbranch_vccnz .LBB56_406
; %bb.405:
	s_clause 0x3
	buffer_load_dword v37, v35, s[0:3], 0 offen offset:8
	buffer_load_dword v38, v35, s[0:3], 0 offen offset:12
	buffer_load_dword v39, v35, s[0:3], 0 offen
	buffer_load_dword v40, v35, s[0:3], 0 offen offset:4
	s_waitcnt vmcnt(2) lgkmcnt(0)
	v_mul_f64 v[41:42], v[3:4], v[37:38]
	v_mul_f64 v[37:38], v[1:2], v[37:38]
	s_waitcnt vmcnt(0)
	v_fma_f64 v[1:2], v[1:2], v[39:40], -v[41:42]
	v_fma_f64 v[3:4], v[3:4], v[39:40], v[37:38]
.LBB56_406:
	s_and_saveexec_b32 s65, s5
	s_cbranch_execz .LBB56_410
; %bb.407:
	v_add_nc_u32_e32 v37, -6, v0
	s_movk_i32 s66, 0x3f0
	s_mov_b32 s5, 0
	s_mov_b32 s67, s58
	.p2align	6
.LBB56_408:                             ; =>This Inner Loop Header: Depth=1
	v_mov_b32_e32 v38, s67
	v_add_nc_u32_e32 v37, -1, v37
	s_add_i32 s67, s67, 16
	s_clause 0x3
	buffer_load_dword v42, v38, s[0:3], 0 offen offset:8
	buffer_load_dword v43, v38, s[0:3], 0 offen offset:12
	buffer_load_dword v44, v38, s[0:3], 0 offen
	buffer_load_dword v45, v38, s[0:3], 0 offen offset:4
	v_mov_b32_e32 v38, s66
	v_cmp_eq_u32_e32 vcc_lo, 0, v37
	s_add_i32 s66, s66, 16
	ds_read_b128 v[38:41], v38
	s_or_b32 s5, vcc_lo, s5
	s_waitcnt vmcnt(2) lgkmcnt(0)
	v_mul_f64 v[46:47], v[40:41], v[42:43]
	v_mul_f64 v[42:43], v[38:39], v[42:43]
	s_waitcnt vmcnt(0)
	v_fma_f64 v[38:39], v[38:39], v[44:45], -v[46:47]
	v_fma_f64 v[40:41], v[40:41], v[44:45], v[42:43]
	v_add_f64 v[1:2], v[1:2], v[38:39]
	v_add_f64 v[3:4], v[3:4], v[40:41]
	s_andn2_b32 exec_lo, exec_lo, s5
	s_cbranch_execnz .LBB56_408
; %bb.409:
	s_or_b32 exec_lo, exec_lo, s5
.LBB56_410:
	s_or_b32 exec_lo, exec_lo, s65
	v_mov_b32_e32 v37, 0
	ds_read_b128 v[37:40], v37 offset:80
	s_waitcnt lgkmcnt(0)
	v_mul_f64 v[41:42], v[3:4], v[39:40]
	v_mul_f64 v[39:40], v[1:2], v[39:40]
	v_fma_f64 v[1:2], v[1:2], v[37:38], -v[41:42]
	v_fma_f64 v[3:4], v[3:4], v[37:38], v[39:40]
	buffer_store_dword v2, off, s[0:3], 0 offset:84
	buffer_store_dword v1, off, s[0:3], 0 offset:80
	buffer_store_dword v4, off, s[0:3], 0 offset:92
	buffer_store_dword v3, off, s[0:3], 0 offset:88
.LBB56_411:
	s_or_b32 exec_lo, exec_lo, s8
	v_mov_b32_e32 v4, s60
	v_cmp_lt_u32_e64 s5, 4, v0
	s_clause 0x3
	buffer_load_dword v1, v4, s[0:3], 0 offen
	buffer_load_dword v2, v4, s[0:3], 0 offen offset:4
	buffer_load_dword v3, v4, s[0:3], 0 offen offset:8
	;; [unrolled: 1-line block ×3, first 2 shown]
	s_waitcnt vmcnt(0)
	ds_write_b128 v36, v[1:4]
	s_waitcnt lgkmcnt(0)
	s_waitcnt_vscnt null, 0x0
	s_barrier
	buffer_gl0_inv
	s_and_saveexec_b32 s8, s5
	s_cbranch_execz .LBB56_419
; %bb.412:
	ds_read_b128 v[1:4], v36
	s_andn2_b32 vcc_lo, exec_lo, s64
	s_cbranch_vccnz .LBB56_414
; %bb.413:
	s_clause 0x3
	buffer_load_dword v37, v35, s[0:3], 0 offen offset:8
	buffer_load_dword v38, v35, s[0:3], 0 offen offset:12
	buffer_load_dword v39, v35, s[0:3], 0 offen
	buffer_load_dword v40, v35, s[0:3], 0 offen offset:4
	s_waitcnt vmcnt(2) lgkmcnt(0)
	v_mul_f64 v[41:42], v[3:4], v[37:38]
	v_mul_f64 v[37:38], v[1:2], v[37:38]
	s_waitcnt vmcnt(0)
	v_fma_f64 v[1:2], v[1:2], v[39:40], -v[41:42]
	v_fma_f64 v[3:4], v[3:4], v[39:40], v[37:38]
.LBB56_414:
	s_and_saveexec_b32 s65, s4
	s_cbranch_execz .LBB56_418
; %bb.415:
	v_add_nc_u32_e32 v37, -5, v0
	s_movk_i32 s66, 0x3e0
	s_mov_b32 s4, 0
	s_mov_b32 s67, s59
	.p2align	6
.LBB56_416:                             ; =>This Inner Loop Header: Depth=1
	v_mov_b32_e32 v38, s67
	v_add_nc_u32_e32 v37, -1, v37
	s_add_i32 s67, s67, 16
	s_clause 0x3
	buffer_load_dword v42, v38, s[0:3], 0 offen offset:8
	buffer_load_dword v43, v38, s[0:3], 0 offen offset:12
	buffer_load_dword v44, v38, s[0:3], 0 offen
	buffer_load_dword v45, v38, s[0:3], 0 offen offset:4
	v_mov_b32_e32 v38, s66
	v_cmp_eq_u32_e32 vcc_lo, 0, v37
	s_add_i32 s66, s66, 16
	ds_read_b128 v[38:41], v38
	s_or_b32 s4, vcc_lo, s4
	s_waitcnt vmcnt(2) lgkmcnt(0)
	v_mul_f64 v[46:47], v[40:41], v[42:43]
	v_mul_f64 v[42:43], v[38:39], v[42:43]
	s_waitcnt vmcnt(0)
	v_fma_f64 v[38:39], v[38:39], v[44:45], -v[46:47]
	v_fma_f64 v[40:41], v[40:41], v[44:45], v[42:43]
	v_add_f64 v[1:2], v[1:2], v[38:39]
	v_add_f64 v[3:4], v[3:4], v[40:41]
	s_andn2_b32 exec_lo, exec_lo, s4
	s_cbranch_execnz .LBB56_416
; %bb.417:
	s_or_b32 exec_lo, exec_lo, s4
.LBB56_418:
	s_or_b32 exec_lo, exec_lo, s65
	v_mov_b32_e32 v37, 0
	ds_read_b128 v[37:40], v37 offset:64
	s_waitcnt lgkmcnt(0)
	v_mul_f64 v[41:42], v[3:4], v[39:40]
	v_mul_f64 v[39:40], v[1:2], v[39:40]
	v_fma_f64 v[1:2], v[1:2], v[37:38], -v[41:42]
	v_fma_f64 v[3:4], v[3:4], v[37:38], v[39:40]
	buffer_store_dword v2, off, s[0:3], 0 offset:68
	buffer_store_dword v1, off, s[0:3], 0 offset:64
	;; [unrolled: 1-line block ×4, first 2 shown]
.LBB56_419:
	s_or_b32 exec_lo, exec_lo, s8
	v_mov_b32_e32 v4, s61
	v_cmp_lt_u32_e64 s4, 3, v0
	s_clause 0x3
	buffer_load_dword v1, v4, s[0:3], 0 offen
	buffer_load_dword v2, v4, s[0:3], 0 offen offset:4
	buffer_load_dword v3, v4, s[0:3], 0 offen offset:8
	buffer_load_dword v4, v4, s[0:3], 0 offen offset:12
	s_waitcnt vmcnt(0)
	ds_write_b128 v36, v[1:4]
	s_waitcnt lgkmcnt(0)
	s_waitcnt_vscnt null, 0x0
	s_barrier
	buffer_gl0_inv
	s_and_saveexec_b32 s8, s4
	s_cbranch_execz .LBB56_427
; %bb.420:
	ds_read_b128 v[1:4], v36
	s_andn2_b32 vcc_lo, exec_lo, s64
	s_cbranch_vccnz .LBB56_422
; %bb.421:
	s_clause 0x3
	buffer_load_dword v37, v35, s[0:3], 0 offen offset:8
	buffer_load_dword v38, v35, s[0:3], 0 offen offset:12
	buffer_load_dword v39, v35, s[0:3], 0 offen
	buffer_load_dword v40, v35, s[0:3], 0 offen offset:4
	s_waitcnt vmcnt(2) lgkmcnt(0)
	v_mul_f64 v[41:42], v[3:4], v[37:38]
	v_mul_f64 v[37:38], v[1:2], v[37:38]
	s_waitcnt vmcnt(0)
	v_fma_f64 v[1:2], v[1:2], v[39:40], -v[41:42]
	v_fma_f64 v[3:4], v[3:4], v[39:40], v[37:38]
.LBB56_422:
	s_and_saveexec_b32 s65, s5
	s_cbranch_execz .LBB56_426
; %bb.423:
	v_add_nc_u32_e32 v37, -4, v0
	s_movk_i32 s66, 0x3d0
	s_mov_b32 s5, 0
	s_mov_b32 s67, s60
	.p2align	6
.LBB56_424:                             ; =>This Inner Loop Header: Depth=1
	v_mov_b32_e32 v38, s67
	v_add_nc_u32_e32 v37, -1, v37
	s_add_i32 s67, s67, 16
	s_clause 0x3
	buffer_load_dword v42, v38, s[0:3], 0 offen offset:8
	buffer_load_dword v43, v38, s[0:3], 0 offen offset:12
	buffer_load_dword v44, v38, s[0:3], 0 offen
	buffer_load_dword v45, v38, s[0:3], 0 offen offset:4
	v_mov_b32_e32 v38, s66
	v_cmp_eq_u32_e32 vcc_lo, 0, v37
	s_add_i32 s66, s66, 16
	ds_read_b128 v[38:41], v38
	s_or_b32 s5, vcc_lo, s5
	s_waitcnt vmcnt(2) lgkmcnt(0)
	v_mul_f64 v[46:47], v[40:41], v[42:43]
	v_mul_f64 v[42:43], v[38:39], v[42:43]
	s_waitcnt vmcnt(0)
	v_fma_f64 v[38:39], v[38:39], v[44:45], -v[46:47]
	v_fma_f64 v[40:41], v[40:41], v[44:45], v[42:43]
	v_add_f64 v[1:2], v[1:2], v[38:39]
	v_add_f64 v[3:4], v[3:4], v[40:41]
	s_andn2_b32 exec_lo, exec_lo, s5
	s_cbranch_execnz .LBB56_424
; %bb.425:
	s_or_b32 exec_lo, exec_lo, s5
.LBB56_426:
	s_or_b32 exec_lo, exec_lo, s65
	v_mov_b32_e32 v37, 0
	ds_read_b128 v[37:40], v37 offset:48
	s_waitcnt lgkmcnt(0)
	v_mul_f64 v[41:42], v[3:4], v[39:40]
	v_mul_f64 v[39:40], v[1:2], v[39:40]
	v_fma_f64 v[1:2], v[1:2], v[37:38], -v[41:42]
	v_fma_f64 v[3:4], v[3:4], v[37:38], v[39:40]
	buffer_store_dword v2, off, s[0:3], 0 offset:52
	buffer_store_dword v1, off, s[0:3], 0 offset:48
	;; [unrolled: 1-line block ×4, first 2 shown]
.LBB56_427:
	s_or_b32 exec_lo, exec_lo, s8
	v_mov_b32_e32 v4, s62
	v_cmp_lt_u32_e64 s5, 2, v0
	s_clause 0x3
	buffer_load_dword v1, v4, s[0:3], 0 offen
	buffer_load_dword v2, v4, s[0:3], 0 offen offset:4
	buffer_load_dword v3, v4, s[0:3], 0 offen offset:8
	;; [unrolled: 1-line block ×3, first 2 shown]
	s_waitcnt vmcnt(0)
	ds_write_b128 v36, v[1:4]
	s_waitcnt lgkmcnt(0)
	s_waitcnt_vscnt null, 0x0
	s_barrier
	buffer_gl0_inv
	s_and_saveexec_b32 s8, s5
	s_cbranch_execz .LBB56_435
; %bb.428:
	ds_read_b128 v[1:4], v36
	s_andn2_b32 vcc_lo, exec_lo, s64
	s_cbranch_vccnz .LBB56_430
; %bb.429:
	s_clause 0x3
	buffer_load_dword v37, v35, s[0:3], 0 offen offset:8
	buffer_load_dword v38, v35, s[0:3], 0 offen offset:12
	buffer_load_dword v39, v35, s[0:3], 0 offen
	buffer_load_dword v40, v35, s[0:3], 0 offen offset:4
	s_waitcnt vmcnt(2) lgkmcnt(0)
	v_mul_f64 v[41:42], v[3:4], v[37:38]
	v_mul_f64 v[37:38], v[1:2], v[37:38]
	s_waitcnt vmcnt(0)
	v_fma_f64 v[1:2], v[1:2], v[39:40], -v[41:42]
	v_fma_f64 v[3:4], v[3:4], v[39:40], v[37:38]
.LBB56_430:
	s_and_saveexec_b32 s65, s4
	s_cbranch_execz .LBB56_434
; %bb.431:
	v_add_nc_u32_e32 v37, -3, v0
	s_movk_i32 s66, 0x3c0
	s_mov_b32 s4, 0
	s_mov_b32 s67, s61
	.p2align	6
.LBB56_432:                             ; =>This Inner Loop Header: Depth=1
	v_mov_b32_e32 v38, s67
	v_add_nc_u32_e32 v37, -1, v37
	s_add_i32 s67, s67, 16
	s_clause 0x3
	buffer_load_dword v42, v38, s[0:3], 0 offen offset:8
	buffer_load_dword v43, v38, s[0:3], 0 offen offset:12
	buffer_load_dword v44, v38, s[0:3], 0 offen
	buffer_load_dword v45, v38, s[0:3], 0 offen offset:4
	v_mov_b32_e32 v38, s66
	v_cmp_eq_u32_e32 vcc_lo, 0, v37
	s_add_i32 s66, s66, 16
	ds_read_b128 v[38:41], v38
	s_or_b32 s4, vcc_lo, s4
	s_waitcnt vmcnt(2) lgkmcnt(0)
	v_mul_f64 v[46:47], v[40:41], v[42:43]
	v_mul_f64 v[42:43], v[38:39], v[42:43]
	s_waitcnt vmcnt(0)
	v_fma_f64 v[38:39], v[38:39], v[44:45], -v[46:47]
	v_fma_f64 v[40:41], v[40:41], v[44:45], v[42:43]
	v_add_f64 v[1:2], v[1:2], v[38:39]
	v_add_f64 v[3:4], v[3:4], v[40:41]
	s_andn2_b32 exec_lo, exec_lo, s4
	s_cbranch_execnz .LBB56_432
; %bb.433:
	s_or_b32 exec_lo, exec_lo, s4
.LBB56_434:
	s_or_b32 exec_lo, exec_lo, s65
	v_mov_b32_e32 v37, 0
	ds_read_b128 v[37:40], v37 offset:32
	s_waitcnt lgkmcnt(0)
	v_mul_f64 v[41:42], v[3:4], v[39:40]
	v_mul_f64 v[39:40], v[1:2], v[39:40]
	v_fma_f64 v[1:2], v[1:2], v[37:38], -v[41:42]
	v_fma_f64 v[3:4], v[3:4], v[37:38], v[39:40]
	buffer_store_dword v2, off, s[0:3], 0 offset:36
	buffer_store_dword v1, off, s[0:3], 0 offset:32
	;; [unrolled: 1-line block ×4, first 2 shown]
.LBB56_435:
	s_or_b32 exec_lo, exec_lo, s8
	v_mov_b32_e32 v4, s63
	v_cmp_lt_u32_e64 s4, 1, v0
	s_clause 0x3
	buffer_load_dword v1, v4, s[0:3], 0 offen
	buffer_load_dword v2, v4, s[0:3], 0 offen offset:4
	buffer_load_dword v3, v4, s[0:3], 0 offen offset:8
	;; [unrolled: 1-line block ×3, first 2 shown]
	s_waitcnt vmcnt(0)
	ds_write_b128 v36, v[1:4]
	s_waitcnt lgkmcnt(0)
	s_waitcnt_vscnt null, 0x0
	s_barrier
	buffer_gl0_inv
	s_and_saveexec_b32 s8, s4
	s_cbranch_execz .LBB56_443
; %bb.436:
	ds_read_b128 v[1:4], v36
	s_andn2_b32 vcc_lo, exec_lo, s64
	s_cbranch_vccnz .LBB56_438
; %bb.437:
	s_clause 0x3
	buffer_load_dword v37, v35, s[0:3], 0 offen offset:8
	buffer_load_dword v38, v35, s[0:3], 0 offen offset:12
	buffer_load_dword v39, v35, s[0:3], 0 offen
	buffer_load_dword v40, v35, s[0:3], 0 offen offset:4
	s_waitcnt vmcnt(2) lgkmcnt(0)
	v_mul_f64 v[41:42], v[3:4], v[37:38]
	v_mul_f64 v[37:38], v[1:2], v[37:38]
	s_waitcnt vmcnt(0)
	v_fma_f64 v[1:2], v[1:2], v[39:40], -v[41:42]
	v_fma_f64 v[3:4], v[3:4], v[39:40], v[37:38]
.LBB56_438:
	s_and_saveexec_b32 s65, s5
	s_cbranch_execz .LBB56_442
; %bb.439:
	v_add_nc_u32_e32 v37, -2, v0
	s_movk_i32 s66, 0x3b0
	s_mov_b32 s5, 0
	s_mov_b32 s67, s62
	.p2align	6
.LBB56_440:                             ; =>This Inner Loop Header: Depth=1
	v_mov_b32_e32 v38, s67
	v_add_nc_u32_e32 v37, -1, v37
	s_add_i32 s67, s67, 16
	s_clause 0x3
	buffer_load_dword v42, v38, s[0:3], 0 offen offset:8
	buffer_load_dword v43, v38, s[0:3], 0 offen offset:12
	buffer_load_dword v44, v38, s[0:3], 0 offen
	buffer_load_dword v45, v38, s[0:3], 0 offen offset:4
	v_mov_b32_e32 v38, s66
	v_cmp_eq_u32_e32 vcc_lo, 0, v37
	s_add_i32 s66, s66, 16
	ds_read_b128 v[38:41], v38
	s_or_b32 s5, vcc_lo, s5
	s_waitcnt vmcnt(2) lgkmcnt(0)
	v_mul_f64 v[46:47], v[40:41], v[42:43]
	v_mul_f64 v[42:43], v[38:39], v[42:43]
	s_waitcnt vmcnt(0)
	v_fma_f64 v[38:39], v[38:39], v[44:45], -v[46:47]
	v_fma_f64 v[40:41], v[40:41], v[44:45], v[42:43]
	v_add_f64 v[1:2], v[1:2], v[38:39]
	v_add_f64 v[3:4], v[3:4], v[40:41]
	s_andn2_b32 exec_lo, exec_lo, s5
	s_cbranch_execnz .LBB56_440
; %bb.441:
	s_or_b32 exec_lo, exec_lo, s5
.LBB56_442:
	s_or_b32 exec_lo, exec_lo, s65
	v_mov_b32_e32 v37, 0
	ds_read_b128 v[37:40], v37 offset:16
	s_waitcnt lgkmcnt(0)
	v_mul_f64 v[41:42], v[3:4], v[39:40]
	v_mul_f64 v[39:40], v[1:2], v[39:40]
	v_fma_f64 v[1:2], v[1:2], v[37:38], -v[41:42]
	v_fma_f64 v[3:4], v[3:4], v[37:38], v[39:40]
	buffer_store_dword v2, off, s[0:3], 0 offset:20
	buffer_store_dword v1, off, s[0:3], 0 offset:16
	buffer_store_dword v4, off, s[0:3], 0 offset:28
	buffer_store_dword v3, off, s[0:3], 0 offset:24
.LBB56_443:
	s_or_b32 exec_lo, exec_lo, s8
	s_clause 0x3
	buffer_load_dword v1, off, s[0:3], 0
	buffer_load_dword v2, off, s[0:3], 0 offset:4
	buffer_load_dword v3, off, s[0:3], 0 offset:8
	;; [unrolled: 1-line block ×3, first 2 shown]
	s_mov_b32 s8, 0
	s_mov_b32 s5, 0
	s_mov_b32 s65, exec_lo
                                        ; implicit-def: $sgpr66
	s_waitcnt vmcnt(0)
	ds_write_b128 v36, v[1:4]
	s_waitcnt lgkmcnt(0)
	s_waitcnt_vscnt null, 0x0
	s_barrier
	buffer_gl0_inv
                                        ; implicit-def: $vgpr1_vgpr2
	v_cmpx_ne_u32_e32 0, v0
	s_cbranch_execz .LBB56_451
; %bb.444:
	ds_read_b128 v[1:4], v36
	s_andn2_b32 vcc_lo, exec_lo, s64
	s_cbranch_vccnz .LBB56_446
; %bb.445:
	s_clause 0x3
	buffer_load_dword v37, v35, s[0:3], 0 offen offset:8
	buffer_load_dword v38, v35, s[0:3], 0 offen offset:12
	buffer_load_dword v39, v35, s[0:3], 0 offen
	buffer_load_dword v40, v35, s[0:3], 0 offen offset:4
	s_waitcnt vmcnt(2) lgkmcnt(0)
	v_mul_f64 v[41:42], v[3:4], v[37:38]
	v_mul_f64 v[37:38], v[1:2], v[37:38]
	s_waitcnt vmcnt(0)
	v_fma_f64 v[1:2], v[1:2], v[39:40], -v[41:42]
	v_fma_f64 v[3:4], v[3:4], v[39:40], v[37:38]
.LBB56_446:
	s_and_saveexec_b32 s5, s4
	s_cbranch_execz .LBB56_450
; %bb.447:
	v_add_nc_u32_e32 v37, -1, v0
	s_movk_i32 s66, 0x3a0
	s_mov_b32 s4, 0
	s_mov_b32 s67, s63
	.p2align	6
.LBB56_448:                             ; =>This Inner Loop Header: Depth=1
	v_mov_b32_e32 v38, s67
	v_add_nc_u32_e32 v37, -1, v37
	s_add_i32 s67, s67, 16
	s_clause 0x3
	buffer_load_dword v42, v38, s[0:3], 0 offen offset:8
	buffer_load_dword v43, v38, s[0:3], 0 offen offset:12
	buffer_load_dword v44, v38, s[0:3], 0 offen
	buffer_load_dword v45, v38, s[0:3], 0 offen offset:4
	v_mov_b32_e32 v38, s66
	v_cmp_eq_u32_e32 vcc_lo, 0, v37
	s_add_i32 s66, s66, 16
	ds_read_b128 v[38:41], v38
	s_or_b32 s4, vcc_lo, s4
	s_waitcnt vmcnt(2) lgkmcnt(0)
	v_mul_f64 v[46:47], v[40:41], v[42:43]
	v_mul_f64 v[42:43], v[38:39], v[42:43]
	s_waitcnt vmcnt(0)
	v_fma_f64 v[38:39], v[38:39], v[44:45], -v[46:47]
	v_fma_f64 v[40:41], v[40:41], v[44:45], v[42:43]
	v_add_f64 v[1:2], v[1:2], v[38:39]
	v_add_f64 v[3:4], v[3:4], v[40:41]
	s_andn2_b32 exec_lo, exec_lo, s4
	s_cbranch_execnz .LBB56_448
; %bb.449:
	s_or_b32 exec_lo, exec_lo, s4
.LBB56_450:
	s_or_b32 exec_lo, exec_lo, s5
	v_mov_b32_e32 v37, 0
	s_mov_b32 s5, exec_lo
	s_or_b32 s66, 0, 8
	ds_read_b128 v[37:40], v37
	s_waitcnt lgkmcnt(0)
	v_mul_f64 v[41:42], v[3:4], v[39:40]
	v_mul_f64 v[39:40], v[1:2], v[39:40]
	v_fma_f64 v[41:42], v[1:2], v[37:38], -v[41:42]
	v_fma_f64 v[1:2], v[3:4], v[37:38], v[39:40]
	buffer_store_dword v42, off, s[0:3], 0 offset:4
	buffer_store_dword v41, off, s[0:3], 0
.LBB56_451:
	s_or_b32 exec_lo, exec_lo, s65
	s_and_b32 vcc_lo, exec_lo, s8
	s_cbranch_vccnz .LBB56_453
	s_branch .LBB56_896
.LBB56_452:
	s_mov_b32 s5, 0
                                        ; implicit-def: $vgpr1_vgpr2
                                        ; implicit-def: $sgpr66
	s_cbranch_execz .LBB56_896
.LBB56_453:
	v_mov_b32_e32 v4, s63
	v_cmp_eq_u32_e64 s4, 0, v0
	v_cndmask_b32_e64 v37, 0, 1, s64
	s_clause 0x3
	buffer_load_dword v1, v4, s[0:3], 0 offen
	buffer_load_dword v2, v4, s[0:3], 0 offen offset:4
	buffer_load_dword v3, v4, s[0:3], 0 offen offset:8
	;; [unrolled: 1-line block ×3, first 2 shown]
	s_waitcnt vmcnt(0)
	ds_write_b128 v36, v[1:4]
	s_waitcnt lgkmcnt(0)
	s_waitcnt_vscnt null, 0x0
	s_barrier
	buffer_gl0_inv
	s_and_saveexec_b32 s8, s4
	s_cbranch_execz .LBB56_457
; %bb.454:
	ds_read_b128 v[1:4], v36
	s_andn2_b32 vcc_lo, exec_lo, s64
	s_cbranch_vccnz .LBB56_456
; %bb.455:
	s_clause 0x3
	buffer_load_dword v38, v35, s[0:3], 0 offen offset:8
	buffer_load_dword v39, v35, s[0:3], 0 offen offset:12
	buffer_load_dword v40, v35, s[0:3], 0 offen
	buffer_load_dword v41, v35, s[0:3], 0 offen offset:4
	s_waitcnt vmcnt(2) lgkmcnt(0)
	v_mul_f64 v[42:43], v[3:4], v[38:39]
	v_mul_f64 v[38:39], v[1:2], v[38:39]
	s_waitcnt vmcnt(0)
	v_fma_f64 v[1:2], v[1:2], v[40:41], -v[42:43]
	v_fma_f64 v[3:4], v[3:4], v[40:41], v[38:39]
.LBB56_456:
	v_mov_b32_e32 v38, 0
	ds_read_b128 v[38:41], v38 offset:16
	s_waitcnt lgkmcnt(0)
	v_mul_f64 v[42:43], v[3:4], v[40:41]
	v_mul_f64 v[40:41], v[1:2], v[40:41]
	v_fma_f64 v[1:2], v[1:2], v[38:39], -v[42:43]
	v_fma_f64 v[3:4], v[3:4], v[38:39], v[40:41]
	buffer_store_dword v2, off, s[0:3], 0 offset:20
	buffer_store_dword v1, off, s[0:3], 0 offset:16
	;; [unrolled: 1-line block ×4, first 2 shown]
.LBB56_457:
	s_or_b32 exec_lo, exec_lo, s8
	v_mov_b32_e32 v4, s62
	s_mov_b32 s8, exec_lo
	s_clause 0x3
	buffer_load_dword v1, v4, s[0:3], 0 offen
	buffer_load_dword v2, v4, s[0:3], 0 offen offset:4
	buffer_load_dword v3, v4, s[0:3], 0 offen offset:8
	;; [unrolled: 1-line block ×3, first 2 shown]
	s_waitcnt vmcnt(0)
	ds_write_b128 v36, v[1:4]
	s_waitcnt lgkmcnt(0)
	s_waitcnt_vscnt null, 0x0
	s_barrier
	buffer_gl0_inv
	v_cmpx_gt_u32_e32 2, v0
	s_cbranch_execz .LBB56_463
; %bb.458:
	ds_read_b128 v[1:4], v36
	v_cmp_ne_u32_e32 vcc_lo, 1, v37
	s_cbranch_vccnz .LBB56_460
; %bb.459:
	s_clause 0x3
	buffer_load_dword v38, v35, s[0:3], 0 offen offset:8
	buffer_load_dword v39, v35, s[0:3], 0 offen offset:12
	buffer_load_dword v40, v35, s[0:3], 0 offen
	buffer_load_dword v41, v35, s[0:3], 0 offen offset:4
	s_waitcnt vmcnt(2) lgkmcnt(0)
	v_mul_f64 v[42:43], v[3:4], v[38:39]
	v_mul_f64 v[38:39], v[1:2], v[38:39]
	s_waitcnt vmcnt(0)
	v_fma_f64 v[1:2], v[1:2], v[40:41], -v[42:43]
	v_fma_f64 v[3:4], v[3:4], v[40:41], v[38:39]
.LBB56_460:
	s_and_saveexec_b32 s64, s4
	s_cbranch_execz .LBB56_462
; %bb.461:
	s_clause 0x3
	buffer_load_dword v42, off, s[0:3], 0 offset:24
	buffer_load_dword v43, off, s[0:3], 0 offset:28
	;; [unrolled: 1-line block ×4, first 2 shown]
	v_mov_b32_e32 v38, 0
	ds_read_b128 v[38:41], v38 offset:928
	s_waitcnt vmcnt(2) lgkmcnt(0)
	v_mul_f64 v[46:47], v[40:41], v[42:43]
	v_mul_f64 v[42:43], v[38:39], v[42:43]
	s_waitcnt vmcnt(0)
	v_fma_f64 v[38:39], v[38:39], v[44:45], -v[46:47]
	v_fma_f64 v[40:41], v[40:41], v[44:45], v[42:43]
	v_add_f64 v[1:2], v[1:2], v[38:39]
	v_add_f64 v[3:4], v[3:4], v[40:41]
.LBB56_462:
	s_or_b32 exec_lo, exec_lo, s64
	v_mov_b32_e32 v38, 0
	ds_read_b128 v[38:41], v38 offset:32
	s_waitcnt lgkmcnt(0)
	v_mul_f64 v[42:43], v[3:4], v[40:41]
	v_mul_f64 v[40:41], v[1:2], v[40:41]
	v_fma_f64 v[1:2], v[1:2], v[38:39], -v[42:43]
	v_fma_f64 v[3:4], v[3:4], v[38:39], v[40:41]
	buffer_store_dword v2, off, s[0:3], 0 offset:36
	buffer_store_dword v1, off, s[0:3], 0 offset:32
	buffer_store_dword v4, off, s[0:3], 0 offset:44
	buffer_store_dword v3, off, s[0:3], 0 offset:40
.LBB56_463:
	s_or_b32 exec_lo, exec_lo, s8
	v_mov_b32_e32 v4, s61
	s_mov_b32 s8, exec_lo
	s_clause 0x3
	buffer_load_dword v1, v4, s[0:3], 0 offen
	buffer_load_dword v2, v4, s[0:3], 0 offen offset:4
	buffer_load_dword v3, v4, s[0:3], 0 offen offset:8
	;; [unrolled: 1-line block ×3, first 2 shown]
	s_waitcnt vmcnt(0)
	ds_write_b128 v36, v[1:4]
	s_waitcnt lgkmcnt(0)
	s_waitcnt_vscnt null, 0x0
	s_barrier
	buffer_gl0_inv
	v_cmpx_gt_u32_e32 3, v0
	s_cbranch_execz .LBB56_471
; %bb.464:
	ds_read_b128 v[1:4], v36
	v_cmp_ne_u32_e32 vcc_lo, 1, v37
	s_cbranch_vccnz .LBB56_466
; %bb.465:
	s_clause 0x3
	buffer_load_dword v38, v35, s[0:3], 0 offen offset:8
	buffer_load_dword v39, v35, s[0:3], 0 offen offset:12
	buffer_load_dword v40, v35, s[0:3], 0 offen
	buffer_load_dword v41, v35, s[0:3], 0 offen offset:4
	s_waitcnt vmcnt(2) lgkmcnt(0)
	v_mul_f64 v[42:43], v[3:4], v[38:39]
	v_mul_f64 v[38:39], v[1:2], v[38:39]
	s_waitcnt vmcnt(0)
	v_fma_f64 v[1:2], v[1:2], v[40:41], -v[42:43]
	v_fma_f64 v[3:4], v[3:4], v[40:41], v[38:39]
.LBB56_466:
	s_mov_b32 s64, exec_lo
	v_cmpx_ne_u32_e32 2, v0
	s_cbranch_execz .LBB56_470
; %bb.467:
	s_clause 0x3
	buffer_load_dword v42, v35, s[0:3], 0 offen offset:24
	buffer_load_dword v43, v35, s[0:3], 0 offen offset:28
	buffer_load_dword v44, v35, s[0:3], 0 offen offset:16
	buffer_load_dword v45, v35, s[0:3], 0 offen offset:20
	ds_read_b128 v[38:41], v36 offset:16
	s_waitcnt vmcnt(2) lgkmcnt(0)
	v_mul_f64 v[46:47], v[40:41], v[42:43]
	v_mul_f64 v[42:43], v[38:39], v[42:43]
	s_waitcnt vmcnt(0)
	v_fma_f64 v[38:39], v[38:39], v[44:45], -v[46:47]
	v_fma_f64 v[40:41], v[40:41], v[44:45], v[42:43]
	v_add_f64 v[1:2], v[1:2], v[38:39]
	v_add_f64 v[3:4], v[3:4], v[40:41]
	s_and_saveexec_b32 s65, s4
	s_cbranch_execz .LBB56_469
; %bb.468:
	s_clause 0x3
	buffer_load_dword v42, off, s[0:3], 0 offset:40
	buffer_load_dword v43, off, s[0:3], 0 offset:44
	;; [unrolled: 1-line block ×4, first 2 shown]
	v_mov_b32_e32 v38, 0
	ds_read_b128 v[38:41], v38 offset:944
	s_waitcnt vmcnt(2) lgkmcnt(0)
	v_mul_f64 v[46:47], v[38:39], v[42:43]
	v_mul_f64 v[42:43], v[40:41], v[42:43]
	s_waitcnt vmcnt(0)
	v_fma_f64 v[40:41], v[40:41], v[44:45], v[46:47]
	v_fma_f64 v[38:39], v[38:39], v[44:45], -v[42:43]
	v_add_f64 v[3:4], v[3:4], v[40:41]
	v_add_f64 v[1:2], v[1:2], v[38:39]
.LBB56_469:
	s_or_b32 exec_lo, exec_lo, s65
.LBB56_470:
	s_or_b32 exec_lo, exec_lo, s64
	v_mov_b32_e32 v38, 0
	ds_read_b128 v[38:41], v38 offset:48
	s_waitcnt lgkmcnt(0)
	v_mul_f64 v[42:43], v[3:4], v[40:41]
	v_mul_f64 v[40:41], v[1:2], v[40:41]
	v_fma_f64 v[1:2], v[1:2], v[38:39], -v[42:43]
	v_fma_f64 v[3:4], v[3:4], v[38:39], v[40:41]
	buffer_store_dword v2, off, s[0:3], 0 offset:52
	buffer_store_dword v1, off, s[0:3], 0 offset:48
	buffer_store_dword v4, off, s[0:3], 0 offset:60
	buffer_store_dword v3, off, s[0:3], 0 offset:56
.LBB56_471:
	s_or_b32 exec_lo, exec_lo, s8
	v_mov_b32_e32 v4, s60
	s_mov_b32 s4, exec_lo
	s_clause 0x3
	buffer_load_dword v1, v4, s[0:3], 0 offen
	buffer_load_dword v2, v4, s[0:3], 0 offen offset:4
	buffer_load_dword v3, v4, s[0:3], 0 offen offset:8
	;; [unrolled: 1-line block ×3, first 2 shown]
	s_waitcnt vmcnt(0)
	ds_write_b128 v36, v[1:4]
	s_waitcnt lgkmcnt(0)
	s_waitcnt_vscnt null, 0x0
	s_barrier
	buffer_gl0_inv
	v_cmpx_gt_u32_e32 4, v0
	s_cbranch_execz .LBB56_479
; %bb.472:
	ds_read_b128 v[1:4], v36
	v_cmp_ne_u32_e32 vcc_lo, 1, v37
	s_cbranch_vccnz .LBB56_474
; %bb.473:
	s_clause 0x3
	buffer_load_dword v38, v35, s[0:3], 0 offen offset:8
	buffer_load_dword v39, v35, s[0:3], 0 offen offset:12
	buffer_load_dword v40, v35, s[0:3], 0 offen
	buffer_load_dword v41, v35, s[0:3], 0 offen offset:4
	s_waitcnt vmcnt(2) lgkmcnt(0)
	v_mul_f64 v[42:43], v[3:4], v[38:39]
	v_mul_f64 v[38:39], v[1:2], v[38:39]
	s_waitcnt vmcnt(0)
	v_fma_f64 v[1:2], v[1:2], v[40:41], -v[42:43]
	v_fma_f64 v[3:4], v[3:4], v[40:41], v[38:39]
.LBB56_474:
	s_mov_b32 s8, exec_lo
	v_cmpx_ne_u32_e32 3, v0
	s_cbranch_execz .LBB56_478
; %bb.475:
	v_add_nc_u32_e32 v38, 0x3a0, v133
	v_add3_u32 v39, 0, v133, 16
	v_mov_b32_e32 v40, v0
	s_mov_b32 s64, 0
	.p2align	6
.LBB56_476:                             ; =>This Inner Loop Header: Depth=1
	s_clause 0x3
	buffer_load_dword v45, v39, s[0:3], 0 offen offset:8
	buffer_load_dword v46, v39, s[0:3], 0 offen offset:12
	buffer_load_dword v47, v39, s[0:3], 0 offen
	buffer_load_dword v48, v39, s[0:3], 0 offen offset:4
	ds_read_b128 v[41:44], v38
	v_add_nc_u32_e32 v40, 1, v40
	v_add_nc_u32_e32 v38, 16, v38
	;; [unrolled: 1-line block ×3, first 2 shown]
	v_cmp_lt_u32_e32 vcc_lo, 2, v40
	s_or_b32 s64, vcc_lo, s64
	s_waitcnt vmcnt(2) lgkmcnt(0)
	v_mul_f64 v[134:135], v[43:44], v[45:46]
	v_mul_f64 v[45:46], v[41:42], v[45:46]
	s_waitcnt vmcnt(0)
	v_fma_f64 v[41:42], v[41:42], v[47:48], -v[134:135]
	v_fma_f64 v[43:44], v[43:44], v[47:48], v[45:46]
	v_add_f64 v[1:2], v[1:2], v[41:42]
	v_add_f64 v[3:4], v[3:4], v[43:44]
	s_andn2_b32 exec_lo, exec_lo, s64
	s_cbranch_execnz .LBB56_476
; %bb.477:
	s_or_b32 exec_lo, exec_lo, s64
.LBB56_478:
	s_or_b32 exec_lo, exec_lo, s8
	v_mov_b32_e32 v38, 0
	ds_read_b128 v[38:41], v38 offset:64
	s_waitcnt lgkmcnt(0)
	v_mul_f64 v[42:43], v[3:4], v[40:41]
	v_mul_f64 v[40:41], v[1:2], v[40:41]
	v_fma_f64 v[1:2], v[1:2], v[38:39], -v[42:43]
	v_fma_f64 v[3:4], v[3:4], v[38:39], v[40:41]
	buffer_store_dword v2, off, s[0:3], 0 offset:68
	buffer_store_dword v1, off, s[0:3], 0 offset:64
	;; [unrolled: 1-line block ×4, first 2 shown]
.LBB56_479:
	s_or_b32 exec_lo, exec_lo, s4
	v_mov_b32_e32 v4, s59
	s_mov_b32 s4, exec_lo
	s_clause 0x3
	buffer_load_dword v1, v4, s[0:3], 0 offen
	buffer_load_dword v2, v4, s[0:3], 0 offen offset:4
	buffer_load_dword v3, v4, s[0:3], 0 offen offset:8
	;; [unrolled: 1-line block ×3, first 2 shown]
	s_waitcnt vmcnt(0)
	ds_write_b128 v36, v[1:4]
	s_waitcnt lgkmcnt(0)
	s_waitcnt_vscnt null, 0x0
	s_barrier
	buffer_gl0_inv
	v_cmpx_gt_u32_e32 5, v0
	s_cbranch_execz .LBB56_487
; %bb.480:
	ds_read_b128 v[1:4], v36
	v_cmp_ne_u32_e32 vcc_lo, 1, v37
	s_cbranch_vccnz .LBB56_482
; %bb.481:
	s_clause 0x3
	buffer_load_dword v38, v35, s[0:3], 0 offen offset:8
	buffer_load_dword v39, v35, s[0:3], 0 offen offset:12
	buffer_load_dword v40, v35, s[0:3], 0 offen
	buffer_load_dword v41, v35, s[0:3], 0 offen offset:4
	s_waitcnt vmcnt(2) lgkmcnt(0)
	v_mul_f64 v[42:43], v[3:4], v[38:39]
	v_mul_f64 v[38:39], v[1:2], v[38:39]
	s_waitcnt vmcnt(0)
	v_fma_f64 v[1:2], v[1:2], v[40:41], -v[42:43]
	v_fma_f64 v[3:4], v[3:4], v[40:41], v[38:39]
.LBB56_482:
	s_mov_b32 s8, exec_lo
	v_cmpx_ne_u32_e32 4, v0
	s_cbranch_execz .LBB56_486
; %bb.483:
	v_add_nc_u32_e32 v38, 0x3a0, v133
	v_add3_u32 v39, 0, v133, 16
	v_mov_b32_e32 v40, v0
	s_mov_b32 s64, 0
	.p2align	6
.LBB56_484:                             ; =>This Inner Loop Header: Depth=1
	s_clause 0x3
	buffer_load_dword v45, v39, s[0:3], 0 offen offset:8
	buffer_load_dword v46, v39, s[0:3], 0 offen offset:12
	buffer_load_dword v47, v39, s[0:3], 0 offen
	buffer_load_dword v48, v39, s[0:3], 0 offen offset:4
	ds_read_b128 v[41:44], v38
	v_add_nc_u32_e32 v40, 1, v40
	v_add_nc_u32_e32 v38, 16, v38
	;; [unrolled: 1-line block ×3, first 2 shown]
	v_cmp_lt_u32_e32 vcc_lo, 3, v40
	s_or_b32 s64, vcc_lo, s64
	s_waitcnt vmcnt(2) lgkmcnt(0)
	v_mul_f64 v[134:135], v[43:44], v[45:46]
	v_mul_f64 v[45:46], v[41:42], v[45:46]
	s_waitcnt vmcnt(0)
	v_fma_f64 v[41:42], v[41:42], v[47:48], -v[134:135]
	v_fma_f64 v[43:44], v[43:44], v[47:48], v[45:46]
	v_add_f64 v[1:2], v[1:2], v[41:42]
	v_add_f64 v[3:4], v[3:4], v[43:44]
	s_andn2_b32 exec_lo, exec_lo, s64
	s_cbranch_execnz .LBB56_484
; %bb.485:
	s_or_b32 exec_lo, exec_lo, s64
.LBB56_486:
	s_or_b32 exec_lo, exec_lo, s8
	v_mov_b32_e32 v38, 0
	ds_read_b128 v[38:41], v38 offset:80
	s_waitcnt lgkmcnt(0)
	v_mul_f64 v[42:43], v[3:4], v[40:41]
	v_mul_f64 v[40:41], v[1:2], v[40:41]
	v_fma_f64 v[1:2], v[1:2], v[38:39], -v[42:43]
	v_fma_f64 v[3:4], v[3:4], v[38:39], v[40:41]
	buffer_store_dword v2, off, s[0:3], 0 offset:84
	buffer_store_dword v1, off, s[0:3], 0 offset:80
	;; [unrolled: 1-line block ×4, first 2 shown]
.LBB56_487:
	s_or_b32 exec_lo, exec_lo, s4
	v_mov_b32_e32 v4, s58
	s_mov_b32 s4, exec_lo
	s_clause 0x3
	buffer_load_dword v1, v4, s[0:3], 0 offen
	buffer_load_dword v2, v4, s[0:3], 0 offen offset:4
	buffer_load_dword v3, v4, s[0:3], 0 offen offset:8
	buffer_load_dword v4, v4, s[0:3], 0 offen offset:12
	s_waitcnt vmcnt(0)
	ds_write_b128 v36, v[1:4]
	s_waitcnt lgkmcnt(0)
	s_waitcnt_vscnt null, 0x0
	s_barrier
	buffer_gl0_inv
	v_cmpx_gt_u32_e32 6, v0
	s_cbranch_execz .LBB56_495
; %bb.488:
	ds_read_b128 v[1:4], v36
	v_cmp_ne_u32_e32 vcc_lo, 1, v37
	s_cbranch_vccnz .LBB56_490
; %bb.489:
	s_clause 0x3
	buffer_load_dword v38, v35, s[0:3], 0 offen offset:8
	buffer_load_dword v39, v35, s[0:3], 0 offen offset:12
	buffer_load_dword v40, v35, s[0:3], 0 offen
	buffer_load_dword v41, v35, s[0:3], 0 offen offset:4
	s_waitcnt vmcnt(2) lgkmcnt(0)
	v_mul_f64 v[42:43], v[3:4], v[38:39]
	v_mul_f64 v[38:39], v[1:2], v[38:39]
	s_waitcnt vmcnt(0)
	v_fma_f64 v[1:2], v[1:2], v[40:41], -v[42:43]
	v_fma_f64 v[3:4], v[3:4], v[40:41], v[38:39]
.LBB56_490:
	s_mov_b32 s8, exec_lo
	v_cmpx_ne_u32_e32 5, v0
	s_cbranch_execz .LBB56_494
; %bb.491:
	v_add_nc_u32_e32 v38, 0x3a0, v133
	v_add3_u32 v39, 0, v133, 16
	v_mov_b32_e32 v40, v0
	s_mov_b32 s64, 0
	.p2align	6
.LBB56_492:                             ; =>This Inner Loop Header: Depth=1
	s_clause 0x3
	buffer_load_dword v45, v39, s[0:3], 0 offen offset:8
	buffer_load_dword v46, v39, s[0:3], 0 offen offset:12
	buffer_load_dword v47, v39, s[0:3], 0 offen
	buffer_load_dword v48, v39, s[0:3], 0 offen offset:4
	ds_read_b128 v[41:44], v38
	v_add_nc_u32_e32 v40, 1, v40
	v_add_nc_u32_e32 v38, 16, v38
	;; [unrolled: 1-line block ×3, first 2 shown]
	v_cmp_lt_u32_e32 vcc_lo, 4, v40
	s_or_b32 s64, vcc_lo, s64
	s_waitcnt vmcnt(2) lgkmcnt(0)
	v_mul_f64 v[134:135], v[43:44], v[45:46]
	v_mul_f64 v[45:46], v[41:42], v[45:46]
	s_waitcnt vmcnt(0)
	v_fma_f64 v[41:42], v[41:42], v[47:48], -v[134:135]
	v_fma_f64 v[43:44], v[43:44], v[47:48], v[45:46]
	v_add_f64 v[1:2], v[1:2], v[41:42]
	v_add_f64 v[3:4], v[3:4], v[43:44]
	s_andn2_b32 exec_lo, exec_lo, s64
	s_cbranch_execnz .LBB56_492
; %bb.493:
	s_or_b32 exec_lo, exec_lo, s64
.LBB56_494:
	s_or_b32 exec_lo, exec_lo, s8
	v_mov_b32_e32 v38, 0
	ds_read_b128 v[38:41], v38 offset:96
	s_waitcnt lgkmcnt(0)
	v_mul_f64 v[42:43], v[3:4], v[40:41]
	v_mul_f64 v[40:41], v[1:2], v[40:41]
	v_fma_f64 v[1:2], v[1:2], v[38:39], -v[42:43]
	v_fma_f64 v[3:4], v[3:4], v[38:39], v[40:41]
	buffer_store_dword v2, off, s[0:3], 0 offset:100
	buffer_store_dword v1, off, s[0:3], 0 offset:96
	;; [unrolled: 1-line block ×4, first 2 shown]
.LBB56_495:
	s_or_b32 exec_lo, exec_lo, s4
	v_mov_b32_e32 v4, s57
	s_mov_b32 s4, exec_lo
	s_clause 0x3
	buffer_load_dword v1, v4, s[0:3], 0 offen
	buffer_load_dword v2, v4, s[0:3], 0 offen offset:4
	buffer_load_dword v3, v4, s[0:3], 0 offen offset:8
	;; [unrolled: 1-line block ×3, first 2 shown]
	s_waitcnt vmcnt(0)
	ds_write_b128 v36, v[1:4]
	s_waitcnt lgkmcnt(0)
	s_waitcnt_vscnt null, 0x0
	s_barrier
	buffer_gl0_inv
	v_cmpx_gt_u32_e32 7, v0
	s_cbranch_execz .LBB56_503
; %bb.496:
	ds_read_b128 v[1:4], v36
	v_cmp_ne_u32_e32 vcc_lo, 1, v37
	s_cbranch_vccnz .LBB56_498
; %bb.497:
	s_clause 0x3
	buffer_load_dword v38, v35, s[0:3], 0 offen offset:8
	buffer_load_dword v39, v35, s[0:3], 0 offen offset:12
	buffer_load_dword v40, v35, s[0:3], 0 offen
	buffer_load_dword v41, v35, s[0:3], 0 offen offset:4
	s_waitcnt vmcnt(2) lgkmcnt(0)
	v_mul_f64 v[42:43], v[3:4], v[38:39]
	v_mul_f64 v[38:39], v[1:2], v[38:39]
	s_waitcnt vmcnt(0)
	v_fma_f64 v[1:2], v[1:2], v[40:41], -v[42:43]
	v_fma_f64 v[3:4], v[3:4], v[40:41], v[38:39]
.LBB56_498:
	s_mov_b32 s8, exec_lo
	v_cmpx_ne_u32_e32 6, v0
	s_cbranch_execz .LBB56_502
; %bb.499:
	v_add_nc_u32_e32 v38, 0x3a0, v133
	v_add3_u32 v39, 0, v133, 16
	v_mov_b32_e32 v40, v0
	s_mov_b32 s64, 0
	.p2align	6
.LBB56_500:                             ; =>This Inner Loop Header: Depth=1
	s_clause 0x3
	buffer_load_dword v45, v39, s[0:3], 0 offen offset:8
	buffer_load_dword v46, v39, s[0:3], 0 offen offset:12
	buffer_load_dword v47, v39, s[0:3], 0 offen
	buffer_load_dword v48, v39, s[0:3], 0 offen offset:4
	ds_read_b128 v[41:44], v38
	v_add_nc_u32_e32 v40, 1, v40
	v_add_nc_u32_e32 v38, 16, v38
	;; [unrolled: 1-line block ×3, first 2 shown]
	v_cmp_lt_u32_e32 vcc_lo, 5, v40
	s_or_b32 s64, vcc_lo, s64
	s_waitcnt vmcnt(2) lgkmcnt(0)
	v_mul_f64 v[134:135], v[43:44], v[45:46]
	v_mul_f64 v[45:46], v[41:42], v[45:46]
	s_waitcnt vmcnt(0)
	v_fma_f64 v[41:42], v[41:42], v[47:48], -v[134:135]
	v_fma_f64 v[43:44], v[43:44], v[47:48], v[45:46]
	v_add_f64 v[1:2], v[1:2], v[41:42]
	v_add_f64 v[3:4], v[3:4], v[43:44]
	s_andn2_b32 exec_lo, exec_lo, s64
	s_cbranch_execnz .LBB56_500
; %bb.501:
	s_or_b32 exec_lo, exec_lo, s64
.LBB56_502:
	s_or_b32 exec_lo, exec_lo, s8
	v_mov_b32_e32 v38, 0
	ds_read_b128 v[38:41], v38 offset:112
	s_waitcnt lgkmcnt(0)
	v_mul_f64 v[42:43], v[3:4], v[40:41]
	v_mul_f64 v[40:41], v[1:2], v[40:41]
	v_fma_f64 v[1:2], v[1:2], v[38:39], -v[42:43]
	v_fma_f64 v[3:4], v[3:4], v[38:39], v[40:41]
	buffer_store_dword v2, off, s[0:3], 0 offset:116
	buffer_store_dword v1, off, s[0:3], 0 offset:112
	buffer_store_dword v4, off, s[0:3], 0 offset:124
	buffer_store_dword v3, off, s[0:3], 0 offset:120
.LBB56_503:
	s_or_b32 exec_lo, exec_lo, s4
	v_mov_b32_e32 v4, s56
	s_mov_b32 s4, exec_lo
	s_clause 0x3
	buffer_load_dword v1, v4, s[0:3], 0 offen
	buffer_load_dword v2, v4, s[0:3], 0 offen offset:4
	buffer_load_dword v3, v4, s[0:3], 0 offen offset:8
	buffer_load_dword v4, v4, s[0:3], 0 offen offset:12
	s_waitcnt vmcnt(0)
	ds_write_b128 v36, v[1:4]
	s_waitcnt lgkmcnt(0)
	s_waitcnt_vscnt null, 0x0
	s_barrier
	buffer_gl0_inv
	v_cmpx_gt_u32_e32 8, v0
	s_cbranch_execz .LBB56_511
; %bb.504:
	ds_read_b128 v[1:4], v36
	v_cmp_ne_u32_e32 vcc_lo, 1, v37
	s_cbranch_vccnz .LBB56_506
; %bb.505:
	s_clause 0x3
	buffer_load_dword v38, v35, s[0:3], 0 offen offset:8
	buffer_load_dword v39, v35, s[0:3], 0 offen offset:12
	buffer_load_dword v40, v35, s[0:3], 0 offen
	buffer_load_dword v41, v35, s[0:3], 0 offen offset:4
	s_waitcnt vmcnt(2) lgkmcnt(0)
	v_mul_f64 v[42:43], v[3:4], v[38:39]
	v_mul_f64 v[38:39], v[1:2], v[38:39]
	s_waitcnt vmcnt(0)
	v_fma_f64 v[1:2], v[1:2], v[40:41], -v[42:43]
	v_fma_f64 v[3:4], v[3:4], v[40:41], v[38:39]
.LBB56_506:
	s_mov_b32 s8, exec_lo
	v_cmpx_ne_u32_e32 7, v0
	s_cbranch_execz .LBB56_510
; %bb.507:
	v_add_nc_u32_e32 v38, 0x3a0, v133
	v_add3_u32 v39, 0, v133, 16
	v_mov_b32_e32 v40, v0
	s_mov_b32 s64, 0
	.p2align	6
.LBB56_508:                             ; =>This Inner Loop Header: Depth=1
	s_clause 0x3
	buffer_load_dword v45, v39, s[0:3], 0 offen offset:8
	buffer_load_dword v46, v39, s[0:3], 0 offen offset:12
	buffer_load_dword v47, v39, s[0:3], 0 offen
	buffer_load_dword v48, v39, s[0:3], 0 offen offset:4
	ds_read_b128 v[41:44], v38
	v_add_nc_u32_e32 v40, 1, v40
	v_add_nc_u32_e32 v38, 16, v38
	;; [unrolled: 1-line block ×3, first 2 shown]
	v_cmp_lt_u32_e32 vcc_lo, 6, v40
	s_or_b32 s64, vcc_lo, s64
	s_waitcnt vmcnt(2) lgkmcnt(0)
	v_mul_f64 v[134:135], v[43:44], v[45:46]
	v_mul_f64 v[45:46], v[41:42], v[45:46]
	s_waitcnt vmcnt(0)
	v_fma_f64 v[41:42], v[41:42], v[47:48], -v[134:135]
	v_fma_f64 v[43:44], v[43:44], v[47:48], v[45:46]
	v_add_f64 v[1:2], v[1:2], v[41:42]
	v_add_f64 v[3:4], v[3:4], v[43:44]
	s_andn2_b32 exec_lo, exec_lo, s64
	s_cbranch_execnz .LBB56_508
; %bb.509:
	s_or_b32 exec_lo, exec_lo, s64
.LBB56_510:
	s_or_b32 exec_lo, exec_lo, s8
	v_mov_b32_e32 v38, 0
	ds_read_b128 v[38:41], v38 offset:128
	s_waitcnt lgkmcnt(0)
	v_mul_f64 v[42:43], v[3:4], v[40:41]
	v_mul_f64 v[40:41], v[1:2], v[40:41]
	v_fma_f64 v[1:2], v[1:2], v[38:39], -v[42:43]
	v_fma_f64 v[3:4], v[3:4], v[38:39], v[40:41]
	buffer_store_dword v2, off, s[0:3], 0 offset:132
	buffer_store_dword v1, off, s[0:3], 0 offset:128
	;; [unrolled: 1-line block ×4, first 2 shown]
.LBB56_511:
	s_or_b32 exec_lo, exec_lo, s4
	v_mov_b32_e32 v4, s55
	s_mov_b32 s4, exec_lo
	s_clause 0x3
	buffer_load_dword v1, v4, s[0:3], 0 offen
	buffer_load_dword v2, v4, s[0:3], 0 offen offset:4
	buffer_load_dword v3, v4, s[0:3], 0 offen offset:8
	;; [unrolled: 1-line block ×3, first 2 shown]
	s_waitcnt vmcnt(0)
	ds_write_b128 v36, v[1:4]
	s_waitcnt lgkmcnt(0)
	s_waitcnt_vscnt null, 0x0
	s_barrier
	buffer_gl0_inv
	v_cmpx_gt_u32_e32 9, v0
	s_cbranch_execz .LBB56_519
; %bb.512:
	ds_read_b128 v[1:4], v36
	v_cmp_ne_u32_e32 vcc_lo, 1, v37
	s_cbranch_vccnz .LBB56_514
; %bb.513:
	s_clause 0x3
	buffer_load_dword v38, v35, s[0:3], 0 offen offset:8
	buffer_load_dword v39, v35, s[0:3], 0 offen offset:12
	buffer_load_dword v40, v35, s[0:3], 0 offen
	buffer_load_dword v41, v35, s[0:3], 0 offen offset:4
	s_waitcnt vmcnt(2) lgkmcnt(0)
	v_mul_f64 v[42:43], v[3:4], v[38:39]
	v_mul_f64 v[38:39], v[1:2], v[38:39]
	s_waitcnt vmcnt(0)
	v_fma_f64 v[1:2], v[1:2], v[40:41], -v[42:43]
	v_fma_f64 v[3:4], v[3:4], v[40:41], v[38:39]
.LBB56_514:
	s_mov_b32 s8, exec_lo
	v_cmpx_ne_u32_e32 8, v0
	s_cbranch_execz .LBB56_518
; %bb.515:
	v_add_nc_u32_e32 v38, 0x3a0, v133
	v_add3_u32 v39, 0, v133, 16
	v_mov_b32_e32 v40, v0
	s_mov_b32 s64, 0
	.p2align	6
.LBB56_516:                             ; =>This Inner Loop Header: Depth=1
	s_clause 0x3
	buffer_load_dword v45, v39, s[0:3], 0 offen offset:8
	buffer_load_dword v46, v39, s[0:3], 0 offen offset:12
	buffer_load_dword v47, v39, s[0:3], 0 offen
	buffer_load_dword v48, v39, s[0:3], 0 offen offset:4
	ds_read_b128 v[41:44], v38
	v_add_nc_u32_e32 v40, 1, v40
	v_add_nc_u32_e32 v38, 16, v38
	;; [unrolled: 1-line block ×3, first 2 shown]
	v_cmp_lt_u32_e32 vcc_lo, 7, v40
	s_or_b32 s64, vcc_lo, s64
	s_waitcnt vmcnt(2) lgkmcnt(0)
	v_mul_f64 v[134:135], v[43:44], v[45:46]
	v_mul_f64 v[45:46], v[41:42], v[45:46]
	s_waitcnt vmcnt(0)
	v_fma_f64 v[41:42], v[41:42], v[47:48], -v[134:135]
	v_fma_f64 v[43:44], v[43:44], v[47:48], v[45:46]
	v_add_f64 v[1:2], v[1:2], v[41:42]
	v_add_f64 v[3:4], v[3:4], v[43:44]
	s_andn2_b32 exec_lo, exec_lo, s64
	s_cbranch_execnz .LBB56_516
; %bb.517:
	s_or_b32 exec_lo, exec_lo, s64
.LBB56_518:
	s_or_b32 exec_lo, exec_lo, s8
	v_mov_b32_e32 v38, 0
	ds_read_b128 v[38:41], v38 offset:144
	s_waitcnt lgkmcnt(0)
	v_mul_f64 v[42:43], v[3:4], v[40:41]
	v_mul_f64 v[40:41], v[1:2], v[40:41]
	v_fma_f64 v[1:2], v[1:2], v[38:39], -v[42:43]
	v_fma_f64 v[3:4], v[3:4], v[38:39], v[40:41]
	buffer_store_dword v2, off, s[0:3], 0 offset:148
	buffer_store_dword v1, off, s[0:3], 0 offset:144
	buffer_store_dword v4, off, s[0:3], 0 offset:156
	buffer_store_dword v3, off, s[0:3], 0 offset:152
.LBB56_519:
	s_or_b32 exec_lo, exec_lo, s4
	v_mov_b32_e32 v4, s54
	s_mov_b32 s4, exec_lo
	s_clause 0x3
	buffer_load_dword v1, v4, s[0:3], 0 offen
	buffer_load_dword v2, v4, s[0:3], 0 offen offset:4
	buffer_load_dword v3, v4, s[0:3], 0 offen offset:8
	;; [unrolled: 1-line block ×3, first 2 shown]
	s_waitcnt vmcnt(0)
	ds_write_b128 v36, v[1:4]
	s_waitcnt lgkmcnt(0)
	s_waitcnt_vscnt null, 0x0
	s_barrier
	buffer_gl0_inv
	v_cmpx_gt_u32_e32 10, v0
	s_cbranch_execz .LBB56_527
; %bb.520:
	ds_read_b128 v[1:4], v36
	v_cmp_ne_u32_e32 vcc_lo, 1, v37
	s_cbranch_vccnz .LBB56_522
; %bb.521:
	s_clause 0x3
	buffer_load_dword v38, v35, s[0:3], 0 offen offset:8
	buffer_load_dword v39, v35, s[0:3], 0 offen offset:12
	buffer_load_dword v40, v35, s[0:3], 0 offen
	buffer_load_dword v41, v35, s[0:3], 0 offen offset:4
	s_waitcnt vmcnt(2) lgkmcnt(0)
	v_mul_f64 v[42:43], v[3:4], v[38:39]
	v_mul_f64 v[38:39], v[1:2], v[38:39]
	s_waitcnt vmcnt(0)
	v_fma_f64 v[1:2], v[1:2], v[40:41], -v[42:43]
	v_fma_f64 v[3:4], v[3:4], v[40:41], v[38:39]
.LBB56_522:
	s_mov_b32 s8, exec_lo
	v_cmpx_ne_u32_e32 9, v0
	s_cbranch_execz .LBB56_526
; %bb.523:
	v_add_nc_u32_e32 v38, 0x3a0, v133
	v_add3_u32 v39, 0, v133, 16
	v_mov_b32_e32 v40, v0
	s_mov_b32 s64, 0
	.p2align	6
.LBB56_524:                             ; =>This Inner Loop Header: Depth=1
	s_clause 0x3
	buffer_load_dword v45, v39, s[0:3], 0 offen offset:8
	buffer_load_dword v46, v39, s[0:3], 0 offen offset:12
	buffer_load_dword v47, v39, s[0:3], 0 offen
	buffer_load_dword v48, v39, s[0:3], 0 offen offset:4
	ds_read_b128 v[41:44], v38
	v_add_nc_u32_e32 v40, 1, v40
	v_add_nc_u32_e32 v38, 16, v38
	;; [unrolled: 1-line block ×3, first 2 shown]
	v_cmp_lt_u32_e32 vcc_lo, 8, v40
	s_or_b32 s64, vcc_lo, s64
	s_waitcnt vmcnt(2) lgkmcnt(0)
	v_mul_f64 v[134:135], v[43:44], v[45:46]
	v_mul_f64 v[45:46], v[41:42], v[45:46]
	s_waitcnt vmcnt(0)
	v_fma_f64 v[41:42], v[41:42], v[47:48], -v[134:135]
	v_fma_f64 v[43:44], v[43:44], v[47:48], v[45:46]
	v_add_f64 v[1:2], v[1:2], v[41:42]
	v_add_f64 v[3:4], v[3:4], v[43:44]
	s_andn2_b32 exec_lo, exec_lo, s64
	s_cbranch_execnz .LBB56_524
; %bb.525:
	s_or_b32 exec_lo, exec_lo, s64
.LBB56_526:
	s_or_b32 exec_lo, exec_lo, s8
	v_mov_b32_e32 v38, 0
	ds_read_b128 v[38:41], v38 offset:160
	s_waitcnt lgkmcnt(0)
	v_mul_f64 v[42:43], v[3:4], v[40:41]
	v_mul_f64 v[40:41], v[1:2], v[40:41]
	v_fma_f64 v[1:2], v[1:2], v[38:39], -v[42:43]
	v_fma_f64 v[3:4], v[3:4], v[38:39], v[40:41]
	buffer_store_dword v2, off, s[0:3], 0 offset:164
	buffer_store_dword v1, off, s[0:3], 0 offset:160
	;; [unrolled: 1-line block ×4, first 2 shown]
.LBB56_527:
	s_or_b32 exec_lo, exec_lo, s4
	v_mov_b32_e32 v4, s53
	s_mov_b32 s4, exec_lo
	s_clause 0x3
	buffer_load_dword v1, v4, s[0:3], 0 offen
	buffer_load_dword v2, v4, s[0:3], 0 offen offset:4
	buffer_load_dword v3, v4, s[0:3], 0 offen offset:8
	;; [unrolled: 1-line block ×3, first 2 shown]
	s_waitcnt vmcnt(0)
	ds_write_b128 v36, v[1:4]
	s_waitcnt lgkmcnt(0)
	s_waitcnt_vscnt null, 0x0
	s_barrier
	buffer_gl0_inv
	v_cmpx_gt_u32_e32 11, v0
	s_cbranch_execz .LBB56_535
; %bb.528:
	ds_read_b128 v[1:4], v36
	v_cmp_ne_u32_e32 vcc_lo, 1, v37
	s_cbranch_vccnz .LBB56_530
; %bb.529:
	s_clause 0x3
	buffer_load_dword v38, v35, s[0:3], 0 offen offset:8
	buffer_load_dword v39, v35, s[0:3], 0 offen offset:12
	buffer_load_dword v40, v35, s[0:3], 0 offen
	buffer_load_dword v41, v35, s[0:3], 0 offen offset:4
	s_waitcnt vmcnt(2) lgkmcnt(0)
	v_mul_f64 v[42:43], v[3:4], v[38:39]
	v_mul_f64 v[38:39], v[1:2], v[38:39]
	s_waitcnt vmcnt(0)
	v_fma_f64 v[1:2], v[1:2], v[40:41], -v[42:43]
	v_fma_f64 v[3:4], v[3:4], v[40:41], v[38:39]
.LBB56_530:
	s_mov_b32 s8, exec_lo
	v_cmpx_ne_u32_e32 10, v0
	s_cbranch_execz .LBB56_534
; %bb.531:
	v_add_nc_u32_e32 v38, 0x3a0, v133
	v_add3_u32 v39, 0, v133, 16
	v_mov_b32_e32 v40, v0
	s_mov_b32 s64, 0
	.p2align	6
.LBB56_532:                             ; =>This Inner Loop Header: Depth=1
	s_clause 0x3
	buffer_load_dword v45, v39, s[0:3], 0 offen offset:8
	buffer_load_dword v46, v39, s[0:3], 0 offen offset:12
	buffer_load_dword v47, v39, s[0:3], 0 offen
	buffer_load_dword v48, v39, s[0:3], 0 offen offset:4
	ds_read_b128 v[41:44], v38
	v_add_nc_u32_e32 v40, 1, v40
	v_add_nc_u32_e32 v38, 16, v38
	;; [unrolled: 1-line block ×3, first 2 shown]
	v_cmp_lt_u32_e32 vcc_lo, 9, v40
	s_or_b32 s64, vcc_lo, s64
	s_waitcnt vmcnt(2) lgkmcnt(0)
	v_mul_f64 v[134:135], v[43:44], v[45:46]
	v_mul_f64 v[45:46], v[41:42], v[45:46]
	s_waitcnt vmcnt(0)
	v_fma_f64 v[41:42], v[41:42], v[47:48], -v[134:135]
	v_fma_f64 v[43:44], v[43:44], v[47:48], v[45:46]
	v_add_f64 v[1:2], v[1:2], v[41:42]
	v_add_f64 v[3:4], v[3:4], v[43:44]
	s_andn2_b32 exec_lo, exec_lo, s64
	s_cbranch_execnz .LBB56_532
; %bb.533:
	s_or_b32 exec_lo, exec_lo, s64
.LBB56_534:
	s_or_b32 exec_lo, exec_lo, s8
	v_mov_b32_e32 v38, 0
	ds_read_b128 v[38:41], v38 offset:176
	s_waitcnt lgkmcnt(0)
	v_mul_f64 v[42:43], v[3:4], v[40:41]
	v_mul_f64 v[40:41], v[1:2], v[40:41]
	v_fma_f64 v[1:2], v[1:2], v[38:39], -v[42:43]
	v_fma_f64 v[3:4], v[3:4], v[38:39], v[40:41]
	buffer_store_dword v2, off, s[0:3], 0 offset:180
	buffer_store_dword v1, off, s[0:3], 0 offset:176
	;; [unrolled: 1-line block ×4, first 2 shown]
.LBB56_535:
	s_or_b32 exec_lo, exec_lo, s4
	v_mov_b32_e32 v4, s52
	s_mov_b32 s4, exec_lo
	s_clause 0x3
	buffer_load_dword v1, v4, s[0:3], 0 offen
	buffer_load_dword v2, v4, s[0:3], 0 offen offset:4
	buffer_load_dword v3, v4, s[0:3], 0 offen offset:8
	buffer_load_dword v4, v4, s[0:3], 0 offen offset:12
	s_waitcnt vmcnt(0)
	ds_write_b128 v36, v[1:4]
	s_waitcnt lgkmcnt(0)
	s_waitcnt_vscnt null, 0x0
	s_barrier
	buffer_gl0_inv
	v_cmpx_gt_u32_e32 12, v0
	s_cbranch_execz .LBB56_543
; %bb.536:
	ds_read_b128 v[1:4], v36
	v_cmp_ne_u32_e32 vcc_lo, 1, v37
	s_cbranch_vccnz .LBB56_538
; %bb.537:
	s_clause 0x3
	buffer_load_dword v38, v35, s[0:3], 0 offen offset:8
	buffer_load_dword v39, v35, s[0:3], 0 offen offset:12
	buffer_load_dword v40, v35, s[0:3], 0 offen
	buffer_load_dword v41, v35, s[0:3], 0 offen offset:4
	s_waitcnt vmcnt(2) lgkmcnt(0)
	v_mul_f64 v[42:43], v[3:4], v[38:39]
	v_mul_f64 v[38:39], v[1:2], v[38:39]
	s_waitcnt vmcnt(0)
	v_fma_f64 v[1:2], v[1:2], v[40:41], -v[42:43]
	v_fma_f64 v[3:4], v[3:4], v[40:41], v[38:39]
.LBB56_538:
	s_mov_b32 s8, exec_lo
	v_cmpx_ne_u32_e32 11, v0
	s_cbranch_execz .LBB56_542
; %bb.539:
	v_add_nc_u32_e32 v38, 0x3a0, v133
	v_add3_u32 v39, 0, v133, 16
	v_mov_b32_e32 v40, v0
	s_mov_b32 s64, 0
	.p2align	6
.LBB56_540:                             ; =>This Inner Loop Header: Depth=1
	s_clause 0x3
	buffer_load_dword v45, v39, s[0:3], 0 offen offset:8
	buffer_load_dword v46, v39, s[0:3], 0 offen offset:12
	buffer_load_dword v47, v39, s[0:3], 0 offen
	buffer_load_dword v48, v39, s[0:3], 0 offen offset:4
	ds_read_b128 v[41:44], v38
	v_add_nc_u32_e32 v40, 1, v40
	v_add_nc_u32_e32 v38, 16, v38
	;; [unrolled: 1-line block ×3, first 2 shown]
	v_cmp_lt_u32_e32 vcc_lo, 10, v40
	s_or_b32 s64, vcc_lo, s64
	s_waitcnt vmcnt(2) lgkmcnt(0)
	v_mul_f64 v[134:135], v[43:44], v[45:46]
	v_mul_f64 v[45:46], v[41:42], v[45:46]
	s_waitcnt vmcnt(0)
	v_fma_f64 v[41:42], v[41:42], v[47:48], -v[134:135]
	v_fma_f64 v[43:44], v[43:44], v[47:48], v[45:46]
	v_add_f64 v[1:2], v[1:2], v[41:42]
	v_add_f64 v[3:4], v[3:4], v[43:44]
	s_andn2_b32 exec_lo, exec_lo, s64
	s_cbranch_execnz .LBB56_540
; %bb.541:
	s_or_b32 exec_lo, exec_lo, s64
.LBB56_542:
	s_or_b32 exec_lo, exec_lo, s8
	v_mov_b32_e32 v38, 0
	ds_read_b128 v[38:41], v38 offset:192
	s_waitcnt lgkmcnt(0)
	v_mul_f64 v[42:43], v[3:4], v[40:41]
	v_mul_f64 v[40:41], v[1:2], v[40:41]
	v_fma_f64 v[1:2], v[1:2], v[38:39], -v[42:43]
	v_fma_f64 v[3:4], v[3:4], v[38:39], v[40:41]
	buffer_store_dword v2, off, s[0:3], 0 offset:196
	buffer_store_dword v1, off, s[0:3], 0 offset:192
	;; [unrolled: 1-line block ×4, first 2 shown]
.LBB56_543:
	s_or_b32 exec_lo, exec_lo, s4
	v_mov_b32_e32 v4, s51
	s_mov_b32 s4, exec_lo
	s_clause 0x3
	buffer_load_dword v1, v4, s[0:3], 0 offen
	buffer_load_dword v2, v4, s[0:3], 0 offen offset:4
	buffer_load_dword v3, v4, s[0:3], 0 offen offset:8
	;; [unrolled: 1-line block ×3, first 2 shown]
	s_waitcnt vmcnt(0)
	ds_write_b128 v36, v[1:4]
	s_waitcnt lgkmcnt(0)
	s_waitcnt_vscnt null, 0x0
	s_barrier
	buffer_gl0_inv
	v_cmpx_gt_u32_e32 13, v0
	s_cbranch_execz .LBB56_551
; %bb.544:
	ds_read_b128 v[1:4], v36
	v_cmp_ne_u32_e32 vcc_lo, 1, v37
	s_cbranch_vccnz .LBB56_546
; %bb.545:
	s_clause 0x3
	buffer_load_dword v38, v35, s[0:3], 0 offen offset:8
	buffer_load_dword v39, v35, s[0:3], 0 offen offset:12
	buffer_load_dword v40, v35, s[0:3], 0 offen
	buffer_load_dword v41, v35, s[0:3], 0 offen offset:4
	s_waitcnt vmcnt(2) lgkmcnt(0)
	v_mul_f64 v[42:43], v[3:4], v[38:39]
	v_mul_f64 v[38:39], v[1:2], v[38:39]
	s_waitcnt vmcnt(0)
	v_fma_f64 v[1:2], v[1:2], v[40:41], -v[42:43]
	v_fma_f64 v[3:4], v[3:4], v[40:41], v[38:39]
.LBB56_546:
	s_mov_b32 s8, exec_lo
	v_cmpx_ne_u32_e32 12, v0
	s_cbranch_execz .LBB56_550
; %bb.547:
	v_add_nc_u32_e32 v38, 0x3a0, v133
	v_add3_u32 v39, 0, v133, 16
	v_mov_b32_e32 v40, v0
	s_mov_b32 s64, 0
	.p2align	6
.LBB56_548:                             ; =>This Inner Loop Header: Depth=1
	s_clause 0x3
	buffer_load_dword v45, v39, s[0:3], 0 offen offset:8
	buffer_load_dword v46, v39, s[0:3], 0 offen offset:12
	buffer_load_dword v47, v39, s[0:3], 0 offen
	buffer_load_dword v48, v39, s[0:3], 0 offen offset:4
	ds_read_b128 v[41:44], v38
	v_add_nc_u32_e32 v40, 1, v40
	v_add_nc_u32_e32 v38, 16, v38
	;; [unrolled: 1-line block ×3, first 2 shown]
	v_cmp_lt_u32_e32 vcc_lo, 11, v40
	s_or_b32 s64, vcc_lo, s64
	s_waitcnt vmcnt(2) lgkmcnt(0)
	v_mul_f64 v[134:135], v[43:44], v[45:46]
	v_mul_f64 v[45:46], v[41:42], v[45:46]
	s_waitcnt vmcnt(0)
	v_fma_f64 v[41:42], v[41:42], v[47:48], -v[134:135]
	v_fma_f64 v[43:44], v[43:44], v[47:48], v[45:46]
	v_add_f64 v[1:2], v[1:2], v[41:42]
	v_add_f64 v[3:4], v[3:4], v[43:44]
	s_andn2_b32 exec_lo, exec_lo, s64
	s_cbranch_execnz .LBB56_548
; %bb.549:
	s_or_b32 exec_lo, exec_lo, s64
.LBB56_550:
	s_or_b32 exec_lo, exec_lo, s8
	v_mov_b32_e32 v38, 0
	ds_read_b128 v[38:41], v38 offset:208
	s_waitcnt lgkmcnt(0)
	v_mul_f64 v[42:43], v[3:4], v[40:41]
	v_mul_f64 v[40:41], v[1:2], v[40:41]
	v_fma_f64 v[1:2], v[1:2], v[38:39], -v[42:43]
	v_fma_f64 v[3:4], v[3:4], v[38:39], v[40:41]
	buffer_store_dword v2, off, s[0:3], 0 offset:212
	buffer_store_dword v1, off, s[0:3], 0 offset:208
	buffer_store_dword v4, off, s[0:3], 0 offset:220
	buffer_store_dword v3, off, s[0:3], 0 offset:216
.LBB56_551:
	s_or_b32 exec_lo, exec_lo, s4
	v_mov_b32_e32 v4, s50
	s_mov_b32 s4, exec_lo
	s_clause 0x3
	buffer_load_dword v1, v4, s[0:3], 0 offen
	buffer_load_dword v2, v4, s[0:3], 0 offen offset:4
	buffer_load_dword v3, v4, s[0:3], 0 offen offset:8
	;; [unrolled: 1-line block ×3, first 2 shown]
	s_waitcnt vmcnt(0)
	ds_write_b128 v36, v[1:4]
	s_waitcnt lgkmcnt(0)
	s_waitcnt_vscnt null, 0x0
	s_barrier
	buffer_gl0_inv
	v_cmpx_gt_u32_e32 14, v0
	s_cbranch_execz .LBB56_559
; %bb.552:
	ds_read_b128 v[1:4], v36
	v_cmp_ne_u32_e32 vcc_lo, 1, v37
	s_cbranch_vccnz .LBB56_554
; %bb.553:
	s_clause 0x3
	buffer_load_dword v38, v35, s[0:3], 0 offen offset:8
	buffer_load_dword v39, v35, s[0:3], 0 offen offset:12
	buffer_load_dword v40, v35, s[0:3], 0 offen
	buffer_load_dword v41, v35, s[0:3], 0 offen offset:4
	s_waitcnt vmcnt(2) lgkmcnt(0)
	v_mul_f64 v[42:43], v[3:4], v[38:39]
	v_mul_f64 v[38:39], v[1:2], v[38:39]
	s_waitcnt vmcnt(0)
	v_fma_f64 v[1:2], v[1:2], v[40:41], -v[42:43]
	v_fma_f64 v[3:4], v[3:4], v[40:41], v[38:39]
.LBB56_554:
	s_mov_b32 s8, exec_lo
	v_cmpx_ne_u32_e32 13, v0
	s_cbranch_execz .LBB56_558
; %bb.555:
	v_add_nc_u32_e32 v38, 0x3a0, v133
	v_add3_u32 v39, 0, v133, 16
	v_mov_b32_e32 v40, v0
	s_mov_b32 s64, 0
	.p2align	6
.LBB56_556:                             ; =>This Inner Loop Header: Depth=1
	s_clause 0x3
	buffer_load_dword v45, v39, s[0:3], 0 offen offset:8
	buffer_load_dword v46, v39, s[0:3], 0 offen offset:12
	buffer_load_dword v47, v39, s[0:3], 0 offen
	buffer_load_dword v48, v39, s[0:3], 0 offen offset:4
	ds_read_b128 v[41:44], v38
	v_add_nc_u32_e32 v40, 1, v40
	v_add_nc_u32_e32 v38, 16, v38
	;; [unrolled: 1-line block ×3, first 2 shown]
	v_cmp_lt_u32_e32 vcc_lo, 12, v40
	s_or_b32 s64, vcc_lo, s64
	s_waitcnt vmcnt(2) lgkmcnt(0)
	v_mul_f64 v[134:135], v[43:44], v[45:46]
	v_mul_f64 v[45:46], v[41:42], v[45:46]
	s_waitcnt vmcnt(0)
	v_fma_f64 v[41:42], v[41:42], v[47:48], -v[134:135]
	v_fma_f64 v[43:44], v[43:44], v[47:48], v[45:46]
	v_add_f64 v[1:2], v[1:2], v[41:42]
	v_add_f64 v[3:4], v[3:4], v[43:44]
	s_andn2_b32 exec_lo, exec_lo, s64
	s_cbranch_execnz .LBB56_556
; %bb.557:
	s_or_b32 exec_lo, exec_lo, s64
.LBB56_558:
	s_or_b32 exec_lo, exec_lo, s8
	v_mov_b32_e32 v38, 0
	ds_read_b128 v[38:41], v38 offset:224
	s_waitcnt lgkmcnt(0)
	v_mul_f64 v[42:43], v[3:4], v[40:41]
	v_mul_f64 v[40:41], v[1:2], v[40:41]
	v_fma_f64 v[1:2], v[1:2], v[38:39], -v[42:43]
	v_fma_f64 v[3:4], v[3:4], v[38:39], v[40:41]
	buffer_store_dword v2, off, s[0:3], 0 offset:228
	buffer_store_dword v1, off, s[0:3], 0 offset:224
	;; [unrolled: 1-line block ×4, first 2 shown]
.LBB56_559:
	s_or_b32 exec_lo, exec_lo, s4
	v_mov_b32_e32 v4, s49
	s_mov_b32 s4, exec_lo
	s_clause 0x3
	buffer_load_dword v1, v4, s[0:3], 0 offen
	buffer_load_dword v2, v4, s[0:3], 0 offen offset:4
	buffer_load_dword v3, v4, s[0:3], 0 offen offset:8
	;; [unrolled: 1-line block ×3, first 2 shown]
	s_waitcnt vmcnt(0)
	ds_write_b128 v36, v[1:4]
	s_waitcnt lgkmcnt(0)
	s_waitcnt_vscnt null, 0x0
	s_barrier
	buffer_gl0_inv
	v_cmpx_gt_u32_e32 15, v0
	s_cbranch_execz .LBB56_567
; %bb.560:
	ds_read_b128 v[1:4], v36
	v_cmp_ne_u32_e32 vcc_lo, 1, v37
	s_cbranch_vccnz .LBB56_562
; %bb.561:
	s_clause 0x3
	buffer_load_dword v38, v35, s[0:3], 0 offen offset:8
	buffer_load_dword v39, v35, s[0:3], 0 offen offset:12
	buffer_load_dword v40, v35, s[0:3], 0 offen
	buffer_load_dword v41, v35, s[0:3], 0 offen offset:4
	s_waitcnt vmcnt(2) lgkmcnt(0)
	v_mul_f64 v[42:43], v[3:4], v[38:39]
	v_mul_f64 v[38:39], v[1:2], v[38:39]
	s_waitcnt vmcnt(0)
	v_fma_f64 v[1:2], v[1:2], v[40:41], -v[42:43]
	v_fma_f64 v[3:4], v[3:4], v[40:41], v[38:39]
.LBB56_562:
	s_mov_b32 s8, exec_lo
	v_cmpx_ne_u32_e32 14, v0
	s_cbranch_execz .LBB56_566
; %bb.563:
	v_add_nc_u32_e32 v38, 0x3a0, v133
	v_add3_u32 v39, 0, v133, 16
	v_mov_b32_e32 v40, v0
	s_mov_b32 s64, 0
	.p2align	6
.LBB56_564:                             ; =>This Inner Loop Header: Depth=1
	s_clause 0x3
	buffer_load_dword v45, v39, s[0:3], 0 offen offset:8
	buffer_load_dword v46, v39, s[0:3], 0 offen offset:12
	buffer_load_dword v47, v39, s[0:3], 0 offen
	buffer_load_dword v48, v39, s[0:3], 0 offen offset:4
	ds_read_b128 v[41:44], v38
	v_add_nc_u32_e32 v40, 1, v40
	v_add_nc_u32_e32 v38, 16, v38
	;; [unrolled: 1-line block ×3, first 2 shown]
	v_cmp_lt_u32_e32 vcc_lo, 13, v40
	s_or_b32 s64, vcc_lo, s64
	s_waitcnt vmcnt(2) lgkmcnt(0)
	v_mul_f64 v[134:135], v[43:44], v[45:46]
	v_mul_f64 v[45:46], v[41:42], v[45:46]
	s_waitcnt vmcnt(0)
	v_fma_f64 v[41:42], v[41:42], v[47:48], -v[134:135]
	v_fma_f64 v[43:44], v[43:44], v[47:48], v[45:46]
	v_add_f64 v[1:2], v[1:2], v[41:42]
	v_add_f64 v[3:4], v[3:4], v[43:44]
	s_andn2_b32 exec_lo, exec_lo, s64
	s_cbranch_execnz .LBB56_564
; %bb.565:
	s_or_b32 exec_lo, exec_lo, s64
.LBB56_566:
	s_or_b32 exec_lo, exec_lo, s8
	v_mov_b32_e32 v38, 0
	ds_read_b128 v[38:41], v38 offset:240
	s_waitcnt lgkmcnt(0)
	v_mul_f64 v[42:43], v[3:4], v[40:41]
	v_mul_f64 v[40:41], v[1:2], v[40:41]
	v_fma_f64 v[1:2], v[1:2], v[38:39], -v[42:43]
	v_fma_f64 v[3:4], v[3:4], v[38:39], v[40:41]
	buffer_store_dword v2, off, s[0:3], 0 offset:244
	buffer_store_dword v1, off, s[0:3], 0 offset:240
	;; [unrolled: 1-line block ×4, first 2 shown]
.LBB56_567:
	s_or_b32 exec_lo, exec_lo, s4
	v_mov_b32_e32 v4, s48
	s_mov_b32 s4, exec_lo
	s_clause 0x3
	buffer_load_dword v1, v4, s[0:3], 0 offen
	buffer_load_dword v2, v4, s[0:3], 0 offen offset:4
	buffer_load_dword v3, v4, s[0:3], 0 offen offset:8
	;; [unrolled: 1-line block ×3, first 2 shown]
	s_waitcnt vmcnt(0)
	ds_write_b128 v36, v[1:4]
	s_waitcnt lgkmcnt(0)
	s_waitcnt_vscnt null, 0x0
	s_barrier
	buffer_gl0_inv
	v_cmpx_gt_u32_e32 16, v0
	s_cbranch_execz .LBB56_575
; %bb.568:
	ds_read_b128 v[1:4], v36
	v_cmp_ne_u32_e32 vcc_lo, 1, v37
	s_cbranch_vccnz .LBB56_570
; %bb.569:
	s_clause 0x3
	buffer_load_dword v38, v35, s[0:3], 0 offen offset:8
	buffer_load_dword v39, v35, s[0:3], 0 offen offset:12
	buffer_load_dword v40, v35, s[0:3], 0 offen
	buffer_load_dword v41, v35, s[0:3], 0 offen offset:4
	s_waitcnt vmcnt(2) lgkmcnt(0)
	v_mul_f64 v[42:43], v[3:4], v[38:39]
	v_mul_f64 v[38:39], v[1:2], v[38:39]
	s_waitcnt vmcnt(0)
	v_fma_f64 v[1:2], v[1:2], v[40:41], -v[42:43]
	v_fma_f64 v[3:4], v[3:4], v[40:41], v[38:39]
.LBB56_570:
	s_mov_b32 s8, exec_lo
	v_cmpx_ne_u32_e32 15, v0
	s_cbranch_execz .LBB56_574
; %bb.571:
	v_add_nc_u32_e32 v38, 0x3a0, v133
	v_add3_u32 v39, 0, v133, 16
	v_mov_b32_e32 v40, v0
	s_mov_b32 s64, 0
	.p2align	6
.LBB56_572:                             ; =>This Inner Loop Header: Depth=1
	s_clause 0x3
	buffer_load_dword v45, v39, s[0:3], 0 offen offset:8
	buffer_load_dword v46, v39, s[0:3], 0 offen offset:12
	buffer_load_dword v47, v39, s[0:3], 0 offen
	buffer_load_dword v48, v39, s[0:3], 0 offen offset:4
	ds_read_b128 v[41:44], v38
	v_add_nc_u32_e32 v40, 1, v40
	v_add_nc_u32_e32 v38, 16, v38
	;; [unrolled: 1-line block ×3, first 2 shown]
	v_cmp_lt_u32_e32 vcc_lo, 14, v40
	s_or_b32 s64, vcc_lo, s64
	s_waitcnt vmcnt(2) lgkmcnt(0)
	v_mul_f64 v[134:135], v[43:44], v[45:46]
	v_mul_f64 v[45:46], v[41:42], v[45:46]
	s_waitcnt vmcnt(0)
	v_fma_f64 v[41:42], v[41:42], v[47:48], -v[134:135]
	v_fma_f64 v[43:44], v[43:44], v[47:48], v[45:46]
	v_add_f64 v[1:2], v[1:2], v[41:42]
	v_add_f64 v[3:4], v[3:4], v[43:44]
	s_andn2_b32 exec_lo, exec_lo, s64
	s_cbranch_execnz .LBB56_572
; %bb.573:
	s_or_b32 exec_lo, exec_lo, s64
.LBB56_574:
	s_or_b32 exec_lo, exec_lo, s8
	v_mov_b32_e32 v38, 0
	ds_read_b128 v[38:41], v38 offset:256
	s_waitcnt lgkmcnt(0)
	v_mul_f64 v[42:43], v[3:4], v[40:41]
	v_mul_f64 v[40:41], v[1:2], v[40:41]
	v_fma_f64 v[1:2], v[1:2], v[38:39], -v[42:43]
	v_fma_f64 v[3:4], v[3:4], v[38:39], v[40:41]
	buffer_store_dword v2, off, s[0:3], 0 offset:260
	buffer_store_dword v1, off, s[0:3], 0 offset:256
	;; [unrolled: 1-line block ×4, first 2 shown]
.LBB56_575:
	s_or_b32 exec_lo, exec_lo, s4
	v_mov_b32_e32 v4, s47
	s_mov_b32 s4, exec_lo
	s_clause 0x3
	buffer_load_dword v1, v4, s[0:3], 0 offen
	buffer_load_dword v2, v4, s[0:3], 0 offen offset:4
	buffer_load_dword v3, v4, s[0:3], 0 offen offset:8
	;; [unrolled: 1-line block ×3, first 2 shown]
	s_waitcnt vmcnt(0)
	ds_write_b128 v36, v[1:4]
	s_waitcnt lgkmcnt(0)
	s_waitcnt_vscnt null, 0x0
	s_barrier
	buffer_gl0_inv
	v_cmpx_gt_u32_e32 17, v0
	s_cbranch_execz .LBB56_583
; %bb.576:
	ds_read_b128 v[1:4], v36
	v_cmp_ne_u32_e32 vcc_lo, 1, v37
	s_cbranch_vccnz .LBB56_578
; %bb.577:
	s_clause 0x3
	buffer_load_dword v38, v35, s[0:3], 0 offen offset:8
	buffer_load_dword v39, v35, s[0:3], 0 offen offset:12
	buffer_load_dword v40, v35, s[0:3], 0 offen
	buffer_load_dword v41, v35, s[0:3], 0 offen offset:4
	s_waitcnt vmcnt(2) lgkmcnt(0)
	v_mul_f64 v[42:43], v[3:4], v[38:39]
	v_mul_f64 v[38:39], v[1:2], v[38:39]
	s_waitcnt vmcnt(0)
	v_fma_f64 v[1:2], v[1:2], v[40:41], -v[42:43]
	v_fma_f64 v[3:4], v[3:4], v[40:41], v[38:39]
.LBB56_578:
	s_mov_b32 s8, exec_lo
	v_cmpx_ne_u32_e32 16, v0
	s_cbranch_execz .LBB56_582
; %bb.579:
	v_add_nc_u32_e32 v38, 0x3a0, v133
	v_add3_u32 v39, 0, v133, 16
	v_mov_b32_e32 v40, v0
	s_mov_b32 s64, 0
	.p2align	6
.LBB56_580:                             ; =>This Inner Loop Header: Depth=1
	s_clause 0x3
	buffer_load_dword v45, v39, s[0:3], 0 offen offset:8
	buffer_load_dword v46, v39, s[0:3], 0 offen offset:12
	buffer_load_dword v47, v39, s[0:3], 0 offen
	buffer_load_dword v48, v39, s[0:3], 0 offen offset:4
	ds_read_b128 v[41:44], v38
	v_add_nc_u32_e32 v40, 1, v40
	v_add_nc_u32_e32 v38, 16, v38
	;; [unrolled: 1-line block ×3, first 2 shown]
	v_cmp_lt_u32_e32 vcc_lo, 15, v40
	s_or_b32 s64, vcc_lo, s64
	s_waitcnt vmcnt(2) lgkmcnt(0)
	v_mul_f64 v[134:135], v[43:44], v[45:46]
	v_mul_f64 v[45:46], v[41:42], v[45:46]
	s_waitcnt vmcnt(0)
	v_fma_f64 v[41:42], v[41:42], v[47:48], -v[134:135]
	v_fma_f64 v[43:44], v[43:44], v[47:48], v[45:46]
	v_add_f64 v[1:2], v[1:2], v[41:42]
	v_add_f64 v[3:4], v[3:4], v[43:44]
	s_andn2_b32 exec_lo, exec_lo, s64
	s_cbranch_execnz .LBB56_580
; %bb.581:
	s_or_b32 exec_lo, exec_lo, s64
.LBB56_582:
	s_or_b32 exec_lo, exec_lo, s8
	v_mov_b32_e32 v38, 0
	ds_read_b128 v[38:41], v38 offset:272
	s_waitcnt lgkmcnt(0)
	v_mul_f64 v[42:43], v[3:4], v[40:41]
	v_mul_f64 v[40:41], v[1:2], v[40:41]
	v_fma_f64 v[1:2], v[1:2], v[38:39], -v[42:43]
	v_fma_f64 v[3:4], v[3:4], v[38:39], v[40:41]
	buffer_store_dword v2, off, s[0:3], 0 offset:276
	buffer_store_dword v1, off, s[0:3], 0 offset:272
	;; [unrolled: 1-line block ×4, first 2 shown]
.LBB56_583:
	s_or_b32 exec_lo, exec_lo, s4
	v_mov_b32_e32 v4, s46
	s_mov_b32 s4, exec_lo
	s_clause 0x3
	buffer_load_dword v1, v4, s[0:3], 0 offen
	buffer_load_dword v2, v4, s[0:3], 0 offen offset:4
	buffer_load_dword v3, v4, s[0:3], 0 offen offset:8
	;; [unrolled: 1-line block ×3, first 2 shown]
	s_waitcnt vmcnt(0)
	ds_write_b128 v36, v[1:4]
	s_waitcnt lgkmcnt(0)
	s_waitcnt_vscnt null, 0x0
	s_barrier
	buffer_gl0_inv
	v_cmpx_gt_u32_e32 18, v0
	s_cbranch_execz .LBB56_591
; %bb.584:
	ds_read_b128 v[1:4], v36
	v_cmp_ne_u32_e32 vcc_lo, 1, v37
	s_cbranch_vccnz .LBB56_586
; %bb.585:
	s_clause 0x3
	buffer_load_dword v38, v35, s[0:3], 0 offen offset:8
	buffer_load_dword v39, v35, s[0:3], 0 offen offset:12
	buffer_load_dword v40, v35, s[0:3], 0 offen
	buffer_load_dword v41, v35, s[0:3], 0 offen offset:4
	s_waitcnt vmcnt(2) lgkmcnt(0)
	v_mul_f64 v[42:43], v[3:4], v[38:39]
	v_mul_f64 v[38:39], v[1:2], v[38:39]
	s_waitcnt vmcnt(0)
	v_fma_f64 v[1:2], v[1:2], v[40:41], -v[42:43]
	v_fma_f64 v[3:4], v[3:4], v[40:41], v[38:39]
.LBB56_586:
	s_mov_b32 s8, exec_lo
	v_cmpx_ne_u32_e32 17, v0
	s_cbranch_execz .LBB56_590
; %bb.587:
	v_add_nc_u32_e32 v38, 0x3a0, v133
	v_add3_u32 v39, 0, v133, 16
	v_mov_b32_e32 v40, v0
	s_mov_b32 s64, 0
	.p2align	6
.LBB56_588:                             ; =>This Inner Loop Header: Depth=1
	s_clause 0x3
	buffer_load_dword v45, v39, s[0:3], 0 offen offset:8
	buffer_load_dword v46, v39, s[0:3], 0 offen offset:12
	buffer_load_dword v47, v39, s[0:3], 0 offen
	buffer_load_dword v48, v39, s[0:3], 0 offen offset:4
	ds_read_b128 v[41:44], v38
	v_add_nc_u32_e32 v40, 1, v40
	v_add_nc_u32_e32 v38, 16, v38
	;; [unrolled: 1-line block ×3, first 2 shown]
	v_cmp_lt_u32_e32 vcc_lo, 16, v40
	s_or_b32 s64, vcc_lo, s64
	s_waitcnt vmcnt(2) lgkmcnt(0)
	v_mul_f64 v[134:135], v[43:44], v[45:46]
	v_mul_f64 v[45:46], v[41:42], v[45:46]
	s_waitcnt vmcnt(0)
	v_fma_f64 v[41:42], v[41:42], v[47:48], -v[134:135]
	v_fma_f64 v[43:44], v[43:44], v[47:48], v[45:46]
	v_add_f64 v[1:2], v[1:2], v[41:42]
	v_add_f64 v[3:4], v[3:4], v[43:44]
	s_andn2_b32 exec_lo, exec_lo, s64
	s_cbranch_execnz .LBB56_588
; %bb.589:
	s_or_b32 exec_lo, exec_lo, s64
.LBB56_590:
	s_or_b32 exec_lo, exec_lo, s8
	v_mov_b32_e32 v38, 0
	ds_read_b128 v[38:41], v38 offset:288
	s_waitcnt lgkmcnt(0)
	v_mul_f64 v[42:43], v[3:4], v[40:41]
	v_mul_f64 v[40:41], v[1:2], v[40:41]
	v_fma_f64 v[1:2], v[1:2], v[38:39], -v[42:43]
	v_fma_f64 v[3:4], v[3:4], v[38:39], v[40:41]
	buffer_store_dword v2, off, s[0:3], 0 offset:292
	buffer_store_dword v1, off, s[0:3], 0 offset:288
	;; [unrolled: 1-line block ×4, first 2 shown]
.LBB56_591:
	s_or_b32 exec_lo, exec_lo, s4
	v_mov_b32_e32 v4, s45
	s_mov_b32 s4, exec_lo
	s_clause 0x3
	buffer_load_dword v1, v4, s[0:3], 0 offen
	buffer_load_dword v2, v4, s[0:3], 0 offen offset:4
	buffer_load_dword v3, v4, s[0:3], 0 offen offset:8
	;; [unrolled: 1-line block ×3, first 2 shown]
	s_waitcnt vmcnt(0)
	ds_write_b128 v36, v[1:4]
	s_waitcnt lgkmcnt(0)
	s_waitcnt_vscnt null, 0x0
	s_barrier
	buffer_gl0_inv
	v_cmpx_gt_u32_e32 19, v0
	s_cbranch_execz .LBB56_599
; %bb.592:
	ds_read_b128 v[1:4], v36
	v_cmp_ne_u32_e32 vcc_lo, 1, v37
	s_cbranch_vccnz .LBB56_594
; %bb.593:
	s_clause 0x3
	buffer_load_dword v38, v35, s[0:3], 0 offen offset:8
	buffer_load_dword v39, v35, s[0:3], 0 offen offset:12
	buffer_load_dword v40, v35, s[0:3], 0 offen
	buffer_load_dword v41, v35, s[0:3], 0 offen offset:4
	s_waitcnt vmcnt(2) lgkmcnt(0)
	v_mul_f64 v[42:43], v[3:4], v[38:39]
	v_mul_f64 v[38:39], v[1:2], v[38:39]
	s_waitcnt vmcnt(0)
	v_fma_f64 v[1:2], v[1:2], v[40:41], -v[42:43]
	v_fma_f64 v[3:4], v[3:4], v[40:41], v[38:39]
.LBB56_594:
	s_mov_b32 s8, exec_lo
	v_cmpx_ne_u32_e32 18, v0
	s_cbranch_execz .LBB56_598
; %bb.595:
	v_add_nc_u32_e32 v38, 0x3a0, v133
	v_add3_u32 v39, 0, v133, 16
	v_mov_b32_e32 v40, v0
	s_mov_b32 s64, 0
	.p2align	6
.LBB56_596:                             ; =>This Inner Loop Header: Depth=1
	s_clause 0x3
	buffer_load_dword v45, v39, s[0:3], 0 offen offset:8
	buffer_load_dword v46, v39, s[0:3], 0 offen offset:12
	buffer_load_dword v47, v39, s[0:3], 0 offen
	buffer_load_dword v48, v39, s[0:3], 0 offen offset:4
	ds_read_b128 v[41:44], v38
	v_add_nc_u32_e32 v40, 1, v40
	v_add_nc_u32_e32 v38, 16, v38
	;; [unrolled: 1-line block ×3, first 2 shown]
	v_cmp_lt_u32_e32 vcc_lo, 17, v40
	s_or_b32 s64, vcc_lo, s64
	s_waitcnt vmcnt(2) lgkmcnt(0)
	v_mul_f64 v[134:135], v[43:44], v[45:46]
	v_mul_f64 v[45:46], v[41:42], v[45:46]
	s_waitcnt vmcnt(0)
	v_fma_f64 v[41:42], v[41:42], v[47:48], -v[134:135]
	v_fma_f64 v[43:44], v[43:44], v[47:48], v[45:46]
	v_add_f64 v[1:2], v[1:2], v[41:42]
	v_add_f64 v[3:4], v[3:4], v[43:44]
	s_andn2_b32 exec_lo, exec_lo, s64
	s_cbranch_execnz .LBB56_596
; %bb.597:
	s_or_b32 exec_lo, exec_lo, s64
.LBB56_598:
	s_or_b32 exec_lo, exec_lo, s8
	v_mov_b32_e32 v38, 0
	ds_read_b128 v[38:41], v38 offset:304
	s_waitcnt lgkmcnt(0)
	v_mul_f64 v[42:43], v[3:4], v[40:41]
	v_mul_f64 v[40:41], v[1:2], v[40:41]
	v_fma_f64 v[1:2], v[1:2], v[38:39], -v[42:43]
	v_fma_f64 v[3:4], v[3:4], v[38:39], v[40:41]
	buffer_store_dword v2, off, s[0:3], 0 offset:308
	buffer_store_dword v1, off, s[0:3], 0 offset:304
	;; [unrolled: 1-line block ×4, first 2 shown]
.LBB56_599:
	s_or_b32 exec_lo, exec_lo, s4
	v_mov_b32_e32 v4, s44
	s_mov_b32 s4, exec_lo
	s_clause 0x3
	buffer_load_dword v1, v4, s[0:3], 0 offen
	buffer_load_dword v2, v4, s[0:3], 0 offen offset:4
	buffer_load_dword v3, v4, s[0:3], 0 offen offset:8
	;; [unrolled: 1-line block ×3, first 2 shown]
	s_waitcnt vmcnt(0)
	ds_write_b128 v36, v[1:4]
	s_waitcnt lgkmcnt(0)
	s_waitcnt_vscnt null, 0x0
	s_barrier
	buffer_gl0_inv
	v_cmpx_gt_u32_e32 20, v0
	s_cbranch_execz .LBB56_607
; %bb.600:
	ds_read_b128 v[1:4], v36
	v_cmp_ne_u32_e32 vcc_lo, 1, v37
	s_cbranch_vccnz .LBB56_602
; %bb.601:
	s_clause 0x3
	buffer_load_dword v38, v35, s[0:3], 0 offen offset:8
	buffer_load_dword v39, v35, s[0:3], 0 offen offset:12
	buffer_load_dword v40, v35, s[0:3], 0 offen
	buffer_load_dword v41, v35, s[0:3], 0 offen offset:4
	s_waitcnt vmcnt(2) lgkmcnt(0)
	v_mul_f64 v[42:43], v[3:4], v[38:39]
	v_mul_f64 v[38:39], v[1:2], v[38:39]
	s_waitcnt vmcnt(0)
	v_fma_f64 v[1:2], v[1:2], v[40:41], -v[42:43]
	v_fma_f64 v[3:4], v[3:4], v[40:41], v[38:39]
.LBB56_602:
	s_mov_b32 s8, exec_lo
	v_cmpx_ne_u32_e32 19, v0
	s_cbranch_execz .LBB56_606
; %bb.603:
	v_add_nc_u32_e32 v38, 0x3a0, v133
	v_add3_u32 v39, 0, v133, 16
	v_mov_b32_e32 v40, v0
	s_mov_b32 s64, 0
	.p2align	6
.LBB56_604:                             ; =>This Inner Loop Header: Depth=1
	s_clause 0x3
	buffer_load_dword v45, v39, s[0:3], 0 offen offset:8
	buffer_load_dword v46, v39, s[0:3], 0 offen offset:12
	buffer_load_dword v47, v39, s[0:3], 0 offen
	buffer_load_dword v48, v39, s[0:3], 0 offen offset:4
	ds_read_b128 v[41:44], v38
	v_add_nc_u32_e32 v40, 1, v40
	v_add_nc_u32_e32 v38, 16, v38
	;; [unrolled: 1-line block ×3, first 2 shown]
	v_cmp_lt_u32_e32 vcc_lo, 18, v40
	s_or_b32 s64, vcc_lo, s64
	s_waitcnt vmcnt(2) lgkmcnt(0)
	v_mul_f64 v[134:135], v[43:44], v[45:46]
	v_mul_f64 v[45:46], v[41:42], v[45:46]
	s_waitcnt vmcnt(0)
	v_fma_f64 v[41:42], v[41:42], v[47:48], -v[134:135]
	v_fma_f64 v[43:44], v[43:44], v[47:48], v[45:46]
	v_add_f64 v[1:2], v[1:2], v[41:42]
	v_add_f64 v[3:4], v[3:4], v[43:44]
	s_andn2_b32 exec_lo, exec_lo, s64
	s_cbranch_execnz .LBB56_604
; %bb.605:
	s_or_b32 exec_lo, exec_lo, s64
.LBB56_606:
	s_or_b32 exec_lo, exec_lo, s8
	v_mov_b32_e32 v38, 0
	ds_read_b128 v[38:41], v38 offset:320
	s_waitcnt lgkmcnt(0)
	v_mul_f64 v[42:43], v[3:4], v[40:41]
	v_mul_f64 v[40:41], v[1:2], v[40:41]
	v_fma_f64 v[1:2], v[1:2], v[38:39], -v[42:43]
	v_fma_f64 v[3:4], v[3:4], v[38:39], v[40:41]
	buffer_store_dword v2, off, s[0:3], 0 offset:324
	buffer_store_dword v1, off, s[0:3], 0 offset:320
	buffer_store_dword v4, off, s[0:3], 0 offset:332
	buffer_store_dword v3, off, s[0:3], 0 offset:328
.LBB56_607:
	s_or_b32 exec_lo, exec_lo, s4
	v_mov_b32_e32 v4, s43
	s_mov_b32 s4, exec_lo
	s_clause 0x3
	buffer_load_dword v1, v4, s[0:3], 0 offen
	buffer_load_dword v2, v4, s[0:3], 0 offen offset:4
	buffer_load_dword v3, v4, s[0:3], 0 offen offset:8
	buffer_load_dword v4, v4, s[0:3], 0 offen offset:12
	s_waitcnt vmcnt(0)
	ds_write_b128 v36, v[1:4]
	s_waitcnt lgkmcnt(0)
	s_waitcnt_vscnt null, 0x0
	s_barrier
	buffer_gl0_inv
	v_cmpx_gt_u32_e32 21, v0
	s_cbranch_execz .LBB56_615
; %bb.608:
	ds_read_b128 v[1:4], v36
	v_cmp_ne_u32_e32 vcc_lo, 1, v37
	s_cbranch_vccnz .LBB56_610
; %bb.609:
	s_clause 0x3
	buffer_load_dword v38, v35, s[0:3], 0 offen offset:8
	buffer_load_dword v39, v35, s[0:3], 0 offen offset:12
	buffer_load_dword v40, v35, s[0:3], 0 offen
	buffer_load_dword v41, v35, s[0:3], 0 offen offset:4
	s_waitcnt vmcnt(2) lgkmcnt(0)
	v_mul_f64 v[42:43], v[3:4], v[38:39]
	v_mul_f64 v[38:39], v[1:2], v[38:39]
	s_waitcnt vmcnt(0)
	v_fma_f64 v[1:2], v[1:2], v[40:41], -v[42:43]
	v_fma_f64 v[3:4], v[3:4], v[40:41], v[38:39]
.LBB56_610:
	s_mov_b32 s8, exec_lo
	v_cmpx_ne_u32_e32 20, v0
	s_cbranch_execz .LBB56_614
; %bb.611:
	v_add_nc_u32_e32 v38, 0x3a0, v133
	v_add3_u32 v39, 0, v133, 16
	v_mov_b32_e32 v40, v0
	s_mov_b32 s64, 0
	.p2align	6
.LBB56_612:                             ; =>This Inner Loop Header: Depth=1
	s_clause 0x3
	buffer_load_dword v45, v39, s[0:3], 0 offen offset:8
	buffer_load_dword v46, v39, s[0:3], 0 offen offset:12
	buffer_load_dword v47, v39, s[0:3], 0 offen
	buffer_load_dword v48, v39, s[0:3], 0 offen offset:4
	ds_read_b128 v[41:44], v38
	v_add_nc_u32_e32 v40, 1, v40
	v_add_nc_u32_e32 v38, 16, v38
	;; [unrolled: 1-line block ×3, first 2 shown]
	v_cmp_lt_u32_e32 vcc_lo, 19, v40
	s_or_b32 s64, vcc_lo, s64
	s_waitcnt vmcnt(2) lgkmcnt(0)
	v_mul_f64 v[134:135], v[43:44], v[45:46]
	v_mul_f64 v[45:46], v[41:42], v[45:46]
	s_waitcnt vmcnt(0)
	v_fma_f64 v[41:42], v[41:42], v[47:48], -v[134:135]
	v_fma_f64 v[43:44], v[43:44], v[47:48], v[45:46]
	v_add_f64 v[1:2], v[1:2], v[41:42]
	v_add_f64 v[3:4], v[3:4], v[43:44]
	s_andn2_b32 exec_lo, exec_lo, s64
	s_cbranch_execnz .LBB56_612
; %bb.613:
	s_or_b32 exec_lo, exec_lo, s64
.LBB56_614:
	s_or_b32 exec_lo, exec_lo, s8
	v_mov_b32_e32 v38, 0
	ds_read_b128 v[38:41], v38 offset:336
	s_waitcnt lgkmcnt(0)
	v_mul_f64 v[42:43], v[3:4], v[40:41]
	v_mul_f64 v[40:41], v[1:2], v[40:41]
	v_fma_f64 v[1:2], v[1:2], v[38:39], -v[42:43]
	v_fma_f64 v[3:4], v[3:4], v[38:39], v[40:41]
	buffer_store_dword v2, off, s[0:3], 0 offset:340
	buffer_store_dword v1, off, s[0:3], 0 offset:336
	;; [unrolled: 1-line block ×4, first 2 shown]
.LBB56_615:
	s_or_b32 exec_lo, exec_lo, s4
	v_mov_b32_e32 v4, s42
	s_mov_b32 s4, exec_lo
	s_clause 0x3
	buffer_load_dword v1, v4, s[0:3], 0 offen
	buffer_load_dword v2, v4, s[0:3], 0 offen offset:4
	buffer_load_dword v3, v4, s[0:3], 0 offen offset:8
	;; [unrolled: 1-line block ×3, first 2 shown]
	s_waitcnt vmcnt(0)
	ds_write_b128 v36, v[1:4]
	s_waitcnt lgkmcnt(0)
	s_waitcnt_vscnt null, 0x0
	s_barrier
	buffer_gl0_inv
	v_cmpx_gt_u32_e32 22, v0
	s_cbranch_execz .LBB56_623
; %bb.616:
	ds_read_b128 v[1:4], v36
	v_cmp_ne_u32_e32 vcc_lo, 1, v37
	s_cbranch_vccnz .LBB56_618
; %bb.617:
	s_clause 0x3
	buffer_load_dword v38, v35, s[0:3], 0 offen offset:8
	buffer_load_dword v39, v35, s[0:3], 0 offen offset:12
	buffer_load_dword v40, v35, s[0:3], 0 offen
	buffer_load_dword v41, v35, s[0:3], 0 offen offset:4
	s_waitcnt vmcnt(2) lgkmcnt(0)
	v_mul_f64 v[42:43], v[3:4], v[38:39]
	v_mul_f64 v[38:39], v[1:2], v[38:39]
	s_waitcnt vmcnt(0)
	v_fma_f64 v[1:2], v[1:2], v[40:41], -v[42:43]
	v_fma_f64 v[3:4], v[3:4], v[40:41], v[38:39]
.LBB56_618:
	s_mov_b32 s8, exec_lo
	v_cmpx_ne_u32_e32 21, v0
	s_cbranch_execz .LBB56_622
; %bb.619:
	v_add_nc_u32_e32 v38, 0x3a0, v133
	v_add3_u32 v39, 0, v133, 16
	v_mov_b32_e32 v40, v0
	s_mov_b32 s64, 0
	.p2align	6
.LBB56_620:                             ; =>This Inner Loop Header: Depth=1
	s_clause 0x3
	buffer_load_dword v45, v39, s[0:3], 0 offen offset:8
	buffer_load_dword v46, v39, s[0:3], 0 offen offset:12
	buffer_load_dword v47, v39, s[0:3], 0 offen
	buffer_load_dword v48, v39, s[0:3], 0 offen offset:4
	ds_read_b128 v[41:44], v38
	v_add_nc_u32_e32 v40, 1, v40
	v_add_nc_u32_e32 v38, 16, v38
	;; [unrolled: 1-line block ×3, first 2 shown]
	v_cmp_lt_u32_e32 vcc_lo, 20, v40
	s_or_b32 s64, vcc_lo, s64
	s_waitcnt vmcnt(2) lgkmcnt(0)
	v_mul_f64 v[134:135], v[43:44], v[45:46]
	v_mul_f64 v[45:46], v[41:42], v[45:46]
	s_waitcnt vmcnt(0)
	v_fma_f64 v[41:42], v[41:42], v[47:48], -v[134:135]
	v_fma_f64 v[43:44], v[43:44], v[47:48], v[45:46]
	v_add_f64 v[1:2], v[1:2], v[41:42]
	v_add_f64 v[3:4], v[3:4], v[43:44]
	s_andn2_b32 exec_lo, exec_lo, s64
	s_cbranch_execnz .LBB56_620
; %bb.621:
	s_or_b32 exec_lo, exec_lo, s64
.LBB56_622:
	s_or_b32 exec_lo, exec_lo, s8
	v_mov_b32_e32 v38, 0
	ds_read_b128 v[38:41], v38 offset:352
	s_waitcnt lgkmcnt(0)
	v_mul_f64 v[42:43], v[3:4], v[40:41]
	v_mul_f64 v[40:41], v[1:2], v[40:41]
	v_fma_f64 v[1:2], v[1:2], v[38:39], -v[42:43]
	v_fma_f64 v[3:4], v[3:4], v[38:39], v[40:41]
	buffer_store_dword v2, off, s[0:3], 0 offset:356
	buffer_store_dword v1, off, s[0:3], 0 offset:352
	;; [unrolled: 1-line block ×4, first 2 shown]
.LBB56_623:
	s_or_b32 exec_lo, exec_lo, s4
	v_mov_b32_e32 v4, s41
	s_mov_b32 s4, exec_lo
	s_clause 0x3
	buffer_load_dword v1, v4, s[0:3], 0 offen
	buffer_load_dword v2, v4, s[0:3], 0 offen offset:4
	buffer_load_dword v3, v4, s[0:3], 0 offen offset:8
	;; [unrolled: 1-line block ×3, first 2 shown]
	s_waitcnt vmcnt(0)
	ds_write_b128 v36, v[1:4]
	s_waitcnt lgkmcnt(0)
	s_waitcnt_vscnt null, 0x0
	s_barrier
	buffer_gl0_inv
	v_cmpx_gt_u32_e32 23, v0
	s_cbranch_execz .LBB56_631
; %bb.624:
	ds_read_b128 v[1:4], v36
	v_cmp_ne_u32_e32 vcc_lo, 1, v37
	s_cbranch_vccnz .LBB56_626
; %bb.625:
	s_clause 0x3
	buffer_load_dword v38, v35, s[0:3], 0 offen offset:8
	buffer_load_dword v39, v35, s[0:3], 0 offen offset:12
	buffer_load_dword v40, v35, s[0:3], 0 offen
	buffer_load_dword v41, v35, s[0:3], 0 offen offset:4
	s_waitcnt vmcnt(2) lgkmcnt(0)
	v_mul_f64 v[42:43], v[3:4], v[38:39]
	v_mul_f64 v[38:39], v[1:2], v[38:39]
	s_waitcnt vmcnt(0)
	v_fma_f64 v[1:2], v[1:2], v[40:41], -v[42:43]
	v_fma_f64 v[3:4], v[3:4], v[40:41], v[38:39]
.LBB56_626:
	s_mov_b32 s8, exec_lo
	v_cmpx_ne_u32_e32 22, v0
	s_cbranch_execz .LBB56_630
; %bb.627:
	v_add_nc_u32_e32 v38, 0x3a0, v133
	v_add3_u32 v39, 0, v133, 16
	v_mov_b32_e32 v40, v0
	s_mov_b32 s64, 0
	.p2align	6
.LBB56_628:                             ; =>This Inner Loop Header: Depth=1
	s_clause 0x3
	buffer_load_dword v45, v39, s[0:3], 0 offen offset:8
	buffer_load_dword v46, v39, s[0:3], 0 offen offset:12
	buffer_load_dword v47, v39, s[0:3], 0 offen
	buffer_load_dword v48, v39, s[0:3], 0 offen offset:4
	ds_read_b128 v[41:44], v38
	v_add_nc_u32_e32 v40, 1, v40
	v_add_nc_u32_e32 v38, 16, v38
	v_add_nc_u32_e32 v39, 16, v39
	v_cmp_lt_u32_e32 vcc_lo, 21, v40
	s_or_b32 s64, vcc_lo, s64
	s_waitcnt vmcnt(2) lgkmcnt(0)
	v_mul_f64 v[134:135], v[43:44], v[45:46]
	v_mul_f64 v[45:46], v[41:42], v[45:46]
	s_waitcnt vmcnt(0)
	v_fma_f64 v[41:42], v[41:42], v[47:48], -v[134:135]
	v_fma_f64 v[43:44], v[43:44], v[47:48], v[45:46]
	v_add_f64 v[1:2], v[1:2], v[41:42]
	v_add_f64 v[3:4], v[3:4], v[43:44]
	s_andn2_b32 exec_lo, exec_lo, s64
	s_cbranch_execnz .LBB56_628
; %bb.629:
	s_or_b32 exec_lo, exec_lo, s64
.LBB56_630:
	s_or_b32 exec_lo, exec_lo, s8
	v_mov_b32_e32 v38, 0
	ds_read_b128 v[38:41], v38 offset:368
	s_waitcnt lgkmcnt(0)
	v_mul_f64 v[42:43], v[3:4], v[40:41]
	v_mul_f64 v[40:41], v[1:2], v[40:41]
	v_fma_f64 v[1:2], v[1:2], v[38:39], -v[42:43]
	v_fma_f64 v[3:4], v[3:4], v[38:39], v[40:41]
	buffer_store_dword v2, off, s[0:3], 0 offset:372
	buffer_store_dword v1, off, s[0:3], 0 offset:368
	;; [unrolled: 1-line block ×4, first 2 shown]
.LBB56_631:
	s_or_b32 exec_lo, exec_lo, s4
	v_mov_b32_e32 v4, s40
	s_mov_b32 s4, exec_lo
	s_clause 0x3
	buffer_load_dword v1, v4, s[0:3], 0 offen
	buffer_load_dword v2, v4, s[0:3], 0 offen offset:4
	buffer_load_dword v3, v4, s[0:3], 0 offen offset:8
	;; [unrolled: 1-line block ×3, first 2 shown]
	s_waitcnt vmcnt(0)
	ds_write_b128 v36, v[1:4]
	s_waitcnt lgkmcnt(0)
	s_waitcnt_vscnt null, 0x0
	s_barrier
	buffer_gl0_inv
	v_cmpx_gt_u32_e32 24, v0
	s_cbranch_execz .LBB56_639
; %bb.632:
	ds_read_b128 v[1:4], v36
	v_cmp_ne_u32_e32 vcc_lo, 1, v37
	s_cbranch_vccnz .LBB56_634
; %bb.633:
	s_clause 0x3
	buffer_load_dword v38, v35, s[0:3], 0 offen offset:8
	buffer_load_dword v39, v35, s[0:3], 0 offen offset:12
	buffer_load_dword v40, v35, s[0:3], 0 offen
	buffer_load_dword v41, v35, s[0:3], 0 offen offset:4
	s_waitcnt vmcnt(2) lgkmcnt(0)
	v_mul_f64 v[42:43], v[3:4], v[38:39]
	v_mul_f64 v[38:39], v[1:2], v[38:39]
	s_waitcnt vmcnt(0)
	v_fma_f64 v[1:2], v[1:2], v[40:41], -v[42:43]
	v_fma_f64 v[3:4], v[3:4], v[40:41], v[38:39]
.LBB56_634:
	s_mov_b32 s8, exec_lo
	v_cmpx_ne_u32_e32 23, v0
	s_cbranch_execz .LBB56_638
; %bb.635:
	v_add_nc_u32_e32 v38, 0x3a0, v133
	v_add3_u32 v39, 0, v133, 16
	v_mov_b32_e32 v40, v0
	s_mov_b32 s64, 0
	.p2align	6
.LBB56_636:                             ; =>This Inner Loop Header: Depth=1
	s_clause 0x3
	buffer_load_dword v45, v39, s[0:3], 0 offen offset:8
	buffer_load_dword v46, v39, s[0:3], 0 offen offset:12
	buffer_load_dword v47, v39, s[0:3], 0 offen
	buffer_load_dword v48, v39, s[0:3], 0 offen offset:4
	ds_read_b128 v[41:44], v38
	v_add_nc_u32_e32 v40, 1, v40
	v_add_nc_u32_e32 v38, 16, v38
	;; [unrolled: 1-line block ×3, first 2 shown]
	v_cmp_lt_u32_e32 vcc_lo, 22, v40
	s_or_b32 s64, vcc_lo, s64
	s_waitcnt vmcnt(2) lgkmcnt(0)
	v_mul_f64 v[134:135], v[43:44], v[45:46]
	v_mul_f64 v[45:46], v[41:42], v[45:46]
	s_waitcnt vmcnt(0)
	v_fma_f64 v[41:42], v[41:42], v[47:48], -v[134:135]
	v_fma_f64 v[43:44], v[43:44], v[47:48], v[45:46]
	v_add_f64 v[1:2], v[1:2], v[41:42]
	v_add_f64 v[3:4], v[3:4], v[43:44]
	s_andn2_b32 exec_lo, exec_lo, s64
	s_cbranch_execnz .LBB56_636
; %bb.637:
	s_or_b32 exec_lo, exec_lo, s64
.LBB56_638:
	s_or_b32 exec_lo, exec_lo, s8
	v_mov_b32_e32 v38, 0
	ds_read_b128 v[38:41], v38 offset:384
	s_waitcnt lgkmcnt(0)
	v_mul_f64 v[42:43], v[3:4], v[40:41]
	v_mul_f64 v[40:41], v[1:2], v[40:41]
	v_fma_f64 v[1:2], v[1:2], v[38:39], -v[42:43]
	v_fma_f64 v[3:4], v[3:4], v[38:39], v[40:41]
	buffer_store_dword v2, off, s[0:3], 0 offset:388
	buffer_store_dword v1, off, s[0:3], 0 offset:384
	;; [unrolled: 1-line block ×4, first 2 shown]
.LBB56_639:
	s_or_b32 exec_lo, exec_lo, s4
	v_mov_b32_e32 v4, s39
	s_mov_b32 s4, exec_lo
	s_clause 0x3
	buffer_load_dword v1, v4, s[0:3], 0 offen
	buffer_load_dword v2, v4, s[0:3], 0 offen offset:4
	buffer_load_dword v3, v4, s[0:3], 0 offen offset:8
	;; [unrolled: 1-line block ×3, first 2 shown]
	s_waitcnt vmcnt(0)
	ds_write_b128 v36, v[1:4]
	s_waitcnt lgkmcnt(0)
	s_waitcnt_vscnt null, 0x0
	s_barrier
	buffer_gl0_inv
	v_cmpx_gt_u32_e32 25, v0
	s_cbranch_execz .LBB56_647
; %bb.640:
	ds_read_b128 v[1:4], v36
	v_cmp_ne_u32_e32 vcc_lo, 1, v37
	s_cbranch_vccnz .LBB56_642
; %bb.641:
	s_clause 0x3
	buffer_load_dword v38, v35, s[0:3], 0 offen offset:8
	buffer_load_dword v39, v35, s[0:3], 0 offen offset:12
	buffer_load_dword v40, v35, s[0:3], 0 offen
	buffer_load_dword v41, v35, s[0:3], 0 offen offset:4
	s_waitcnt vmcnt(2) lgkmcnt(0)
	v_mul_f64 v[42:43], v[3:4], v[38:39]
	v_mul_f64 v[38:39], v[1:2], v[38:39]
	s_waitcnt vmcnt(0)
	v_fma_f64 v[1:2], v[1:2], v[40:41], -v[42:43]
	v_fma_f64 v[3:4], v[3:4], v[40:41], v[38:39]
.LBB56_642:
	s_mov_b32 s8, exec_lo
	v_cmpx_ne_u32_e32 24, v0
	s_cbranch_execz .LBB56_646
; %bb.643:
	v_add_nc_u32_e32 v38, 0x3a0, v133
	v_add3_u32 v39, 0, v133, 16
	v_mov_b32_e32 v40, v0
	s_mov_b32 s64, 0
	.p2align	6
.LBB56_644:                             ; =>This Inner Loop Header: Depth=1
	s_clause 0x3
	buffer_load_dword v45, v39, s[0:3], 0 offen offset:8
	buffer_load_dword v46, v39, s[0:3], 0 offen offset:12
	buffer_load_dword v47, v39, s[0:3], 0 offen
	buffer_load_dword v48, v39, s[0:3], 0 offen offset:4
	ds_read_b128 v[41:44], v38
	v_add_nc_u32_e32 v40, 1, v40
	v_add_nc_u32_e32 v38, 16, v38
	;; [unrolled: 1-line block ×3, first 2 shown]
	v_cmp_lt_u32_e32 vcc_lo, 23, v40
	s_or_b32 s64, vcc_lo, s64
	s_waitcnt vmcnt(2) lgkmcnt(0)
	v_mul_f64 v[134:135], v[43:44], v[45:46]
	v_mul_f64 v[45:46], v[41:42], v[45:46]
	s_waitcnt vmcnt(0)
	v_fma_f64 v[41:42], v[41:42], v[47:48], -v[134:135]
	v_fma_f64 v[43:44], v[43:44], v[47:48], v[45:46]
	v_add_f64 v[1:2], v[1:2], v[41:42]
	v_add_f64 v[3:4], v[3:4], v[43:44]
	s_andn2_b32 exec_lo, exec_lo, s64
	s_cbranch_execnz .LBB56_644
; %bb.645:
	s_or_b32 exec_lo, exec_lo, s64
.LBB56_646:
	s_or_b32 exec_lo, exec_lo, s8
	v_mov_b32_e32 v38, 0
	ds_read_b128 v[38:41], v38 offset:400
	s_waitcnt lgkmcnt(0)
	v_mul_f64 v[42:43], v[3:4], v[40:41]
	v_mul_f64 v[40:41], v[1:2], v[40:41]
	v_fma_f64 v[1:2], v[1:2], v[38:39], -v[42:43]
	v_fma_f64 v[3:4], v[3:4], v[38:39], v[40:41]
	buffer_store_dword v2, off, s[0:3], 0 offset:404
	buffer_store_dword v1, off, s[0:3], 0 offset:400
	;; [unrolled: 1-line block ×4, first 2 shown]
.LBB56_647:
	s_or_b32 exec_lo, exec_lo, s4
	v_mov_b32_e32 v4, s38
	s_mov_b32 s4, exec_lo
	s_clause 0x3
	buffer_load_dword v1, v4, s[0:3], 0 offen
	buffer_load_dword v2, v4, s[0:3], 0 offen offset:4
	buffer_load_dword v3, v4, s[0:3], 0 offen offset:8
	;; [unrolled: 1-line block ×3, first 2 shown]
	s_waitcnt vmcnt(0)
	ds_write_b128 v36, v[1:4]
	s_waitcnt lgkmcnt(0)
	s_waitcnt_vscnt null, 0x0
	s_barrier
	buffer_gl0_inv
	v_cmpx_gt_u32_e32 26, v0
	s_cbranch_execz .LBB56_655
; %bb.648:
	ds_read_b128 v[1:4], v36
	v_cmp_ne_u32_e32 vcc_lo, 1, v37
	s_cbranch_vccnz .LBB56_650
; %bb.649:
	s_clause 0x3
	buffer_load_dword v38, v35, s[0:3], 0 offen offset:8
	buffer_load_dword v39, v35, s[0:3], 0 offen offset:12
	buffer_load_dword v40, v35, s[0:3], 0 offen
	buffer_load_dword v41, v35, s[0:3], 0 offen offset:4
	s_waitcnt vmcnt(2) lgkmcnt(0)
	v_mul_f64 v[42:43], v[3:4], v[38:39]
	v_mul_f64 v[38:39], v[1:2], v[38:39]
	s_waitcnt vmcnt(0)
	v_fma_f64 v[1:2], v[1:2], v[40:41], -v[42:43]
	v_fma_f64 v[3:4], v[3:4], v[40:41], v[38:39]
.LBB56_650:
	s_mov_b32 s8, exec_lo
	v_cmpx_ne_u32_e32 25, v0
	s_cbranch_execz .LBB56_654
; %bb.651:
	v_add_nc_u32_e32 v38, 0x3a0, v133
	v_add3_u32 v39, 0, v133, 16
	v_mov_b32_e32 v40, v0
	s_mov_b32 s64, 0
	.p2align	6
.LBB56_652:                             ; =>This Inner Loop Header: Depth=1
	s_clause 0x3
	buffer_load_dword v45, v39, s[0:3], 0 offen offset:8
	buffer_load_dword v46, v39, s[0:3], 0 offen offset:12
	buffer_load_dword v47, v39, s[0:3], 0 offen
	buffer_load_dword v48, v39, s[0:3], 0 offen offset:4
	ds_read_b128 v[41:44], v38
	v_add_nc_u32_e32 v40, 1, v40
	v_add_nc_u32_e32 v38, 16, v38
	;; [unrolled: 1-line block ×3, first 2 shown]
	v_cmp_lt_u32_e32 vcc_lo, 24, v40
	s_or_b32 s64, vcc_lo, s64
	s_waitcnt vmcnt(2) lgkmcnt(0)
	v_mul_f64 v[134:135], v[43:44], v[45:46]
	v_mul_f64 v[45:46], v[41:42], v[45:46]
	s_waitcnt vmcnt(0)
	v_fma_f64 v[41:42], v[41:42], v[47:48], -v[134:135]
	v_fma_f64 v[43:44], v[43:44], v[47:48], v[45:46]
	v_add_f64 v[1:2], v[1:2], v[41:42]
	v_add_f64 v[3:4], v[3:4], v[43:44]
	s_andn2_b32 exec_lo, exec_lo, s64
	s_cbranch_execnz .LBB56_652
; %bb.653:
	s_or_b32 exec_lo, exec_lo, s64
.LBB56_654:
	s_or_b32 exec_lo, exec_lo, s8
	v_mov_b32_e32 v38, 0
	ds_read_b128 v[38:41], v38 offset:416
	s_waitcnt lgkmcnt(0)
	v_mul_f64 v[42:43], v[3:4], v[40:41]
	v_mul_f64 v[40:41], v[1:2], v[40:41]
	v_fma_f64 v[1:2], v[1:2], v[38:39], -v[42:43]
	v_fma_f64 v[3:4], v[3:4], v[38:39], v[40:41]
	buffer_store_dword v2, off, s[0:3], 0 offset:420
	buffer_store_dword v1, off, s[0:3], 0 offset:416
	;; [unrolled: 1-line block ×4, first 2 shown]
.LBB56_655:
	s_or_b32 exec_lo, exec_lo, s4
	v_mov_b32_e32 v4, s37
	s_mov_b32 s4, exec_lo
	s_clause 0x3
	buffer_load_dword v1, v4, s[0:3], 0 offen
	buffer_load_dword v2, v4, s[0:3], 0 offen offset:4
	buffer_load_dword v3, v4, s[0:3], 0 offen offset:8
	;; [unrolled: 1-line block ×3, first 2 shown]
	s_waitcnt vmcnt(0)
	ds_write_b128 v36, v[1:4]
	s_waitcnt lgkmcnt(0)
	s_waitcnt_vscnt null, 0x0
	s_barrier
	buffer_gl0_inv
	v_cmpx_gt_u32_e32 27, v0
	s_cbranch_execz .LBB56_663
; %bb.656:
	ds_read_b128 v[1:4], v36
	v_cmp_ne_u32_e32 vcc_lo, 1, v37
	s_cbranch_vccnz .LBB56_658
; %bb.657:
	s_clause 0x3
	buffer_load_dword v38, v35, s[0:3], 0 offen offset:8
	buffer_load_dword v39, v35, s[0:3], 0 offen offset:12
	buffer_load_dword v40, v35, s[0:3], 0 offen
	buffer_load_dword v41, v35, s[0:3], 0 offen offset:4
	s_waitcnt vmcnt(2) lgkmcnt(0)
	v_mul_f64 v[42:43], v[3:4], v[38:39]
	v_mul_f64 v[38:39], v[1:2], v[38:39]
	s_waitcnt vmcnt(0)
	v_fma_f64 v[1:2], v[1:2], v[40:41], -v[42:43]
	v_fma_f64 v[3:4], v[3:4], v[40:41], v[38:39]
.LBB56_658:
	s_mov_b32 s8, exec_lo
	v_cmpx_ne_u32_e32 26, v0
	s_cbranch_execz .LBB56_662
; %bb.659:
	v_add_nc_u32_e32 v38, 0x3a0, v133
	v_add3_u32 v39, 0, v133, 16
	v_mov_b32_e32 v40, v0
	s_mov_b32 s64, 0
	.p2align	6
.LBB56_660:                             ; =>This Inner Loop Header: Depth=1
	s_clause 0x3
	buffer_load_dword v45, v39, s[0:3], 0 offen offset:8
	buffer_load_dword v46, v39, s[0:3], 0 offen offset:12
	buffer_load_dword v47, v39, s[0:3], 0 offen
	buffer_load_dword v48, v39, s[0:3], 0 offen offset:4
	ds_read_b128 v[41:44], v38
	v_add_nc_u32_e32 v40, 1, v40
	v_add_nc_u32_e32 v38, 16, v38
	;; [unrolled: 1-line block ×3, first 2 shown]
	v_cmp_lt_u32_e32 vcc_lo, 25, v40
	s_or_b32 s64, vcc_lo, s64
	s_waitcnt vmcnt(2) lgkmcnt(0)
	v_mul_f64 v[134:135], v[43:44], v[45:46]
	v_mul_f64 v[45:46], v[41:42], v[45:46]
	s_waitcnt vmcnt(0)
	v_fma_f64 v[41:42], v[41:42], v[47:48], -v[134:135]
	v_fma_f64 v[43:44], v[43:44], v[47:48], v[45:46]
	v_add_f64 v[1:2], v[1:2], v[41:42]
	v_add_f64 v[3:4], v[3:4], v[43:44]
	s_andn2_b32 exec_lo, exec_lo, s64
	s_cbranch_execnz .LBB56_660
; %bb.661:
	s_or_b32 exec_lo, exec_lo, s64
.LBB56_662:
	s_or_b32 exec_lo, exec_lo, s8
	v_mov_b32_e32 v38, 0
	ds_read_b128 v[38:41], v38 offset:432
	s_waitcnt lgkmcnt(0)
	v_mul_f64 v[42:43], v[3:4], v[40:41]
	v_mul_f64 v[40:41], v[1:2], v[40:41]
	v_fma_f64 v[1:2], v[1:2], v[38:39], -v[42:43]
	v_fma_f64 v[3:4], v[3:4], v[38:39], v[40:41]
	buffer_store_dword v2, off, s[0:3], 0 offset:436
	buffer_store_dword v1, off, s[0:3], 0 offset:432
	;; [unrolled: 1-line block ×4, first 2 shown]
.LBB56_663:
	s_or_b32 exec_lo, exec_lo, s4
	v_mov_b32_e32 v4, s36
	s_mov_b32 s4, exec_lo
	s_clause 0x3
	buffer_load_dword v1, v4, s[0:3], 0 offen
	buffer_load_dword v2, v4, s[0:3], 0 offen offset:4
	buffer_load_dword v3, v4, s[0:3], 0 offen offset:8
	;; [unrolled: 1-line block ×3, first 2 shown]
	s_waitcnt vmcnt(0)
	ds_write_b128 v36, v[1:4]
	s_waitcnt lgkmcnt(0)
	s_waitcnt_vscnt null, 0x0
	s_barrier
	buffer_gl0_inv
	v_cmpx_gt_u32_e32 28, v0
	s_cbranch_execz .LBB56_671
; %bb.664:
	ds_read_b128 v[1:4], v36
	v_cmp_ne_u32_e32 vcc_lo, 1, v37
	s_cbranch_vccnz .LBB56_666
; %bb.665:
	s_clause 0x3
	buffer_load_dword v38, v35, s[0:3], 0 offen offset:8
	buffer_load_dword v39, v35, s[0:3], 0 offen offset:12
	buffer_load_dword v40, v35, s[0:3], 0 offen
	buffer_load_dword v41, v35, s[0:3], 0 offen offset:4
	s_waitcnt vmcnt(2) lgkmcnt(0)
	v_mul_f64 v[42:43], v[3:4], v[38:39]
	v_mul_f64 v[38:39], v[1:2], v[38:39]
	s_waitcnt vmcnt(0)
	v_fma_f64 v[1:2], v[1:2], v[40:41], -v[42:43]
	v_fma_f64 v[3:4], v[3:4], v[40:41], v[38:39]
.LBB56_666:
	s_mov_b32 s8, exec_lo
	v_cmpx_ne_u32_e32 27, v0
	s_cbranch_execz .LBB56_670
; %bb.667:
	v_add_nc_u32_e32 v38, 0x3a0, v133
	v_add3_u32 v39, 0, v133, 16
	v_mov_b32_e32 v40, v0
	s_mov_b32 s64, 0
	.p2align	6
.LBB56_668:                             ; =>This Inner Loop Header: Depth=1
	s_clause 0x3
	buffer_load_dword v45, v39, s[0:3], 0 offen offset:8
	buffer_load_dword v46, v39, s[0:3], 0 offen offset:12
	buffer_load_dword v47, v39, s[0:3], 0 offen
	buffer_load_dword v48, v39, s[0:3], 0 offen offset:4
	ds_read_b128 v[41:44], v38
	v_add_nc_u32_e32 v40, 1, v40
	v_add_nc_u32_e32 v38, 16, v38
	;; [unrolled: 1-line block ×3, first 2 shown]
	v_cmp_lt_u32_e32 vcc_lo, 26, v40
	s_or_b32 s64, vcc_lo, s64
	s_waitcnt vmcnt(2) lgkmcnt(0)
	v_mul_f64 v[134:135], v[43:44], v[45:46]
	v_mul_f64 v[45:46], v[41:42], v[45:46]
	s_waitcnt vmcnt(0)
	v_fma_f64 v[41:42], v[41:42], v[47:48], -v[134:135]
	v_fma_f64 v[43:44], v[43:44], v[47:48], v[45:46]
	v_add_f64 v[1:2], v[1:2], v[41:42]
	v_add_f64 v[3:4], v[3:4], v[43:44]
	s_andn2_b32 exec_lo, exec_lo, s64
	s_cbranch_execnz .LBB56_668
; %bb.669:
	s_or_b32 exec_lo, exec_lo, s64
.LBB56_670:
	s_or_b32 exec_lo, exec_lo, s8
	v_mov_b32_e32 v38, 0
	ds_read_b128 v[38:41], v38 offset:448
	s_waitcnt lgkmcnt(0)
	v_mul_f64 v[42:43], v[3:4], v[40:41]
	v_mul_f64 v[40:41], v[1:2], v[40:41]
	v_fma_f64 v[1:2], v[1:2], v[38:39], -v[42:43]
	v_fma_f64 v[3:4], v[3:4], v[38:39], v[40:41]
	buffer_store_dword v2, off, s[0:3], 0 offset:452
	buffer_store_dword v1, off, s[0:3], 0 offset:448
	;; [unrolled: 1-line block ×4, first 2 shown]
.LBB56_671:
	s_or_b32 exec_lo, exec_lo, s4
	v_mov_b32_e32 v4, s35
	s_mov_b32 s4, exec_lo
	s_clause 0x3
	buffer_load_dword v1, v4, s[0:3], 0 offen
	buffer_load_dword v2, v4, s[0:3], 0 offen offset:4
	buffer_load_dword v3, v4, s[0:3], 0 offen offset:8
	;; [unrolled: 1-line block ×3, first 2 shown]
	s_waitcnt vmcnt(0)
	ds_write_b128 v36, v[1:4]
	s_waitcnt lgkmcnt(0)
	s_waitcnt_vscnt null, 0x0
	s_barrier
	buffer_gl0_inv
	v_cmpx_gt_u32_e32 29, v0
	s_cbranch_execz .LBB56_679
; %bb.672:
	ds_read_b128 v[1:4], v36
	v_cmp_ne_u32_e32 vcc_lo, 1, v37
	s_cbranch_vccnz .LBB56_674
; %bb.673:
	s_clause 0x3
	buffer_load_dword v38, v35, s[0:3], 0 offen offset:8
	buffer_load_dword v39, v35, s[0:3], 0 offen offset:12
	buffer_load_dword v40, v35, s[0:3], 0 offen
	buffer_load_dword v41, v35, s[0:3], 0 offen offset:4
	s_waitcnt vmcnt(2) lgkmcnt(0)
	v_mul_f64 v[42:43], v[3:4], v[38:39]
	v_mul_f64 v[38:39], v[1:2], v[38:39]
	s_waitcnt vmcnt(0)
	v_fma_f64 v[1:2], v[1:2], v[40:41], -v[42:43]
	v_fma_f64 v[3:4], v[3:4], v[40:41], v[38:39]
.LBB56_674:
	s_mov_b32 s8, exec_lo
	v_cmpx_ne_u32_e32 28, v0
	s_cbranch_execz .LBB56_678
; %bb.675:
	v_add_nc_u32_e32 v38, 0x3a0, v133
	v_add3_u32 v39, 0, v133, 16
	v_mov_b32_e32 v40, v0
	s_mov_b32 s64, 0
	.p2align	6
.LBB56_676:                             ; =>This Inner Loop Header: Depth=1
	s_clause 0x3
	buffer_load_dword v45, v39, s[0:3], 0 offen offset:8
	buffer_load_dword v46, v39, s[0:3], 0 offen offset:12
	buffer_load_dword v47, v39, s[0:3], 0 offen
	buffer_load_dword v48, v39, s[0:3], 0 offen offset:4
	ds_read_b128 v[41:44], v38
	v_add_nc_u32_e32 v40, 1, v40
	v_add_nc_u32_e32 v38, 16, v38
	;; [unrolled: 1-line block ×3, first 2 shown]
	v_cmp_lt_u32_e32 vcc_lo, 27, v40
	s_or_b32 s64, vcc_lo, s64
	s_waitcnt vmcnt(2) lgkmcnt(0)
	v_mul_f64 v[134:135], v[43:44], v[45:46]
	v_mul_f64 v[45:46], v[41:42], v[45:46]
	s_waitcnt vmcnt(0)
	v_fma_f64 v[41:42], v[41:42], v[47:48], -v[134:135]
	v_fma_f64 v[43:44], v[43:44], v[47:48], v[45:46]
	v_add_f64 v[1:2], v[1:2], v[41:42]
	v_add_f64 v[3:4], v[3:4], v[43:44]
	s_andn2_b32 exec_lo, exec_lo, s64
	s_cbranch_execnz .LBB56_676
; %bb.677:
	s_or_b32 exec_lo, exec_lo, s64
.LBB56_678:
	s_or_b32 exec_lo, exec_lo, s8
	v_mov_b32_e32 v38, 0
	ds_read_b128 v[38:41], v38 offset:464
	s_waitcnt lgkmcnt(0)
	v_mul_f64 v[42:43], v[3:4], v[40:41]
	v_mul_f64 v[40:41], v[1:2], v[40:41]
	v_fma_f64 v[1:2], v[1:2], v[38:39], -v[42:43]
	v_fma_f64 v[3:4], v[3:4], v[38:39], v[40:41]
	buffer_store_dword v2, off, s[0:3], 0 offset:468
	buffer_store_dword v1, off, s[0:3], 0 offset:464
	;; [unrolled: 1-line block ×4, first 2 shown]
.LBB56_679:
	s_or_b32 exec_lo, exec_lo, s4
	v_mov_b32_e32 v4, s34
	s_mov_b32 s4, exec_lo
	s_clause 0x3
	buffer_load_dword v1, v4, s[0:3], 0 offen
	buffer_load_dword v2, v4, s[0:3], 0 offen offset:4
	buffer_load_dword v3, v4, s[0:3], 0 offen offset:8
	;; [unrolled: 1-line block ×3, first 2 shown]
	s_waitcnt vmcnt(0)
	ds_write_b128 v36, v[1:4]
	s_waitcnt lgkmcnt(0)
	s_waitcnt_vscnt null, 0x0
	s_barrier
	buffer_gl0_inv
	v_cmpx_gt_u32_e32 30, v0
	s_cbranch_execz .LBB56_687
; %bb.680:
	ds_read_b128 v[1:4], v36
	v_cmp_ne_u32_e32 vcc_lo, 1, v37
	s_cbranch_vccnz .LBB56_682
; %bb.681:
	s_clause 0x3
	buffer_load_dword v38, v35, s[0:3], 0 offen offset:8
	buffer_load_dword v39, v35, s[0:3], 0 offen offset:12
	buffer_load_dword v40, v35, s[0:3], 0 offen
	buffer_load_dword v41, v35, s[0:3], 0 offen offset:4
	s_waitcnt vmcnt(2) lgkmcnt(0)
	v_mul_f64 v[42:43], v[3:4], v[38:39]
	v_mul_f64 v[38:39], v[1:2], v[38:39]
	s_waitcnt vmcnt(0)
	v_fma_f64 v[1:2], v[1:2], v[40:41], -v[42:43]
	v_fma_f64 v[3:4], v[3:4], v[40:41], v[38:39]
.LBB56_682:
	s_mov_b32 s8, exec_lo
	v_cmpx_ne_u32_e32 29, v0
	s_cbranch_execz .LBB56_686
; %bb.683:
	v_add_nc_u32_e32 v38, 0x3a0, v133
	v_add3_u32 v39, 0, v133, 16
	v_mov_b32_e32 v40, v0
	s_mov_b32 s64, 0
	.p2align	6
.LBB56_684:                             ; =>This Inner Loop Header: Depth=1
	s_clause 0x3
	buffer_load_dword v45, v39, s[0:3], 0 offen offset:8
	buffer_load_dword v46, v39, s[0:3], 0 offen offset:12
	buffer_load_dword v47, v39, s[0:3], 0 offen
	buffer_load_dword v48, v39, s[0:3], 0 offen offset:4
	ds_read_b128 v[41:44], v38
	v_add_nc_u32_e32 v40, 1, v40
	v_add_nc_u32_e32 v38, 16, v38
	;; [unrolled: 1-line block ×3, first 2 shown]
	v_cmp_lt_u32_e32 vcc_lo, 28, v40
	s_or_b32 s64, vcc_lo, s64
	s_waitcnt vmcnt(2) lgkmcnt(0)
	v_mul_f64 v[134:135], v[43:44], v[45:46]
	v_mul_f64 v[45:46], v[41:42], v[45:46]
	s_waitcnt vmcnt(0)
	v_fma_f64 v[41:42], v[41:42], v[47:48], -v[134:135]
	v_fma_f64 v[43:44], v[43:44], v[47:48], v[45:46]
	v_add_f64 v[1:2], v[1:2], v[41:42]
	v_add_f64 v[3:4], v[3:4], v[43:44]
	s_andn2_b32 exec_lo, exec_lo, s64
	s_cbranch_execnz .LBB56_684
; %bb.685:
	s_or_b32 exec_lo, exec_lo, s64
.LBB56_686:
	s_or_b32 exec_lo, exec_lo, s8
	v_mov_b32_e32 v38, 0
	ds_read_b128 v[38:41], v38 offset:480
	s_waitcnt lgkmcnt(0)
	v_mul_f64 v[42:43], v[3:4], v[40:41]
	v_mul_f64 v[40:41], v[1:2], v[40:41]
	v_fma_f64 v[1:2], v[1:2], v[38:39], -v[42:43]
	v_fma_f64 v[3:4], v[3:4], v[38:39], v[40:41]
	buffer_store_dword v2, off, s[0:3], 0 offset:484
	buffer_store_dword v1, off, s[0:3], 0 offset:480
	;; [unrolled: 1-line block ×4, first 2 shown]
.LBB56_687:
	s_or_b32 exec_lo, exec_lo, s4
	v_mov_b32_e32 v4, s33
	s_mov_b32 s4, exec_lo
	s_clause 0x3
	buffer_load_dword v1, v4, s[0:3], 0 offen
	buffer_load_dword v2, v4, s[0:3], 0 offen offset:4
	buffer_load_dword v3, v4, s[0:3], 0 offen offset:8
	;; [unrolled: 1-line block ×3, first 2 shown]
	s_waitcnt vmcnt(0)
	ds_write_b128 v36, v[1:4]
	s_waitcnt lgkmcnt(0)
	s_waitcnt_vscnt null, 0x0
	s_barrier
	buffer_gl0_inv
	v_cmpx_gt_u32_e32 31, v0
	s_cbranch_execz .LBB56_695
; %bb.688:
	ds_read_b128 v[1:4], v36
	v_cmp_ne_u32_e32 vcc_lo, 1, v37
	s_cbranch_vccnz .LBB56_690
; %bb.689:
	s_clause 0x3
	buffer_load_dword v38, v35, s[0:3], 0 offen offset:8
	buffer_load_dword v39, v35, s[0:3], 0 offen offset:12
	buffer_load_dword v40, v35, s[0:3], 0 offen
	buffer_load_dword v41, v35, s[0:3], 0 offen offset:4
	s_waitcnt vmcnt(2) lgkmcnt(0)
	v_mul_f64 v[42:43], v[3:4], v[38:39]
	v_mul_f64 v[38:39], v[1:2], v[38:39]
	s_waitcnt vmcnt(0)
	v_fma_f64 v[1:2], v[1:2], v[40:41], -v[42:43]
	v_fma_f64 v[3:4], v[3:4], v[40:41], v[38:39]
.LBB56_690:
	s_mov_b32 s8, exec_lo
	v_cmpx_ne_u32_e32 30, v0
	s_cbranch_execz .LBB56_694
; %bb.691:
	v_add_nc_u32_e32 v38, 0x3a0, v133
	v_add3_u32 v39, 0, v133, 16
	v_mov_b32_e32 v40, v0
	s_mov_b32 s64, 0
	.p2align	6
.LBB56_692:                             ; =>This Inner Loop Header: Depth=1
	s_clause 0x3
	buffer_load_dword v45, v39, s[0:3], 0 offen offset:8
	buffer_load_dword v46, v39, s[0:3], 0 offen offset:12
	buffer_load_dword v47, v39, s[0:3], 0 offen
	buffer_load_dword v48, v39, s[0:3], 0 offen offset:4
	ds_read_b128 v[41:44], v38
	v_add_nc_u32_e32 v40, 1, v40
	v_add_nc_u32_e32 v38, 16, v38
	;; [unrolled: 1-line block ×3, first 2 shown]
	v_cmp_lt_u32_e32 vcc_lo, 29, v40
	s_or_b32 s64, vcc_lo, s64
	s_waitcnt vmcnt(2) lgkmcnt(0)
	v_mul_f64 v[134:135], v[43:44], v[45:46]
	v_mul_f64 v[45:46], v[41:42], v[45:46]
	s_waitcnt vmcnt(0)
	v_fma_f64 v[41:42], v[41:42], v[47:48], -v[134:135]
	v_fma_f64 v[43:44], v[43:44], v[47:48], v[45:46]
	v_add_f64 v[1:2], v[1:2], v[41:42]
	v_add_f64 v[3:4], v[3:4], v[43:44]
	s_andn2_b32 exec_lo, exec_lo, s64
	s_cbranch_execnz .LBB56_692
; %bb.693:
	s_or_b32 exec_lo, exec_lo, s64
.LBB56_694:
	s_or_b32 exec_lo, exec_lo, s8
	v_mov_b32_e32 v38, 0
	ds_read_b128 v[38:41], v38 offset:496
	s_waitcnt lgkmcnt(0)
	v_mul_f64 v[42:43], v[3:4], v[40:41]
	v_mul_f64 v[40:41], v[1:2], v[40:41]
	v_fma_f64 v[1:2], v[1:2], v[38:39], -v[42:43]
	v_fma_f64 v[3:4], v[3:4], v[38:39], v[40:41]
	buffer_store_dword v2, off, s[0:3], 0 offset:500
	buffer_store_dword v1, off, s[0:3], 0 offset:496
	;; [unrolled: 1-line block ×4, first 2 shown]
.LBB56_695:
	s_or_b32 exec_lo, exec_lo, s4
	v_mov_b32_e32 v4, s31
	s_mov_b32 s4, exec_lo
	s_clause 0x3
	buffer_load_dword v1, v4, s[0:3], 0 offen
	buffer_load_dword v2, v4, s[0:3], 0 offen offset:4
	buffer_load_dword v3, v4, s[0:3], 0 offen offset:8
	;; [unrolled: 1-line block ×3, first 2 shown]
	s_waitcnt vmcnt(0)
	ds_write_b128 v36, v[1:4]
	s_waitcnt lgkmcnt(0)
	s_waitcnt_vscnt null, 0x0
	s_barrier
	buffer_gl0_inv
	v_cmpx_gt_u32_e32 32, v0
	s_cbranch_execz .LBB56_703
; %bb.696:
	ds_read_b128 v[1:4], v36
	v_cmp_ne_u32_e32 vcc_lo, 1, v37
	s_cbranch_vccnz .LBB56_698
; %bb.697:
	s_clause 0x3
	buffer_load_dword v38, v35, s[0:3], 0 offen offset:8
	buffer_load_dword v39, v35, s[0:3], 0 offen offset:12
	buffer_load_dword v40, v35, s[0:3], 0 offen
	buffer_load_dword v41, v35, s[0:3], 0 offen offset:4
	s_waitcnt vmcnt(2) lgkmcnt(0)
	v_mul_f64 v[42:43], v[3:4], v[38:39]
	v_mul_f64 v[38:39], v[1:2], v[38:39]
	s_waitcnt vmcnt(0)
	v_fma_f64 v[1:2], v[1:2], v[40:41], -v[42:43]
	v_fma_f64 v[3:4], v[3:4], v[40:41], v[38:39]
.LBB56_698:
	s_mov_b32 s8, exec_lo
	v_cmpx_ne_u32_e32 31, v0
	s_cbranch_execz .LBB56_702
; %bb.699:
	v_add_nc_u32_e32 v38, 0x3a0, v133
	v_add3_u32 v39, 0, v133, 16
	v_mov_b32_e32 v40, v0
	s_mov_b32 s64, 0
	.p2align	6
.LBB56_700:                             ; =>This Inner Loop Header: Depth=1
	s_clause 0x3
	buffer_load_dword v45, v39, s[0:3], 0 offen offset:8
	buffer_load_dword v46, v39, s[0:3], 0 offen offset:12
	buffer_load_dword v47, v39, s[0:3], 0 offen
	buffer_load_dword v48, v39, s[0:3], 0 offen offset:4
	ds_read_b128 v[41:44], v38
	v_add_nc_u32_e32 v40, 1, v40
	v_add_nc_u32_e32 v38, 16, v38
	;; [unrolled: 1-line block ×3, first 2 shown]
	v_cmp_lt_u32_e32 vcc_lo, 30, v40
	s_or_b32 s64, vcc_lo, s64
	s_waitcnt vmcnt(2) lgkmcnt(0)
	v_mul_f64 v[134:135], v[43:44], v[45:46]
	v_mul_f64 v[45:46], v[41:42], v[45:46]
	s_waitcnt vmcnt(0)
	v_fma_f64 v[41:42], v[41:42], v[47:48], -v[134:135]
	v_fma_f64 v[43:44], v[43:44], v[47:48], v[45:46]
	v_add_f64 v[1:2], v[1:2], v[41:42]
	v_add_f64 v[3:4], v[3:4], v[43:44]
	s_andn2_b32 exec_lo, exec_lo, s64
	s_cbranch_execnz .LBB56_700
; %bb.701:
	s_or_b32 exec_lo, exec_lo, s64
.LBB56_702:
	s_or_b32 exec_lo, exec_lo, s8
	v_mov_b32_e32 v38, 0
	ds_read_b128 v[38:41], v38 offset:512
	s_waitcnt lgkmcnt(0)
	v_mul_f64 v[42:43], v[3:4], v[40:41]
	v_mul_f64 v[40:41], v[1:2], v[40:41]
	v_fma_f64 v[1:2], v[1:2], v[38:39], -v[42:43]
	v_fma_f64 v[3:4], v[3:4], v[38:39], v[40:41]
	buffer_store_dword v2, off, s[0:3], 0 offset:516
	buffer_store_dword v1, off, s[0:3], 0 offset:512
	;; [unrolled: 1-line block ×4, first 2 shown]
.LBB56_703:
	s_or_b32 exec_lo, exec_lo, s4
	v_mov_b32_e32 v4, s30
	s_mov_b32 s4, exec_lo
	s_clause 0x3
	buffer_load_dword v1, v4, s[0:3], 0 offen
	buffer_load_dword v2, v4, s[0:3], 0 offen offset:4
	buffer_load_dword v3, v4, s[0:3], 0 offen offset:8
	;; [unrolled: 1-line block ×3, first 2 shown]
	s_waitcnt vmcnt(0)
	ds_write_b128 v36, v[1:4]
	s_waitcnt lgkmcnt(0)
	s_waitcnt_vscnt null, 0x0
	s_barrier
	buffer_gl0_inv
	v_cmpx_gt_u32_e32 33, v0
	s_cbranch_execz .LBB56_711
; %bb.704:
	ds_read_b128 v[1:4], v36
	v_cmp_ne_u32_e32 vcc_lo, 1, v37
	s_cbranch_vccnz .LBB56_706
; %bb.705:
	s_clause 0x3
	buffer_load_dword v38, v35, s[0:3], 0 offen offset:8
	buffer_load_dword v39, v35, s[0:3], 0 offen offset:12
	buffer_load_dword v40, v35, s[0:3], 0 offen
	buffer_load_dword v41, v35, s[0:3], 0 offen offset:4
	s_waitcnt vmcnt(2) lgkmcnt(0)
	v_mul_f64 v[42:43], v[3:4], v[38:39]
	v_mul_f64 v[38:39], v[1:2], v[38:39]
	s_waitcnt vmcnt(0)
	v_fma_f64 v[1:2], v[1:2], v[40:41], -v[42:43]
	v_fma_f64 v[3:4], v[3:4], v[40:41], v[38:39]
.LBB56_706:
	s_mov_b32 s8, exec_lo
	v_cmpx_ne_u32_e32 32, v0
	s_cbranch_execz .LBB56_710
; %bb.707:
	v_add_nc_u32_e32 v38, 0x3a0, v133
	v_add3_u32 v39, 0, v133, 16
	v_mov_b32_e32 v40, v0
	s_mov_b32 s64, 0
	.p2align	6
.LBB56_708:                             ; =>This Inner Loop Header: Depth=1
	s_clause 0x3
	buffer_load_dword v45, v39, s[0:3], 0 offen offset:8
	buffer_load_dword v46, v39, s[0:3], 0 offen offset:12
	buffer_load_dword v47, v39, s[0:3], 0 offen
	buffer_load_dword v48, v39, s[0:3], 0 offen offset:4
	ds_read_b128 v[41:44], v38
	v_add_nc_u32_e32 v40, 1, v40
	v_add_nc_u32_e32 v38, 16, v38
	;; [unrolled: 1-line block ×3, first 2 shown]
	v_cmp_lt_u32_e32 vcc_lo, 31, v40
	s_or_b32 s64, vcc_lo, s64
	s_waitcnt vmcnt(2) lgkmcnt(0)
	v_mul_f64 v[134:135], v[43:44], v[45:46]
	v_mul_f64 v[45:46], v[41:42], v[45:46]
	s_waitcnt vmcnt(0)
	v_fma_f64 v[41:42], v[41:42], v[47:48], -v[134:135]
	v_fma_f64 v[43:44], v[43:44], v[47:48], v[45:46]
	v_add_f64 v[1:2], v[1:2], v[41:42]
	v_add_f64 v[3:4], v[3:4], v[43:44]
	s_andn2_b32 exec_lo, exec_lo, s64
	s_cbranch_execnz .LBB56_708
; %bb.709:
	s_or_b32 exec_lo, exec_lo, s64
.LBB56_710:
	s_or_b32 exec_lo, exec_lo, s8
	v_mov_b32_e32 v38, 0
	ds_read_b128 v[38:41], v38 offset:528
	s_waitcnt lgkmcnt(0)
	v_mul_f64 v[42:43], v[3:4], v[40:41]
	v_mul_f64 v[40:41], v[1:2], v[40:41]
	v_fma_f64 v[1:2], v[1:2], v[38:39], -v[42:43]
	v_fma_f64 v[3:4], v[3:4], v[38:39], v[40:41]
	buffer_store_dword v2, off, s[0:3], 0 offset:532
	buffer_store_dword v1, off, s[0:3], 0 offset:528
	buffer_store_dword v4, off, s[0:3], 0 offset:540
	buffer_store_dword v3, off, s[0:3], 0 offset:536
.LBB56_711:
	s_or_b32 exec_lo, exec_lo, s4
	v_mov_b32_e32 v4, s29
	s_mov_b32 s4, exec_lo
	s_clause 0x3
	buffer_load_dword v1, v4, s[0:3], 0 offen
	buffer_load_dword v2, v4, s[0:3], 0 offen offset:4
	buffer_load_dword v3, v4, s[0:3], 0 offen offset:8
	;; [unrolled: 1-line block ×3, first 2 shown]
	s_waitcnt vmcnt(0)
	ds_write_b128 v36, v[1:4]
	s_waitcnt lgkmcnt(0)
	s_waitcnt_vscnt null, 0x0
	s_barrier
	buffer_gl0_inv
	v_cmpx_gt_u32_e32 34, v0
	s_cbranch_execz .LBB56_719
; %bb.712:
	ds_read_b128 v[1:4], v36
	v_cmp_ne_u32_e32 vcc_lo, 1, v37
	s_cbranch_vccnz .LBB56_714
; %bb.713:
	s_clause 0x3
	buffer_load_dword v38, v35, s[0:3], 0 offen offset:8
	buffer_load_dword v39, v35, s[0:3], 0 offen offset:12
	buffer_load_dword v40, v35, s[0:3], 0 offen
	buffer_load_dword v41, v35, s[0:3], 0 offen offset:4
	s_waitcnt vmcnt(2) lgkmcnt(0)
	v_mul_f64 v[42:43], v[3:4], v[38:39]
	v_mul_f64 v[38:39], v[1:2], v[38:39]
	s_waitcnt vmcnt(0)
	v_fma_f64 v[1:2], v[1:2], v[40:41], -v[42:43]
	v_fma_f64 v[3:4], v[3:4], v[40:41], v[38:39]
.LBB56_714:
	s_mov_b32 s8, exec_lo
	v_cmpx_ne_u32_e32 33, v0
	s_cbranch_execz .LBB56_718
; %bb.715:
	v_add_nc_u32_e32 v38, 0x3a0, v133
	v_add3_u32 v39, 0, v133, 16
	v_mov_b32_e32 v40, v0
	s_mov_b32 s64, 0
	.p2align	6
.LBB56_716:                             ; =>This Inner Loop Header: Depth=1
	s_clause 0x3
	buffer_load_dword v45, v39, s[0:3], 0 offen offset:8
	buffer_load_dword v46, v39, s[0:3], 0 offen offset:12
	buffer_load_dword v47, v39, s[0:3], 0 offen
	buffer_load_dword v48, v39, s[0:3], 0 offen offset:4
	ds_read_b128 v[41:44], v38
	v_add_nc_u32_e32 v40, 1, v40
	v_add_nc_u32_e32 v38, 16, v38
	;; [unrolled: 1-line block ×3, first 2 shown]
	v_cmp_lt_u32_e32 vcc_lo, 32, v40
	s_or_b32 s64, vcc_lo, s64
	s_waitcnt vmcnt(2) lgkmcnt(0)
	v_mul_f64 v[134:135], v[43:44], v[45:46]
	v_mul_f64 v[45:46], v[41:42], v[45:46]
	s_waitcnt vmcnt(0)
	v_fma_f64 v[41:42], v[41:42], v[47:48], -v[134:135]
	v_fma_f64 v[43:44], v[43:44], v[47:48], v[45:46]
	v_add_f64 v[1:2], v[1:2], v[41:42]
	v_add_f64 v[3:4], v[3:4], v[43:44]
	s_andn2_b32 exec_lo, exec_lo, s64
	s_cbranch_execnz .LBB56_716
; %bb.717:
	s_or_b32 exec_lo, exec_lo, s64
.LBB56_718:
	s_or_b32 exec_lo, exec_lo, s8
	v_mov_b32_e32 v38, 0
	ds_read_b128 v[38:41], v38 offset:544
	s_waitcnt lgkmcnt(0)
	v_mul_f64 v[42:43], v[3:4], v[40:41]
	v_mul_f64 v[40:41], v[1:2], v[40:41]
	v_fma_f64 v[1:2], v[1:2], v[38:39], -v[42:43]
	v_fma_f64 v[3:4], v[3:4], v[38:39], v[40:41]
	buffer_store_dword v2, off, s[0:3], 0 offset:548
	buffer_store_dword v1, off, s[0:3], 0 offset:544
	;; [unrolled: 1-line block ×4, first 2 shown]
.LBB56_719:
	s_or_b32 exec_lo, exec_lo, s4
	v_mov_b32_e32 v4, s28
	s_mov_b32 s4, exec_lo
	s_clause 0x3
	buffer_load_dword v1, v4, s[0:3], 0 offen
	buffer_load_dword v2, v4, s[0:3], 0 offen offset:4
	buffer_load_dword v3, v4, s[0:3], 0 offen offset:8
	;; [unrolled: 1-line block ×3, first 2 shown]
	s_waitcnt vmcnt(0)
	ds_write_b128 v36, v[1:4]
	s_waitcnt lgkmcnt(0)
	s_waitcnt_vscnt null, 0x0
	s_barrier
	buffer_gl0_inv
	v_cmpx_gt_u32_e32 35, v0
	s_cbranch_execz .LBB56_727
; %bb.720:
	ds_read_b128 v[1:4], v36
	v_cmp_ne_u32_e32 vcc_lo, 1, v37
	s_cbranch_vccnz .LBB56_722
; %bb.721:
	s_clause 0x3
	buffer_load_dword v38, v35, s[0:3], 0 offen offset:8
	buffer_load_dword v39, v35, s[0:3], 0 offen offset:12
	buffer_load_dword v40, v35, s[0:3], 0 offen
	buffer_load_dword v41, v35, s[0:3], 0 offen offset:4
	s_waitcnt vmcnt(2) lgkmcnt(0)
	v_mul_f64 v[42:43], v[3:4], v[38:39]
	v_mul_f64 v[38:39], v[1:2], v[38:39]
	s_waitcnt vmcnt(0)
	v_fma_f64 v[1:2], v[1:2], v[40:41], -v[42:43]
	v_fma_f64 v[3:4], v[3:4], v[40:41], v[38:39]
.LBB56_722:
	s_mov_b32 s8, exec_lo
	v_cmpx_ne_u32_e32 34, v0
	s_cbranch_execz .LBB56_726
; %bb.723:
	v_add_nc_u32_e32 v38, 0x3a0, v133
	v_add3_u32 v39, 0, v133, 16
	v_mov_b32_e32 v40, v0
	s_mov_b32 s64, 0
	.p2align	6
.LBB56_724:                             ; =>This Inner Loop Header: Depth=1
	s_clause 0x3
	buffer_load_dword v45, v39, s[0:3], 0 offen offset:8
	buffer_load_dword v46, v39, s[0:3], 0 offen offset:12
	buffer_load_dword v47, v39, s[0:3], 0 offen
	buffer_load_dword v48, v39, s[0:3], 0 offen offset:4
	ds_read_b128 v[41:44], v38
	v_add_nc_u32_e32 v40, 1, v40
	v_add_nc_u32_e32 v38, 16, v38
	;; [unrolled: 1-line block ×3, first 2 shown]
	v_cmp_lt_u32_e32 vcc_lo, 33, v40
	s_or_b32 s64, vcc_lo, s64
	s_waitcnt vmcnt(2) lgkmcnt(0)
	v_mul_f64 v[134:135], v[43:44], v[45:46]
	v_mul_f64 v[45:46], v[41:42], v[45:46]
	s_waitcnt vmcnt(0)
	v_fma_f64 v[41:42], v[41:42], v[47:48], -v[134:135]
	v_fma_f64 v[43:44], v[43:44], v[47:48], v[45:46]
	v_add_f64 v[1:2], v[1:2], v[41:42]
	v_add_f64 v[3:4], v[3:4], v[43:44]
	s_andn2_b32 exec_lo, exec_lo, s64
	s_cbranch_execnz .LBB56_724
; %bb.725:
	s_or_b32 exec_lo, exec_lo, s64
.LBB56_726:
	s_or_b32 exec_lo, exec_lo, s8
	v_mov_b32_e32 v38, 0
	ds_read_b128 v[38:41], v38 offset:560
	s_waitcnt lgkmcnt(0)
	v_mul_f64 v[42:43], v[3:4], v[40:41]
	v_mul_f64 v[40:41], v[1:2], v[40:41]
	v_fma_f64 v[1:2], v[1:2], v[38:39], -v[42:43]
	v_fma_f64 v[3:4], v[3:4], v[38:39], v[40:41]
	buffer_store_dword v2, off, s[0:3], 0 offset:564
	buffer_store_dword v1, off, s[0:3], 0 offset:560
	buffer_store_dword v4, off, s[0:3], 0 offset:572
	buffer_store_dword v3, off, s[0:3], 0 offset:568
.LBB56_727:
	s_or_b32 exec_lo, exec_lo, s4
	v_mov_b32_e32 v4, s27
	s_mov_b32 s4, exec_lo
	s_clause 0x3
	buffer_load_dword v1, v4, s[0:3], 0 offen
	buffer_load_dword v2, v4, s[0:3], 0 offen offset:4
	buffer_load_dword v3, v4, s[0:3], 0 offen offset:8
	;; [unrolled: 1-line block ×3, first 2 shown]
	s_waitcnt vmcnt(0)
	ds_write_b128 v36, v[1:4]
	s_waitcnt lgkmcnt(0)
	s_waitcnt_vscnt null, 0x0
	s_barrier
	buffer_gl0_inv
	v_cmpx_gt_u32_e32 36, v0
	s_cbranch_execz .LBB56_735
; %bb.728:
	ds_read_b128 v[1:4], v36
	v_cmp_ne_u32_e32 vcc_lo, 1, v37
	s_cbranch_vccnz .LBB56_730
; %bb.729:
	s_clause 0x3
	buffer_load_dword v38, v35, s[0:3], 0 offen offset:8
	buffer_load_dword v39, v35, s[0:3], 0 offen offset:12
	buffer_load_dword v40, v35, s[0:3], 0 offen
	buffer_load_dword v41, v35, s[0:3], 0 offen offset:4
	s_waitcnt vmcnt(2) lgkmcnt(0)
	v_mul_f64 v[42:43], v[3:4], v[38:39]
	v_mul_f64 v[38:39], v[1:2], v[38:39]
	s_waitcnt vmcnt(0)
	v_fma_f64 v[1:2], v[1:2], v[40:41], -v[42:43]
	v_fma_f64 v[3:4], v[3:4], v[40:41], v[38:39]
.LBB56_730:
	s_mov_b32 s8, exec_lo
	v_cmpx_ne_u32_e32 35, v0
	s_cbranch_execz .LBB56_734
; %bb.731:
	v_add_nc_u32_e32 v38, 0x3a0, v133
	v_add3_u32 v39, 0, v133, 16
	v_mov_b32_e32 v40, v0
	s_mov_b32 s64, 0
	.p2align	6
.LBB56_732:                             ; =>This Inner Loop Header: Depth=1
	s_clause 0x3
	buffer_load_dword v45, v39, s[0:3], 0 offen offset:8
	buffer_load_dword v46, v39, s[0:3], 0 offen offset:12
	buffer_load_dword v47, v39, s[0:3], 0 offen
	buffer_load_dword v48, v39, s[0:3], 0 offen offset:4
	ds_read_b128 v[41:44], v38
	v_add_nc_u32_e32 v40, 1, v40
	v_add_nc_u32_e32 v38, 16, v38
	;; [unrolled: 1-line block ×3, first 2 shown]
	v_cmp_lt_u32_e32 vcc_lo, 34, v40
	s_or_b32 s64, vcc_lo, s64
	s_waitcnt vmcnt(2) lgkmcnt(0)
	v_mul_f64 v[134:135], v[43:44], v[45:46]
	v_mul_f64 v[45:46], v[41:42], v[45:46]
	s_waitcnt vmcnt(0)
	v_fma_f64 v[41:42], v[41:42], v[47:48], -v[134:135]
	v_fma_f64 v[43:44], v[43:44], v[47:48], v[45:46]
	v_add_f64 v[1:2], v[1:2], v[41:42]
	v_add_f64 v[3:4], v[3:4], v[43:44]
	s_andn2_b32 exec_lo, exec_lo, s64
	s_cbranch_execnz .LBB56_732
; %bb.733:
	s_or_b32 exec_lo, exec_lo, s64
.LBB56_734:
	s_or_b32 exec_lo, exec_lo, s8
	v_mov_b32_e32 v38, 0
	ds_read_b128 v[38:41], v38 offset:576
	s_waitcnt lgkmcnt(0)
	v_mul_f64 v[42:43], v[3:4], v[40:41]
	v_mul_f64 v[40:41], v[1:2], v[40:41]
	v_fma_f64 v[1:2], v[1:2], v[38:39], -v[42:43]
	v_fma_f64 v[3:4], v[3:4], v[38:39], v[40:41]
	buffer_store_dword v2, off, s[0:3], 0 offset:580
	buffer_store_dword v1, off, s[0:3], 0 offset:576
	;; [unrolled: 1-line block ×4, first 2 shown]
.LBB56_735:
	s_or_b32 exec_lo, exec_lo, s4
	v_mov_b32_e32 v4, s26
	s_mov_b32 s4, exec_lo
	s_clause 0x3
	buffer_load_dword v1, v4, s[0:3], 0 offen
	buffer_load_dword v2, v4, s[0:3], 0 offen offset:4
	buffer_load_dword v3, v4, s[0:3], 0 offen offset:8
	buffer_load_dword v4, v4, s[0:3], 0 offen offset:12
	s_waitcnt vmcnt(0)
	ds_write_b128 v36, v[1:4]
	s_waitcnt lgkmcnt(0)
	s_waitcnt_vscnt null, 0x0
	s_barrier
	buffer_gl0_inv
	v_cmpx_gt_u32_e32 37, v0
	s_cbranch_execz .LBB56_743
; %bb.736:
	ds_read_b128 v[1:4], v36
	v_cmp_ne_u32_e32 vcc_lo, 1, v37
	s_cbranch_vccnz .LBB56_738
; %bb.737:
	s_clause 0x3
	buffer_load_dword v38, v35, s[0:3], 0 offen offset:8
	buffer_load_dword v39, v35, s[0:3], 0 offen offset:12
	buffer_load_dword v40, v35, s[0:3], 0 offen
	buffer_load_dword v41, v35, s[0:3], 0 offen offset:4
	s_waitcnt vmcnt(2) lgkmcnt(0)
	v_mul_f64 v[42:43], v[3:4], v[38:39]
	v_mul_f64 v[38:39], v[1:2], v[38:39]
	s_waitcnt vmcnt(0)
	v_fma_f64 v[1:2], v[1:2], v[40:41], -v[42:43]
	v_fma_f64 v[3:4], v[3:4], v[40:41], v[38:39]
.LBB56_738:
	s_mov_b32 s8, exec_lo
	v_cmpx_ne_u32_e32 36, v0
	s_cbranch_execz .LBB56_742
; %bb.739:
	v_add_nc_u32_e32 v38, 0x3a0, v133
	v_add3_u32 v39, 0, v133, 16
	v_mov_b32_e32 v40, v0
	s_mov_b32 s64, 0
	.p2align	6
.LBB56_740:                             ; =>This Inner Loop Header: Depth=1
	s_clause 0x3
	buffer_load_dword v45, v39, s[0:3], 0 offen offset:8
	buffer_load_dword v46, v39, s[0:3], 0 offen offset:12
	buffer_load_dword v47, v39, s[0:3], 0 offen
	buffer_load_dword v48, v39, s[0:3], 0 offen offset:4
	ds_read_b128 v[41:44], v38
	v_add_nc_u32_e32 v40, 1, v40
	v_add_nc_u32_e32 v38, 16, v38
	v_add_nc_u32_e32 v39, 16, v39
	v_cmp_lt_u32_e32 vcc_lo, 35, v40
	s_or_b32 s64, vcc_lo, s64
	s_waitcnt vmcnt(2) lgkmcnt(0)
	v_mul_f64 v[134:135], v[43:44], v[45:46]
	v_mul_f64 v[45:46], v[41:42], v[45:46]
	s_waitcnt vmcnt(0)
	v_fma_f64 v[41:42], v[41:42], v[47:48], -v[134:135]
	v_fma_f64 v[43:44], v[43:44], v[47:48], v[45:46]
	v_add_f64 v[1:2], v[1:2], v[41:42]
	v_add_f64 v[3:4], v[3:4], v[43:44]
	s_andn2_b32 exec_lo, exec_lo, s64
	s_cbranch_execnz .LBB56_740
; %bb.741:
	s_or_b32 exec_lo, exec_lo, s64
.LBB56_742:
	s_or_b32 exec_lo, exec_lo, s8
	v_mov_b32_e32 v38, 0
	ds_read_b128 v[38:41], v38 offset:592
	s_waitcnt lgkmcnt(0)
	v_mul_f64 v[42:43], v[3:4], v[40:41]
	v_mul_f64 v[40:41], v[1:2], v[40:41]
	v_fma_f64 v[1:2], v[1:2], v[38:39], -v[42:43]
	v_fma_f64 v[3:4], v[3:4], v[38:39], v[40:41]
	buffer_store_dword v2, off, s[0:3], 0 offset:596
	buffer_store_dword v1, off, s[0:3], 0 offset:592
	;; [unrolled: 1-line block ×4, first 2 shown]
.LBB56_743:
	s_or_b32 exec_lo, exec_lo, s4
	v_mov_b32_e32 v4, s25
	s_mov_b32 s4, exec_lo
	s_clause 0x3
	buffer_load_dword v1, v4, s[0:3], 0 offen
	buffer_load_dword v2, v4, s[0:3], 0 offen offset:4
	buffer_load_dword v3, v4, s[0:3], 0 offen offset:8
	;; [unrolled: 1-line block ×3, first 2 shown]
	s_waitcnt vmcnt(0)
	ds_write_b128 v36, v[1:4]
	s_waitcnt lgkmcnt(0)
	s_waitcnt_vscnt null, 0x0
	s_barrier
	buffer_gl0_inv
	v_cmpx_gt_u32_e32 38, v0
	s_cbranch_execz .LBB56_751
; %bb.744:
	ds_read_b128 v[1:4], v36
	v_cmp_ne_u32_e32 vcc_lo, 1, v37
	s_cbranch_vccnz .LBB56_746
; %bb.745:
	s_clause 0x3
	buffer_load_dword v38, v35, s[0:3], 0 offen offset:8
	buffer_load_dword v39, v35, s[0:3], 0 offen offset:12
	buffer_load_dword v40, v35, s[0:3], 0 offen
	buffer_load_dword v41, v35, s[0:3], 0 offen offset:4
	s_waitcnt vmcnt(2) lgkmcnt(0)
	v_mul_f64 v[42:43], v[3:4], v[38:39]
	v_mul_f64 v[38:39], v[1:2], v[38:39]
	s_waitcnt vmcnt(0)
	v_fma_f64 v[1:2], v[1:2], v[40:41], -v[42:43]
	v_fma_f64 v[3:4], v[3:4], v[40:41], v[38:39]
.LBB56_746:
	s_mov_b32 s8, exec_lo
	v_cmpx_ne_u32_e32 37, v0
	s_cbranch_execz .LBB56_750
; %bb.747:
	v_add_nc_u32_e32 v38, 0x3a0, v133
	v_add3_u32 v39, 0, v133, 16
	v_mov_b32_e32 v40, v0
	s_mov_b32 s64, 0
	.p2align	6
.LBB56_748:                             ; =>This Inner Loop Header: Depth=1
	s_clause 0x3
	buffer_load_dword v45, v39, s[0:3], 0 offen offset:8
	buffer_load_dword v46, v39, s[0:3], 0 offen offset:12
	buffer_load_dword v47, v39, s[0:3], 0 offen
	buffer_load_dword v48, v39, s[0:3], 0 offen offset:4
	ds_read_b128 v[41:44], v38
	v_add_nc_u32_e32 v40, 1, v40
	v_add_nc_u32_e32 v38, 16, v38
	;; [unrolled: 1-line block ×3, first 2 shown]
	v_cmp_lt_u32_e32 vcc_lo, 36, v40
	s_or_b32 s64, vcc_lo, s64
	s_waitcnt vmcnt(2) lgkmcnt(0)
	v_mul_f64 v[134:135], v[43:44], v[45:46]
	v_mul_f64 v[45:46], v[41:42], v[45:46]
	s_waitcnt vmcnt(0)
	v_fma_f64 v[41:42], v[41:42], v[47:48], -v[134:135]
	v_fma_f64 v[43:44], v[43:44], v[47:48], v[45:46]
	v_add_f64 v[1:2], v[1:2], v[41:42]
	v_add_f64 v[3:4], v[3:4], v[43:44]
	s_andn2_b32 exec_lo, exec_lo, s64
	s_cbranch_execnz .LBB56_748
; %bb.749:
	s_or_b32 exec_lo, exec_lo, s64
.LBB56_750:
	s_or_b32 exec_lo, exec_lo, s8
	v_mov_b32_e32 v38, 0
	ds_read_b128 v[38:41], v38 offset:608
	s_waitcnt lgkmcnt(0)
	v_mul_f64 v[42:43], v[3:4], v[40:41]
	v_mul_f64 v[40:41], v[1:2], v[40:41]
	v_fma_f64 v[1:2], v[1:2], v[38:39], -v[42:43]
	v_fma_f64 v[3:4], v[3:4], v[38:39], v[40:41]
	buffer_store_dword v2, off, s[0:3], 0 offset:612
	buffer_store_dword v1, off, s[0:3], 0 offset:608
	;; [unrolled: 1-line block ×4, first 2 shown]
.LBB56_751:
	s_or_b32 exec_lo, exec_lo, s4
	v_mov_b32_e32 v4, s24
	s_mov_b32 s4, exec_lo
	s_clause 0x3
	buffer_load_dword v1, v4, s[0:3], 0 offen
	buffer_load_dword v2, v4, s[0:3], 0 offen offset:4
	buffer_load_dword v3, v4, s[0:3], 0 offen offset:8
	;; [unrolled: 1-line block ×3, first 2 shown]
	s_waitcnt vmcnt(0)
	ds_write_b128 v36, v[1:4]
	s_waitcnt lgkmcnt(0)
	s_waitcnt_vscnt null, 0x0
	s_barrier
	buffer_gl0_inv
	v_cmpx_gt_u32_e32 39, v0
	s_cbranch_execz .LBB56_759
; %bb.752:
	ds_read_b128 v[1:4], v36
	v_cmp_ne_u32_e32 vcc_lo, 1, v37
	s_cbranch_vccnz .LBB56_754
; %bb.753:
	s_clause 0x3
	buffer_load_dword v38, v35, s[0:3], 0 offen offset:8
	buffer_load_dword v39, v35, s[0:3], 0 offen offset:12
	buffer_load_dword v40, v35, s[0:3], 0 offen
	buffer_load_dword v41, v35, s[0:3], 0 offen offset:4
	s_waitcnt vmcnt(2) lgkmcnt(0)
	v_mul_f64 v[42:43], v[3:4], v[38:39]
	v_mul_f64 v[38:39], v[1:2], v[38:39]
	s_waitcnt vmcnt(0)
	v_fma_f64 v[1:2], v[1:2], v[40:41], -v[42:43]
	v_fma_f64 v[3:4], v[3:4], v[40:41], v[38:39]
.LBB56_754:
	s_mov_b32 s8, exec_lo
	v_cmpx_ne_u32_e32 38, v0
	s_cbranch_execz .LBB56_758
; %bb.755:
	v_add_nc_u32_e32 v38, 0x3a0, v133
	v_add3_u32 v39, 0, v133, 16
	v_mov_b32_e32 v40, v0
	s_mov_b32 s64, 0
	.p2align	6
.LBB56_756:                             ; =>This Inner Loop Header: Depth=1
	s_clause 0x3
	buffer_load_dword v45, v39, s[0:3], 0 offen offset:8
	buffer_load_dword v46, v39, s[0:3], 0 offen offset:12
	buffer_load_dword v47, v39, s[0:3], 0 offen
	buffer_load_dword v48, v39, s[0:3], 0 offen offset:4
	ds_read_b128 v[41:44], v38
	v_add_nc_u32_e32 v40, 1, v40
	v_add_nc_u32_e32 v38, 16, v38
	;; [unrolled: 1-line block ×3, first 2 shown]
	v_cmp_lt_u32_e32 vcc_lo, 37, v40
	s_or_b32 s64, vcc_lo, s64
	s_waitcnt vmcnt(2) lgkmcnt(0)
	v_mul_f64 v[134:135], v[43:44], v[45:46]
	v_mul_f64 v[45:46], v[41:42], v[45:46]
	s_waitcnt vmcnt(0)
	v_fma_f64 v[41:42], v[41:42], v[47:48], -v[134:135]
	v_fma_f64 v[43:44], v[43:44], v[47:48], v[45:46]
	v_add_f64 v[1:2], v[1:2], v[41:42]
	v_add_f64 v[3:4], v[3:4], v[43:44]
	s_andn2_b32 exec_lo, exec_lo, s64
	s_cbranch_execnz .LBB56_756
; %bb.757:
	s_or_b32 exec_lo, exec_lo, s64
.LBB56_758:
	s_or_b32 exec_lo, exec_lo, s8
	v_mov_b32_e32 v38, 0
	ds_read_b128 v[38:41], v38 offset:624
	s_waitcnt lgkmcnt(0)
	v_mul_f64 v[42:43], v[3:4], v[40:41]
	v_mul_f64 v[40:41], v[1:2], v[40:41]
	v_fma_f64 v[1:2], v[1:2], v[38:39], -v[42:43]
	v_fma_f64 v[3:4], v[3:4], v[38:39], v[40:41]
	buffer_store_dword v2, off, s[0:3], 0 offset:628
	buffer_store_dword v1, off, s[0:3], 0 offset:624
	;; [unrolled: 1-line block ×4, first 2 shown]
.LBB56_759:
	s_or_b32 exec_lo, exec_lo, s4
	v_mov_b32_e32 v4, s23
	s_mov_b32 s4, exec_lo
	s_clause 0x3
	buffer_load_dword v1, v4, s[0:3], 0 offen
	buffer_load_dword v2, v4, s[0:3], 0 offen offset:4
	buffer_load_dword v3, v4, s[0:3], 0 offen offset:8
	;; [unrolled: 1-line block ×3, first 2 shown]
	s_waitcnt vmcnt(0)
	ds_write_b128 v36, v[1:4]
	s_waitcnt lgkmcnt(0)
	s_waitcnt_vscnt null, 0x0
	s_barrier
	buffer_gl0_inv
	v_cmpx_gt_u32_e32 40, v0
	s_cbranch_execz .LBB56_767
; %bb.760:
	ds_read_b128 v[1:4], v36
	v_cmp_ne_u32_e32 vcc_lo, 1, v37
	s_cbranch_vccnz .LBB56_762
; %bb.761:
	s_clause 0x3
	buffer_load_dword v38, v35, s[0:3], 0 offen offset:8
	buffer_load_dword v39, v35, s[0:3], 0 offen offset:12
	buffer_load_dword v40, v35, s[0:3], 0 offen
	buffer_load_dword v41, v35, s[0:3], 0 offen offset:4
	s_waitcnt vmcnt(2) lgkmcnt(0)
	v_mul_f64 v[42:43], v[3:4], v[38:39]
	v_mul_f64 v[38:39], v[1:2], v[38:39]
	s_waitcnt vmcnt(0)
	v_fma_f64 v[1:2], v[1:2], v[40:41], -v[42:43]
	v_fma_f64 v[3:4], v[3:4], v[40:41], v[38:39]
.LBB56_762:
	s_mov_b32 s8, exec_lo
	v_cmpx_ne_u32_e32 39, v0
	s_cbranch_execz .LBB56_766
; %bb.763:
	v_add_nc_u32_e32 v38, 0x3a0, v133
	v_add3_u32 v39, 0, v133, 16
	v_mov_b32_e32 v40, v0
	s_mov_b32 s64, 0
	.p2align	6
.LBB56_764:                             ; =>This Inner Loop Header: Depth=1
	s_clause 0x3
	buffer_load_dword v45, v39, s[0:3], 0 offen offset:8
	buffer_load_dword v46, v39, s[0:3], 0 offen offset:12
	buffer_load_dword v47, v39, s[0:3], 0 offen
	buffer_load_dword v48, v39, s[0:3], 0 offen offset:4
	ds_read_b128 v[41:44], v38
	v_add_nc_u32_e32 v40, 1, v40
	v_add_nc_u32_e32 v38, 16, v38
	;; [unrolled: 1-line block ×3, first 2 shown]
	v_cmp_lt_u32_e32 vcc_lo, 38, v40
	s_or_b32 s64, vcc_lo, s64
	s_waitcnt vmcnt(2) lgkmcnt(0)
	v_mul_f64 v[134:135], v[43:44], v[45:46]
	v_mul_f64 v[45:46], v[41:42], v[45:46]
	s_waitcnt vmcnt(0)
	v_fma_f64 v[41:42], v[41:42], v[47:48], -v[134:135]
	v_fma_f64 v[43:44], v[43:44], v[47:48], v[45:46]
	v_add_f64 v[1:2], v[1:2], v[41:42]
	v_add_f64 v[3:4], v[3:4], v[43:44]
	s_andn2_b32 exec_lo, exec_lo, s64
	s_cbranch_execnz .LBB56_764
; %bb.765:
	s_or_b32 exec_lo, exec_lo, s64
.LBB56_766:
	s_or_b32 exec_lo, exec_lo, s8
	v_mov_b32_e32 v38, 0
	ds_read_b128 v[38:41], v38 offset:640
	s_waitcnt lgkmcnt(0)
	v_mul_f64 v[42:43], v[3:4], v[40:41]
	v_mul_f64 v[40:41], v[1:2], v[40:41]
	v_fma_f64 v[1:2], v[1:2], v[38:39], -v[42:43]
	v_fma_f64 v[3:4], v[3:4], v[38:39], v[40:41]
	buffer_store_dword v2, off, s[0:3], 0 offset:644
	buffer_store_dword v1, off, s[0:3], 0 offset:640
	;; [unrolled: 1-line block ×4, first 2 shown]
.LBB56_767:
	s_or_b32 exec_lo, exec_lo, s4
	v_mov_b32_e32 v4, s22
	s_mov_b32 s4, exec_lo
	s_clause 0x3
	buffer_load_dword v1, v4, s[0:3], 0 offen
	buffer_load_dword v2, v4, s[0:3], 0 offen offset:4
	buffer_load_dword v3, v4, s[0:3], 0 offen offset:8
	;; [unrolled: 1-line block ×3, first 2 shown]
	s_waitcnt vmcnt(0)
	ds_write_b128 v36, v[1:4]
	s_waitcnt lgkmcnt(0)
	s_waitcnt_vscnt null, 0x0
	s_barrier
	buffer_gl0_inv
	v_cmpx_gt_u32_e32 41, v0
	s_cbranch_execz .LBB56_775
; %bb.768:
	ds_read_b128 v[1:4], v36
	v_cmp_ne_u32_e32 vcc_lo, 1, v37
	s_cbranch_vccnz .LBB56_770
; %bb.769:
	s_clause 0x3
	buffer_load_dword v38, v35, s[0:3], 0 offen offset:8
	buffer_load_dword v39, v35, s[0:3], 0 offen offset:12
	buffer_load_dword v40, v35, s[0:3], 0 offen
	buffer_load_dword v41, v35, s[0:3], 0 offen offset:4
	s_waitcnt vmcnt(2) lgkmcnt(0)
	v_mul_f64 v[42:43], v[3:4], v[38:39]
	v_mul_f64 v[38:39], v[1:2], v[38:39]
	s_waitcnt vmcnt(0)
	v_fma_f64 v[1:2], v[1:2], v[40:41], -v[42:43]
	v_fma_f64 v[3:4], v[3:4], v[40:41], v[38:39]
.LBB56_770:
	s_mov_b32 s8, exec_lo
	v_cmpx_ne_u32_e32 40, v0
	s_cbranch_execz .LBB56_774
; %bb.771:
	v_add_nc_u32_e32 v38, 0x3a0, v133
	v_add3_u32 v39, 0, v133, 16
	v_mov_b32_e32 v40, v0
	s_mov_b32 s64, 0
	.p2align	6
.LBB56_772:                             ; =>This Inner Loop Header: Depth=1
	s_clause 0x3
	buffer_load_dword v45, v39, s[0:3], 0 offen offset:8
	buffer_load_dword v46, v39, s[0:3], 0 offen offset:12
	buffer_load_dword v47, v39, s[0:3], 0 offen
	buffer_load_dword v48, v39, s[0:3], 0 offen offset:4
	ds_read_b128 v[41:44], v38
	v_add_nc_u32_e32 v40, 1, v40
	v_add_nc_u32_e32 v38, 16, v38
	v_add_nc_u32_e32 v39, 16, v39
	v_cmp_lt_u32_e32 vcc_lo, 39, v40
	s_or_b32 s64, vcc_lo, s64
	s_waitcnt vmcnt(2) lgkmcnt(0)
	v_mul_f64 v[134:135], v[43:44], v[45:46]
	v_mul_f64 v[45:46], v[41:42], v[45:46]
	s_waitcnt vmcnt(0)
	v_fma_f64 v[41:42], v[41:42], v[47:48], -v[134:135]
	v_fma_f64 v[43:44], v[43:44], v[47:48], v[45:46]
	v_add_f64 v[1:2], v[1:2], v[41:42]
	v_add_f64 v[3:4], v[3:4], v[43:44]
	s_andn2_b32 exec_lo, exec_lo, s64
	s_cbranch_execnz .LBB56_772
; %bb.773:
	s_or_b32 exec_lo, exec_lo, s64
.LBB56_774:
	s_or_b32 exec_lo, exec_lo, s8
	v_mov_b32_e32 v38, 0
	ds_read_b128 v[38:41], v38 offset:656
	s_waitcnt lgkmcnt(0)
	v_mul_f64 v[42:43], v[3:4], v[40:41]
	v_mul_f64 v[40:41], v[1:2], v[40:41]
	v_fma_f64 v[1:2], v[1:2], v[38:39], -v[42:43]
	v_fma_f64 v[3:4], v[3:4], v[38:39], v[40:41]
	buffer_store_dword v2, off, s[0:3], 0 offset:660
	buffer_store_dword v1, off, s[0:3], 0 offset:656
	;; [unrolled: 1-line block ×4, first 2 shown]
.LBB56_775:
	s_or_b32 exec_lo, exec_lo, s4
	v_mov_b32_e32 v4, s21
	s_mov_b32 s4, exec_lo
	s_clause 0x3
	buffer_load_dword v1, v4, s[0:3], 0 offen
	buffer_load_dword v2, v4, s[0:3], 0 offen offset:4
	buffer_load_dword v3, v4, s[0:3], 0 offen offset:8
	;; [unrolled: 1-line block ×3, first 2 shown]
	s_waitcnt vmcnt(0)
	ds_write_b128 v36, v[1:4]
	s_waitcnt lgkmcnt(0)
	s_waitcnt_vscnt null, 0x0
	s_barrier
	buffer_gl0_inv
	v_cmpx_gt_u32_e32 42, v0
	s_cbranch_execz .LBB56_783
; %bb.776:
	ds_read_b128 v[1:4], v36
	v_cmp_ne_u32_e32 vcc_lo, 1, v37
	s_cbranch_vccnz .LBB56_778
; %bb.777:
	s_clause 0x3
	buffer_load_dword v38, v35, s[0:3], 0 offen offset:8
	buffer_load_dword v39, v35, s[0:3], 0 offen offset:12
	buffer_load_dword v40, v35, s[0:3], 0 offen
	buffer_load_dword v41, v35, s[0:3], 0 offen offset:4
	s_waitcnt vmcnt(2) lgkmcnt(0)
	v_mul_f64 v[42:43], v[3:4], v[38:39]
	v_mul_f64 v[38:39], v[1:2], v[38:39]
	s_waitcnt vmcnt(0)
	v_fma_f64 v[1:2], v[1:2], v[40:41], -v[42:43]
	v_fma_f64 v[3:4], v[3:4], v[40:41], v[38:39]
.LBB56_778:
	s_mov_b32 s8, exec_lo
	v_cmpx_ne_u32_e32 41, v0
	s_cbranch_execz .LBB56_782
; %bb.779:
	v_add_nc_u32_e32 v38, 0x3a0, v133
	v_add3_u32 v39, 0, v133, 16
	v_mov_b32_e32 v40, v0
	s_mov_b32 s64, 0
	.p2align	6
.LBB56_780:                             ; =>This Inner Loop Header: Depth=1
	s_clause 0x3
	buffer_load_dword v45, v39, s[0:3], 0 offen offset:8
	buffer_load_dword v46, v39, s[0:3], 0 offen offset:12
	buffer_load_dword v47, v39, s[0:3], 0 offen
	buffer_load_dword v48, v39, s[0:3], 0 offen offset:4
	ds_read_b128 v[41:44], v38
	v_add_nc_u32_e32 v40, 1, v40
	v_add_nc_u32_e32 v38, 16, v38
	;; [unrolled: 1-line block ×3, first 2 shown]
	v_cmp_lt_u32_e32 vcc_lo, 40, v40
	s_or_b32 s64, vcc_lo, s64
	s_waitcnt vmcnt(2) lgkmcnt(0)
	v_mul_f64 v[134:135], v[43:44], v[45:46]
	v_mul_f64 v[45:46], v[41:42], v[45:46]
	s_waitcnt vmcnt(0)
	v_fma_f64 v[41:42], v[41:42], v[47:48], -v[134:135]
	v_fma_f64 v[43:44], v[43:44], v[47:48], v[45:46]
	v_add_f64 v[1:2], v[1:2], v[41:42]
	v_add_f64 v[3:4], v[3:4], v[43:44]
	s_andn2_b32 exec_lo, exec_lo, s64
	s_cbranch_execnz .LBB56_780
; %bb.781:
	s_or_b32 exec_lo, exec_lo, s64
.LBB56_782:
	s_or_b32 exec_lo, exec_lo, s8
	v_mov_b32_e32 v38, 0
	ds_read_b128 v[38:41], v38 offset:672
	s_waitcnt lgkmcnt(0)
	v_mul_f64 v[42:43], v[3:4], v[40:41]
	v_mul_f64 v[40:41], v[1:2], v[40:41]
	v_fma_f64 v[1:2], v[1:2], v[38:39], -v[42:43]
	v_fma_f64 v[3:4], v[3:4], v[38:39], v[40:41]
	buffer_store_dword v2, off, s[0:3], 0 offset:676
	buffer_store_dword v1, off, s[0:3], 0 offset:672
	;; [unrolled: 1-line block ×4, first 2 shown]
.LBB56_783:
	s_or_b32 exec_lo, exec_lo, s4
	v_mov_b32_e32 v4, s20
	s_mov_b32 s4, exec_lo
	s_clause 0x3
	buffer_load_dword v1, v4, s[0:3], 0 offen
	buffer_load_dword v2, v4, s[0:3], 0 offen offset:4
	buffer_load_dword v3, v4, s[0:3], 0 offen offset:8
	;; [unrolled: 1-line block ×3, first 2 shown]
	s_waitcnt vmcnt(0)
	ds_write_b128 v36, v[1:4]
	s_waitcnt lgkmcnt(0)
	s_waitcnt_vscnt null, 0x0
	s_barrier
	buffer_gl0_inv
	v_cmpx_gt_u32_e32 43, v0
	s_cbranch_execz .LBB56_791
; %bb.784:
	ds_read_b128 v[1:4], v36
	v_cmp_ne_u32_e32 vcc_lo, 1, v37
	s_cbranch_vccnz .LBB56_786
; %bb.785:
	s_clause 0x3
	buffer_load_dword v38, v35, s[0:3], 0 offen offset:8
	buffer_load_dword v39, v35, s[0:3], 0 offen offset:12
	buffer_load_dword v40, v35, s[0:3], 0 offen
	buffer_load_dword v41, v35, s[0:3], 0 offen offset:4
	s_waitcnt vmcnt(2) lgkmcnt(0)
	v_mul_f64 v[42:43], v[3:4], v[38:39]
	v_mul_f64 v[38:39], v[1:2], v[38:39]
	s_waitcnt vmcnt(0)
	v_fma_f64 v[1:2], v[1:2], v[40:41], -v[42:43]
	v_fma_f64 v[3:4], v[3:4], v[40:41], v[38:39]
.LBB56_786:
	s_mov_b32 s8, exec_lo
	v_cmpx_ne_u32_e32 42, v0
	s_cbranch_execz .LBB56_790
; %bb.787:
	v_add_nc_u32_e32 v38, 0x3a0, v133
	v_add3_u32 v39, 0, v133, 16
	v_mov_b32_e32 v40, v0
	s_mov_b32 s64, 0
	.p2align	6
.LBB56_788:                             ; =>This Inner Loop Header: Depth=1
	s_clause 0x3
	buffer_load_dword v45, v39, s[0:3], 0 offen offset:8
	buffer_load_dword v46, v39, s[0:3], 0 offen offset:12
	buffer_load_dword v47, v39, s[0:3], 0 offen
	buffer_load_dword v48, v39, s[0:3], 0 offen offset:4
	ds_read_b128 v[41:44], v38
	v_add_nc_u32_e32 v40, 1, v40
	v_add_nc_u32_e32 v38, 16, v38
	;; [unrolled: 1-line block ×3, first 2 shown]
	v_cmp_lt_u32_e32 vcc_lo, 41, v40
	s_or_b32 s64, vcc_lo, s64
	s_waitcnt vmcnt(2) lgkmcnt(0)
	v_mul_f64 v[134:135], v[43:44], v[45:46]
	v_mul_f64 v[45:46], v[41:42], v[45:46]
	s_waitcnt vmcnt(0)
	v_fma_f64 v[41:42], v[41:42], v[47:48], -v[134:135]
	v_fma_f64 v[43:44], v[43:44], v[47:48], v[45:46]
	v_add_f64 v[1:2], v[1:2], v[41:42]
	v_add_f64 v[3:4], v[3:4], v[43:44]
	s_andn2_b32 exec_lo, exec_lo, s64
	s_cbranch_execnz .LBB56_788
; %bb.789:
	s_or_b32 exec_lo, exec_lo, s64
.LBB56_790:
	s_or_b32 exec_lo, exec_lo, s8
	v_mov_b32_e32 v38, 0
	ds_read_b128 v[38:41], v38 offset:688
	s_waitcnt lgkmcnt(0)
	v_mul_f64 v[42:43], v[3:4], v[40:41]
	v_mul_f64 v[40:41], v[1:2], v[40:41]
	v_fma_f64 v[1:2], v[1:2], v[38:39], -v[42:43]
	v_fma_f64 v[3:4], v[3:4], v[38:39], v[40:41]
	buffer_store_dword v2, off, s[0:3], 0 offset:692
	buffer_store_dword v1, off, s[0:3], 0 offset:688
	buffer_store_dword v4, off, s[0:3], 0 offset:700
	buffer_store_dword v3, off, s[0:3], 0 offset:696
.LBB56_791:
	s_or_b32 exec_lo, exec_lo, s4
	v_mov_b32_e32 v4, s19
	s_mov_b32 s4, exec_lo
	s_clause 0x3
	buffer_load_dword v1, v4, s[0:3], 0 offen
	buffer_load_dword v2, v4, s[0:3], 0 offen offset:4
	buffer_load_dword v3, v4, s[0:3], 0 offen offset:8
	;; [unrolled: 1-line block ×3, first 2 shown]
	s_waitcnt vmcnt(0)
	ds_write_b128 v36, v[1:4]
	s_waitcnt lgkmcnt(0)
	s_waitcnt_vscnt null, 0x0
	s_barrier
	buffer_gl0_inv
	v_cmpx_gt_u32_e32 44, v0
	s_cbranch_execz .LBB56_799
; %bb.792:
	ds_read_b128 v[1:4], v36
	v_cmp_ne_u32_e32 vcc_lo, 1, v37
	s_cbranch_vccnz .LBB56_794
; %bb.793:
	s_clause 0x3
	buffer_load_dword v38, v35, s[0:3], 0 offen offset:8
	buffer_load_dword v39, v35, s[0:3], 0 offen offset:12
	buffer_load_dword v40, v35, s[0:3], 0 offen
	buffer_load_dword v41, v35, s[0:3], 0 offen offset:4
	s_waitcnt vmcnt(2) lgkmcnt(0)
	v_mul_f64 v[42:43], v[3:4], v[38:39]
	v_mul_f64 v[38:39], v[1:2], v[38:39]
	s_waitcnt vmcnt(0)
	v_fma_f64 v[1:2], v[1:2], v[40:41], -v[42:43]
	v_fma_f64 v[3:4], v[3:4], v[40:41], v[38:39]
.LBB56_794:
	s_mov_b32 s8, exec_lo
	v_cmpx_ne_u32_e32 43, v0
	s_cbranch_execz .LBB56_798
; %bb.795:
	v_add_nc_u32_e32 v38, 0x3a0, v133
	v_add3_u32 v39, 0, v133, 16
	v_mov_b32_e32 v40, v0
	s_mov_b32 s64, 0
	.p2align	6
.LBB56_796:                             ; =>This Inner Loop Header: Depth=1
	s_clause 0x3
	buffer_load_dword v45, v39, s[0:3], 0 offen offset:8
	buffer_load_dword v46, v39, s[0:3], 0 offen offset:12
	buffer_load_dword v47, v39, s[0:3], 0 offen
	buffer_load_dword v48, v39, s[0:3], 0 offen offset:4
	ds_read_b128 v[41:44], v38
	v_add_nc_u32_e32 v40, 1, v40
	v_add_nc_u32_e32 v38, 16, v38
	;; [unrolled: 1-line block ×3, first 2 shown]
	v_cmp_lt_u32_e32 vcc_lo, 42, v40
	s_or_b32 s64, vcc_lo, s64
	s_waitcnt vmcnt(2) lgkmcnt(0)
	v_mul_f64 v[134:135], v[43:44], v[45:46]
	v_mul_f64 v[45:46], v[41:42], v[45:46]
	s_waitcnt vmcnt(0)
	v_fma_f64 v[41:42], v[41:42], v[47:48], -v[134:135]
	v_fma_f64 v[43:44], v[43:44], v[47:48], v[45:46]
	v_add_f64 v[1:2], v[1:2], v[41:42]
	v_add_f64 v[3:4], v[3:4], v[43:44]
	s_andn2_b32 exec_lo, exec_lo, s64
	s_cbranch_execnz .LBB56_796
; %bb.797:
	s_or_b32 exec_lo, exec_lo, s64
.LBB56_798:
	s_or_b32 exec_lo, exec_lo, s8
	v_mov_b32_e32 v38, 0
	ds_read_b128 v[38:41], v38 offset:704
	s_waitcnt lgkmcnt(0)
	v_mul_f64 v[42:43], v[3:4], v[40:41]
	v_mul_f64 v[40:41], v[1:2], v[40:41]
	v_fma_f64 v[1:2], v[1:2], v[38:39], -v[42:43]
	v_fma_f64 v[3:4], v[3:4], v[38:39], v[40:41]
	buffer_store_dword v2, off, s[0:3], 0 offset:708
	buffer_store_dword v1, off, s[0:3], 0 offset:704
	;; [unrolled: 1-line block ×4, first 2 shown]
.LBB56_799:
	s_or_b32 exec_lo, exec_lo, s4
	v_mov_b32_e32 v4, s18
	s_mov_b32 s4, exec_lo
	s_clause 0x3
	buffer_load_dword v1, v4, s[0:3], 0 offen
	buffer_load_dword v2, v4, s[0:3], 0 offen offset:4
	buffer_load_dword v3, v4, s[0:3], 0 offen offset:8
	;; [unrolled: 1-line block ×3, first 2 shown]
	s_waitcnt vmcnt(0)
	ds_write_b128 v36, v[1:4]
	s_waitcnt lgkmcnt(0)
	s_waitcnt_vscnt null, 0x0
	s_barrier
	buffer_gl0_inv
	v_cmpx_gt_u32_e32 45, v0
	s_cbranch_execz .LBB56_807
; %bb.800:
	ds_read_b128 v[1:4], v36
	v_cmp_ne_u32_e32 vcc_lo, 1, v37
	s_cbranch_vccnz .LBB56_802
; %bb.801:
	s_clause 0x3
	buffer_load_dword v38, v35, s[0:3], 0 offen offset:8
	buffer_load_dword v39, v35, s[0:3], 0 offen offset:12
	buffer_load_dword v40, v35, s[0:3], 0 offen
	buffer_load_dword v41, v35, s[0:3], 0 offen offset:4
	s_waitcnt vmcnt(2) lgkmcnt(0)
	v_mul_f64 v[42:43], v[3:4], v[38:39]
	v_mul_f64 v[38:39], v[1:2], v[38:39]
	s_waitcnt vmcnt(0)
	v_fma_f64 v[1:2], v[1:2], v[40:41], -v[42:43]
	v_fma_f64 v[3:4], v[3:4], v[40:41], v[38:39]
.LBB56_802:
	s_mov_b32 s8, exec_lo
	v_cmpx_ne_u32_e32 44, v0
	s_cbranch_execz .LBB56_806
; %bb.803:
	v_add_nc_u32_e32 v38, 0x3a0, v133
	v_add3_u32 v39, 0, v133, 16
	v_mov_b32_e32 v40, v0
	s_mov_b32 s64, 0
	.p2align	6
.LBB56_804:                             ; =>This Inner Loop Header: Depth=1
	s_clause 0x3
	buffer_load_dword v45, v39, s[0:3], 0 offen offset:8
	buffer_load_dword v46, v39, s[0:3], 0 offen offset:12
	buffer_load_dword v47, v39, s[0:3], 0 offen
	buffer_load_dword v48, v39, s[0:3], 0 offen offset:4
	ds_read_b128 v[41:44], v38
	v_add_nc_u32_e32 v40, 1, v40
	v_add_nc_u32_e32 v38, 16, v38
	;; [unrolled: 1-line block ×3, first 2 shown]
	v_cmp_lt_u32_e32 vcc_lo, 43, v40
	s_or_b32 s64, vcc_lo, s64
	s_waitcnt vmcnt(2) lgkmcnt(0)
	v_mul_f64 v[134:135], v[43:44], v[45:46]
	v_mul_f64 v[45:46], v[41:42], v[45:46]
	s_waitcnt vmcnt(0)
	v_fma_f64 v[41:42], v[41:42], v[47:48], -v[134:135]
	v_fma_f64 v[43:44], v[43:44], v[47:48], v[45:46]
	v_add_f64 v[1:2], v[1:2], v[41:42]
	v_add_f64 v[3:4], v[3:4], v[43:44]
	s_andn2_b32 exec_lo, exec_lo, s64
	s_cbranch_execnz .LBB56_804
; %bb.805:
	s_or_b32 exec_lo, exec_lo, s64
.LBB56_806:
	s_or_b32 exec_lo, exec_lo, s8
	v_mov_b32_e32 v38, 0
	ds_read_b128 v[38:41], v38 offset:720
	s_waitcnt lgkmcnt(0)
	v_mul_f64 v[42:43], v[3:4], v[40:41]
	v_mul_f64 v[40:41], v[1:2], v[40:41]
	v_fma_f64 v[1:2], v[1:2], v[38:39], -v[42:43]
	v_fma_f64 v[3:4], v[3:4], v[38:39], v[40:41]
	buffer_store_dword v2, off, s[0:3], 0 offset:724
	buffer_store_dword v1, off, s[0:3], 0 offset:720
	;; [unrolled: 1-line block ×4, first 2 shown]
.LBB56_807:
	s_or_b32 exec_lo, exec_lo, s4
	v_mov_b32_e32 v4, s17
	s_mov_b32 s4, exec_lo
	s_clause 0x3
	buffer_load_dword v1, v4, s[0:3], 0 offen
	buffer_load_dword v2, v4, s[0:3], 0 offen offset:4
	buffer_load_dword v3, v4, s[0:3], 0 offen offset:8
	;; [unrolled: 1-line block ×3, first 2 shown]
	s_waitcnt vmcnt(0)
	ds_write_b128 v36, v[1:4]
	s_waitcnt lgkmcnt(0)
	s_waitcnt_vscnt null, 0x0
	s_barrier
	buffer_gl0_inv
	v_cmpx_gt_u32_e32 46, v0
	s_cbranch_execz .LBB56_815
; %bb.808:
	ds_read_b128 v[1:4], v36
	v_cmp_ne_u32_e32 vcc_lo, 1, v37
	s_cbranch_vccnz .LBB56_810
; %bb.809:
	s_clause 0x3
	buffer_load_dword v38, v35, s[0:3], 0 offen offset:8
	buffer_load_dword v39, v35, s[0:3], 0 offen offset:12
	buffer_load_dword v40, v35, s[0:3], 0 offen
	buffer_load_dword v41, v35, s[0:3], 0 offen offset:4
	s_waitcnt vmcnt(2) lgkmcnt(0)
	v_mul_f64 v[42:43], v[3:4], v[38:39]
	v_mul_f64 v[38:39], v[1:2], v[38:39]
	s_waitcnt vmcnt(0)
	v_fma_f64 v[1:2], v[1:2], v[40:41], -v[42:43]
	v_fma_f64 v[3:4], v[3:4], v[40:41], v[38:39]
.LBB56_810:
	s_mov_b32 s8, exec_lo
	v_cmpx_ne_u32_e32 45, v0
	s_cbranch_execz .LBB56_814
; %bb.811:
	v_add_nc_u32_e32 v38, 0x3a0, v133
	v_add3_u32 v39, 0, v133, 16
	v_mov_b32_e32 v40, v0
	s_mov_b32 s64, 0
	.p2align	6
.LBB56_812:                             ; =>This Inner Loop Header: Depth=1
	s_clause 0x3
	buffer_load_dword v45, v39, s[0:3], 0 offen offset:8
	buffer_load_dword v46, v39, s[0:3], 0 offen offset:12
	buffer_load_dword v47, v39, s[0:3], 0 offen
	buffer_load_dword v48, v39, s[0:3], 0 offen offset:4
	ds_read_b128 v[41:44], v38
	v_add_nc_u32_e32 v40, 1, v40
	v_add_nc_u32_e32 v38, 16, v38
	;; [unrolled: 1-line block ×3, first 2 shown]
	v_cmp_lt_u32_e32 vcc_lo, 44, v40
	s_or_b32 s64, vcc_lo, s64
	s_waitcnt vmcnt(2) lgkmcnt(0)
	v_mul_f64 v[134:135], v[43:44], v[45:46]
	v_mul_f64 v[45:46], v[41:42], v[45:46]
	s_waitcnt vmcnt(0)
	v_fma_f64 v[41:42], v[41:42], v[47:48], -v[134:135]
	v_fma_f64 v[43:44], v[43:44], v[47:48], v[45:46]
	v_add_f64 v[1:2], v[1:2], v[41:42]
	v_add_f64 v[3:4], v[3:4], v[43:44]
	s_andn2_b32 exec_lo, exec_lo, s64
	s_cbranch_execnz .LBB56_812
; %bb.813:
	s_or_b32 exec_lo, exec_lo, s64
.LBB56_814:
	s_or_b32 exec_lo, exec_lo, s8
	v_mov_b32_e32 v38, 0
	ds_read_b128 v[38:41], v38 offset:736
	s_waitcnt lgkmcnt(0)
	v_mul_f64 v[42:43], v[3:4], v[40:41]
	v_mul_f64 v[40:41], v[1:2], v[40:41]
	v_fma_f64 v[1:2], v[1:2], v[38:39], -v[42:43]
	v_fma_f64 v[3:4], v[3:4], v[38:39], v[40:41]
	buffer_store_dword v2, off, s[0:3], 0 offset:740
	buffer_store_dword v1, off, s[0:3], 0 offset:736
	;; [unrolled: 1-line block ×4, first 2 shown]
.LBB56_815:
	s_or_b32 exec_lo, exec_lo, s4
	v_mov_b32_e32 v4, s16
	s_mov_b32 s4, exec_lo
	s_clause 0x3
	buffer_load_dword v1, v4, s[0:3], 0 offen
	buffer_load_dword v2, v4, s[0:3], 0 offen offset:4
	buffer_load_dword v3, v4, s[0:3], 0 offen offset:8
	;; [unrolled: 1-line block ×3, first 2 shown]
	s_waitcnt vmcnt(0)
	ds_write_b128 v36, v[1:4]
	s_waitcnt lgkmcnt(0)
	s_waitcnt_vscnt null, 0x0
	s_barrier
	buffer_gl0_inv
	v_cmpx_gt_u32_e32 47, v0
	s_cbranch_execz .LBB56_823
; %bb.816:
	ds_read_b128 v[1:4], v36
	v_cmp_ne_u32_e32 vcc_lo, 1, v37
	s_cbranch_vccnz .LBB56_818
; %bb.817:
	s_clause 0x3
	buffer_load_dword v38, v35, s[0:3], 0 offen offset:8
	buffer_load_dword v39, v35, s[0:3], 0 offen offset:12
	buffer_load_dword v40, v35, s[0:3], 0 offen
	buffer_load_dword v41, v35, s[0:3], 0 offen offset:4
	s_waitcnt vmcnt(2) lgkmcnt(0)
	v_mul_f64 v[42:43], v[3:4], v[38:39]
	v_mul_f64 v[38:39], v[1:2], v[38:39]
	s_waitcnt vmcnt(0)
	v_fma_f64 v[1:2], v[1:2], v[40:41], -v[42:43]
	v_fma_f64 v[3:4], v[3:4], v[40:41], v[38:39]
.LBB56_818:
	s_mov_b32 s8, exec_lo
	v_cmpx_ne_u32_e32 46, v0
	s_cbranch_execz .LBB56_822
; %bb.819:
	v_add_nc_u32_e32 v38, 0x3a0, v133
	v_add3_u32 v39, 0, v133, 16
	v_mov_b32_e32 v40, v0
	s_mov_b32 s64, 0
	.p2align	6
.LBB56_820:                             ; =>This Inner Loop Header: Depth=1
	s_clause 0x3
	buffer_load_dword v45, v39, s[0:3], 0 offen offset:8
	buffer_load_dword v46, v39, s[0:3], 0 offen offset:12
	buffer_load_dword v47, v39, s[0:3], 0 offen
	buffer_load_dword v48, v39, s[0:3], 0 offen offset:4
	ds_read_b128 v[41:44], v38
	v_add_nc_u32_e32 v40, 1, v40
	v_add_nc_u32_e32 v38, 16, v38
	;; [unrolled: 1-line block ×3, first 2 shown]
	v_cmp_lt_u32_e32 vcc_lo, 45, v40
	s_or_b32 s64, vcc_lo, s64
	s_waitcnt vmcnt(2) lgkmcnt(0)
	v_mul_f64 v[134:135], v[43:44], v[45:46]
	v_mul_f64 v[45:46], v[41:42], v[45:46]
	s_waitcnt vmcnt(0)
	v_fma_f64 v[41:42], v[41:42], v[47:48], -v[134:135]
	v_fma_f64 v[43:44], v[43:44], v[47:48], v[45:46]
	v_add_f64 v[1:2], v[1:2], v[41:42]
	v_add_f64 v[3:4], v[3:4], v[43:44]
	s_andn2_b32 exec_lo, exec_lo, s64
	s_cbranch_execnz .LBB56_820
; %bb.821:
	s_or_b32 exec_lo, exec_lo, s64
.LBB56_822:
	s_or_b32 exec_lo, exec_lo, s8
	v_mov_b32_e32 v38, 0
	ds_read_b128 v[38:41], v38 offset:752
	s_waitcnt lgkmcnt(0)
	v_mul_f64 v[42:43], v[3:4], v[40:41]
	v_mul_f64 v[40:41], v[1:2], v[40:41]
	v_fma_f64 v[1:2], v[1:2], v[38:39], -v[42:43]
	v_fma_f64 v[3:4], v[3:4], v[38:39], v[40:41]
	buffer_store_dword v2, off, s[0:3], 0 offset:756
	buffer_store_dword v1, off, s[0:3], 0 offset:752
	;; [unrolled: 1-line block ×4, first 2 shown]
.LBB56_823:
	s_or_b32 exec_lo, exec_lo, s4
	v_mov_b32_e32 v4, s15
	s_mov_b32 s4, exec_lo
	s_clause 0x3
	buffer_load_dword v1, v4, s[0:3], 0 offen
	buffer_load_dword v2, v4, s[0:3], 0 offen offset:4
	buffer_load_dword v3, v4, s[0:3], 0 offen offset:8
	;; [unrolled: 1-line block ×3, first 2 shown]
	s_waitcnt vmcnt(0)
	ds_write_b128 v36, v[1:4]
	s_waitcnt lgkmcnt(0)
	s_waitcnt_vscnt null, 0x0
	s_barrier
	buffer_gl0_inv
	v_cmpx_gt_u32_e32 48, v0
	s_cbranch_execz .LBB56_831
; %bb.824:
	ds_read_b128 v[1:4], v36
	v_cmp_ne_u32_e32 vcc_lo, 1, v37
	s_cbranch_vccnz .LBB56_826
; %bb.825:
	s_clause 0x3
	buffer_load_dword v38, v35, s[0:3], 0 offen offset:8
	buffer_load_dword v39, v35, s[0:3], 0 offen offset:12
	buffer_load_dword v40, v35, s[0:3], 0 offen
	buffer_load_dword v41, v35, s[0:3], 0 offen offset:4
	s_waitcnt vmcnt(2) lgkmcnt(0)
	v_mul_f64 v[42:43], v[3:4], v[38:39]
	v_mul_f64 v[38:39], v[1:2], v[38:39]
	s_waitcnt vmcnt(0)
	v_fma_f64 v[1:2], v[1:2], v[40:41], -v[42:43]
	v_fma_f64 v[3:4], v[3:4], v[40:41], v[38:39]
.LBB56_826:
	s_mov_b32 s8, exec_lo
	v_cmpx_ne_u32_e32 47, v0
	s_cbranch_execz .LBB56_830
; %bb.827:
	v_add_nc_u32_e32 v38, 0x3a0, v133
	v_add3_u32 v39, 0, v133, 16
	v_mov_b32_e32 v40, v0
	s_mov_b32 s64, 0
	.p2align	6
.LBB56_828:                             ; =>This Inner Loop Header: Depth=1
	s_clause 0x3
	buffer_load_dword v45, v39, s[0:3], 0 offen offset:8
	buffer_load_dword v46, v39, s[0:3], 0 offen offset:12
	buffer_load_dword v47, v39, s[0:3], 0 offen
	buffer_load_dword v48, v39, s[0:3], 0 offen offset:4
	ds_read_b128 v[41:44], v38
	v_add_nc_u32_e32 v40, 1, v40
	v_add_nc_u32_e32 v38, 16, v38
	;; [unrolled: 1-line block ×3, first 2 shown]
	v_cmp_lt_u32_e32 vcc_lo, 46, v40
	s_or_b32 s64, vcc_lo, s64
	s_waitcnt vmcnt(2) lgkmcnt(0)
	v_mul_f64 v[134:135], v[43:44], v[45:46]
	v_mul_f64 v[45:46], v[41:42], v[45:46]
	s_waitcnt vmcnt(0)
	v_fma_f64 v[41:42], v[41:42], v[47:48], -v[134:135]
	v_fma_f64 v[43:44], v[43:44], v[47:48], v[45:46]
	v_add_f64 v[1:2], v[1:2], v[41:42]
	v_add_f64 v[3:4], v[3:4], v[43:44]
	s_andn2_b32 exec_lo, exec_lo, s64
	s_cbranch_execnz .LBB56_828
; %bb.829:
	s_or_b32 exec_lo, exec_lo, s64
.LBB56_830:
	s_or_b32 exec_lo, exec_lo, s8
	v_mov_b32_e32 v38, 0
	ds_read_b128 v[38:41], v38 offset:768
	s_waitcnt lgkmcnt(0)
	v_mul_f64 v[42:43], v[3:4], v[40:41]
	v_mul_f64 v[40:41], v[1:2], v[40:41]
	v_fma_f64 v[1:2], v[1:2], v[38:39], -v[42:43]
	v_fma_f64 v[3:4], v[3:4], v[38:39], v[40:41]
	buffer_store_dword v2, off, s[0:3], 0 offset:772
	buffer_store_dword v1, off, s[0:3], 0 offset:768
	;; [unrolled: 1-line block ×4, first 2 shown]
.LBB56_831:
	s_or_b32 exec_lo, exec_lo, s4
	v_mov_b32_e32 v4, s14
	s_mov_b32 s4, exec_lo
	s_clause 0x3
	buffer_load_dword v1, v4, s[0:3], 0 offen
	buffer_load_dword v2, v4, s[0:3], 0 offen offset:4
	buffer_load_dword v3, v4, s[0:3], 0 offen offset:8
	;; [unrolled: 1-line block ×3, first 2 shown]
	s_waitcnt vmcnt(0)
	ds_write_b128 v36, v[1:4]
	s_waitcnt lgkmcnt(0)
	s_waitcnt_vscnt null, 0x0
	s_barrier
	buffer_gl0_inv
	v_cmpx_gt_u32_e32 49, v0
	s_cbranch_execz .LBB56_839
; %bb.832:
	ds_read_b128 v[1:4], v36
	v_cmp_ne_u32_e32 vcc_lo, 1, v37
	s_cbranch_vccnz .LBB56_834
; %bb.833:
	s_clause 0x3
	buffer_load_dword v38, v35, s[0:3], 0 offen offset:8
	buffer_load_dword v39, v35, s[0:3], 0 offen offset:12
	buffer_load_dword v40, v35, s[0:3], 0 offen
	buffer_load_dword v41, v35, s[0:3], 0 offen offset:4
	s_waitcnt vmcnt(2) lgkmcnt(0)
	v_mul_f64 v[42:43], v[3:4], v[38:39]
	v_mul_f64 v[38:39], v[1:2], v[38:39]
	s_waitcnt vmcnt(0)
	v_fma_f64 v[1:2], v[1:2], v[40:41], -v[42:43]
	v_fma_f64 v[3:4], v[3:4], v[40:41], v[38:39]
.LBB56_834:
	s_mov_b32 s8, exec_lo
	v_cmpx_ne_u32_e32 48, v0
	s_cbranch_execz .LBB56_838
; %bb.835:
	v_add_nc_u32_e32 v38, 0x3a0, v133
	v_add3_u32 v39, 0, v133, 16
	v_mov_b32_e32 v40, v0
	s_mov_b32 s64, 0
	.p2align	6
.LBB56_836:                             ; =>This Inner Loop Header: Depth=1
	s_clause 0x3
	buffer_load_dword v45, v39, s[0:3], 0 offen offset:8
	buffer_load_dword v46, v39, s[0:3], 0 offen offset:12
	buffer_load_dword v47, v39, s[0:3], 0 offen
	buffer_load_dword v48, v39, s[0:3], 0 offen offset:4
	ds_read_b128 v[41:44], v38
	v_add_nc_u32_e32 v40, 1, v40
	v_add_nc_u32_e32 v38, 16, v38
	;; [unrolled: 1-line block ×3, first 2 shown]
	v_cmp_lt_u32_e32 vcc_lo, 47, v40
	s_or_b32 s64, vcc_lo, s64
	s_waitcnt vmcnt(2) lgkmcnt(0)
	v_mul_f64 v[134:135], v[43:44], v[45:46]
	v_mul_f64 v[45:46], v[41:42], v[45:46]
	s_waitcnt vmcnt(0)
	v_fma_f64 v[41:42], v[41:42], v[47:48], -v[134:135]
	v_fma_f64 v[43:44], v[43:44], v[47:48], v[45:46]
	v_add_f64 v[1:2], v[1:2], v[41:42]
	v_add_f64 v[3:4], v[3:4], v[43:44]
	s_andn2_b32 exec_lo, exec_lo, s64
	s_cbranch_execnz .LBB56_836
; %bb.837:
	s_or_b32 exec_lo, exec_lo, s64
.LBB56_838:
	s_or_b32 exec_lo, exec_lo, s8
	v_mov_b32_e32 v38, 0
	ds_read_b128 v[38:41], v38 offset:784
	s_waitcnt lgkmcnt(0)
	v_mul_f64 v[42:43], v[3:4], v[40:41]
	v_mul_f64 v[40:41], v[1:2], v[40:41]
	v_fma_f64 v[1:2], v[1:2], v[38:39], -v[42:43]
	v_fma_f64 v[3:4], v[3:4], v[38:39], v[40:41]
	buffer_store_dword v2, off, s[0:3], 0 offset:788
	buffer_store_dword v1, off, s[0:3], 0 offset:784
	buffer_store_dword v4, off, s[0:3], 0 offset:796
	buffer_store_dword v3, off, s[0:3], 0 offset:792
.LBB56_839:
	s_or_b32 exec_lo, exec_lo, s4
	v_mov_b32_e32 v4, s13
	s_mov_b32 s4, exec_lo
	s_clause 0x3
	buffer_load_dword v1, v4, s[0:3], 0 offen
	buffer_load_dword v2, v4, s[0:3], 0 offen offset:4
	buffer_load_dword v3, v4, s[0:3], 0 offen offset:8
	;; [unrolled: 1-line block ×3, first 2 shown]
	s_waitcnt vmcnt(0)
	ds_write_b128 v36, v[1:4]
	s_waitcnt lgkmcnt(0)
	s_waitcnt_vscnt null, 0x0
	s_barrier
	buffer_gl0_inv
	v_cmpx_gt_u32_e32 50, v0
	s_cbranch_execz .LBB56_847
; %bb.840:
	ds_read_b128 v[1:4], v36
	v_cmp_ne_u32_e32 vcc_lo, 1, v37
	s_cbranch_vccnz .LBB56_842
; %bb.841:
	s_clause 0x3
	buffer_load_dword v38, v35, s[0:3], 0 offen offset:8
	buffer_load_dword v39, v35, s[0:3], 0 offen offset:12
	buffer_load_dword v40, v35, s[0:3], 0 offen
	buffer_load_dword v41, v35, s[0:3], 0 offen offset:4
	s_waitcnt vmcnt(2) lgkmcnt(0)
	v_mul_f64 v[42:43], v[3:4], v[38:39]
	v_mul_f64 v[38:39], v[1:2], v[38:39]
	s_waitcnt vmcnt(0)
	v_fma_f64 v[1:2], v[1:2], v[40:41], -v[42:43]
	v_fma_f64 v[3:4], v[3:4], v[40:41], v[38:39]
.LBB56_842:
	s_mov_b32 s8, exec_lo
	v_cmpx_ne_u32_e32 49, v0
	s_cbranch_execz .LBB56_846
; %bb.843:
	v_add_nc_u32_e32 v38, 0x3a0, v133
	v_add3_u32 v39, 0, v133, 16
	v_mov_b32_e32 v40, v0
	s_mov_b32 s64, 0
	.p2align	6
.LBB56_844:                             ; =>This Inner Loop Header: Depth=1
	s_clause 0x3
	buffer_load_dword v45, v39, s[0:3], 0 offen offset:8
	buffer_load_dword v46, v39, s[0:3], 0 offen offset:12
	buffer_load_dword v47, v39, s[0:3], 0 offen
	buffer_load_dword v48, v39, s[0:3], 0 offen offset:4
	ds_read_b128 v[41:44], v38
	v_add_nc_u32_e32 v40, 1, v40
	v_add_nc_u32_e32 v38, 16, v38
	;; [unrolled: 1-line block ×3, first 2 shown]
	v_cmp_lt_u32_e32 vcc_lo, 48, v40
	s_or_b32 s64, vcc_lo, s64
	s_waitcnt vmcnt(2) lgkmcnt(0)
	v_mul_f64 v[134:135], v[43:44], v[45:46]
	v_mul_f64 v[45:46], v[41:42], v[45:46]
	s_waitcnt vmcnt(0)
	v_fma_f64 v[41:42], v[41:42], v[47:48], -v[134:135]
	v_fma_f64 v[43:44], v[43:44], v[47:48], v[45:46]
	v_add_f64 v[1:2], v[1:2], v[41:42]
	v_add_f64 v[3:4], v[3:4], v[43:44]
	s_andn2_b32 exec_lo, exec_lo, s64
	s_cbranch_execnz .LBB56_844
; %bb.845:
	s_or_b32 exec_lo, exec_lo, s64
.LBB56_846:
	s_or_b32 exec_lo, exec_lo, s8
	v_mov_b32_e32 v38, 0
	ds_read_b128 v[38:41], v38 offset:800
	s_waitcnt lgkmcnt(0)
	v_mul_f64 v[42:43], v[3:4], v[40:41]
	v_mul_f64 v[40:41], v[1:2], v[40:41]
	v_fma_f64 v[1:2], v[1:2], v[38:39], -v[42:43]
	v_fma_f64 v[3:4], v[3:4], v[38:39], v[40:41]
	buffer_store_dword v2, off, s[0:3], 0 offset:804
	buffer_store_dword v1, off, s[0:3], 0 offset:800
	;; [unrolled: 1-line block ×4, first 2 shown]
.LBB56_847:
	s_or_b32 exec_lo, exec_lo, s4
	v_mov_b32_e32 v4, s12
	s_mov_b32 s4, exec_lo
	s_clause 0x3
	buffer_load_dword v1, v4, s[0:3], 0 offen
	buffer_load_dword v2, v4, s[0:3], 0 offen offset:4
	buffer_load_dword v3, v4, s[0:3], 0 offen offset:8
	buffer_load_dword v4, v4, s[0:3], 0 offen offset:12
	s_waitcnt vmcnt(0)
	ds_write_b128 v36, v[1:4]
	s_waitcnt lgkmcnt(0)
	s_waitcnt_vscnt null, 0x0
	s_barrier
	buffer_gl0_inv
	v_cmpx_gt_u32_e32 51, v0
	s_cbranch_execz .LBB56_855
; %bb.848:
	ds_read_b128 v[1:4], v36
	v_cmp_ne_u32_e32 vcc_lo, 1, v37
	s_cbranch_vccnz .LBB56_850
; %bb.849:
	s_clause 0x3
	buffer_load_dword v38, v35, s[0:3], 0 offen offset:8
	buffer_load_dword v39, v35, s[0:3], 0 offen offset:12
	buffer_load_dword v40, v35, s[0:3], 0 offen
	buffer_load_dword v41, v35, s[0:3], 0 offen offset:4
	s_waitcnt vmcnt(2) lgkmcnt(0)
	v_mul_f64 v[42:43], v[3:4], v[38:39]
	v_mul_f64 v[38:39], v[1:2], v[38:39]
	s_waitcnt vmcnt(0)
	v_fma_f64 v[1:2], v[1:2], v[40:41], -v[42:43]
	v_fma_f64 v[3:4], v[3:4], v[40:41], v[38:39]
.LBB56_850:
	s_mov_b32 s8, exec_lo
	v_cmpx_ne_u32_e32 50, v0
	s_cbranch_execz .LBB56_854
; %bb.851:
	v_add_nc_u32_e32 v38, 0x3a0, v133
	v_add3_u32 v39, 0, v133, 16
	v_mov_b32_e32 v40, v0
	s_mov_b32 s64, 0
	.p2align	6
.LBB56_852:                             ; =>This Inner Loop Header: Depth=1
	s_clause 0x3
	buffer_load_dword v45, v39, s[0:3], 0 offen offset:8
	buffer_load_dword v46, v39, s[0:3], 0 offen offset:12
	buffer_load_dword v47, v39, s[0:3], 0 offen
	buffer_load_dword v48, v39, s[0:3], 0 offen offset:4
	ds_read_b128 v[41:44], v38
	v_add_nc_u32_e32 v40, 1, v40
	v_add_nc_u32_e32 v38, 16, v38
	;; [unrolled: 1-line block ×3, first 2 shown]
	v_cmp_lt_u32_e32 vcc_lo, 49, v40
	s_or_b32 s64, vcc_lo, s64
	s_waitcnt vmcnt(2) lgkmcnt(0)
	v_mul_f64 v[134:135], v[43:44], v[45:46]
	v_mul_f64 v[45:46], v[41:42], v[45:46]
	s_waitcnt vmcnt(0)
	v_fma_f64 v[41:42], v[41:42], v[47:48], -v[134:135]
	v_fma_f64 v[43:44], v[43:44], v[47:48], v[45:46]
	v_add_f64 v[1:2], v[1:2], v[41:42]
	v_add_f64 v[3:4], v[3:4], v[43:44]
	s_andn2_b32 exec_lo, exec_lo, s64
	s_cbranch_execnz .LBB56_852
; %bb.853:
	s_or_b32 exec_lo, exec_lo, s64
.LBB56_854:
	s_or_b32 exec_lo, exec_lo, s8
	v_mov_b32_e32 v38, 0
	ds_read_b128 v[38:41], v38 offset:816
	s_waitcnt lgkmcnt(0)
	v_mul_f64 v[42:43], v[3:4], v[40:41]
	v_mul_f64 v[40:41], v[1:2], v[40:41]
	v_fma_f64 v[1:2], v[1:2], v[38:39], -v[42:43]
	v_fma_f64 v[3:4], v[3:4], v[38:39], v[40:41]
	buffer_store_dword v2, off, s[0:3], 0 offset:820
	buffer_store_dword v1, off, s[0:3], 0 offset:816
	;; [unrolled: 1-line block ×4, first 2 shown]
.LBB56_855:
	s_or_b32 exec_lo, exec_lo, s4
	v_mov_b32_e32 v4, s11
	s_mov_b32 s4, exec_lo
	s_clause 0x3
	buffer_load_dword v1, v4, s[0:3], 0 offen
	buffer_load_dword v2, v4, s[0:3], 0 offen offset:4
	buffer_load_dword v3, v4, s[0:3], 0 offen offset:8
	;; [unrolled: 1-line block ×3, first 2 shown]
	s_waitcnt vmcnt(0)
	ds_write_b128 v36, v[1:4]
	s_waitcnt lgkmcnt(0)
	s_waitcnt_vscnt null, 0x0
	s_barrier
	buffer_gl0_inv
	v_cmpx_gt_u32_e32 52, v0
	s_cbranch_execz .LBB56_863
; %bb.856:
	ds_read_b128 v[1:4], v36
	v_cmp_ne_u32_e32 vcc_lo, 1, v37
	s_cbranch_vccnz .LBB56_858
; %bb.857:
	s_clause 0x3
	buffer_load_dword v38, v35, s[0:3], 0 offen offset:8
	buffer_load_dword v39, v35, s[0:3], 0 offen offset:12
	buffer_load_dword v40, v35, s[0:3], 0 offen
	buffer_load_dword v41, v35, s[0:3], 0 offen offset:4
	s_waitcnt vmcnt(2) lgkmcnt(0)
	v_mul_f64 v[42:43], v[3:4], v[38:39]
	v_mul_f64 v[38:39], v[1:2], v[38:39]
	s_waitcnt vmcnt(0)
	v_fma_f64 v[1:2], v[1:2], v[40:41], -v[42:43]
	v_fma_f64 v[3:4], v[3:4], v[40:41], v[38:39]
.LBB56_858:
	s_mov_b32 s8, exec_lo
	v_cmpx_ne_u32_e32 51, v0
	s_cbranch_execz .LBB56_862
; %bb.859:
	v_add_nc_u32_e32 v38, 0x3a0, v133
	v_add3_u32 v39, 0, v133, 16
	v_mov_b32_e32 v40, v0
	s_mov_b32 s64, 0
	.p2align	6
.LBB56_860:                             ; =>This Inner Loop Header: Depth=1
	s_clause 0x3
	buffer_load_dword v45, v39, s[0:3], 0 offen offset:8
	buffer_load_dword v46, v39, s[0:3], 0 offen offset:12
	buffer_load_dword v47, v39, s[0:3], 0 offen
	buffer_load_dword v48, v39, s[0:3], 0 offen offset:4
	ds_read_b128 v[41:44], v38
	v_add_nc_u32_e32 v40, 1, v40
	v_add_nc_u32_e32 v38, 16, v38
	;; [unrolled: 1-line block ×3, first 2 shown]
	v_cmp_lt_u32_e32 vcc_lo, 50, v40
	s_or_b32 s64, vcc_lo, s64
	s_waitcnt vmcnt(2) lgkmcnt(0)
	v_mul_f64 v[134:135], v[43:44], v[45:46]
	v_mul_f64 v[45:46], v[41:42], v[45:46]
	s_waitcnt vmcnt(0)
	v_fma_f64 v[41:42], v[41:42], v[47:48], -v[134:135]
	v_fma_f64 v[43:44], v[43:44], v[47:48], v[45:46]
	v_add_f64 v[1:2], v[1:2], v[41:42]
	v_add_f64 v[3:4], v[3:4], v[43:44]
	s_andn2_b32 exec_lo, exec_lo, s64
	s_cbranch_execnz .LBB56_860
; %bb.861:
	s_or_b32 exec_lo, exec_lo, s64
.LBB56_862:
	s_or_b32 exec_lo, exec_lo, s8
	v_mov_b32_e32 v38, 0
	ds_read_b128 v[38:41], v38 offset:832
	s_waitcnt lgkmcnt(0)
	v_mul_f64 v[42:43], v[3:4], v[40:41]
	v_mul_f64 v[40:41], v[1:2], v[40:41]
	v_fma_f64 v[1:2], v[1:2], v[38:39], -v[42:43]
	v_fma_f64 v[3:4], v[3:4], v[38:39], v[40:41]
	buffer_store_dword v2, off, s[0:3], 0 offset:836
	buffer_store_dword v1, off, s[0:3], 0 offset:832
	;; [unrolled: 1-line block ×4, first 2 shown]
.LBB56_863:
	s_or_b32 exec_lo, exec_lo, s4
	v_mov_b32_e32 v4, s10
	s_mov_b32 s4, exec_lo
	s_clause 0x3
	buffer_load_dword v1, v4, s[0:3], 0 offen
	buffer_load_dword v2, v4, s[0:3], 0 offen offset:4
	buffer_load_dword v3, v4, s[0:3], 0 offen offset:8
	;; [unrolled: 1-line block ×3, first 2 shown]
	s_waitcnt vmcnt(0)
	ds_write_b128 v36, v[1:4]
	s_waitcnt lgkmcnt(0)
	s_waitcnt_vscnt null, 0x0
	s_barrier
	buffer_gl0_inv
	v_cmpx_gt_u32_e32 53, v0
	s_cbranch_execz .LBB56_871
; %bb.864:
	ds_read_b128 v[1:4], v36
	v_cmp_ne_u32_e32 vcc_lo, 1, v37
	s_cbranch_vccnz .LBB56_866
; %bb.865:
	s_clause 0x3
	buffer_load_dword v38, v35, s[0:3], 0 offen offset:8
	buffer_load_dword v39, v35, s[0:3], 0 offen offset:12
	buffer_load_dword v40, v35, s[0:3], 0 offen
	buffer_load_dword v41, v35, s[0:3], 0 offen offset:4
	s_waitcnt vmcnt(2) lgkmcnt(0)
	v_mul_f64 v[42:43], v[3:4], v[38:39]
	v_mul_f64 v[38:39], v[1:2], v[38:39]
	s_waitcnt vmcnt(0)
	v_fma_f64 v[1:2], v[1:2], v[40:41], -v[42:43]
	v_fma_f64 v[3:4], v[3:4], v[40:41], v[38:39]
.LBB56_866:
	s_mov_b32 s8, exec_lo
	v_cmpx_ne_u32_e32 52, v0
	s_cbranch_execz .LBB56_870
; %bb.867:
	v_add_nc_u32_e32 v38, 0x3a0, v133
	v_add3_u32 v39, 0, v133, 16
	v_mov_b32_e32 v40, v0
	s_mov_b32 s64, 0
	.p2align	6
.LBB56_868:                             ; =>This Inner Loop Header: Depth=1
	s_clause 0x3
	buffer_load_dword v45, v39, s[0:3], 0 offen offset:8
	buffer_load_dword v46, v39, s[0:3], 0 offen offset:12
	buffer_load_dword v47, v39, s[0:3], 0 offen
	buffer_load_dword v48, v39, s[0:3], 0 offen offset:4
	ds_read_b128 v[41:44], v38
	v_add_nc_u32_e32 v40, 1, v40
	v_add_nc_u32_e32 v38, 16, v38
	;; [unrolled: 1-line block ×3, first 2 shown]
	v_cmp_lt_u32_e32 vcc_lo, 51, v40
	s_or_b32 s64, vcc_lo, s64
	s_waitcnt vmcnt(2) lgkmcnt(0)
	v_mul_f64 v[134:135], v[43:44], v[45:46]
	v_mul_f64 v[45:46], v[41:42], v[45:46]
	s_waitcnt vmcnt(0)
	v_fma_f64 v[41:42], v[41:42], v[47:48], -v[134:135]
	v_fma_f64 v[43:44], v[43:44], v[47:48], v[45:46]
	v_add_f64 v[1:2], v[1:2], v[41:42]
	v_add_f64 v[3:4], v[3:4], v[43:44]
	s_andn2_b32 exec_lo, exec_lo, s64
	s_cbranch_execnz .LBB56_868
; %bb.869:
	s_or_b32 exec_lo, exec_lo, s64
.LBB56_870:
	s_or_b32 exec_lo, exec_lo, s8
	v_mov_b32_e32 v38, 0
	ds_read_b128 v[38:41], v38 offset:848
	s_waitcnt lgkmcnt(0)
	v_mul_f64 v[42:43], v[3:4], v[40:41]
	v_mul_f64 v[40:41], v[1:2], v[40:41]
	v_fma_f64 v[1:2], v[1:2], v[38:39], -v[42:43]
	v_fma_f64 v[3:4], v[3:4], v[38:39], v[40:41]
	buffer_store_dword v2, off, s[0:3], 0 offset:852
	buffer_store_dword v1, off, s[0:3], 0 offset:848
	;; [unrolled: 1-line block ×4, first 2 shown]
.LBB56_871:
	s_or_b32 exec_lo, exec_lo, s4
	v_mov_b32_e32 v4, s9
	s_mov_b32 s4, exec_lo
	s_clause 0x3
	buffer_load_dword v1, v4, s[0:3], 0 offen
	buffer_load_dword v2, v4, s[0:3], 0 offen offset:4
	buffer_load_dword v3, v4, s[0:3], 0 offen offset:8
	;; [unrolled: 1-line block ×3, first 2 shown]
	s_waitcnt vmcnt(0)
	ds_write_b128 v36, v[1:4]
	s_waitcnt lgkmcnt(0)
	s_waitcnt_vscnt null, 0x0
	s_barrier
	buffer_gl0_inv
	v_cmpx_gt_u32_e32 54, v0
	s_cbranch_execz .LBB56_879
; %bb.872:
	ds_read_b128 v[1:4], v36
	v_cmp_ne_u32_e32 vcc_lo, 1, v37
	s_cbranch_vccnz .LBB56_874
; %bb.873:
	s_clause 0x3
	buffer_load_dword v38, v35, s[0:3], 0 offen offset:8
	buffer_load_dword v39, v35, s[0:3], 0 offen offset:12
	buffer_load_dword v40, v35, s[0:3], 0 offen
	buffer_load_dword v41, v35, s[0:3], 0 offen offset:4
	s_waitcnt vmcnt(2) lgkmcnt(0)
	v_mul_f64 v[42:43], v[3:4], v[38:39]
	v_mul_f64 v[38:39], v[1:2], v[38:39]
	s_waitcnt vmcnt(0)
	v_fma_f64 v[1:2], v[1:2], v[40:41], -v[42:43]
	v_fma_f64 v[3:4], v[3:4], v[40:41], v[38:39]
.LBB56_874:
	s_mov_b32 s8, exec_lo
	v_cmpx_ne_u32_e32 53, v0
	s_cbranch_execz .LBB56_878
; %bb.875:
	v_add_nc_u32_e32 v38, 0x3a0, v133
	v_add3_u32 v39, 0, v133, 16
	v_mov_b32_e32 v40, v0
	s_mov_b32 s64, 0
	.p2align	6
.LBB56_876:                             ; =>This Inner Loop Header: Depth=1
	s_clause 0x3
	buffer_load_dword v45, v39, s[0:3], 0 offen offset:8
	buffer_load_dword v46, v39, s[0:3], 0 offen offset:12
	buffer_load_dword v47, v39, s[0:3], 0 offen
	buffer_load_dword v48, v39, s[0:3], 0 offen offset:4
	ds_read_b128 v[41:44], v38
	v_add_nc_u32_e32 v40, 1, v40
	v_add_nc_u32_e32 v38, 16, v38
	;; [unrolled: 1-line block ×3, first 2 shown]
	v_cmp_lt_u32_e32 vcc_lo, 52, v40
	s_or_b32 s64, vcc_lo, s64
	s_waitcnt vmcnt(2) lgkmcnt(0)
	v_mul_f64 v[134:135], v[43:44], v[45:46]
	v_mul_f64 v[45:46], v[41:42], v[45:46]
	s_waitcnt vmcnt(0)
	v_fma_f64 v[41:42], v[41:42], v[47:48], -v[134:135]
	v_fma_f64 v[43:44], v[43:44], v[47:48], v[45:46]
	v_add_f64 v[1:2], v[1:2], v[41:42]
	v_add_f64 v[3:4], v[3:4], v[43:44]
	s_andn2_b32 exec_lo, exec_lo, s64
	s_cbranch_execnz .LBB56_876
; %bb.877:
	s_or_b32 exec_lo, exec_lo, s64
.LBB56_878:
	s_or_b32 exec_lo, exec_lo, s8
	v_mov_b32_e32 v38, 0
	ds_read_b128 v[38:41], v38 offset:864
	s_waitcnt lgkmcnt(0)
	v_mul_f64 v[42:43], v[3:4], v[40:41]
	v_mul_f64 v[40:41], v[1:2], v[40:41]
	v_fma_f64 v[1:2], v[1:2], v[38:39], -v[42:43]
	v_fma_f64 v[3:4], v[3:4], v[38:39], v[40:41]
	buffer_store_dword v2, off, s[0:3], 0 offset:868
	buffer_store_dword v1, off, s[0:3], 0 offset:864
	;; [unrolled: 1-line block ×4, first 2 shown]
.LBB56_879:
	s_or_b32 exec_lo, exec_lo, s4
	v_mov_b32_e32 v4, s7
	v_cmp_gt_u32_e64 s4, 55, v0
	s_clause 0x3
	buffer_load_dword v1, v4, s[0:3], 0 offen
	buffer_load_dword v2, v4, s[0:3], 0 offen offset:4
	buffer_load_dword v3, v4, s[0:3], 0 offen offset:8
	;; [unrolled: 1-line block ×3, first 2 shown]
	s_waitcnt vmcnt(0)
	ds_write_b128 v36, v[1:4]
	s_waitcnt lgkmcnt(0)
	s_waitcnt_vscnt null, 0x0
	s_barrier
	buffer_gl0_inv
	s_and_saveexec_b32 s8, s4
	s_cbranch_execz .LBB56_887
; %bb.880:
	ds_read_b128 v[1:4], v36
	v_cmp_ne_u32_e32 vcc_lo, 1, v37
	s_cbranch_vccnz .LBB56_882
; %bb.881:
	s_clause 0x3
	buffer_load_dword v38, v35, s[0:3], 0 offen offset:8
	buffer_load_dword v39, v35, s[0:3], 0 offen offset:12
	buffer_load_dword v40, v35, s[0:3], 0 offen
	buffer_load_dword v41, v35, s[0:3], 0 offen offset:4
	s_waitcnt vmcnt(2) lgkmcnt(0)
	v_mul_f64 v[42:43], v[3:4], v[38:39]
	v_mul_f64 v[38:39], v[1:2], v[38:39]
	s_waitcnt vmcnt(0)
	v_fma_f64 v[1:2], v[1:2], v[40:41], -v[42:43]
	v_fma_f64 v[3:4], v[3:4], v[40:41], v[38:39]
.LBB56_882:
	s_mov_b32 s64, exec_lo
	v_cmpx_ne_u32_e32 54, v0
	s_cbranch_execz .LBB56_886
; %bb.883:
	v_add_nc_u32_e32 v38, 0x3a0, v133
	v_add3_u32 v39, 0, v133, 16
	v_mov_b32_e32 v40, v0
	s_mov_b32 s65, 0
	.p2align	6
.LBB56_884:                             ; =>This Inner Loop Header: Depth=1
	s_clause 0x3
	buffer_load_dword v45, v39, s[0:3], 0 offen offset:8
	buffer_load_dword v46, v39, s[0:3], 0 offen offset:12
	buffer_load_dword v47, v39, s[0:3], 0 offen
	buffer_load_dword v48, v39, s[0:3], 0 offen offset:4
	ds_read_b128 v[41:44], v38
	v_add_nc_u32_e32 v40, 1, v40
	v_add_nc_u32_e32 v38, 16, v38
	;; [unrolled: 1-line block ×3, first 2 shown]
	v_cmp_lt_u32_e32 vcc_lo, 53, v40
	s_or_b32 s65, vcc_lo, s65
	s_waitcnt vmcnt(2) lgkmcnt(0)
	v_mul_f64 v[134:135], v[43:44], v[45:46]
	v_mul_f64 v[45:46], v[41:42], v[45:46]
	s_waitcnt vmcnt(0)
	v_fma_f64 v[41:42], v[41:42], v[47:48], -v[134:135]
	v_fma_f64 v[43:44], v[43:44], v[47:48], v[45:46]
	v_add_f64 v[1:2], v[1:2], v[41:42]
	v_add_f64 v[3:4], v[3:4], v[43:44]
	s_andn2_b32 exec_lo, exec_lo, s65
	s_cbranch_execnz .LBB56_884
; %bb.885:
	s_or_b32 exec_lo, exec_lo, s65
.LBB56_886:
	s_or_b32 exec_lo, exec_lo, s64
	v_mov_b32_e32 v38, 0
	ds_read_b128 v[38:41], v38 offset:880
	s_waitcnt lgkmcnt(0)
	v_mul_f64 v[42:43], v[3:4], v[40:41]
	v_mul_f64 v[40:41], v[1:2], v[40:41]
	v_fma_f64 v[1:2], v[1:2], v[38:39], -v[42:43]
	v_fma_f64 v[3:4], v[3:4], v[38:39], v[40:41]
	buffer_store_dword v2, off, s[0:3], 0 offset:884
	buffer_store_dword v1, off, s[0:3], 0 offset:880
	;; [unrolled: 1-line block ×4, first 2 shown]
.LBB56_887:
	s_or_b32 exec_lo, exec_lo, s8
	v_mov_b32_e32 v4, s6
	s_mov_b32 s8, exec_lo
                                        ; implicit-def: $sgpr66
	s_clause 0x3
	buffer_load_dword v1, v4, s[0:3], 0 offen
	buffer_load_dword v2, v4, s[0:3], 0 offen offset:4
	buffer_load_dword v3, v4, s[0:3], 0 offen offset:8
	;; [unrolled: 1-line block ×3, first 2 shown]
	s_waitcnt vmcnt(0)
	ds_write_b128 v36, v[1:4]
	s_waitcnt lgkmcnt(0)
	s_waitcnt_vscnt null, 0x0
	s_barrier
	buffer_gl0_inv
                                        ; implicit-def: $vgpr1_vgpr2
	v_cmpx_ne_u32_e32 56, v0
	s_cbranch_execz .LBB56_895
; %bb.888:
	ds_read_b128 v[1:4], v36
	v_cmp_ne_u32_e32 vcc_lo, 1, v37
	s_cbranch_vccnz .LBB56_890
; %bb.889:
	s_clause 0x3
	buffer_load_dword v36, v35, s[0:3], 0 offen offset:8
	buffer_load_dword v37, v35, s[0:3], 0 offen offset:12
	buffer_load_dword v38, v35, s[0:3], 0 offen
	buffer_load_dword v39, v35, s[0:3], 0 offen offset:4
	s_waitcnt vmcnt(2) lgkmcnt(0)
	v_mul_f64 v[40:41], v[3:4], v[36:37]
	v_mul_f64 v[35:36], v[1:2], v[36:37]
	s_waitcnt vmcnt(0)
	v_fma_f64 v[1:2], v[1:2], v[38:39], -v[40:41]
	v_fma_f64 v[3:4], v[3:4], v[38:39], v[35:36]
.LBB56_890:
	s_and_saveexec_b32 s64, s4
	s_cbranch_execz .LBB56_894
; %bb.891:
	v_add_nc_u32_e32 v35, 0x3a0, v133
	v_add3_u32 v36, 0, v133, 16
	s_mov_b32 s4, 0
	.p2align	6
.LBB56_892:                             ; =>This Inner Loop Header: Depth=1
	s_clause 0x3
	buffer_load_dword v41, v36, s[0:3], 0 offen offset:8
	buffer_load_dword v42, v36, s[0:3], 0 offen offset:12
	buffer_load_dword v43, v36, s[0:3], 0 offen
	buffer_load_dword v44, v36, s[0:3], 0 offen offset:4
	ds_read_b128 v[37:40], v35
	v_add_nc_u32_e32 v0, 1, v0
	v_add_nc_u32_e32 v35, 16, v35
	;; [unrolled: 1-line block ×3, first 2 shown]
	v_cmp_lt_u32_e32 vcc_lo, 54, v0
	s_or_b32 s4, vcc_lo, s4
	s_waitcnt vmcnt(2) lgkmcnt(0)
	v_mul_f64 v[45:46], v[39:40], v[41:42]
	v_mul_f64 v[41:42], v[37:38], v[41:42]
	s_waitcnt vmcnt(0)
	v_fma_f64 v[37:38], v[37:38], v[43:44], -v[45:46]
	v_fma_f64 v[39:40], v[39:40], v[43:44], v[41:42]
	v_add_f64 v[1:2], v[1:2], v[37:38]
	v_add_f64 v[3:4], v[3:4], v[39:40]
	s_andn2_b32 exec_lo, exec_lo, s4
	s_cbranch_execnz .LBB56_892
; %bb.893:
	s_or_b32 exec_lo, exec_lo, s4
.LBB56_894:
	s_or_b32 exec_lo, exec_lo, s64
	v_mov_b32_e32 v0, 0
	s_movk_i32 s66, 0x388
	s_or_b32 s5, s5, exec_lo
	ds_read_b128 v[35:38], v0 offset:896
	s_waitcnt lgkmcnt(0)
	v_mul_f64 v[39:40], v[3:4], v[37:38]
	v_mul_f64 v[37:38], v[1:2], v[37:38]
	v_fma_f64 v[39:40], v[1:2], v[35:36], -v[39:40]
	v_fma_f64 v[1:2], v[3:4], v[35:36], v[37:38]
	buffer_store_dword v40, off, s[0:3], 0 offset:900
	buffer_store_dword v39, off, s[0:3], 0 offset:896
.LBB56_895:
	s_or_b32 exec_lo, exec_lo, s8
.LBB56_896:
	s_and_saveexec_b32 s4, s5
	s_cbranch_execz .LBB56_898
; %bb.897:
	v_mov_b32_e32 v0, s66
	buffer_store_dword v2, v0, s[0:3], 0 offen offset:4
	buffer_store_dword v1, v0, s[0:3], 0 offen
.LBB56_898:
	s_or_b32 exec_lo, exec_lo, s4
	s_clause 0x3
	buffer_load_dword v0, off, s[0:3], 0
	buffer_load_dword v1, off, s[0:3], 0 offset:4
	buffer_load_dword v2, off, s[0:3], 0 offset:8
	;; [unrolled: 1-line block ×3, first 2 shown]
	v_mov_b32_e32 v4, s63
	v_mov_b32_e32 v153, s13
	;; [unrolled: 1-line block ×4, first 2 shown]
	s_clause 0x3
	buffer_load_dword v35, v4, s[0:3], 0 offen
	buffer_load_dword v36, v4, s[0:3], 0 offen offset:4
	buffer_load_dword v37, v4, s[0:3], 0 offen offset:8
	;; [unrolled: 1-line block ×3, first 2 shown]
	v_mov_b32_e32 v4, s62
	v_mov_b32_e32 v154, s12
	;; [unrolled: 1-line block ×3, first 2 shown]
	s_clause 0x3
	buffer_load_dword v39, v4, s[0:3], 0 offen
	buffer_load_dword v40, v4, s[0:3], 0 offen offset:4
	buffer_load_dword v41, v4, s[0:3], 0 offen offset:8
	;; [unrolled: 1-line block ×3, first 2 shown]
	v_mov_b32_e32 v4, s61
	v_mov_b32_e32 v158, s7
	s_clause 0x3
	buffer_load_dword v43, v4, s[0:3], 0 offen
	buffer_load_dword v44, v4, s[0:3], 0 offen offset:4
	buffer_load_dword v45, v4, s[0:3], 0 offen offset:8
	buffer_load_dword v46, v4, s[0:3], 0 offen offset:12
	v_mov_b32_e32 v4, s60
	s_clause 0x3
	buffer_load_dword v133, v4, s[0:3], 0 offen
	buffer_load_dword v134, v4, s[0:3], 0 offen offset:4
	buffer_load_dword v135, v4, s[0:3], 0 offen offset:8
	buffer_load_dword v136, v4, s[0:3], 0 offen offset:12
	;; [unrolled: 6-line block ×3, first 2 shown]
	v_mov_b32_e32 v4, s58
	v_mov_b32_e32 v159, s6
	s_waitcnt vmcnt(20)
	global_store_dwordx4 v[49:50], v[0:3], off
	s_clause 0x3
	buffer_load_dword v0, v4, s[0:3], 0 offen
	buffer_load_dword v1, v4, s[0:3], 0 offen offset:4
	buffer_load_dword v2, v4, s[0:3], 0 offen offset:8
	;; [unrolled: 1-line block ×3, first 2 shown]
	v_mov_b32_e32 v4, s57
	s_clause 0x3
	buffer_load_dword v47, v4, s[0:3], 0 offen
	buffer_load_dword v48, v4, s[0:3], 0 offen offset:4
	buffer_load_dword v49, v4, s[0:3], 0 offen offset:8
	;; [unrolled: 1-line block ×3, first 2 shown]
	v_mov_b32_e32 v4, s56
	s_waitcnt vmcnt(24)
	global_store_dwordx4 v[51:52], v[35:38], off
	v_mov_b32_e32 v51, s53
	s_clause 0x3
	buffer_load_dword v35, v4, s[0:3], 0 offen
	buffer_load_dword v36, v4, s[0:3], 0 offen offset:4
	buffer_load_dword v37, v4, s[0:3], 0 offen offset:8
	buffer_load_dword v38, v4, s[0:3], 0 offen offset:12
	v_mov_b32_e32 v4, s55
	s_waitcnt vmcnt(24)
	global_store_dwordx4 v[131:132], v[39:42], off
	s_clause 0x3
	buffer_load_dword v39, v4, s[0:3], 0 offen
	buffer_load_dword v40, v4, s[0:3], 0 offen offset:4
	buffer_load_dword v41, v4, s[0:3], 0 offen offset:8
	;; [unrolled: 1-line block ×3, first 2 shown]
	v_mov_b32_e32 v4, s54
	s_waitcnt vmcnt(24)
	global_store_dwordx4 v[129:130], v[43:46], off
	s_clause 0x7
	buffer_load_dword v43, v4, s[0:3], 0 offen
	buffer_load_dword v44, v4, s[0:3], 0 offen offset:4
	buffer_load_dword v45, v4, s[0:3], 0 offen offset:8
	;; [unrolled: 1-line block ×3, first 2 shown]
	buffer_load_dword v129, v51, s[0:3], 0 offen
	buffer_load_dword v130, v51, s[0:3], 0 offen offset:4
	buffer_load_dword v131, v51, s[0:3], 0 offen offset:8
	;; [unrolled: 1-line block ×3, first 2 shown]
	v_mov_b32_e32 v4, s52
	s_waitcnt vmcnt(28)
	global_store_dwordx4 v[125:126], v[133:136], off
	s_clause 0x3
	buffer_load_dword v133, v4, s[0:3], 0 offen
	buffer_load_dword v134, v4, s[0:3], 0 offen offset:4
	buffer_load_dword v135, v4, s[0:3], 0 offen offset:8
	;; [unrolled: 1-line block ×3, first 2 shown]
	v_mov_b32_e32 v4, s51
	s_clause 0x3
	buffer_load_dword v141, v4, s[0:3], 0 offen
	buffer_load_dword v142, v4, s[0:3], 0 offen offset:4
	buffer_load_dword v143, v4, s[0:3], 0 offen offset:8
	;; [unrolled: 1-line block ×3, first 2 shown]
	v_mov_b32_e32 v4, s50
	s_waitcnt vmcnt(32)
	global_store_dwordx4 v[127:128], v[137:140], off
	s_clause 0x3
	buffer_load_dword v125, v4, s[0:3], 0 offen
	buffer_load_dword v126, v4, s[0:3], 0 offen offset:4
	buffer_load_dword v127, v4, s[0:3], 0 offen offset:8
	;; [unrolled: 1-line block ×3, first 2 shown]
	v_mov_b32_e32 v4, s49
	v_mov_b32_e32 v51, s44
	;; [unrolled: 1-line block ×3, first 2 shown]
	s_waitcnt vmcnt(32)
	global_store_dwordx4 v[123:124], v[0:3], off
	s_clause 0x3
	buffer_load_dword v0, v4, s[0:3], 0 offen
	buffer_load_dword v1, v4, s[0:3], 0 offen offset:4
	buffer_load_dword v2, v4, s[0:3], 0 offen offset:8
	;; [unrolled: 1-line block ×3, first 2 shown]
	v_mov_b32_e32 v4, s48
	s_clause 0x3
	buffer_load_dword v137, v4, s[0:3], 0 offen
	buffer_load_dword v138, v4, s[0:3], 0 offen offset:4
	buffer_load_dword v139, v4, s[0:3], 0 offen offset:8
	buffer_load_dword v140, v4, s[0:3], 0 offen offset:12
	v_mov_b32_e32 v4, s47
	s_waitcnt vmcnt(36)
	global_store_dwordx4 v[121:122], v[47:50], off
	s_clause 0x3
	buffer_load_dword v47, v4, s[0:3], 0 offen
	buffer_load_dword v48, v4, s[0:3], 0 offen offset:4
	buffer_load_dword v49, v4, s[0:3], 0 offen offset:8
	buffer_load_dword v50, v4, s[0:3], 0 offen offset:12
	v_mov_b32_e32 v4, s46
	s_waitcnt vmcnt(36)
	global_store_dwordx4 v[119:120], v[35:38], off
	;; [unrolled: 8-line block ×3, first 2 shown]
	s_clause 0x3
	buffer_load_dword v39, v4, s[0:3], 0 offen
	buffer_load_dword v40, v4, s[0:3], 0 offen offset:4
	buffer_load_dword v41, v4, s[0:3], 0 offen offset:8
	;; [unrolled: 1-line block ×3, first 2 shown]
	v_mov_b32_e32 v4, s43
	s_clause 0x3
	buffer_load_dword v119, v51, s[0:3], 0 offen
	buffer_load_dword v120, v51, s[0:3], 0 offen offset:4
	buffer_load_dword v121, v51, s[0:3], 0 offen offset:8
	;; [unrolled: 1-line block ×3, first 2 shown]
	v_mov_b32_e32 v51, s42
	s_waitcnt vmcnt(40)
	global_store_dwordx4 v[107:108], v[43:46], off
	s_clause 0x3
	buffer_load_dword v43, v4, s[0:3], 0 offen
	buffer_load_dword v44, v4, s[0:3], 0 offen offset:4
	buffer_load_dword v45, v4, s[0:3], 0 offen offset:8
	buffer_load_dword v46, v4, s[0:3], 0 offen offset:12
	v_mov_b32_e32 v4, s40
	s_waitcnt vmcnt(40)
	global_store_dwordx4 v[103:104], v[129:132], off
	s_clause 0x7
	buffer_load_dword v107, v51, s[0:3], 0 offen
	buffer_load_dword v108, v51, s[0:3], 0 offen offset:4
	buffer_load_dword v109, v51, s[0:3], 0 offen offset:8
	buffer_load_dword v110, v51, s[0:3], 0 offen offset:12
	buffer_load_dword v129, v52, s[0:3], 0 offen
	buffer_load_dword v130, v52, s[0:3], 0 offen offset:4
	buffer_load_dword v131, v52, s[0:3], 0 offen offset:8
	buffer_load_dword v132, v52, s[0:3], 0 offen offset:12
	v_mov_b32_e32 v51, s39
	s_waitcnt vmcnt(44)
	global_store_dwordx4 v[99:100], v[133:136], off
	s_clause 0x7
	buffer_load_dword v133, v4, s[0:3], 0 offen
	buffer_load_dword v134, v4, s[0:3], 0 offen offset:4
	buffer_load_dword v135, v4, s[0:3], 0 offen offset:8
	buffer_load_dword v136, v4, s[0:3], 0 offen offset:12
	;; [unrolled: 12-line block ×3, first 2 shown]
	v_mov_b32_e32 v4, s37
	v_mov_b32_e32 v51, s36
	s_waitcnt vmcnt(48)
	global_store_dwordx4 v[95:96], v[125:128], off
	s_clause 0x7
	buffer_load_dword v123, v4, s[0:3], 0 offen
	buffer_load_dword v124, v4, s[0:3], 0 offen offset:4
	buffer_load_dword v125, v4, s[0:3], 0 offen offset:8
	;; [unrolled: 1-line block ×3, first 2 shown]
	buffer_load_dword v141, v51, s[0:3], 0 offen
	buffer_load_dword v142, v51, s[0:3], 0 offen offset:4
	buffer_load_dword v143, v51, s[0:3], 0 offen offset:8
	;; [unrolled: 1-line block ×3, first 2 shown]
	v_mov_b32_e32 v4, s34
	v_mov_b32_e32 v51, s33
	;; [unrolled: 1-line block ×6, first 2 shown]
	s_waitcnt vmcnt(52)
	global_store_dwordx4 v[91:92], v[0:3], off
	v_mov_b32_e32 v3, s35
	v_mov_b32_e32 v91, s19
	;; [unrolled: 1-line block ×3, first 2 shown]
	s_clause 0x3
	buffer_load_dword v0, v3, s[0:3], 0 offen
	buffer_load_dword v1, v3, s[0:3], 0 offen offset:4
	buffer_load_dword v2, v3, s[0:3], 0 offen offset:8
	;; [unrolled: 1-line block ×3, first 2 shown]
	s_waitcnt vmcnt(52)
	global_store_dwordx4 v[87:88], v[137:140], off
	s_clause 0x7
	buffer_load_dword v137, v4, s[0:3], 0 offen
	buffer_load_dword v138, v4, s[0:3], 0 offen offset:4
	buffer_load_dword v139, v4, s[0:3], 0 offen offset:8
	;; [unrolled: 1-line block ×3, first 2 shown]
	buffer_load_dword v149, v51, s[0:3], 0 offen
	buffer_load_dword v150, v51, s[0:3], 0 offen offset:4
	buffer_load_dword v151, v51, s[0:3], 0 offen offset:8
	buffer_load_dword v152, v51, s[0:3], 0 offen offset:12
	v_mov_b32_e32 v4, s31
	v_mov_b32_e32 v51, s28
	;; [unrolled: 1-line block ×3, first 2 shown]
	s_waitcnt vmcnt(56)
	global_store_dwordx4 v[83:84], v[47:50], off
	s_clause 0x3
	buffer_load_dword v47, v4, s[0:3], 0 offen
	buffer_load_dword v48, v4, s[0:3], 0 offen offset:4
	buffer_load_dword v49, v4, s[0:3], 0 offen offset:8
	;; [unrolled: 1-line block ×3, first 2 shown]
	v_mov_b32_e32 v4, s30
	v_mov_b32_e32 v83, s23
	;; [unrolled: 1-line block ×3, first 2 shown]
	s_waitcnt vmcnt(56)
	global_store_dwordx4 v[79:80], v[35:38], off
	s_clause 0x3
	buffer_load_dword v35, v4, s[0:3], 0 offen
	buffer_load_dword v36, v4, s[0:3], 0 offen offset:4
	buffer_load_dword v37, v4, s[0:3], 0 offen offset:8
	;; [unrolled: 1-line block ×3, first 2 shown]
	v_mov_b32_e32 v4, s29
	v_mov_b32_e32 v79, s27
	;; [unrolled: 1-line block ×3, first 2 shown]
	s_waitcnt vmcnt(56)
	global_store_dwordx4 v[71:72], v[39:42], off
	v_mov_b32_e32 v71, s25
	s_waitcnt vmcnt(52)
	global_store_dwordx4 v[57:58], v[119:122], off
	v_mov_b32_e32 v72, s24
	v_mov_b32_e32 v88, s20
	s_waitcnt vmcnt(48)
	global_store_dwordx4 v[61:62], v[43:46], off
	s_waitcnt vmcnt(44)
	global_store_dwordx4 v[53:54], v[107:110], off
	s_waitcnt vmcnt(40)
	global_store_dwordx4 v[55:56], v[129:132], off
	s_clause 0x7
	buffer_load_dword v39, v4, s[0:3], 0 offen
	buffer_load_dword v40, v4, s[0:3], 0 offen offset:4
	buffer_load_dword v41, v4, s[0:3], 0 offen offset:8
	buffer_load_dword v42, v4, s[0:3], 0 offen offset:12
	buffer_load_dword v43, v51, s[0:3], 0 offen
	buffer_load_dword v44, v51, s[0:3], 0 offen offset:4
	buffer_load_dword v45, v51, s[0:3], 0 offen offset:8
	buffer_load_dword v46, v51, s[0:3], 0 offen offset:12
	s_waitcnt vmcnt(44)
	global_store_dwordx4 v[59:60], v[133:136], off
	s_clause 0x7
	buffer_load_dword v51, v79, s[0:3], 0 offen
	buffer_load_dword v52, v79, s[0:3], 0 offen offset:4
	buffer_load_dword v53, v79, s[0:3], 0 offen offset:8
	buffer_load_dword v54, v79, s[0:3], 0 offen offset:12
	buffer_load_dword v55, v80, s[0:3], 0 offen
	buffer_load_dword v56, v80, s[0:3], 0 offen offset:4
	buffer_load_dword v57, v80, s[0:3], 0 offen offset:8
	buffer_load_dword v58, v80, s[0:3], 0 offen offset:12
	s_waitcnt vmcnt(48)
	global_store_dwordx4 v[63:64], v[145:148], off
	;; [unrolled: 11-line block ×7, first 2 shown]
	s_clause 0x7
	buffer_load_dword v131, v103, s[0:3], 0 offen
	buffer_load_dword v132, v103, s[0:3], 0 offen offset:4
	buffer_load_dword v133, v103, s[0:3], 0 offen offset:8
	;; [unrolled: 1-line block ×3, first 2 shown]
	buffer_load_dword v135, v104, s[0:3], 0 offen
	buffer_load_dword v136, v104, s[0:3], 0 offen offset:4
	buffer_load_dword v137, v104, s[0:3], 0 offen offset:8
	;; [unrolled: 1-line block ×3, first 2 shown]
	global_store_dwordx4 v[77:78], v[149:152], off
	s_clause 0x7
	buffer_load_dword v75, v153, s[0:3], 0 offen
	buffer_load_dword v76, v153, s[0:3], 0 offen offset:4
	buffer_load_dword v77, v153, s[0:3], 0 offen offset:8
	;; [unrolled: 1-line block ×3, first 2 shown]
	buffer_load_dword v139, v154, s[0:3], 0 offen
	buffer_load_dword v140, v154, s[0:3], 0 offen offset:4
	buffer_load_dword v141, v154, s[0:3], 0 offen offset:8
	;; [unrolled: 1-line block ×3, first 2 shown]
	s_waitcnt vmcnt(62)
	global_store_dwordx4 v[81:82], v[47:50], off
	s_clause 0x7
	buffer_load_dword v47, v155, s[0:3], 0 offen
	buffer_load_dword v48, v155, s[0:3], 0 offen offset:4
	buffer_load_dword v49, v155, s[0:3], 0 offen offset:8
	;; [unrolled: 1-line block ×3, first 2 shown]
	buffer_load_dword v79, v156, s[0:3], 0 offen
	buffer_load_dword v80, v156, s[0:3], 0 offen offset:4
	buffer_load_dword v81, v156, s[0:3], 0 offen offset:8
	;; [unrolled: 1-line block ×3, first 2 shown]
	global_store_dwordx4 v[85:86], v[35:38], off
	s_clause 0xb
	buffer_load_dword v35, v157, s[0:3], 0 offen
	buffer_load_dword v36, v157, s[0:3], 0 offen offset:4
	buffer_load_dword v37, v157, s[0:3], 0 offen offset:8
	buffer_load_dword v38, v157, s[0:3], 0 offen offset:12
	buffer_load_dword v83, v158, s[0:3], 0 offen
	buffer_load_dword v84, v158, s[0:3], 0 offen offset:4
	buffer_load_dword v85, v158, s[0:3], 0 offen offset:8
	buffer_load_dword v86, v158, s[0:3], 0 offen offset:12
	;; [unrolled: 4-line block ×3, first 2 shown]
	global_store_dwordx4 v[89:90], v[39:42], off
	global_store_dwordx4 v[93:94], v[43:46], off
	s_waitcnt vmcnt(62)
	global_store_dwordx4 v[97:98], v[51:54], off
	global_store_dwordx4 v[105:106], v[55:58], off
	;; [unrolled: 1-line block ×5, first 2 shown]
	s_waitcnt vmcnt(60)
	global_store_dwordx4 v[117:118], v[99:102], off
	s_waitcnt vmcnt(56)
	global_store_dwordx4 v[5:6], v[119:122], off
	;; [unrolled: 2-line block ×16, first 2 shown]
.LBB56_899:
	s_endpgm
	.section	.rodata,"a",@progbits
	.p2align	6, 0x0
	.amdhsa_kernel _ZN9rocsolver6v33100L18trti2_kernel_smallILi57E19rocblas_complex_numIdEPS3_EEv13rocblas_fill_17rocblas_diagonal_T1_iil
		.amdhsa_group_segment_fixed_size 1824
		.amdhsa_private_segment_fixed_size 928
		.amdhsa_kernarg_size 32
		.amdhsa_user_sgpr_count 6
		.amdhsa_user_sgpr_private_segment_buffer 1
		.amdhsa_user_sgpr_dispatch_ptr 0
		.amdhsa_user_sgpr_queue_ptr 0
		.amdhsa_user_sgpr_kernarg_segment_ptr 1
		.amdhsa_user_sgpr_dispatch_id 0
		.amdhsa_user_sgpr_flat_scratch_init 0
		.amdhsa_user_sgpr_private_segment_size 0
		.amdhsa_wavefront_size32 1
		.amdhsa_uses_dynamic_stack 0
		.amdhsa_system_sgpr_private_segment_wavefront_offset 1
		.amdhsa_system_sgpr_workgroup_id_x 1
		.amdhsa_system_sgpr_workgroup_id_y 0
		.amdhsa_system_sgpr_workgroup_id_z 0
		.amdhsa_system_sgpr_workgroup_info 0
		.amdhsa_system_vgpr_workitem_id 0
		.amdhsa_next_free_vgpr 160
		.amdhsa_next_free_sgpr 90
		.amdhsa_reserve_vcc 1
		.amdhsa_reserve_flat_scratch 0
		.amdhsa_float_round_mode_32 0
		.amdhsa_float_round_mode_16_64 0
		.amdhsa_float_denorm_mode_32 3
		.amdhsa_float_denorm_mode_16_64 3
		.amdhsa_dx10_clamp 1
		.amdhsa_ieee_mode 1
		.amdhsa_fp16_overflow 0
		.amdhsa_workgroup_processor_mode 1
		.amdhsa_memory_ordered 1
		.amdhsa_forward_progress 1
		.amdhsa_shared_vgpr_count 0
		.amdhsa_exception_fp_ieee_invalid_op 0
		.amdhsa_exception_fp_denorm_src 0
		.amdhsa_exception_fp_ieee_div_zero 0
		.amdhsa_exception_fp_ieee_overflow 0
		.amdhsa_exception_fp_ieee_underflow 0
		.amdhsa_exception_fp_ieee_inexact 0
		.amdhsa_exception_int_div_zero 0
	.end_amdhsa_kernel
	.section	.text._ZN9rocsolver6v33100L18trti2_kernel_smallILi57E19rocblas_complex_numIdEPS3_EEv13rocblas_fill_17rocblas_diagonal_T1_iil,"axG",@progbits,_ZN9rocsolver6v33100L18trti2_kernel_smallILi57E19rocblas_complex_numIdEPS3_EEv13rocblas_fill_17rocblas_diagonal_T1_iil,comdat
.Lfunc_end56:
	.size	_ZN9rocsolver6v33100L18trti2_kernel_smallILi57E19rocblas_complex_numIdEPS3_EEv13rocblas_fill_17rocblas_diagonal_T1_iil, .Lfunc_end56-_ZN9rocsolver6v33100L18trti2_kernel_smallILi57E19rocblas_complex_numIdEPS3_EEv13rocblas_fill_17rocblas_diagonal_T1_iil
                                        ; -- End function
	.set _ZN9rocsolver6v33100L18trti2_kernel_smallILi57E19rocblas_complex_numIdEPS3_EEv13rocblas_fill_17rocblas_diagonal_T1_iil.num_vgpr, 160
	.set _ZN9rocsolver6v33100L18trti2_kernel_smallILi57E19rocblas_complex_numIdEPS3_EEv13rocblas_fill_17rocblas_diagonal_T1_iil.num_agpr, 0
	.set _ZN9rocsolver6v33100L18trti2_kernel_smallILi57E19rocblas_complex_numIdEPS3_EEv13rocblas_fill_17rocblas_diagonal_T1_iil.numbered_sgpr, 90
	.set _ZN9rocsolver6v33100L18trti2_kernel_smallILi57E19rocblas_complex_numIdEPS3_EEv13rocblas_fill_17rocblas_diagonal_T1_iil.num_named_barrier, 0
	.set _ZN9rocsolver6v33100L18trti2_kernel_smallILi57E19rocblas_complex_numIdEPS3_EEv13rocblas_fill_17rocblas_diagonal_T1_iil.private_seg_size, 928
	.set _ZN9rocsolver6v33100L18trti2_kernel_smallILi57E19rocblas_complex_numIdEPS3_EEv13rocblas_fill_17rocblas_diagonal_T1_iil.uses_vcc, 1
	.set _ZN9rocsolver6v33100L18trti2_kernel_smallILi57E19rocblas_complex_numIdEPS3_EEv13rocblas_fill_17rocblas_diagonal_T1_iil.uses_flat_scratch, 0
	.set _ZN9rocsolver6v33100L18trti2_kernel_smallILi57E19rocblas_complex_numIdEPS3_EEv13rocblas_fill_17rocblas_diagonal_T1_iil.has_dyn_sized_stack, 0
	.set _ZN9rocsolver6v33100L18trti2_kernel_smallILi57E19rocblas_complex_numIdEPS3_EEv13rocblas_fill_17rocblas_diagonal_T1_iil.has_recursion, 0
	.set _ZN9rocsolver6v33100L18trti2_kernel_smallILi57E19rocblas_complex_numIdEPS3_EEv13rocblas_fill_17rocblas_diagonal_T1_iil.has_indirect_call, 0
	.section	.AMDGPU.csdata,"",@progbits
; Kernel info:
; codeLenInByte = 58084
; TotalNumSgprs: 92
; NumVgprs: 160
; ScratchSize: 928
; MemoryBound: 0
; FloatMode: 240
; IeeeMode: 1
; LDSByteSize: 1824 bytes/workgroup (compile time only)
; SGPRBlocks: 0
; VGPRBlocks: 19
; NumSGPRsForWavesPerEU: 92
; NumVGPRsForWavesPerEU: 160
; Occupancy: 6
; WaveLimiterHint : 0
; COMPUTE_PGM_RSRC2:SCRATCH_EN: 1
; COMPUTE_PGM_RSRC2:USER_SGPR: 6
; COMPUTE_PGM_RSRC2:TRAP_HANDLER: 0
; COMPUTE_PGM_RSRC2:TGID_X_EN: 1
; COMPUTE_PGM_RSRC2:TGID_Y_EN: 0
; COMPUTE_PGM_RSRC2:TGID_Z_EN: 0
; COMPUTE_PGM_RSRC2:TIDIG_COMP_CNT: 0
	.section	.text._ZN9rocsolver6v33100L18trti2_kernel_smallILi58E19rocblas_complex_numIdEPS3_EEv13rocblas_fill_17rocblas_diagonal_T1_iil,"axG",@progbits,_ZN9rocsolver6v33100L18trti2_kernel_smallILi58E19rocblas_complex_numIdEPS3_EEv13rocblas_fill_17rocblas_diagonal_T1_iil,comdat
	.globl	_ZN9rocsolver6v33100L18trti2_kernel_smallILi58E19rocblas_complex_numIdEPS3_EEv13rocblas_fill_17rocblas_diagonal_T1_iil ; -- Begin function _ZN9rocsolver6v33100L18trti2_kernel_smallILi58E19rocblas_complex_numIdEPS3_EEv13rocblas_fill_17rocblas_diagonal_T1_iil
	.p2align	8
	.type	_ZN9rocsolver6v33100L18trti2_kernel_smallILi58E19rocblas_complex_numIdEPS3_EEv13rocblas_fill_17rocblas_diagonal_T1_iil,@function
_ZN9rocsolver6v33100L18trti2_kernel_smallILi58E19rocblas_complex_numIdEPS3_EEv13rocblas_fill_17rocblas_diagonal_T1_iil: ; @_ZN9rocsolver6v33100L18trti2_kernel_smallILi58E19rocblas_complex_numIdEPS3_EEv13rocblas_fill_17rocblas_diagonal_T1_iil
; %bb.0:
	s_add_u32 s0, s0, s7
	s_addc_u32 s1, s1, 0
	s_mov_b32 s7, exec_lo
	v_cmpx_gt_u32_e32 58, v0
	s_cbranch_execz .LBB57_915
; %bb.1:
	s_load_dwordx8 s[8:15], s[4:5], 0x0
	s_ashr_i32 s4, s6, 31
	v_lshlrev_b32_e32 v161, 4, v0
	s_movk_i32 s16, 0xf0
	s_movk_i32 s17, 0x100
	;; [unrolled: 1-line block ×17, first 2 shown]
	s_waitcnt lgkmcnt(0)
	s_mul_hi_u32 s5, s14, s6
	s_mul_i32 s4, s14, s4
	s_mul_i32 s7, s15, s6
	s_add_i32 s5, s5, s4
	s_mul_i32 s4, s14, s6
	s_add_i32 s5, s5, s7
	s_ashr_i32 s7, s12, 31
	s_lshl_b64 s[4:5], s[4:5], 4
	s_mov_b32 s6, s12
	s_add_u32 s10, s10, s4
	s_addc_u32 s11, s11, s5
	s_lshl_b64 s[4:5], s[6:7], 4
	v_add3_u32 v7, s13, s13, v0
	s_add_u32 s4, s10, s4
	s_addc_u32 s5, s11, s5
	v_add_co_u32 v77, s10, s4, v161
	global_load_dwordx4 v[1:4], v161, s[4:5]
	v_add_nc_u32_e32 v6, s13, v7
	v_ashrrev_i32_e32 v8, 31, v7
	s_mov_b32 s6, s13
	s_ashr_i32 s7, s13, 31
	v_add_co_ci_u32_e64 v78, null, s5, 0, s10
	v_add_nc_u32_e32 v5, s13, v6
	v_lshlrev_b64 v[7:8], 4, v[7:8]
	s_lshl_b64 s[6:7], s[6:7], 4
	s_cmpk_lg_i32 s9, 0x84
	v_add_co_u32 v87, vcc_lo, v77, s6
	v_add_nc_u32_e32 v11, s13, v5
	v_add_co_ci_u32_e64 v88, null, s7, v78, vcc_lo
	v_add_co_u32 v99, vcc_lo, s4, v7
	v_add_nc_u32_e32 v13, s13, v11
	v_ashrrev_i32_e32 v7, 31, v6
	v_add_co_ci_u32_e64 v100, null, s5, v8, vcc_lo
	global_load_dwordx4 v[89:92], v[87:88], off
	v_add_nc_u32_e32 v15, s13, v13
	v_lshlrev_b64 v[6:7], 4, v[6:7]
	global_load_dwordx4 v[93:96], v[99:100], off
	v_ashrrev_i32_e32 v12, 31, v11
	v_ashrrev_i32_e32 v14, 31, v13
	v_add_nc_u32_e32 v17, s13, v15
	v_ashrrev_i32_e32 v16, 31, v15
	v_add_co_u32 v123, vcc_lo, s4, v6
	v_ashrrev_i32_e32 v6, 31, v5
	v_add_nc_u32_e32 v19, s13, v17
	v_add_co_ci_u32_e64 v124, null, s5, v7, vcc_lo
	v_lshlrev_b64 v[11:12], 4, v[11:12]
	v_lshlrev_b64 v[5:6], 4, v[5:6]
	v_add_nc_u32_e32 v21, s13, v19
	global_load_dwordx4 v[101:104], v[123:124], off
	v_lshlrev_b64 v[15:16], 4, v[15:16]
	v_ashrrev_i32_e32 v18, 31, v17
	v_ashrrev_i32_e32 v20, 31, v19
	v_add_nc_u32_e32 v23, s13, v21
	v_ashrrev_i32_e32 v22, 31, v21
	s_movk_i32 s6, 0x70
	s_movk_i32 s7, 0x80
	s_movk_i32 s10, 0x90
	v_add_nc_u32_e32 v25, s13, v23
	v_ashrrev_i32_e32 v24, 31, v23
	s_movk_i32 s11, 0xa0
	s_movk_i32 s12, 0xb0
	s_movk_i32 s14, 0xd0
	;; [unrolled: 5-line block ×11, first 2 shown]
	v_add_nc_u32_e32 v45, s13, v43
	v_ashrrev_i32_e32 v44, 31, v43
	s_cselect_b32 s66, -1, 0
	s_cmpk_eq_i32 s9, 0x84
	v_add_nc_u32_e32 v47, s13, v45
	v_ashrrev_i32_e32 v46, 31, v45
	v_add_nc_u32_e32 v49, s13, v47
	v_ashrrev_i32_e32 v48, 31, v47
	;; [unrolled: 2-line block ×35, first 2 shown]
	s_movk_i32 s13, 0xc0
	v_ashrrev_i32_e32 v9, 31, v8
	v_lshlrev_b64 v[7:8], 4, v[8:9]
	v_add_co_u32 v9, vcc_lo, s4, v7
	v_add_co_ci_u32_e64 v10, null, s5, v8, vcc_lo
	v_add_co_u32 v119, vcc_lo, s4, v5
	v_add_co_ci_u32_e64 v120, null, s5, v6, vcc_lo
	global_load_dwordx4 v[5:8], v[9:10], off
	v_add_co_u32 v121, vcc_lo, s4, v11
	v_add_co_ci_u32_e64 v122, null, s5, v12, vcc_lo
	v_lshlrev_b64 v[11:12], 4, v[13:14]
	s_waitcnt vmcnt(4)
	buffer_store_dword v4, off, s[0:3], 0 offset:12
	buffer_store_dword v3, off, s[0:3], 0 offset:8
	;; [unrolled: 1-line block ×3, first 2 shown]
	buffer_store_dword v1, off, s[0:3], 0
	global_load_dwordx4 v[1:4], v[119:120], off
	v_add_co_u32 v117, vcc_lo, s4, v11
	v_add_co_ci_u32_e64 v118, null, s5, v12, vcc_lo
	v_add_co_u32 v115, vcc_lo, s4, v15
	s_waitcnt vmcnt(4)
	buffer_store_dword v92, off, s[0:3], 0 offset:28
	buffer_store_dword v91, off, s[0:3], 0 offset:24
	;; [unrolled: 1-line block ×4, first 2 shown]
	global_load_dwordx4 v[89:92], v[121:122], off
	s_waitcnt vmcnt(4)
	buffer_store_dword v96, off, s[0:3], 0 offset:44
	buffer_store_dword v95, off, s[0:3], 0 offset:40
	;; [unrolled: 1-line block ×4, first 2 shown]
	global_load_dwordx4 v[11:14], v[117:118], off
	v_add_co_ci_u32_e64 v116, null, s5, v16, vcc_lo
	s_waitcnt vmcnt(4)
	buffer_store_dword v104, off, s[0:3], 0 offset:60
	buffer_store_dword v103, off, s[0:3], 0 offset:56
	;; [unrolled: 1-line block ×4, first 2 shown]
	v_lshlrev_b64 v[15:16], 4, v[17:18]
	global_load_dwordx4 v[93:96], v[115:116], off
	s_waitcnt vmcnt(3)
	buffer_store_dword v4, off, s[0:3], 0 offset:76
	buffer_store_dword v3, off, s[0:3], 0 offset:72
	;; [unrolled: 1-line block ×4, first 2 shown]
	v_add_co_u32 v113, vcc_lo, s4, v15
	v_add_co_ci_u32_e64 v114, null, s5, v16, vcc_lo
	v_lshlrev_b64 v[15:16], 4, v[19:20]
	v_lshlrev_b64 v[19:20], 4, v[21:22]
	global_load_dwordx4 v[1:4], v[113:114], off
	s_waitcnt vmcnt(3)
	buffer_store_dword v92, off, s[0:3], 0 offset:92
	buffer_store_dword v91, off, s[0:3], 0 offset:88
	;; [unrolled: 1-line block ×4, first 2 shown]
	v_add_co_u32 v111, vcc_lo, s4, v15
	v_add_co_ci_u32_e64 v112, null, s5, v16, vcc_lo
	v_add_co_u32 v109, vcc_lo, s4, v19
	v_add_co_ci_u32_e64 v110, null, s5, v20, vcc_lo
	global_load_dwordx4 v[15:18], v[111:112], off
	s_waitcnt vmcnt(3)
	buffer_store_dword v14, off, s[0:3], 0 offset:108
	buffer_store_dword v13, off, s[0:3], 0 offset:104
	;; [unrolled: 1-line block ×4, first 2 shown]
	v_lshlrev_b64 v[19:20], 4, v[23:24]
	global_load_dwordx4 v[11:14], v[109:110], off
	s_waitcnt vmcnt(3)
	buffer_store_dword v96, off, s[0:3], 0 offset:124
	buffer_store_dword v95, off, s[0:3], 0 offset:120
	;; [unrolled: 1-line block ×4, first 2 shown]
	v_add_co_u32 v107, vcc_lo, s4, v19
	v_add_co_ci_u32_e64 v108, null, s5, v20, vcc_lo
	v_lshlrev_b64 v[23:24], 4, v[25:26]
	global_load_dwordx4 v[19:22], v[107:108], off
	s_waitcnt vmcnt(3)
	buffer_store_dword v4, off, s[0:3], 0 offset:140
	buffer_store_dword v3, off, s[0:3], 0 offset:136
	buffer_store_dword v2, off, s[0:3], 0 offset:132
	buffer_store_dword v1, off, s[0:3], 0 offset:128
	v_add_co_u32 v105, vcc_lo, s4, v23
	v_add_co_ci_u32_e64 v106, null, s5, v24, vcc_lo
	v_lshlrev_b64 v[23:24], 4, v[27:28]
	v_lshlrev_b64 v[27:28], 4, v[75:76]
	global_load_dwordx4 v[1:4], v[105:106], off
	s_waitcnt vmcnt(3)
	buffer_store_dword v15, off, s[0:3], 0 offset:144
	buffer_store_dword v16, off, s[0:3], 0 offset:148
	buffer_store_dword v17, off, s[0:3], 0 offset:152
	buffer_store_dword v18, off, s[0:3], 0 offset:156
	v_add_co_u32 v103, vcc_lo, s4, v23
	v_add_co_ci_u32_e64 v104, null, s5, v24, vcc_lo
	v_lshlrev_b64 v[23:24], 4, v[29:30]
	global_load_dwordx4 v[15:18], v[103:104], off
	s_waitcnt vmcnt(3)
	buffer_store_dword v11, off, s[0:3], 0 offset:160
	buffer_store_dword v12, off, s[0:3], 0 offset:164
	buffer_store_dword v13, off, s[0:3], 0 offset:168
	buffer_store_dword v14, off, s[0:3], 0 offset:172
	v_add_co_u32 v101, vcc_lo, s4, v23
	v_add_co_ci_u32_e64 v102, null, s5, v24, vcc_lo
	;; [unrolled: 9-line block ×10, first 2 shown]
	v_lshlrev_b64 v[11:12], 4, v[47:48]
	v_lshlrev_b64 v[13:14], 4, v[53:54]
	global_load_dwordx4 v[23:26], v[51:52], off
	s_waitcnt vmcnt(3)
	buffer_store_dword v22, off, s[0:3], 0 offset:316
	buffer_store_dword v21, off, s[0:3], 0 offset:312
	;; [unrolled: 1-line block ×4, first 2 shown]
	v_add_co_u32 v35, vcc_lo, s4, v11
	v_add_co_ci_u32_e64 v36, null, s5, v12, vcc_lo
	v_lshlrev_b64 v[11:12], 4, v[49:50]
	v_lshlrev_b64 v[49:50], 4, v[131:132]
	global_load_dwordx4 v[19:22], v[35:36], off
	s_waitcnt vmcnt(3)
	buffer_store_dword v4, off, s[0:3], 0 offset:332
	buffer_store_dword v3, off, s[0:3], 0 offset:328
	;; [unrolled: 1-line block ×4, first 2 shown]
	v_add_co_u32 v11, vcc_lo, s4, v11
	v_add_co_ci_u32_e64 v12, null, s5, v12, vcc_lo
	v_add_co_u32 v29, vcc_lo, s4, v13
	v_add_co_ci_u32_e64 v30, null, s5, v14, vcc_lo
	global_load_dwordx4 v[1:4], v[11:12], off
	v_lshlrev_b64 v[13:14], 4, v[55:56]
	s_waitcnt vmcnt(3)
	buffer_store_dword v18, off, s[0:3], 0 offset:348
	buffer_store_dword v17, off, s[0:3], 0 offset:344
	;; [unrolled: 1-line block ×4, first 2 shown]
	v_add_co_u32 v13, vcc_lo, s4, v13
	v_add_co_ci_u32_e64 v14, null, s5, v14, vcc_lo
	global_load_dwordx4 v[37:40], v[29:30], off
	s_waitcnt vmcnt(3)
	buffer_store_dword v26, off, s[0:3], 0 offset:364
	buffer_store_dword v25, off, s[0:3], 0 offset:360
	;; [unrolled: 1-line block ×4, first 2 shown]
	v_lshlrev_b64 v[15:16], 4, v[57:58]
	global_load_dwordx4 v[23:26], v[13:14], off
	s_waitcnt vmcnt(3)
	buffer_store_dword v22, off, s[0:3], 0 offset:380
	buffer_store_dword v21, off, s[0:3], 0 offset:376
	buffer_store_dword v20, off, s[0:3], 0 offset:372
	buffer_store_dword v19, off, s[0:3], 0 offset:368
	v_add_co_u32 v15, vcc_lo, s4, v15
	v_add_co_ci_u32_e64 v16, null, s5, v16, vcc_lo
	v_lshlrev_b64 v[17:18], 4, v[59:60]
	v_lshlrev_b64 v[19:20], 4, v[61:62]
	v_lshlrev_b64 v[21:22], 4, v[67:68]
	global_load_dwordx4 v[41:44], v[15:16], off
	s_waitcnt vmcnt(3)
	buffer_store_dword v4, off, s[0:3], 0 offset:396
	buffer_store_dword v3, off, s[0:3], 0 offset:392
	buffer_store_dword v2, off, s[0:3], 0 offset:388
	buffer_store_dword v1, off, s[0:3], 0 offset:384
	v_add_co_u32 v17, vcc_lo, s4, v17
	v_add_co_ci_u32_e64 v18, null, s5, v18, vcc_lo
	v_add_co_u32 v31, vcc_lo, s4, v19
	v_add_co_ci_u32_e64 v32, null, s5, v20, vcc_lo
	global_load_dwordx4 v[1:4], v[17:18], off
	v_lshlrev_b64 v[19:20], 4, v[63:64]
	s_waitcnt vmcnt(3)
	buffer_store_dword v40, off, s[0:3], 0 offset:412
	buffer_store_dword v39, off, s[0:3], 0 offset:408
	buffer_store_dword v38, off, s[0:3], 0 offset:404
	buffer_store_dword v37, off, s[0:3], 0 offset:400
	v_add_co_u32 v19, vcc_lo, s4, v19
	v_add_co_ci_u32_e64 v20, null, s5, v20, vcc_lo
	global_load_dwordx4 v[37:40], v[31:32], off
	s_waitcnt vmcnt(3)
	buffer_store_dword v26, off, s[0:3], 0 offset:428
	buffer_store_dword v25, off, s[0:3], 0 offset:424
	buffer_store_dword v24, off, s[0:3], 0 offset:420
	buffer_store_dword v23, off, s[0:3], 0 offset:416
	global_load_dwordx4 v[45:48], v[19:20], off
	v_add_co_u32 v21, vcc_lo, s4, v21
	v_add_co_ci_u32_e64 v22, null, s5, v22, vcc_lo
	s_waitcnt vmcnt(3)
	buffer_store_dword v44, off, s[0:3], 0 offset:444
	buffer_store_dword v43, off, s[0:3], 0 offset:440
	;; [unrolled: 1-line block ×4, first 2 shown]
	v_lshlrev_b64 v[23:24], 4, v[69:70]
	global_load_dwordx4 v[41:44], v[21:22], off
	v_lshlrev_b64 v[25:26], 4, v[71:72]
	s_waitcnt vmcnt(3)
	buffer_store_dword v4, off, s[0:3], 0 offset:460
	buffer_store_dword v3, off, s[0:3], 0 offset:456
	buffer_store_dword v2, off, s[0:3], 0 offset:452
	buffer_store_dword v1, off, s[0:3], 0 offset:448
	v_add_co_u32 v23, vcc_lo, s4, v23
	v_add_co_ci_u32_e64 v24, null, s5, v24, vcc_lo
	v_add_co_u32 v33, vcc_lo, s4, v25
	v_add_co_ci_u32_e64 v34, null, s5, v26, vcc_lo
	global_load_dwordx4 v[1:4], v[23:24], off
	v_lshlrev_b64 v[25:26], 4, v[73:74]
	s_waitcnt vmcnt(3)
	buffer_store_dword v40, off, s[0:3], 0 offset:476
	buffer_store_dword v39, off, s[0:3], 0 offset:472
	;; [unrolled: 1-line block ×4, first 2 shown]
	v_add_co_u32 v25, vcc_lo, s4, v25
	v_add_co_ci_u32_e64 v26, null, s5, v26, vcc_lo
	global_load_dwordx4 v[53:56], v[33:34], off
	s_waitcnt vmcnt(3)
	buffer_store_dword v48, off, s[0:3], 0 offset:492
	buffer_store_dword v47, off, s[0:3], 0 offset:488
	;; [unrolled: 1-line block ×4, first 2 shown]
	v_add_co_u32 v27, vcc_lo, s4, v27
	global_load_dwordx4 v[45:48], v[25:26], off
	v_add_co_ci_u32_e64 v28, null, s5, v28, vcc_lo
	s_waitcnt vmcnt(3)
	buffer_store_dword v44, off, s[0:3], 0 offset:508
	buffer_store_dword v43, off, s[0:3], 0 offset:504
	;; [unrolled: 1-line block ×4, first 2 shown]
	v_lshlrev_b64 v[37:38], 4, v[79:80]
	global_load_dwordx4 v[57:60], v[27:28], off
	v_lshlrev_b64 v[39:40], 4, v[83:84]
	v_lshlrev_b64 v[41:42], 4, v[85:86]
	;; [unrolled: 1-line block ×4, first 2 shown]
	v_add_co_u32 v37, vcc_lo, s4, v37
	v_add_co_ci_u32_e64 v38, null, s5, v38, vcc_lo
	v_add_co_u32 v39, vcc_lo, s4, v39
	v_add_co_ci_u32_e64 v40, null, s5, v40, vcc_lo
	;; [unrolled: 2-line block ×4, first 2 shown]
	s_waitcnt vmcnt(3)
	buffer_store_dword v4, off, s[0:3], 0 offset:524
	buffer_store_dword v3, off, s[0:3], 0 offset:520
	buffer_store_dword v2, off, s[0:3], 0 offset:516
	buffer_store_dword v1, off, s[0:3], 0 offset:512
	global_load_dwordx4 v[1:4], v[37:38], off
	s_waitcnt vmcnt(3)
	buffer_store_dword v56, off, s[0:3], 0 offset:540
	buffer_store_dword v55, off, s[0:3], 0 offset:536
	buffer_store_dword v54, off, s[0:3], 0 offset:532
	buffer_store_dword v53, off, s[0:3], 0 offset:528
	global_load_dwordx4 v[53:56], v[39:40], off
	;; [unrolled: 6-line block ×3, first 2 shown]
	s_waitcnt vmcnt(3)
	buffer_store_dword v60, off, s[0:3], 0 offset:572
	buffer_store_dword v59, off, s[0:3], 0 offset:568
	;; [unrolled: 1-line block ×4, first 2 shown]
	v_lshlrev_b64 v[45:46], 4, v[127:128]
	global_load_dwordx4 v[57:60], v[43:44], off
	v_lshlrev_b64 v[47:48], 4, v[129:130]
	s_waitcnt vmcnt(3)
	buffer_store_dword v4, off, s[0:3], 0 offset:588
	buffer_store_dword v3, off, s[0:3], 0 offset:584
	;; [unrolled: 1-line block ×4, first 2 shown]
	v_add_co_u32 v45, vcc_lo, s4, v45
	v_add_co_ci_u32_e64 v46, null, s5, v46, vcc_lo
	v_add_co_u32 v47, vcc_lo, s4, v47
	v_add_co_ci_u32_e64 v48, null, s5, v48, vcc_lo
	global_load_dwordx4 v[1:4], v[45:46], off
	v_add_co_u32 v49, vcc_lo, s4, v49
	v_add_co_ci_u32_e64 v50, null, s5, v50, vcc_lo
	s_waitcnt vmcnt(3)
	buffer_store_dword v56, off, s[0:3], 0 offset:604
	buffer_store_dword v55, off, s[0:3], 0 offset:600
	;; [unrolled: 1-line block ×4, first 2 shown]
	global_load_dwordx4 v[67:70], v[47:48], off
	s_waitcnt vmcnt(3)
	buffer_store_dword v64, off, s[0:3], 0 offset:620
	buffer_store_dword v63, off, s[0:3], 0 offset:616
	;; [unrolled: 1-line block ×4, first 2 shown]
	v_lshlrev_b64 v[53:54], 4, v[133:134]
	global_load_dwordx4 v[61:64], v[49:50], off
	s_waitcnt vmcnt(3)
	buffer_store_dword v60, off, s[0:3], 0 offset:636
	buffer_store_dword v59, off, s[0:3], 0 offset:632
	buffer_store_dword v58, off, s[0:3], 0 offset:628
	buffer_store_dword v57, off, s[0:3], 0 offset:624
	v_add_co_u32 v53, vcc_lo, s4, v53
	v_add_co_ci_u32_e64 v54, null, s5, v54, vcc_lo
	v_lshlrev_b64 v[55:56], 4, v[135:136]
	v_lshlrev_b64 v[57:58], 4, v[137:138]
	;; [unrolled: 1-line block ×3, first 2 shown]
	global_load_dwordx4 v[71:74], v[53:54], off
	s_waitcnt vmcnt(3)
	buffer_store_dword v4, off, s[0:3], 0 offset:652
	buffer_store_dword v3, off, s[0:3], 0 offset:648
	;; [unrolled: 1-line block ×4, first 2 shown]
	v_add_co_u32 v55, vcc_lo, s4, v55
	v_add_co_ci_u32_e64 v56, null, s5, v56, vcc_lo
	v_add_co_u32 v57, vcc_lo, s4, v57
	v_add_co_ci_u32_e64 v58, null, s5, v58, vcc_lo
	global_load_dwordx4 v[1:4], v[55:56], off
	s_waitcnt vmcnt(3)
	buffer_store_dword v70, off, s[0:3], 0 offset:668
	buffer_store_dword v69, off, s[0:3], 0 offset:664
	;; [unrolled: 1-line block ×4, first 2 shown]
	global_load_dwordx4 v[83:86], v[57:58], off
	s_waitcnt vmcnt(3)
	buffer_store_dword v64, off, s[0:3], 0 offset:684
	buffer_store_dword v63, off, s[0:3], 0 offset:680
	;; [unrolled: 1-line block ×4, first 2 shown]
	v_lshlrev_b64 v[61:62], 4, v[141:142]
	v_add_co_u32 v59, vcc_lo, s4, v59
	v_add_co_ci_u32_e64 v60, null, s5, v60, vcc_lo
	v_lshlrev_b64 v[63:64], 4, v[143:144]
	v_add_co_u32 v61, vcc_lo, s4, v61
	v_add_co_ci_u32_e64 v62, null, s5, v62, vcc_lo
	global_load_dwordx4 v[125:128], v[59:60], off
	s_waitcnt vmcnt(3)
	buffer_store_dword v74, off, s[0:3], 0 offset:700
	buffer_store_dword v73, off, s[0:3], 0 offset:696
	;; [unrolled: 1-line block ×4, first 2 shown]
	global_load_dwordx4 v[73:76], v[61:62], off
	v_add_co_u32 v63, vcc_lo, s4, v63
	v_add_co_ci_u32_e64 v64, null, s5, v64, vcc_lo
	v_lshlrev_b64 v[67:68], 4, v[145:146]
	v_lshlrev_b64 v[69:70], 4, v[147:148]
	;; [unrolled: 1-line block ×3, first 2 shown]
	s_waitcnt vmcnt(3)
	buffer_store_dword v4, off, s[0:3], 0 offset:716
	buffer_store_dword v3, off, s[0:3], 0 offset:712
	;; [unrolled: 1-line block ×4, first 2 shown]
	global_load_dwordx4 v[1:4], v[63:64], off
	v_add_co_u32 v67, vcc_lo, s4, v67
	v_add_co_ci_u32_e64 v68, null, s5, v68, vcc_lo
	v_add_co_u32 v69, vcc_lo, s4, v69
	v_add_co_ci_u32_e64 v70, null, s5, v70, vcc_lo
	s_waitcnt vmcnt(3)
	buffer_store_dword v86, off, s[0:3], 0 offset:732
	buffer_store_dword v85, off, s[0:3], 0 offset:728
	;; [unrolled: 1-line block ×4, first 2 shown]
	s_waitcnt vmcnt(2)
	buffer_store_dword v128, off, s[0:3], 0 offset:748
	global_load_dwordx4 v[83:86], v[67:68], off
	buffer_store_dword v127, off, s[0:3], 0 offset:744
	buffer_store_dword v126, off, s[0:3], 0 offset:740
	;; [unrolled: 1-line block ×3, first 2 shown]
	global_load_dwordx4 v[125:128], v[69:70], off
	s_waitcnt vmcnt(3)
	buffer_store_dword v76, off, s[0:3], 0 offset:764
	buffer_store_dword v75, off, s[0:3], 0 offset:760
	;; [unrolled: 1-line block ×4, first 2 shown]
	v_lshlrev_b64 v[73:74], 4, v[151:152]
	v_add_co_u32 v71, vcc_lo, s4, v71
	v_add_co_ci_u32_e64 v72, null, s5, v72, vcc_lo
	v_lshlrev_b64 v[75:76], 4, v[153:154]
	v_add_co_u32 v73, vcc_lo, s4, v73
	v_add_co_ci_u32_e64 v74, null, s5, v74, vcc_lo
	global_load_dwordx4 v[129:132], v[71:72], off
	v_add_co_u32 v75, vcc_lo, s4, v75
	v_add_co_ci_u32_e64 v76, null, s5, v76, vcc_lo
	v_add_co_u32 v79, vcc_lo, s4, v79
	v_add_co_ci_u32_e64 v80, null, s5, v80, vcc_lo
	s_waitcnt vmcnt(3)
	buffer_store_dword v4, off, s[0:3], 0 offset:780
	buffer_store_dword v3, off, s[0:3], 0 offset:776
	;; [unrolled: 1-line block ×4, first 2 shown]
	global_load_dwordx4 v[1:4], v[73:74], off
	s_waitcnt vmcnt(3)
	buffer_store_dword v86, off, s[0:3], 0 offset:796
	buffer_store_dword v85, off, s[0:3], 0 offset:792
	;; [unrolled: 1-line block ×4, first 2 shown]
	s_waitcnt vmcnt(2)
	buffer_store_dword v128, off, s[0:3], 0 offset:812
	v_lshlrev_b64 v[83:84], 4, v[157:158]
	v_lshlrev_b64 v[85:86], 4, v[159:160]
	buffer_store_dword v127, off, s[0:3], 0 offset:808
	buffer_store_dword v126, off, s[0:3], 0 offset:804
	;; [unrolled: 1-line block ×3, first 2 shown]
	s_waitcnt vmcnt(1)
	buffer_store_dword v132, off, s[0:3], 0 offset:828
	buffer_store_dword v131, off, s[0:3], 0 offset:824
	v_add_co_u32 v83, vcc_lo, s4, v83
	v_add_co_ci_u32_e64 v84, null, s5, v84, vcc_lo
	v_add_co_u32 v85, vcc_lo, s4, v85
	v_add_co_ci_u32_e64 v86, null, s5, v86, vcc_lo
	global_load_dwordx4 v[125:128], v[75:76], off
	buffer_store_dword v130, off, s[0:3], 0 offset:820
	buffer_store_dword v129, off, s[0:3], 0 offset:816
	s_clause 0x1
	global_load_dwordx4 v[129:132], v[79:80], off
	global_load_dwordx4 v[133:136], v[83:84], off
	s_movk_i32 s4, 0x50
	s_movk_i32 s5, 0x60
	s_waitcnt vmcnt(3)
	buffer_store_dword v4, off, s[0:3], 0 offset:844
	buffer_store_dword v3, off, s[0:3], 0 offset:840
	;; [unrolled: 1-line block ×4, first 2 shown]
	global_load_dwordx4 v[1:4], v[85:86], off
	s_waitcnt vmcnt(3)
	buffer_store_dword v128, off, s[0:3], 0 offset:860
	buffer_store_dword v127, off, s[0:3], 0 offset:856
	buffer_store_dword v126, off, s[0:3], 0 offset:852
	buffer_store_dword v125, off, s[0:3], 0 offset:848
	s_waitcnt vmcnt(2)
	buffer_store_dword v132, off, s[0:3], 0 offset:876
	buffer_store_dword v131, off, s[0:3], 0 offset:872
	buffer_store_dword v130, off, s[0:3], 0 offset:868
	buffer_store_dword v129, off, s[0:3], 0 offset:864
	;; [unrolled: 5-line block ×4, first 2 shown]
	buffer_store_dword v8, off, s[0:3], 0 offset:924
	buffer_store_dword v7, off, s[0:3], 0 offset:920
	;; [unrolled: 1-line block ×4, first 2 shown]
	s_cbranch_scc1 .LBB57_7
; %bb.2:
	v_lshl_add_u32 v127, v0, 4, 0
                                        ; implicit-def: $vgpr7_vgpr8
                                        ; implicit-def: $vgpr3_vgpr4
	s_clause 0x3
	buffer_load_dword v5, v127, s[0:3], 0 offen
	buffer_load_dword v6, v127, s[0:3], 0 offen offset:4
	buffer_load_dword v125, v127, s[0:3], 0 offen offset:8
	;; [unrolled: 1-line block ×3, first 2 shown]
	s_waitcnt vmcnt(0)
	v_cmp_ngt_f64_e64 s9, |v[5:6]|, |v[125:126]|
	s_and_saveexec_b32 s35, s9
	s_xor_b32 s9, exec_lo, s35
	s_cbranch_execz .LBB57_4
; %bb.3:
	v_div_scale_f64 v[1:2], null, v[125:126], v[125:126], v[5:6]
	v_div_scale_f64 v[128:129], vcc_lo, v[5:6], v[125:126], v[5:6]
	v_rcp_f64_e32 v[3:4], v[1:2]
	v_fma_f64 v[7:8], -v[1:2], v[3:4], 1.0
	v_fma_f64 v[3:4], v[3:4], v[7:8], v[3:4]
	v_fma_f64 v[7:8], -v[1:2], v[3:4], 1.0
	v_fma_f64 v[3:4], v[3:4], v[7:8], v[3:4]
	v_mul_f64 v[7:8], v[128:129], v[3:4]
	v_fma_f64 v[1:2], -v[1:2], v[7:8], v[128:129]
	v_div_fmas_f64 v[1:2], v[1:2], v[3:4], v[7:8]
	v_div_fixup_f64 v[1:2], v[1:2], v[125:126], v[5:6]
	v_fma_f64 v[3:4], v[5:6], v[1:2], v[125:126]
	v_div_scale_f64 v[5:6], null, v[3:4], v[3:4], 1.0
	v_div_scale_f64 v[128:129], vcc_lo, 1.0, v[3:4], 1.0
	v_rcp_f64_e32 v[7:8], v[5:6]
	v_fma_f64 v[125:126], -v[5:6], v[7:8], 1.0
	v_fma_f64 v[7:8], v[7:8], v[125:126], v[7:8]
	v_fma_f64 v[125:126], -v[5:6], v[7:8], 1.0
	v_fma_f64 v[7:8], v[7:8], v[125:126], v[7:8]
	v_mul_f64 v[125:126], v[128:129], v[7:8]
	v_fma_f64 v[5:6], -v[5:6], v[125:126], v[128:129]
	v_div_fmas_f64 v[5:6], v[5:6], v[7:8], v[125:126]
                                        ; implicit-def: $vgpr125_vgpr126
	v_div_fixup_f64 v[3:4], v[5:6], v[3:4], 1.0
                                        ; implicit-def: $vgpr5_vgpr6
	v_mul_f64 v[7:8], v[1:2], v[3:4]
	v_xor_b32_e32 v4, 0x80000000, v4
	v_xor_b32_e32 v2, 0x80000000, v8
	v_mov_b32_e32 v1, v7
.LBB57_4:
	s_andn2_saveexec_b32 s9, s9
	s_cbranch_execz .LBB57_6
; %bb.5:
	v_div_scale_f64 v[1:2], null, v[5:6], v[5:6], v[125:126]
	v_div_scale_f64 v[128:129], vcc_lo, v[125:126], v[5:6], v[125:126]
	v_rcp_f64_e32 v[3:4], v[1:2]
	v_fma_f64 v[7:8], -v[1:2], v[3:4], 1.0
	v_fma_f64 v[3:4], v[3:4], v[7:8], v[3:4]
	v_fma_f64 v[7:8], -v[1:2], v[3:4], 1.0
	v_fma_f64 v[3:4], v[3:4], v[7:8], v[3:4]
	v_mul_f64 v[7:8], v[128:129], v[3:4]
	v_fma_f64 v[1:2], -v[1:2], v[7:8], v[128:129]
	v_div_fmas_f64 v[1:2], v[1:2], v[3:4], v[7:8]
	v_div_fixup_f64 v[1:2], v[1:2], v[5:6], v[125:126]
	v_fma_f64 v[3:4], v[125:126], v[1:2], v[5:6]
	v_div_scale_f64 v[5:6], null, v[3:4], v[3:4], 1.0
	v_rcp_f64_e32 v[7:8], v[5:6]
	v_fma_f64 v[125:126], -v[5:6], v[7:8], 1.0
	v_fma_f64 v[7:8], v[7:8], v[125:126], v[7:8]
	v_fma_f64 v[125:126], -v[5:6], v[7:8], 1.0
	v_fma_f64 v[7:8], v[7:8], v[125:126], v[7:8]
	v_div_scale_f64 v[125:126], vcc_lo, 1.0, v[3:4], 1.0
	v_mul_f64 v[128:129], v[125:126], v[7:8]
	v_fma_f64 v[5:6], -v[5:6], v[128:129], v[125:126]
	v_div_fmas_f64 v[5:6], v[5:6], v[7:8], v[128:129]
	v_div_fixup_f64 v[7:8], v[5:6], v[3:4], 1.0
	v_mul_f64 v[3:4], v[1:2], -v[7:8]
	v_xor_b32_e32 v2, 0x80000000, v8
	v_mov_b32_e32 v1, v7
.LBB57_6:
	s_or_b32 exec_lo, exec_lo, s9
	buffer_store_dword v4, v127, s[0:3], 0 offen offset:12
	v_xor_b32_e32 v4, 0x80000000, v4
	buffer_store_dword v8, v127, s[0:3], 0 offen offset:4
	buffer_store_dword v7, v127, s[0:3], 0 offen
	buffer_store_dword v3, v127, s[0:3], 0 offen offset:8
	s_branch .LBB57_8
.LBB57_7:
	v_mov_b32_e32 v1, 0
	v_mov_b32_e32 v3, 0
	;; [unrolled: 1-line block ×4, first 2 shown]
.LBB57_8:
	v_add_nc_u32_e32 v6, 0x3a0, v161
	v_mov_b32_e32 v5, v161
	s_mov_b32 s64, 16
	s_mov_b32 s65, 32
	;; [unrolled: 1-line block ×56, first 2 shown]
	s_cmpk_eq_i32 s8, 0x79
	ds_write_b128 v161, v[1:4]
	s_cbranch_scc1 .LBB57_460
; %bb.9:
	v_mov_b32_e32 v4, s9
	v_cmp_eq_u32_e64 s4, 57, v0
	s_clause 0x3
	buffer_load_dword v1, v4, s[0:3], 0 offen
	buffer_load_dword v2, v4, s[0:3], 0 offen offset:4
	buffer_load_dword v3, v4, s[0:3], 0 offen offset:8
	;; [unrolled: 1-line block ×3, first 2 shown]
	s_waitcnt vmcnt(0)
	ds_write_b128 v6, v[1:4]
	s_waitcnt lgkmcnt(0)
	s_waitcnt_vscnt null, 0x0
	s_barrier
	buffer_gl0_inv
	s_and_saveexec_b32 s5, s4
	s_cbranch_execz .LBB57_13
; %bb.10:
	ds_read_b128 v[1:4], v6
	s_andn2_b32 vcc_lo, exec_lo, s66
	s_cbranch_vccnz .LBB57_12
; %bb.11:
	s_clause 0x3
	buffer_load_dword v7, v5, s[0:3], 0 offen offset:8
	buffer_load_dword v8, v5, s[0:3], 0 offen offset:12
	buffer_load_dword v125, v5, s[0:3], 0 offen
	buffer_load_dword v126, v5, s[0:3], 0 offen offset:4
	s_waitcnt vmcnt(2) lgkmcnt(0)
	v_mul_f64 v[127:128], v[3:4], v[7:8]
	v_mul_f64 v[7:8], v[1:2], v[7:8]
	s_waitcnt vmcnt(0)
	v_fma_f64 v[1:2], v[1:2], v[125:126], -v[127:128]
	v_fma_f64 v[3:4], v[3:4], v[125:126], v[7:8]
.LBB57_12:
	v_mov_b32_e32 v7, 0
	ds_read_b128 v[125:128], v7 offset:896
	s_waitcnt lgkmcnt(0)
	v_mul_f64 v[7:8], v[3:4], v[127:128]
	v_mul_f64 v[127:128], v[1:2], v[127:128]
	v_fma_f64 v[1:2], v[1:2], v[125:126], -v[7:8]
	v_fma_f64 v[3:4], v[3:4], v[125:126], v[127:128]
	buffer_store_dword v2, off, s[0:3], 0 offset:900
	buffer_store_dword v1, off, s[0:3], 0 offset:896
	;; [unrolled: 1-line block ×4, first 2 shown]
.LBB57_13:
	s_or_b32 exec_lo, exec_lo, s5
	v_mov_b32_e32 v4, s10
	v_cmp_lt_u32_e64 s5, 55, v0
	s_clause 0x3
	buffer_load_dword v1, v4, s[0:3], 0 offen
	buffer_load_dword v2, v4, s[0:3], 0 offen offset:4
	buffer_load_dword v3, v4, s[0:3], 0 offen offset:8
	;; [unrolled: 1-line block ×3, first 2 shown]
	s_waitcnt vmcnt(0)
	ds_write_b128 v6, v[1:4]
	s_waitcnt lgkmcnt(0)
	s_waitcnt_vscnt null, 0x0
	s_barrier
	buffer_gl0_inv
	s_and_saveexec_b32 s6, s5
	s_cbranch_execz .LBB57_19
; %bb.14:
	ds_read_b128 v[1:4], v6
	s_andn2_b32 vcc_lo, exec_lo, s66
	s_cbranch_vccnz .LBB57_16
; %bb.15:
	s_clause 0x3
	buffer_load_dword v7, v5, s[0:3], 0 offen offset:8
	buffer_load_dword v8, v5, s[0:3], 0 offen offset:12
	buffer_load_dword v125, v5, s[0:3], 0 offen
	buffer_load_dword v126, v5, s[0:3], 0 offen offset:4
	s_waitcnt vmcnt(2) lgkmcnt(0)
	v_mul_f64 v[127:128], v[3:4], v[7:8]
	v_mul_f64 v[7:8], v[1:2], v[7:8]
	s_waitcnt vmcnt(0)
	v_fma_f64 v[1:2], v[1:2], v[125:126], -v[127:128]
	v_fma_f64 v[3:4], v[3:4], v[125:126], v[7:8]
.LBB57_16:
	s_and_saveexec_b32 s8, s4
	s_cbranch_execz .LBB57_18
; %bb.17:
	s_clause 0x3
	buffer_load_dword v7, off, s[0:3], 0 offset:904
	buffer_load_dword v8, off, s[0:3], 0 offset:908
	;; [unrolled: 1-line block ×4, first 2 shown]
	v_mov_b32_e32 v125, 0
	ds_read_b128 v[125:128], v125 offset:1824
	s_waitcnt vmcnt(2) lgkmcnt(0)
	v_mul_f64 v[131:132], v[125:126], v[7:8]
	v_mul_f64 v[7:8], v[127:128], v[7:8]
	s_waitcnt vmcnt(0)
	v_fma_f64 v[127:128], v[127:128], v[129:130], v[131:132]
	v_fma_f64 v[7:8], v[125:126], v[129:130], -v[7:8]
	v_add_f64 v[3:4], v[3:4], v[127:128]
	v_add_f64 v[1:2], v[1:2], v[7:8]
.LBB57_18:
	s_or_b32 exec_lo, exec_lo, s8
	v_mov_b32_e32 v7, 0
	ds_read_b128 v[125:128], v7 offset:880
	s_waitcnt lgkmcnt(0)
	v_mul_f64 v[7:8], v[3:4], v[127:128]
	v_mul_f64 v[127:128], v[1:2], v[127:128]
	v_fma_f64 v[1:2], v[1:2], v[125:126], -v[7:8]
	v_fma_f64 v[3:4], v[3:4], v[125:126], v[127:128]
	buffer_store_dword v2, off, s[0:3], 0 offset:884
	buffer_store_dword v1, off, s[0:3], 0 offset:880
	;; [unrolled: 1-line block ×4, first 2 shown]
.LBB57_19:
	s_or_b32 exec_lo, exec_lo, s6
	v_mov_b32_e32 v4, s11
	v_cmp_lt_u32_e64 s4, 54, v0
	s_clause 0x3
	buffer_load_dword v1, v4, s[0:3], 0 offen
	buffer_load_dword v2, v4, s[0:3], 0 offen offset:4
	buffer_load_dword v3, v4, s[0:3], 0 offen offset:8
	;; [unrolled: 1-line block ×3, first 2 shown]
	s_waitcnt vmcnt(0)
	ds_write_b128 v6, v[1:4]
	s_waitcnt lgkmcnt(0)
	s_waitcnt_vscnt null, 0x0
	s_barrier
	buffer_gl0_inv
	s_and_saveexec_b32 s6, s4
	s_cbranch_execz .LBB57_27
; %bb.20:
	ds_read_b128 v[1:4], v6
	s_andn2_b32 vcc_lo, exec_lo, s66
	s_cbranch_vccnz .LBB57_22
; %bb.21:
	s_clause 0x3
	buffer_load_dword v7, v5, s[0:3], 0 offen offset:8
	buffer_load_dword v8, v5, s[0:3], 0 offen offset:12
	buffer_load_dword v125, v5, s[0:3], 0 offen
	buffer_load_dword v126, v5, s[0:3], 0 offen offset:4
	s_waitcnt vmcnt(2) lgkmcnt(0)
	v_mul_f64 v[127:128], v[3:4], v[7:8]
	v_mul_f64 v[7:8], v[1:2], v[7:8]
	s_waitcnt vmcnt(0)
	v_fma_f64 v[1:2], v[1:2], v[125:126], -v[127:128]
	v_fma_f64 v[3:4], v[3:4], v[125:126], v[7:8]
.LBB57_22:
	s_and_saveexec_b32 s8, s5
	s_cbranch_execz .LBB57_26
; %bb.23:
	v_subrev_nc_u32_e32 v7, 55, v0
	s_movk_i32 s67, 0x710
	s_mov_b32 s5, 0
	s_mov_b32 s68, s10
	.p2align	6
.LBB57_24:                              ; =>This Inner Loop Header: Depth=1
	v_mov_b32_e32 v8, s68
	v_add_nc_u32_e32 v7, -1, v7
	s_add_i32 s68, s68, 16
	s_clause 0x3
	buffer_load_dword v129, v8, s[0:3], 0 offen offset:8
	buffer_load_dword v130, v8, s[0:3], 0 offen offset:12
	buffer_load_dword v131, v8, s[0:3], 0 offen
	buffer_load_dword v132, v8, s[0:3], 0 offen offset:4
	v_mov_b32_e32 v8, s67
	v_cmp_eq_u32_e32 vcc_lo, 0, v7
	s_add_i32 s67, s67, 16
	ds_read_b128 v[125:128], v8
	s_or_b32 s5, vcc_lo, s5
	s_waitcnt vmcnt(2) lgkmcnt(0)
	v_mul_f64 v[133:134], v[127:128], v[129:130]
	v_mul_f64 v[129:130], v[125:126], v[129:130]
	s_waitcnt vmcnt(0)
	v_fma_f64 v[125:126], v[125:126], v[131:132], -v[133:134]
	v_fma_f64 v[127:128], v[127:128], v[131:132], v[129:130]
	v_add_f64 v[1:2], v[1:2], v[125:126]
	v_add_f64 v[3:4], v[3:4], v[127:128]
	s_andn2_b32 exec_lo, exec_lo, s5
	s_cbranch_execnz .LBB57_24
; %bb.25:
	s_or_b32 exec_lo, exec_lo, s5
.LBB57_26:
	s_or_b32 exec_lo, exec_lo, s8
	v_mov_b32_e32 v7, 0
	ds_read_b128 v[125:128], v7 offset:864
	s_waitcnt lgkmcnt(0)
	v_mul_f64 v[7:8], v[3:4], v[127:128]
	v_mul_f64 v[127:128], v[1:2], v[127:128]
	v_fma_f64 v[1:2], v[1:2], v[125:126], -v[7:8]
	v_fma_f64 v[3:4], v[3:4], v[125:126], v[127:128]
	buffer_store_dword v2, off, s[0:3], 0 offset:868
	buffer_store_dword v1, off, s[0:3], 0 offset:864
	;; [unrolled: 1-line block ×4, first 2 shown]
.LBB57_27:
	s_or_b32 exec_lo, exec_lo, s6
	v_mov_b32_e32 v4, s12
	v_cmp_lt_u32_e64 s5, 53, v0
	s_clause 0x3
	buffer_load_dword v1, v4, s[0:3], 0 offen
	buffer_load_dword v2, v4, s[0:3], 0 offen offset:4
	buffer_load_dword v3, v4, s[0:3], 0 offen offset:8
	;; [unrolled: 1-line block ×3, first 2 shown]
	s_waitcnt vmcnt(0)
	ds_write_b128 v6, v[1:4]
	s_waitcnt lgkmcnt(0)
	s_waitcnt_vscnt null, 0x0
	s_barrier
	buffer_gl0_inv
	s_and_saveexec_b32 s6, s5
	s_cbranch_execz .LBB57_35
; %bb.28:
	ds_read_b128 v[1:4], v6
	s_andn2_b32 vcc_lo, exec_lo, s66
	s_cbranch_vccnz .LBB57_30
; %bb.29:
	s_clause 0x3
	buffer_load_dword v7, v5, s[0:3], 0 offen offset:8
	buffer_load_dword v8, v5, s[0:3], 0 offen offset:12
	buffer_load_dword v125, v5, s[0:3], 0 offen
	buffer_load_dword v126, v5, s[0:3], 0 offen offset:4
	s_waitcnt vmcnt(2) lgkmcnt(0)
	v_mul_f64 v[127:128], v[3:4], v[7:8]
	v_mul_f64 v[7:8], v[1:2], v[7:8]
	s_waitcnt vmcnt(0)
	v_fma_f64 v[1:2], v[1:2], v[125:126], -v[127:128]
	v_fma_f64 v[3:4], v[3:4], v[125:126], v[7:8]
.LBB57_30:
	s_and_saveexec_b32 s8, s4
	s_cbranch_execz .LBB57_34
; %bb.31:
	v_subrev_nc_u32_e32 v7, 54, v0
	s_movk_i32 s67, 0x700
	s_mov_b32 s4, 0
	s_mov_b32 s68, s11
	.p2align	6
.LBB57_32:                              ; =>This Inner Loop Header: Depth=1
	v_mov_b32_e32 v8, s68
	v_add_nc_u32_e32 v7, -1, v7
	s_add_i32 s68, s68, 16
	s_clause 0x3
	buffer_load_dword v129, v8, s[0:3], 0 offen offset:8
	buffer_load_dword v130, v8, s[0:3], 0 offen offset:12
	buffer_load_dword v131, v8, s[0:3], 0 offen
	buffer_load_dword v132, v8, s[0:3], 0 offen offset:4
	v_mov_b32_e32 v8, s67
	v_cmp_eq_u32_e32 vcc_lo, 0, v7
	s_add_i32 s67, s67, 16
	ds_read_b128 v[125:128], v8
	s_or_b32 s4, vcc_lo, s4
	s_waitcnt vmcnt(2) lgkmcnt(0)
	v_mul_f64 v[133:134], v[127:128], v[129:130]
	v_mul_f64 v[129:130], v[125:126], v[129:130]
	s_waitcnt vmcnt(0)
	v_fma_f64 v[125:126], v[125:126], v[131:132], -v[133:134]
	v_fma_f64 v[127:128], v[127:128], v[131:132], v[129:130]
	v_add_f64 v[1:2], v[1:2], v[125:126]
	v_add_f64 v[3:4], v[3:4], v[127:128]
	s_andn2_b32 exec_lo, exec_lo, s4
	s_cbranch_execnz .LBB57_32
; %bb.33:
	s_or_b32 exec_lo, exec_lo, s4
.LBB57_34:
	s_or_b32 exec_lo, exec_lo, s8
	v_mov_b32_e32 v7, 0
	ds_read_b128 v[125:128], v7 offset:848
	s_waitcnt lgkmcnt(0)
	v_mul_f64 v[7:8], v[3:4], v[127:128]
	v_mul_f64 v[127:128], v[1:2], v[127:128]
	v_fma_f64 v[1:2], v[1:2], v[125:126], -v[7:8]
	v_fma_f64 v[3:4], v[3:4], v[125:126], v[127:128]
	buffer_store_dword v2, off, s[0:3], 0 offset:852
	buffer_store_dword v1, off, s[0:3], 0 offset:848
	;; [unrolled: 1-line block ×4, first 2 shown]
.LBB57_35:
	s_or_b32 exec_lo, exec_lo, s6
	v_mov_b32_e32 v4, s13
	v_cmp_lt_u32_e64 s4, 52, v0
	s_clause 0x3
	buffer_load_dword v1, v4, s[0:3], 0 offen
	buffer_load_dword v2, v4, s[0:3], 0 offen offset:4
	buffer_load_dword v3, v4, s[0:3], 0 offen offset:8
	;; [unrolled: 1-line block ×3, first 2 shown]
	s_waitcnt vmcnt(0)
	ds_write_b128 v6, v[1:4]
	s_waitcnt lgkmcnt(0)
	s_waitcnt_vscnt null, 0x0
	s_barrier
	buffer_gl0_inv
	s_and_saveexec_b32 s6, s4
	s_cbranch_execz .LBB57_43
; %bb.36:
	ds_read_b128 v[1:4], v6
	s_andn2_b32 vcc_lo, exec_lo, s66
	s_cbranch_vccnz .LBB57_38
; %bb.37:
	s_clause 0x3
	buffer_load_dword v7, v5, s[0:3], 0 offen offset:8
	buffer_load_dword v8, v5, s[0:3], 0 offen offset:12
	buffer_load_dword v125, v5, s[0:3], 0 offen
	buffer_load_dword v126, v5, s[0:3], 0 offen offset:4
	s_waitcnt vmcnt(2) lgkmcnt(0)
	v_mul_f64 v[127:128], v[3:4], v[7:8]
	v_mul_f64 v[7:8], v[1:2], v[7:8]
	s_waitcnt vmcnt(0)
	v_fma_f64 v[1:2], v[1:2], v[125:126], -v[127:128]
	v_fma_f64 v[3:4], v[3:4], v[125:126], v[7:8]
.LBB57_38:
	s_and_saveexec_b32 s8, s5
	s_cbranch_execz .LBB57_42
; %bb.39:
	v_subrev_nc_u32_e32 v7, 53, v0
	s_movk_i32 s67, 0x6f0
	s_mov_b32 s5, 0
	s_mov_b32 s68, s12
	.p2align	6
.LBB57_40:                              ; =>This Inner Loop Header: Depth=1
	v_mov_b32_e32 v8, s68
	v_add_nc_u32_e32 v7, -1, v7
	s_add_i32 s68, s68, 16
	s_clause 0x3
	buffer_load_dword v129, v8, s[0:3], 0 offen offset:8
	buffer_load_dword v130, v8, s[0:3], 0 offen offset:12
	buffer_load_dword v131, v8, s[0:3], 0 offen
	buffer_load_dword v132, v8, s[0:3], 0 offen offset:4
	v_mov_b32_e32 v8, s67
	v_cmp_eq_u32_e32 vcc_lo, 0, v7
	s_add_i32 s67, s67, 16
	ds_read_b128 v[125:128], v8
	s_or_b32 s5, vcc_lo, s5
	s_waitcnt vmcnt(2) lgkmcnt(0)
	v_mul_f64 v[133:134], v[127:128], v[129:130]
	v_mul_f64 v[129:130], v[125:126], v[129:130]
	s_waitcnt vmcnt(0)
	v_fma_f64 v[125:126], v[125:126], v[131:132], -v[133:134]
	v_fma_f64 v[127:128], v[127:128], v[131:132], v[129:130]
	v_add_f64 v[1:2], v[1:2], v[125:126]
	v_add_f64 v[3:4], v[3:4], v[127:128]
	s_andn2_b32 exec_lo, exec_lo, s5
	s_cbranch_execnz .LBB57_40
; %bb.41:
	s_or_b32 exec_lo, exec_lo, s5
.LBB57_42:
	s_or_b32 exec_lo, exec_lo, s8
	v_mov_b32_e32 v7, 0
	ds_read_b128 v[125:128], v7 offset:832
	s_waitcnt lgkmcnt(0)
	v_mul_f64 v[7:8], v[3:4], v[127:128]
	v_mul_f64 v[127:128], v[1:2], v[127:128]
	v_fma_f64 v[1:2], v[1:2], v[125:126], -v[7:8]
	v_fma_f64 v[3:4], v[3:4], v[125:126], v[127:128]
	buffer_store_dword v2, off, s[0:3], 0 offset:836
	buffer_store_dword v1, off, s[0:3], 0 offset:832
	;; [unrolled: 1-line block ×4, first 2 shown]
.LBB57_43:
	s_or_b32 exec_lo, exec_lo, s6
	v_mov_b32_e32 v4, s14
	v_cmp_lt_u32_e64 s5, 51, v0
	s_clause 0x3
	buffer_load_dword v1, v4, s[0:3], 0 offen
	buffer_load_dword v2, v4, s[0:3], 0 offen offset:4
	buffer_load_dword v3, v4, s[0:3], 0 offen offset:8
	;; [unrolled: 1-line block ×3, first 2 shown]
	s_waitcnt vmcnt(0)
	ds_write_b128 v6, v[1:4]
	s_waitcnt lgkmcnt(0)
	s_waitcnt_vscnt null, 0x0
	s_barrier
	buffer_gl0_inv
	s_and_saveexec_b32 s6, s5
	s_cbranch_execz .LBB57_51
; %bb.44:
	ds_read_b128 v[1:4], v6
	s_andn2_b32 vcc_lo, exec_lo, s66
	s_cbranch_vccnz .LBB57_46
; %bb.45:
	s_clause 0x3
	buffer_load_dword v7, v5, s[0:3], 0 offen offset:8
	buffer_load_dword v8, v5, s[0:3], 0 offen offset:12
	buffer_load_dword v125, v5, s[0:3], 0 offen
	buffer_load_dword v126, v5, s[0:3], 0 offen offset:4
	s_waitcnt vmcnt(2) lgkmcnt(0)
	v_mul_f64 v[127:128], v[3:4], v[7:8]
	v_mul_f64 v[7:8], v[1:2], v[7:8]
	s_waitcnt vmcnt(0)
	v_fma_f64 v[1:2], v[1:2], v[125:126], -v[127:128]
	v_fma_f64 v[3:4], v[3:4], v[125:126], v[7:8]
.LBB57_46:
	s_and_saveexec_b32 s8, s4
	s_cbranch_execz .LBB57_50
; %bb.47:
	v_subrev_nc_u32_e32 v7, 52, v0
	s_movk_i32 s67, 0x6e0
	s_mov_b32 s4, 0
	s_mov_b32 s68, s13
	.p2align	6
.LBB57_48:                              ; =>This Inner Loop Header: Depth=1
	v_mov_b32_e32 v8, s68
	v_add_nc_u32_e32 v7, -1, v7
	s_add_i32 s68, s68, 16
	s_clause 0x3
	buffer_load_dword v129, v8, s[0:3], 0 offen offset:8
	buffer_load_dword v130, v8, s[0:3], 0 offen offset:12
	buffer_load_dword v131, v8, s[0:3], 0 offen
	buffer_load_dword v132, v8, s[0:3], 0 offen offset:4
	v_mov_b32_e32 v8, s67
	v_cmp_eq_u32_e32 vcc_lo, 0, v7
	s_add_i32 s67, s67, 16
	ds_read_b128 v[125:128], v8
	s_or_b32 s4, vcc_lo, s4
	s_waitcnt vmcnt(2) lgkmcnt(0)
	v_mul_f64 v[133:134], v[127:128], v[129:130]
	v_mul_f64 v[129:130], v[125:126], v[129:130]
	s_waitcnt vmcnt(0)
	v_fma_f64 v[125:126], v[125:126], v[131:132], -v[133:134]
	v_fma_f64 v[127:128], v[127:128], v[131:132], v[129:130]
	v_add_f64 v[1:2], v[1:2], v[125:126]
	v_add_f64 v[3:4], v[3:4], v[127:128]
	s_andn2_b32 exec_lo, exec_lo, s4
	s_cbranch_execnz .LBB57_48
; %bb.49:
	s_or_b32 exec_lo, exec_lo, s4
.LBB57_50:
	s_or_b32 exec_lo, exec_lo, s8
	v_mov_b32_e32 v7, 0
	ds_read_b128 v[125:128], v7 offset:816
	s_waitcnt lgkmcnt(0)
	v_mul_f64 v[7:8], v[3:4], v[127:128]
	v_mul_f64 v[127:128], v[1:2], v[127:128]
	v_fma_f64 v[1:2], v[1:2], v[125:126], -v[7:8]
	v_fma_f64 v[3:4], v[3:4], v[125:126], v[127:128]
	buffer_store_dword v2, off, s[0:3], 0 offset:820
	buffer_store_dword v1, off, s[0:3], 0 offset:816
	;; [unrolled: 1-line block ×4, first 2 shown]
.LBB57_51:
	s_or_b32 exec_lo, exec_lo, s6
	v_mov_b32_e32 v4, s15
	v_cmp_lt_u32_e64 s4, 50, v0
	s_clause 0x3
	buffer_load_dword v1, v4, s[0:3], 0 offen
	buffer_load_dword v2, v4, s[0:3], 0 offen offset:4
	buffer_load_dword v3, v4, s[0:3], 0 offen offset:8
	buffer_load_dword v4, v4, s[0:3], 0 offen offset:12
	s_waitcnt vmcnt(0)
	ds_write_b128 v6, v[1:4]
	s_waitcnt lgkmcnt(0)
	s_waitcnt_vscnt null, 0x0
	s_barrier
	buffer_gl0_inv
	s_and_saveexec_b32 s6, s4
	s_cbranch_execz .LBB57_59
; %bb.52:
	ds_read_b128 v[1:4], v6
	s_andn2_b32 vcc_lo, exec_lo, s66
	s_cbranch_vccnz .LBB57_54
; %bb.53:
	s_clause 0x3
	buffer_load_dword v7, v5, s[0:3], 0 offen offset:8
	buffer_load_dword v8, v5, s[0:3], 0 offen offset:12
	buffer_load_dword v125, v5, s[0:3], 0 offen
	buffer_load_dword v126, v5, s[0:3], 0 offen offset:4
	s_waitcnt vmcnt(2) lgkmcnt(0)
	v_mul_f64 v[127:128], v[3:4], v[7:8]
	v_mul_f64 v[7:8], v[1:2], v[7:8]
	s_waitcnt vmcnt(0)
	v_fma_f64 v[1:2], v[1:2], v[125:126], -v[127:128]
	v_fma_f64 v[3:4], v[3:4], v[125:126], v[7:8]
.LBB57_54:
	s_and_saveexec_b32 s8, s5
	s_cbranch_execz .LBB57_58
; %bb.55:
	v_subrev_nc_u32_e32 v7, 51, v0
	s_movk_i32 s67, 0x6d0
	s_mov_b32 s5, 0
	s_mov_b32 s68, s14
	.p2align	6
.LBB57_56:                              ; =>This Inner Loop Header: Depth=1
	v_mov_b32_e32 v8, s68
	v_add_nc_u32_e32 v7, -1, v7
	s_add_i32 s68, s68, 16
	s_clause 0x3
	buffer_load_dword v129, v8, s[0:3], 0 offen offset:8
	buffer_load_dword v130, v8, s[0:3], 0 offen offset:12
	buffer_load_dword v131, v8, s[0:3], 0 offen
	buffer_load_dword v132, v8, s[0:3], 0 offen offset:4
	v_mov_b32_e32 v8, s67
	v_cmp_eq_u32_e32 vcc_lo, 0, v7
	s_add_i32 s67, s67, 16
	ds_read_b128 v[125:128], v8
	s_or_b32 s5, vcc_lo, s5
	s_waitcnt vmcnt(2) lgkmcnt(0)
	v_mul_f64 v[133:134], v[127:128], v[129:130]
	v_mul_f64 v[129:130], v[125:126], v[129:130]
	s_waitcnt vmcnt(0)
	v_fma_f64 v[125:126], v[125:126], v[131:132], -v[133:134]
	v_fma_f64 v[127:128], v[127:128], v[131:132], v[129:130]
	v_add_f64 v[1:2], v[1:2], v[125:126]
	v_add_f64 v[3:4], v[3:4], v[127:128]
	s_andn2_b32 exec_lo, exec_lo, s5
	s_cbranch_execnz .LBB57_56
; %bb.57:
	s_or_b32 exec_lo, exec_lo, s5
.LBB57_58:
	s_or_b32 exec_lo, exec_lo, s8
	v_mov_b32_e32 v7, 0
	ds_read_b128 v[125:128], v7 offset:800
	s_waitcnt lgkmcnt(0)
	v_mul_f64 v[7:8], v[3:4], v[127:128]
	v_mul_f64 v[127:128], v[1:2], v[127:128]
	v_fma_f64 v[1:2], v[1:2], v[125:126], -v[7:8]
	v_fma_f64 v[3:4], v[3:4], v[125:126], v[127:128]
	buffer_store_dword v2, off, s[0:3], 0 offset:804
	buffer_store_dword v1, off, s[0:3], 0 offset:800
	;; [unrolled: 1-line block ×4, first 2 shown]
.LBB57_59:
	s_or_b32 exec_lo, exec_lo, s6
	v_mov_b32_e32 v4, s16
	v_cmp_lt_u32_e64 s5, 49, v0
	s_clause 0x3
	buffer_load_dword v1, v4, s[0:3], 0 offen
	buffer_load_dword v2, v4, s[0:3], 0 offen offset:4
	buffer_load_dword v3, v4, s[0:3], 0 offen offset:8
	;; [unrolled: 1-line block ×3, first 2 shown]
	s_waitcnt vmcnt(0)
	ds_write_b128 v6, v[1:4]
	s_waitcnt lgkmcnt(0)
	s_waitcnt_vscnt null, 0x0
	s_barrier
	buffer_gl0_inv
	s_and_saveexec_b32 s6, s5
	s_cbranch_execz .LBB57_67
; %bb.60:
	ds_read_b128 v[1:4], v6
	s_andn2_b32 vcc_lo, exec_lo, s66
	s_cbranch_vccnz .LBB57_62
; %bb.61:
	s_clause 0x3
	buffer_load_dword v7, v5, s[0:3], 0 offen offset:8
	buffer_load_dword v8, v5, s[0:3], 0 offen offset:12
	buffer_load_dword v125, v5, s[0:3], 0 offen
	buffer_load_dword v126, v5, s[0:3], 0 offen offset:4
	s_waitcnt vmcnt(2) lgkmcnt(0)
	v_mul_f64 v[127:128], v[3:4], v[7:8]
	v_mul_f64 v[7:8], v[1:2], v[7:8]
	s_waitcnt vmcnt(0)
	v_fma_f64 v[1:2], v[1:2], v[125:126], -v[127:128]
	v_fma_f64 v[3:4], v[3:4], v[125:126], v[7:8]
.LBB57_62:
	s_and_saveexec_b32 s8, s4
	s_cbranch_execz .LBB57_66
; %bb.63:
	v_subrev_nc_u32_e32 v7, 50, v0
	s_movk_i32 s67, 0x6c0
	s_mov_b32 s4, 0
	s_mov_b32 s68, s15
	.p2align	6
.LBB57_64:                              ; =>This Inner Loop Header: Depth=1
	v_mov_b32_e32 v8, s68
	v_add_nc_u32_e32 v7, -1, v7
	s_add_i32 s68, s68, 16
	s_clause 0x3
	buffer_load_dword v129, v8, s[0:3], 0 offen offset:8
	buffer_load_dword v130, v8, s[0:3], 0 offen offset:12
	buffer_load_dword v131, v8, s[0:3], 0 offen
	buffer_load_dword v132, v8, s[0:3], 0 offen offset:4
	v_mov_b32_e32 v8, s67
	v_cmp_eq_u32_e32 vcc_lo, 0, v7
	s_add_i32 s67, s67, 16
	ds_read_b128 v[125:128], v8
	s_or_b32 s4, vcc_lo, s4
	s_waitcnt vmcnt(2) lgkmcnt(0)
	v_mul_f64 v[133:134], v[127:128], v[129:130]
	v_mul_f64 v[129:130], v[125:126], v[129:130]
	s_waitcnt vmcnt(0)
	v_fma_f64 v[125:126], v[125:126], v[131:132], -v[133:134]
	v_fma_f64 v[127:128], v[127:128], v[131:132], v[129:130]
	v_add_f64 v[1:2], v[1:2], v[125:126]
	v_add_f64 v[3:4], v[3:4], v[127:128]
	s_andn2_b32 exec_lo, exec_lo, s4
	s_cbranch_execnz .LBB57_64
; %bb.65:
	s_or_b32 exec_lo, exec_lo, s4
.LBB57_66:
	s_or_b32 exec_lo, exec_lo, s8
	v_mov_b32_e32 v7, 0
	ds_read_b128 v[125:128], v7 offset:784
	s_waitcnt lgkmcnt(0)
	v_mul_f64 v[7:8], v[3:4], v[127:128]
	v_mul_f64 v[127:128], v[1:2], v[127:128]
	v_fma_f64 v[1:2], v[1:2], v[125:126], -v[7:8]
	v_fma_f64 v[3:4], v[3:4], v[125:126], v[127:128]
	buffer_store_dword v2, off, s[0:3], 0 offset:788
	buffer_store_dword v1, off, s[0:3], 0 offset:784
	;; [unrolled: 1-line block ×4, first 2 shown]
.LBB57_67:
	s_or_b32 exec_lo, exec_lo, s6
	v_mov_b32_e32 v4, s17
	v_cmp_lt_u32_e64 s4, 48, v0
	s_clause 0x3
	buffer_load_dword v1, v4, s[0:3], 0 offen
	buffer_load_dword v2, v4, s[0:3], 0 offen offset:4
	buffer_load_dword v3, v4, s[0:3], 0 offen offset:8
	;; [unrolled: 1-line block ×3, first 2 shown]
	s_waitcnt vmcnt(0)
	ds_write_b128 v6, v[1:4]
	s_waitcnt lgkmcnt(0)
	s_waitcnt_vscnt null, 0x0
	s_barrier
	buffer_gl0_inv
	s_and_saveexec_b32 s6, s4
	s_cbranch_execz .LBB57_75
; %bb.68:
	ds_read_b128 v[1:4], v6
	s_andn2_b32 vcc_lo, exec_lo, s66
	s_cbranch_vccnz .LBB57_70
; %bb.69:
	s_clause 0x3
	buffer_load_dword v7, v5, s[0:3], 0 offen offset:8
	buffer_load_dword v8, v5, s[0:3], 0 offen offset:12
	buffer_load_dword v125, v5, s[0:3], 0 offen
	buffer_load_dword v126, v5, s[0:3], 0 offen offset:4
	s_waitcnt vmcnt(2) lgkmcnt(0)
	v_mul_f64 v[127:128], v[3:4], v[7:8]
	v_mul_f64 v[7:8], v[1:2], v[7:8]
	s_waitcnt vmcnt(0)
	v_fma_f64 v[1:2], v[1:2], v[125:126], -v[127:128]
	v_fma_f64 v[3:4], v[3:4], v[125:126], v[7:8]
.LBB57_70:
	s_and_saveexec_b32 s8, s5
	s_cbranch_execz .LBB57_74
; %bb.71:
	v_subrev_nc_u32_e32 v7, 49, v0
	s_movk_i32 s67, 0x6b0
	s_mov_b32 s5, 0
	s_mov_b32 s68, s16
	.p2align	6
.LBB57_72:                              ; =>This Inner Loop Header: Depth=1
	v_mov_b32_e32 v8, s68
	v_add_nc_u32_e32 v7, -1, v7
	s_add_i32 s68, s68, 16
	s_clause 0x3
	buffer_load_dword v129, v8, s[0:3], 0 offen offset:8
	buffer_load_dword v130, v8, s[0:3], 0 offen offset:12
	buffer_load_dword v131, v8, s[0:3], 0 offen
	buffer_load_dword v132, v8, s[0:3], 0 offen offset:4
	v_mov_b32_e32 v8, s67
	v_cmp_eq_u32_e32 vcc_lo, 0, v7
	s_add_i32 s67, s67, 16
	ds_read_b128 v[125:128], v8
	s_or_b32 s5, vcc_lo, s5
	s_waitcnt vmcnt(2) lgkmcnt(0)
	v_mul_f64 v[133:134], v[127:128], v[129:130]
	v_mul_f64 v[129:130], v[125:126], v[129:130]
	s_waitcnt vmcnt(0)
	v_fma_f64 v[125:126], v[125:126], v[131:132], -v[133:134]
	v_fma_f64 v[127:128], v[127:128], v[131:132], v[129:130]
	v_add_f64 v[1:2], v[1:2], v[125:126]
	v_add_f64 v[3:4], v[3:4], v[127:128]
	s_andn2_b32 exec_lo, exec_lo, s5
	s_cbranch_execnz .LBB57_72
; %bb.73:
	s_or_b32 exec_lo, exec_lo, s5
.LBB57_74:
	s_or_b32 exec_lo, exec_lo, s8
	v_mov_b32_e32 v7, 0
	ds_read_b128 v[125:128], v7 offset:768
	s_waitcnt lgkmcnt(0)
	v_mul_f64 v[7:8], v[3:4], v[127:128]
	v_mul_f64 v[127:128], v[1:2], v[127:128]
	v_fma_f64 v[1:2], v[1:2], v[125:126], -v[7:8]
	v_fma_f64 v[3:4], v[3:4], v[125:126], v[127:128]
	buffer_store_dword v2, off, s[0:3], 0 offset:772
	buffer_store_dword v1, off, s[0:3], 0 offset:768
	buffer_store_dword v4, off, s[0:3], 0 offset:780
	buffer_store_dword v3, off, s[0:3], 0 offset:776
.LBB57_75:
	s_or_b32 exec_lo, exec_lo, s6
	v_mov_b32_e32 v4, s18
	v_cmp_lt_u32_e64 s5, 47, v0
	s_clause 0x3
	buffer_load_dword v1, v4, s[0:3], 0 offen
	buffer_load_dword v2, v4, s[0:3], 0 offen offset:4
	buffer_load_dword v3, v4, s[0:3], 0 offen offset:8
	;; [unrolled: 1-line block ×3, first 2 shown]
	s_waitcnt vmcnt(0)
	ds_write_b128 v6, v[1:4]
	s_waitcnt lgkmcnt(0)
	s_waitcnt_vscnt null, 0x0
	s_barrier
	buffer_gl0_inv
	s_and_saveexec_b32 s6, s5
	s_cbranch_execz .LBB57_83
; %bb.76:
	ds_read_b128 v[1:4], v6
	s_andn2_b32 vcc_lo, exec_lo, s66
	s_cbranch_vccnz .LBB57_78
; %bb.77:
	s_clause 0x3
	buffer_load_dword v7, v5, s[0:3], 0 offen offset:8
	buffer_load_dword v8, v5, s[0:3], 0 offen offset:12
	buffer_load_dword v125, v5, s[0:3], 0 offen
	buffer_load_dword v126, v5, s[0:3], 0 offen offset:4
	s_waitcnt vmcnt(2) lgkmcnt(0)
	v_mul_f64 v[127:128], v[3:4], v[7:8]
	v_mul_f64 v[7:8], v[1:2], v[7:8]
	s_waitcnt vmcnt(0)
	v_fma_f64 v[1:2], v[1:2], v[125:126], -v[127:128]
	v_fma_f64 v[3:4], v[3:4], v[125:126], v[7:8]
.LBB57_78:
	s_and_saveexec_b32 s8, s4
	s_cbranch_execz .LBB57_82
; %bb.79:
	v_subrev_nc_u32_e32 v7, 48, v0
	s_movk_i32 s67, 0x6a0
	s_mov_b32 s4, 0
	s_mov_b32 s68, s17
	.p2align	6
.LBB57_80:                              ; =>This Inner Loop Header: Depth=1
	v_mov_b32_e32 v8, s68
	v_add_nc_u32_e32 v7, -1, v7
	s_add_i32 s68, s68, 16
	s_clause 0x3
	buffer_load_dword v129, v8, s[0:3], 0 offen offset:8
	buffer_load_dword v130, v8, s[0:3], 0 offen offset:12
	buffer_load_dword v131, v8, s[0:3], 0 offen
	buffer_load_dword v132, v8, s[0:3], 0 offen offset:4
	v_mov_b32_e32 v8, s67
	v_cmp_eq_u32_e32 vcc_lo, 0, v7
	s_add_i32 s67, s67, 16
	ds_read_b128 v[125:128], v8
	s_or_b32 s4, vcc_lo, s4
	s_waitcnt vmcnt(2) lgkmcnt(0)
	v_mul_f64 v[133:134], v[127:128], v[129:130]
	v_mul_f64 v[129:130], v[125:126], v[129:130]
	s_waitcnt vmcnt(0)
	v_fma_f64 v[125:126], v[125:126], v[131:132], -v[133:134]
	v_fma_f64 v[127:128], v[127:128], v[131:132], v[129:130]
	v_add_f64 v[1:2], v[1:2], v[125:126]
	v_add_f64 v[3:4], v[3:4], v[127:128]
	s_andn2_b32 exec_lo, exec_lo, s4
	s_cbranch_execnz .LBB57_80
; %bb.81:
	s_or_b32 exec_lo, exec_lo, s4
.LBB57_82:
	s_or_b32 exec_lo, exec_lo, s8
	v_mov_b32_e32 v7, 0
	ds_read_b128 v[125:128], v7 offset:752
	s_waitcnt lgkmcnt(0)
	v_mul_f64 v[7:8], v[3:4], v[127:128]
	v_mul_f64 v[127:128], v[1:2], v[127:128]
	v_fma_f64 v[1:2], v[1:2], v[125:126], -v[7:8]
	v_fma_f64 v[3:4], v[3:4], v[125:126], v[127:128]
	buffer_store_dword v2, off, s[0:3], 0 offset:756
	buffer_store_dword v1, off, s[0:3], 0 offset:752
	;; [unrolled: 1-line block ×4, first 2 shown]
.LBB57_83:
	s_or_b32 exec_lo, exec_lo, s6
	v_mov_b32_e32 v4, s19
	v_cmp_lt_u32_e64 s4, 46, v0
	s_clause 0x3
	buffer_load_dword v1, v4, s[0:3], 0 offen
	buffer_load_dword v2, v4, s[0:3], 0 offen offset:4
	buffer_load_dword v3, v4, s[0:3], 0 offen offset:8
	;; [unrolled: 1-line block ×3, first 2 shown]
	s_waitcnt vmcnt(0)
	ds_write_b128 v6, v[1:4]
	s_waitcnt lgkmcnt(0)
	s_waitcnt_vscnt null, 0x0
	s_barrier
	buffer_gl0_inv
	s_and_saveexec_b32 s6, s4
	s_cbranch_execz .LBB57_91
; %bb.84:
	ds_read_b128 v[1:4], v6
	s_andn2_b32 vcc_lo, exec_lo, s66
	s_cbranch_vccnz .LBB57_86
; %bb.85:
	s_clause 0x3
	buffer_load_dword v7, v5, s[0:3], 0 offen offset:8
	buffer_load_dword v8, v5, s[0:3], 0 offen offset:12
	buffer_load_dword v125, v5, s[0:3], 0 offen
	buffer_load_dword v126, v5, s[0:3], 0 offen offset:4
	s_waitcnt vmcnt(2) lgkmcnt(0)
	v_mul_f64 v[127:128], v[3:4], v[7:8]
	v_mul_f64 v[7:8], v[1:2], v[7:8]
	s_waitcnt vmcnt(0)
	v_fma_f64 v[1:2], v[1:2], v[125:126], -v[127:128]
	v_fma_f64 v[3:4], v[3:4], v[125:126], v[7:8]
.LBB57_86:
	s_and_saveexec_b32 s8, s5
	s_cbranch_execz .LBB57_90
; %bb.87:
	v_subrev_nc_u32_e32 v7, 47, v0
	s_movk_i32 s67, 0x690
	s_mov_b32 s5, 0
	s_mov_b32 s68, s18
	.p2align	6
.LBB57_88:                              ; =>This Inner Loop Header: Depth=1
	v_mov_b32_e32 v8, s68
	v_add_nc_u32_e32 v7, -1, v7
	s_add_i32 s68, s68, 16
	s_clause 0x3
	buffer_load_dword v129, v8, s[0:3], 0 offen offset:8
	buffer_load_dword v130, v8, s[0:3], 0 offen offset:12
	buffer_load_dword v131, v8, s[0:3], 0 offen
	buffer_load_dword v132, v8, s[0:3], 0 offen offset:4
	v_mov_b32_e32 v8, s67
	v_cmp_eq_u32_e32 vcc_lo, 0, v7
	s_add_i32 s67, s67, 16
	ds_read_b128 v[125:128], v8
	s_or_b32 s5, vcc_lo, s5
	s_waitcnt vmcnt(2) lgkmcnt(0)
	v_mul_f64 v[133:134], v[127:128], v[129:130]
	v_mul_f64 v[129:130], v[125:126], v[129:130]
	s_waitcnt vmcnt(0)
	v_fma_f64 v[125:126], v[125:126], v[131:132], -v[133:134]
	v_fma_f64 v[127:128], v[127:128], v[131:132], v[129:130]
	v_add_f64 v[1:2], v[1:2], v[125:126]
	v_add_f64 v[3:4], v[3:4], v[127:128]
	s_andn2_b32 exec_lo, exec_lo, s5
	s_cbranch_execnz .LBB57_88
; %bb.89:
	s_or_b32 exec_lo, exec_lo, s5
.LBB57_90:
	s_or_b32 exec_lo, exec_lo, s8
	v_mov_b32_e32 v7, 0
	ds_read_b128 v[125:128], v7 offset:736
	s_waitcnt lgkmcnt(0)
	v_mul_f64 v[7:8], v[3:4], v[127:128]
	v_mul_f64 v[127:128], v[1:2], v[127:128]
	v_fma_f64 v[1:2], v[1:2], v[125:126], -v[7:8]
	v_fma_f64 v[3:4], v[3:4], v[125:126], v[127:128]
	buffer_store_dword v2, off, s[0:3], 0 offset:740
	buffer_store_dword v1, off, s[0:3], 0 offset:736
	;; [unrolled: 1-line block ×4, first 2 shown]
.LBB57_91:
	s_or_b32 exec_lo, exec_lo, s6
	v_mov_b32_e32 v4, s20
	v_cmp_lt_u32_e64 s5, 45, v0
	s_clause 0x3
	buffer_load_dword v1, v4, s[0:3], 0 offen
	buffer_load_dword v2, v4, s[0:3], 0 offen offset:4
	buffer_load_dword v3, v4, s[0:3], 0 offen offset:8
	;; [unrolled: 1-line block ×3, first 2 shown]
	s_waitcnt vmcnt(0)
	ds_write_b128 v6, v[1:4]
	s_waitcnt lgkmcnt(0)
	s_waitcnt_vscnt null, 0x0
	s_barrier
	buffer_gl0_inv
	s_and_saveexec_b32 s6, s5
	s_cbranch_execz .LBB57_99
; %bb.92:
	ds_read_b128 v[1:4], v6
	s_andn2_b32 vcc_lo, exec_lo, s66
	s_cbranch_vccnz .LBB57_94
; %bb.93:
	s_clause 0x3
	buffer_load_dword v7, v5, s[0:3], 0 offen offset:8
	buffer_load_dword v8, v5, s[0:3], 0 offen offset:12
	buffer_load_dword v125, v5, s[0:3], 0 offen
	buffer_load_dword v126, v5, s[0:3], 0 offen offset:4
	s_waitcnt vmcnt(2) lgkmcnt(0)
	v_mul_f64 v[127:128], v[3:4], v[7:8]
	v_mul_f64 v[7:8], v[1:2], v[7:8]
	s_waitcnt vmcnt(0)
	v_fma_f64 v[1:2], v[1:2], v[125:126], -v[127:128]
	v_fma_f64 v[3:4], v[3:4], v[125:126], v[7:8]
.LBB57_94:
	s_and_saveexec_b32 s8, s4
	s_cbranch_execz .LBB57_98
; %bb.95:
	v_subrev_nc_u32_e32 v7, 46, v0
	s_movk_i32 s67, 0x680
	s_mov_b32 s4, 0
	s_mov_b32 s68, s19
	.p2align	6
.LBB57_96:                              ; =>This Inner Loop Header: Depth=1
	v_mov_b32_e32 v8, s68
	v_add_nc_u32_e32 v7, -1, v7
	s_add_i32 s68, s68, 16
	s_clause 0x3
	buffer_load_dword v129, v8, s[0:3], 0 offen offset:8
	buffer_load_dword v130, v8, s[0:3], 0 offen offset:12
	buffer_load_dword v131, v8, s[0:3], 0 offen
	buffer_load_dword v132, v8, s[0:3], 0 offen offset:4
	v_mov_b32_e32 v8, s67
	v_cmp_eq_u32_e32 vcc_lo, 0, v7
	s_add_i32 s67, s67, 16
	ds_read_b128 v[125:128], v8
	s_or_b32 s4, vcc_lo, s4
	s_waitcnt vmcnt(2) lgkmcnt(0)
	v_mul_f64 v[133:134], v[127:128], v[129:130]
	v_mul_f64 v[129:130], v[125:126], v[129:130]
	s_waitcnt vmcnt(0)
	v_fma_f64 v[125:126], v[125:126], v[131:132], -v[133:134]
	v_fma_f64 v[127:128], v[127:128], v[131:132], v[129:130]
	v_add_f64 v[1:2], v[1:2], v[125:126]
	v_add_f64 v[3:4], v[3:4], v[127:128]
	s_andn2_b32 exec_lo, exec_lo, s4
	s_cbranch_execnz .LBB57_96
; %bb.97:
	s_or_b32 exec_lo, exec_lo, s4
.LBB57_98:
	s_or_b32 exec_lo, exec_lo, s8
	v_mov_b32_e32 v7, 0
	ds_read_b128 v[125:128], v7 offset:720
	s_waitcnt lgkmcnt(0)
	v_mul_f64 v[7:8], v[3:4], v[127:128]
	v_mul_f64 v[127:128], v[1:2], v[127:128]
	v_fma_f64 v[1:2], v[1:2], v[125:126], -v[7:8]
	v_fma_f64 v[3:4], v[3:4], v[125:126], v[127:128]
	buffer_store_dword v2, off, s[0:3], 0 offset:724
	buffer_store_dword v1, off, s[0:3], 0 offset:720
	;; [unrolled: 1-line block ×4, first 2 shown]
.LBB57_99:
	s_or_b32 exec_lo, exec_lo, s6
	v_mov_b32_e32 v4, s21
	v_cmp_lt_u32_e64 s4, 44, v0
	s_clause 0x3
	buffer_load_dword v1, v4, s[0:3], 0 offen
	buffer_load_dword v2, v4, s[0:3], 0 offen offset:4
	buffer_load_dword v3, v4, s[0:3], 0 offen offset:8
	;; [unrolled: 1-line block ×3, first 2 shown]
	s_waitcnt vmcnt(0)
	ds_write_b128 v6, v[1:4]
	s_waitcnt lgkmcnt(0)
	s_waitcnt_vscnt null, 0x0
	s_barrier
	buffer_gl0_inv
	s_and_saveexec_b32 s6, s4
	s_cbranch_execz .LBB57_107
; %bb.100:
	ds_read_b128 v[1:4], v6
	s_andn2_b32 vcc_lo, exec_lo, s66
	s_cbranch_vccnz .LBB57_102
; %bb.101:
	s_clause 0x3
	buffer_load_dword v7, v5, s[0:3], 0 offen offset:8
	buffer_load_dword v8, v5, s[0:3], 0 offen offset:12
	buffer_load_dword v125, v5, s[0:3], 0 offen
	buffer_load_dword v126, v5, s[0:3], 0 offen offset:4
	s_waitcnt vmcnt(2) lgkmcnt(0)
	v_mul_f64 v[127:128], v[3:4], v[7:8]
	v_mul_f64 v[7:8], v[1:2], v[7:8]
	s_waitcnt vmcnt(0)
	v_fma_f64 v[1:2], v[1:2], v[125:126], -v[127:128]
	v_fma_f64 v[3:4], v[3:4], v[125:126], v[7:8]
.LBB57_102:
	s_and_saveexec_b32 s8, s5
	s_cbranch_execz .LBB57_106
; %bb.103:
	v_subrev_nc_u32_e32 v7, 45, v0
	s_movk_i32 s67, 0x670
	s_mov_b32 s5, 0
	s_mov_b32 s68, s20
	.p2align	6
.LBB57_104:                             ; =>This Inner Loop Header: Depth=1
	v_mov_b32_e32 v8, s68
	v_add_nc_u32_e32 v7, -1, v7
	s_add_i32 s68, s68, 16
	s_clause 0x3
	buffer_load_dword v129, v8, s[0:3], 0 offen offset:8
	buffer_load_dword v130, v8, s[0:3], 0 offen offset:12
	buffer_load_dword v131, v8, s[0:3], 0 offen
	buffer_load_dword v132, v8, s[0:3], 0 offen offset:4
	v_mov_b32_e32 v8, s67
	v_cmp_eq_u32_e32 vcc_lo, 0, v7
	s_add_i32 s67, s67, 16
	ds_read_b128 v[125:128], v8
	s_or_b32 s5, vcc_lo, s5
	s_waitcnt vmcnt(2) lgkmcnt(0)
	v_mul_f64 v[133:134], v[127:128], v[129:130]
	v_mul_f64 v[129:130], v[125:126], v[129:130]
	s_waitcnt vmcnt(0)
	v_fma_f64 v[125:126], v[125:126], v[131:132], -v[133:134]
	v_fma_f64 v[127:128], v[127:128], v[131:132], v[129:130]
	v_add_f64 v[1:2], v[1:2], v[125:126]
	v_add_f64 v[3:4], v[3:4], v[127:128]
	s_andn2_b32 exec_lo, exec_lo, s5
	s_cbranch_execnz .LBB57_104
; %bb.105:
	s_or_b32 exec_lo, exec_lo, s5
.LBB57_106:
	s_or_b32 exec_lo, exec_lo, s8
	v_mov_b32_e32 v7, 0
	ds_read_b128 v[125:128], v7 offset:704
	s_waitcnt lgkmcnt(0)
	v_mul_f64 v[7:8], v[3:4], v[127:128]
	v_mul_f64 v[127:128], v[1:2], v[127:128]
	v_fma_f64 v[1:2], v[1:2], v[125:126], -v[7:8]
	v_fma_f64 v[3:4], v[3:4], v[125:126], v[127:128]
	buffer_store_dword v2, off, s[0:3], 0 offset:708
	buffer_store_dword v1, off, s[0:3], 0 offset:704
	;; [unrolled: 1-line block ×4, first 2 shown]
.LBB57_107:
	s_or_b32 exec_lo, exec_lo, s6
	v_mov_b32_e32 v4, s22
	v_cmp_lt_u32_e64 s5, 43, v0
	s_clause 0x3
	buffer_load_dword v1, v4, s[0:3], 0 offen
	buffer_load_dword v2, v4, s[0:3], 0 offen offset:4
	buffer_load_dword v3, v4, s[0:3], 0 offen offset:8
	;; [unrolled: 1-line block ×3, first 2 shown]
	s_waitcnt vmcnt(0)
	ds_write_b128 v6, v[1:4]
	s_waitcnt lgkmcnt(0)
	s_waitcnt_vscnt null, 0x0
	s_barrier
	buffer_gl0_inv
	s_and_saveexec_b32 s6, s5
	s_cbranch_execz .LBB57_115
; %bb.108:
	ds_read_b128 v[1:4], v6
	s_andn2_b32 vcc_lo, exec_lo, s66
	s_cbranch_vccnz .LBB57_110
; %bb.109:
	s_clause 0x3
	buffer_load_dword v7, v5, s[0:3], 0 offen offset:8
	buffer_load_dword v8, v5, s[0:3], 0 offen offset:12
	buffer_load_dword v125, v5, s[0:3], 0 offen
	buffer_load_dword v126, v5, s[0:3], 0 offen offset:4
	s_waitcnt vmcnt(2) lgkmcnt(0)
	v_mul_f64 v[127:128], v[3:4], v[7:8]
	v_mul_f64 v[7:8], v[1:2], v[7:8]
	s_waitcnt vmcnt(0)
	v_fma_f64 v[1:2], v[1:2], v[125:126], -v[127:128]
	v_fma_f64 v[3:4], v[3:4], v[125:126], v[7:8]
.LBB57_110:
	s_and_saveexec_b32 s8, s4
	s_cbranch_execz .LBB57_114
; %bb.111:
	v_subrev_nc_u32_e32 v7, 44, v0
	s_movk_i32 s67, 0x660
	s_mov_b32 s4, 0
	s_mov_b32 s68, s21
	.p2align	6
.LBB57_112:                             ; =>This Inner Loop Header: Depth=1
	v_mov_b32_e32 v8, s68
	v_add_nc_u32_e32 v7, -1, v7
	s_add_i32 s68, s68, 16
	s_clause 0x3
	buffer_load_dword v129, v8, s[0:3], 0 offen offset:8
	buffer_load_dword v130, v8, s[0:3], 0 offen offset:12
	buffer_load_dword v131, v8, s[0:3], 0 offen
	buffer_load_dword v132, v8, s[0:3], 0 offen offset:4
	v_mov_b32_e32 v8, s67
	v_cmp_eq_u32_e32 vcc_lo, 0, v7
	s_add_i32 s67, s67, 16
	ds_read_b128 v[125:128], v8
	s_or_b32 s4, vcc_lo, s4
	s_waitcnt vmcnt(2) lgkmcnt(0)
	v_mul_f64 v[133:134], v[127:128], v[129:130]
	v_mul_f64 v[129:130], v[125:126], v[129:130]
	s_waitcnt vmcnt(0)
	v_fma_f64 v[125:126], v[125:126], v[131:132], -v[133:134]
	v_fma_f64 v[127:128], v[127:128], v[131:132], v[129:130]
	v_add_f64 v[1:2], v[1:2], v[125:126]
	v_add_f64 v[3:4], v[3:4], v[127:128]
	s_andn2_b32 exec_lo, exec_lo, s4
	s_cbranch_execnz .LBB57_112
; %bb.113:
	s_or_b32 exec_lo, exec_lo, s4
.LBB57_114:
	s_or_b32 exec_lo, exec_lo, s8
	v_mov_b32_e32 v7, 0
	ds_read_b128 v[125:128], v7 offset:688
	s_waitcnt lgkmcnt(0)
	v_mul_f64 v[7:8], v[3:4], v[127:128]
	v_mul_f64 v[127:128], v[1:2], v[127:128]
	v_fma_f64 v[1:2], v[1:2], v[125:126], -v[7:8]
	v_fma_f64 v[3:4], v[3:4], v[125:126], v[127:128]
	buffer_store_dword v2, off, s[0:3], 0 offset:692
	buffer_store_dword v1, off, s[0:3], 0 offset:688
	;; [unrolled: 1-line block ×4, first 2 shown]
.LBB57_115:
	s_or_b32 exec_lo, exec_lo, s6
	v_mov_b32_e32 v4, s23
	v_cmp_lt_u32_e64 s4, 42, v0
	s_clause 0x3
	buffer_load_dword v1, v4, s[0:3], 0 offen
	buffer_load_dword v2, v4, s[0:3], 0 offen offset:4
	buffer_load_dword v3, v4, s[0:3], 0 offen offset:8
	;; [unrolled: 1-line block ×3, first 2 shown]
	s_waitcnt vmcnt(0)
	ds_write_b128 v6, v[1:4]
	s_waitcnt lgkmcnt(0)
	s_waitcnt_vscnt null, 0x0
	s_barrier
	buffer_gl0_inv
	s_and_saveexec_b32 s6, s4
	s_cbranch_execz .LBB57_123
; %bb.116:
	ds_read_b128 v[1:4], v6
	s_andn2_b32 vcc_lo, exec_lo, s66
	s_cbranch_vccnz .LBB57_118
; %bb.117:
	s_clause 0x3
	buffer_load_dword v7, v5, s[0:3], 0 offen offset:8
	buffer_load_dword v8, v5, s[0:3], 0 offen offset:12
	buffer_load_dword v125, v5, s[0:3], 0 offen
	buffer_load_dword v126, v5, s[0:3], 0 offen offset:4
	s_waitcnt vmcnt(2) lgkmcnt(0)
	v_mul_f64 v[127:128], v[3:4], v[7:8]
	v_mul_f64 v[7:8], v[1:2], v[7:8]
	s_waitcnt vmcnt(0)
	v_fma_f64 v[1:2], v[1:2], v[125:126], -v[127:128]
	v_fma_f64 v[3:4], v[3:4], v[125:126], v[7:8]
.LBB57_118:
	s_and_saveexec_b32 s8, s5
	s_cbranch_execz .LBB57_122
; %bb.119:
	v_subrev_nc_u32_e32 v7, 43, v0
	s_movk_i32 s67, 0x650
	s_mov_b32 s5, 0
	s_mov_b32 s68, s22
	.p2align	6
.LBB57_120:                             ; =>This Inner Loop Header: Depth=1
	v_mov_b32_e32 v8, s68
	v_add_nc_u32_e32 v7, -1, v7
	s_add_i32 s68, s68, 16
	s_clause 0x3
	buffer_load_dword v129, v8, s[0:3], 0 offen offset:8
	buffer_load_dword v130, v8, s[0:3], 0 offen offset:12
	buffer_load_dword v131, v8, s[0:3], 0 offen
	buffer_load_dword v132, v8, s[0:3], 0 offen offset:4
	v_mov_b32_e32 v8, s67
	v_cmp_eq_u32_e32 vcc_lo, 0, v7
	s_add_i32 s67, s67, 16
	ds_read_b128 v[125:128], v8
	s_or_b32 s5, vcc_lo, s5
	s_waitcnt vmcnt(2) lgkmcnt(0)
	v_mul_f64 v[133:134], v[127:128], v[129:130]
	v_mul_f64 v[129:130], v[125:126], v[129:130]
	s_waitcnt vmcnt(0)
	v_fma_f64 v[125:126], v[125:126], v[131:132], -v[133:134]
	v_fma_f64 v[127:128], v[127:128], v[131:132], v[129:130]
	v_add_f64 v[1:2], v[1:2], v[125:126]
	v_add_f64 v[3:4], v[3:4], v[127:128]
	s_andn2_b32 exec_lo, exec_lo, s5
	s_cbranch_execnz .LBB57_120
; %bb.121:
	s_or_b32 exec_lo, exec_lo, s5
.LBB57_122:
	s_or_b32 exec_lo, exec_lo, s8
	v_mov_b32_e32 v7, 0
	ds_read_b128 v[125:128], v7 offset:672
	s_waitcnt lgkmcnt(0)
	v_mul_f64 v[7:8], v[3:4], v[127:128]
	v_mul_f64 v[127:128], v[1:2], v[127:128]
	v_fma_f64 v[1:2], v[1:2], v[125:126], -v[7:8]
	v_fma_f64 v[3:4], v[3:4], v[125:126], v[127:128]
	buffer_store_dword v2, off, s[0:3], 0 offset:676
	buffer_store_dword v1, off, s[0:3], 0 offset:672
	;; [unrolled: 1-line block ×4, first 2 shown]
.LBB57_123:
	s_or_b32 exec_lo, exec_lo, s6
	v_mov_b32_e32 v4, s24
	v_cmp_lt_u32_e64 s5, 41, v0
	s_clause 0x3
	buffer_load_dword v1, v4, s[0:3], 0 offen
	buffer_load_dword v2, v4, s[0:3], 0 offen offset:4
	buffer_load_dword v3, v4, s[0:3], 0 offen offset:8
	;; [unrolled: 1-line block ×3, first 2 shown]
	s_waitcnt vmcnt(0)
	ds_write_b128 v6, v[1:4]
	s_waitcnt lgkmcnt(0)
	s_waitcnt_vscnt null, 0x0
	s_barrier
	buffer_gl0_inv
	s_and_saveexec_b32 s6, s5
	s_cbranch_execz .LBB57_131
; %bb.124:
	ds_read_b128 v[1:4], v6
	s_andn2_b32 vcc_lo, exec_lo, s66
	s_cbranch_vccnz .LBB57_126
; %bb.125:
	s_clause 0x3
	buffer_load_dword v7, v5, s[0:3], 0 offen offset:8
	buffer_load_dword v8, v5, s[0:3], 0 offen offset:12
	buffer_load_dword v125, v5, s[0:3], 0 offen
	buffer_load_dword v126, v5, s[0:3], 0 offen offset:4
	s_waitcnt vmcnt(2) lgkmcnt(0)
	v_mul_f64 v[127:128], v[3:4], v[7:8]
	v_mul_f64 v[7:8], v[1:2], v[7:8]
	s_waitcnt vmcnt(0)
	v_fma_f64 v[1:2], v[1:2], v[125:126], -v[127:128]
	v_fma_f64 v[3:4], v[3:4], v[125:126], v[7:8]
.LBB57_126:
	s_and_saveexec_b32 s8, s4
	s_cbranch_execz .LBB57_130
; %bb.127:
	v_subrev_nc_u32_e32 v7, 42, v0
	s_movk_i32 s67, 0x640
	s_mov_b32 s4, 0
	s_mov_b32 s68, s23
	.p2align	6
.LBB57_128:                             ; =>This Inner Loop Header: Depth=1
	v_mov_b32_e32 v8, s68
	v_add_nc_u32_e32 v7, -1, v7
	s_add_i32 s68, s68, 16
	s_clause 0x3
	buffer_load_dword v129, v8, s[0:3], 0 offen offset:8
	buffer_load_dword v130, v8, s[0:3], 0 offen offset:12
	buffer_load_dword v131, v8, s[0:3], 0 offen
	buffer_load_dword v132, v8, s[0:3], 0 offen offset:4
	v_mov_b32_e32 v8, s67
	v_cmp_eq_u32_e32 vcc_lo, 0, v7
	s_add_i32 s67, s67, 16
	ds_read_b128 v[125:128], v8
	s_or_b32 s4, vcc_lo, s4
	s_waitcnt vmcnt(2) lgkmcnt(0)
	v_mul_f64 v[133:134], v[127:128], v[129:130]
	v_mul_f64 v[129:130], v[125:126], v[129:130]
	s_waitcnt vmcnt(0)
	v_fma_f64 v[125:126], v[125:126], v[131:132], -v[133:134]
	v_fma_f64 v[127:128], v[127:128], v[131:132], v[129:130]
	v_add_f64 v[1:2], v[1:2], v[125:126]
	v_add_f64 v[3:4], v[3:4], v[127:128]
	s_andn2_b32 exec_lo, exec_lo, s4
	s_cbranch_execnz .LBB57_128
; %bb.129:
	s_or_b32 exec_lo, exec_lo, s4
.LBB57_130:
	s_or_b32 exec_lo, exec_lo, s8
	v_mov_b32_e32 v7, 0
	ds_read_b128 v[125:128], v7 offset:656
	s_waitcnt lgkmcnt(0)
	v_mul_f64 v[7:8], v[3:4], v[127:128]
	v_mul_f64 v[127:128], v[1:2], v[127:128]
	v_fma_f64 v[1:2], v[1:2], v[125:126], -v[7:8]
	v_fma_f64 v[3:4], v[3:4], v[125:126], v[127:128]
	buffer_store_dword v2, off, s[0:3], 0 offset:660
	buffer_store_dword v1, off, s[0:3], 0 offset:656
	;; [unrolled: 1-line block ×4, first 2 shown]
.LBB57_131:
	s_or_b32 exec_lo, exec_lo, s6
	v_mov_b32_e32 v4, s25
	v_cmp_lt_u32_e64 s4, 40, v0
	s_clause 0x3
	buffer_load_dword v1, v4, s[0:3], 0 offen
	buffer_load_dword v2, v4, s[0:3], 0 offen offset:4
	buffer_load_dword v3, v4, s[0:3], 0 offen offset:8
	;; [unrolled: 1-line block ×3, first 2 shown]
	s_waitcnt vmcnt(0)
	ds_write_b128 v6, v[1:4]
	s_waitcnt lgkmcnt(0)
	s_waitcnt_vscnt null, 0x0
	s_barrier
	buffer_gl0_inv
	s_and_saveexec_b32 s6, s4
	s_cbranch_execz .LBB57_139
; %bb.132:
	ds_read_b128 v[1:4], v6
	s_andn2_b32 vcc_lo, exec_lo, s66
	s_cbranch_vccnz .LBB57_134
; %bb.133:
	s_clause 0x3
	buffer_load_dword v7, v5, s[0:3], 0 offen offset:8
	buffer_load_dword v8, v5, s[0:3], 0 offen offset:12
	buffer_load_dword v125, v5, s[0:3], 0 offen
	buffer_load_dword v126, v5, s[0:3], 0 offen offset:4
	s_waitcnt vmcnt(2) lgkmcnt(0)
	v_mul_f64 v[127:128], v[3:4], v[7:8]
	v_mul_f64 v[7:8], v[1:2], v[7:8]
	s_waitcnt vmcnt(0)
	v_fma_f64 v[1:2], v[1:2], v[125:126], -v[127:128]
	v_fma_f64 v[3:4], v[3:4], v[125:126], v[7:8]
.LBB57_134:
	s_and_saveexec_b32 s8, s5
	s_cbranch_execz .LBB57_138
; %bb.135:
	v_subrev_nc_u32_e32 v7, 41, v0
	s_movk_i32 s67, 0x630
	s_mov_b32 s5, 0
	s_mov_b32 s68, s24
	.p2align	6
.LBB57_136:                             ; =>This Inner Loop Header: Depth=1
	v_mov_b32_e32 v8, s68
	v_add_nc_u32_e32 v7, -1, v7
	s_add_i32 s68, s68, 16
	s_clause 0x3
	buffer_load_dword v129, v8, s[0:3], 0 offen offset:8
	buffer_load_dword v130, v8, s[0:3], 0 offen offset:12
	buffer_load_dword v131, v8, s[0:3], 0 offen
	buffer_load_dword v132, v8, s[0:3], 0 offen offset:4
	v_mov_b32_e32 v8, s67
	v_cmp_eq_u32_e32 vcc_lo, 0, v7
	s_add_i32 s67, s67, 16
	ds_read_b128 v[125:128], v8
	s_or_b32 s5, vcc_lo, s5
	s_waitcnt vmcnt(2) lgkmcnt(0)
	v_mul_f64 v[133:134], v[127:128], v[129:130]
	v_mul_f64 v[129:130], v[125:126], v[129:130]
	s_waitcnt vmcnt(0)
	v_fma_f64 v[125:126], v[125:126], v[131:132], -v[133:134]
	v_fma_f64 v[127:128], v[127:128], v[131:132], v[129:130]
	v_add_f64 v[1:2], v[1:2], v[125:126]
	v_add_f64 v[3:4], v[3:4], v[127:128]
	s_andn2_b32 exec_lo, exec_lo, s5
	s_cbranch_execnz .LBB57_136
; %bb.137:
	s_or_b32 exec_lo, exec_lo, s5
.LBB57_138:
	s_or_b32 exec_lo, exec_lo, s8
	v_mov_b32_e32 v7, 0
	ds_read_b128 v[125:128], v7 offset:640
	s_waitcnt lgkmcnt(0)
	v_mul_f64 v[7:8], v[3:4], v[127:128]
	v_mul_f64 v[127:128], v[1:2], v[127:128]
	v_fma_f64 v[1:2], v[1:2], v[125:126], -v[7:8]
	v_fma_f64 v[3:4], v[3:4], v[125:126], v[127:128]
	buffer_store_dword v2, off, s[0:3], 0 offset:644
	buffer_store_dword v1, off, s[0:3], 0 offset:640
	;; [unrolled: 1-line block ×4, first 2 shown]
.LBB57_139:
	s_or_b32 exec_lo, exec_lo, s6
	v_mov_b32_e32 v4, s26
	v_cmp_lt_u32_e64 s5, 39, v0
	s_clause 0x3
	buffer_load_dword v1, v4, s[0:3], 0 offen
	buffer_load_dword v2, v4, s[0:3], 0 offen offset:4
	buffer_load_dword v3, v4, s[0:3], 0 offen offset:8
	;; [unrolled: 1-line block ×3, first 2 shown]
	s_waitcnt vmcnt(0)
	ds_write_b128 v6, v[1:4]
	s_waitcnt lgkmcnt(0)
	s_waitcnt_vscnt null, 0x0
	s_barrier
	buffer_gl0_inv
	s_and_saveexec_b32 s6, s5
	s_cbranch_execz .LBB57_147
; %bb.140:
	ds_read_b128 v[1:4], v6
	s_andn2_b32 vcc_lo, exec_lo, s66
	s_cbranch_vccnz .LBB57_142
; %bb.141:
	s_clause 0x3
	buffer_load_dword v7, v5, s[0:3], 0 offen offset:8
	buffer_load_dword v8, v5, s[0:3], 0 offen offset:12
	buffer_load_dword v125, v5, s[0:3], 0 offen
	buffer_load_dword v126, v5, s[0:3], 0 offen offset:4
	s_waitcnt vmcnt(2) lgkmcnt(0)
	v_mul_f64 v[127:128], v[3:4], v[7:8]
	v_mul_f64 v[7:8], v[1:2], v[7:8]
	s_waitcnt vmcnt(0)
	v_fma_f64 v[1:2], v[1:2], v[125:126], -v[127:128]
	v_fma_f64 v[3:4], v[3:4], v[125:126], v[7:8]
.LBB57_142:
	s_and_saveexec_b32 s8, s4
	s_cbranch_execz .LBB57_146
; %bb.143:
	v_subrev_nc_u32_e32 v7, 40, v0
	s_movk_i32 s67, 0x620
	s_mov_b32 s4, 0
	s_mov_b32 s68, s25
	.p2align	6
.LBB57_144:                             ; =>This Inner Loop Header: Depth=1
	v_mov_b32_e32 v8, s68
	v_add_nc_u32_e32 v7, -1, v7
	s_add_i32 s68, s68, 16
	s_clause 0x3
	buffer_load_dword v129, v8, s[0:3], 0 offen offset:8
	buffer_load_dword v130, v8, s[0:3], 0 offen offset:12
	buffer_load_dword v131, v8, s[0:3], 0 offen
	buffer_load_dword v132, v8, s[0:3], 0 offen offset:4
	v_mov_b32_e32 v8, s67
	v_cmp_eq_u32_e32 vcc_lo, 0, v7
	s_add_i32 s67, s67, 16
	ds_read_b128 v[125:128], v8
	s_or_b32 s4, vcc_lo, s4
	s_waitcnt vmcnt(2) lgkmcnt(0)
	v_mul_f64 v[133:134], v[127:128], v[129:130]
	v_mul_f64 v[129:130], v[125:126], v[129:130]
	s_waitcnt vmcnt(0)
	v_fma_f64 v[125:126], v[125:126], v[131:132], -v[133:134]
	v_fma_f64 v[127:128], v[127:128], v[131:132], v[129:130]
	v_add_f64 v[1:2], v[1:2], v[125:126]
	v_add_f64 v[3:4], v[3:4], v[127:128]
	s_andn2_b32 exec_lo, exec_lo, s4
	s_cbranch_execnz .LBB57_144
; %bb.145:
	s_or_b32 exec_lo, exec_lo, s4
.LBB57_146:
	s_or_b32 exec_lo, exec_lo, s8
	v_mov_b32_e32 v7, 0
	ds_read_b128 v[125:128], v7 offset:624
	s_waitcnt lgkmcnt(0)
	v_mul_f64 v[7:8], v[3:4], v[127:128]
	v_mul_f64 v[127:128], v[1:2], v[127:128]
	v_fma_f64 v[1:2], v[1:2], v[125:126], -v[7:8]
	v_fma_f64 v[3:4], v[3:4], v[125:126], v[127:128]
	buffer_store_dword v2, off, s[0:3], 0 offset:628
	buffer_store_dword v1, off, s[0:3], 0 offset:624
	buffer_store_dword v4, off, s[0:3], 0 offset:636
	buffer_store_dword v3, off, s[0:3], 0 offset:632
.LBB57_147:
	s_or_b32 exec_lo, exec_lo, s6
	v_mov_b32_e32 v4, s27
	v_cmp_lt_u32_e64 s4, 38, v0
	s_clause 0x3
	buffer_load_dword v1, v4, s[0:3], 0 offen
	buffer_load_dword v2, v4, s[0:3], 0 offen offset:4
	buffer_load_dword v3, v4, s[0:3], 0 offen offset:8
	;; [unrolled: 1-line block ×3, first 2 shown]
	s_waitcnt vmcnt(0)
	ds_write_b128 v6, v[1:4]
	s_waitcnt lgkmcnt(0)
	s_waitcnt_vscnt null, 0x0
	s_barrier
	buffer_gl0_inv
	s_and_saveexec_b32 s6, s4
	s_cbranch_execz .LBB57_155
; %bb.148:
	ds_read_b128 v[1:4], v6
	s_andn2_b32 vcc_lo, exec_lo, s66
	s_cbranch_vccnz .LBB57_150
; %bb.149:
	s_clause 0x3
	buffer_load_dword v7, v5, s[0:3], 0 offen offset:8
	buffer_load_dword v8, v5, s[0:3], 0 offen offset:12
	buffer_load_dword v125, v5, s[0:3], 0 offen
	buffer_load_dword v126, v5, s[0:3], 0 offen offset:4
	s_waitcnt vmcnt(2) lgkmcnt(0)
	v_mul_f64 v[127:128], v[3:4], v[7:8]
	v_mul_f64 v[7:8], v[1:2], v[7:8]
	s_waitcnt vmcnt(0)
	v_fma_f64 v[1:2], v[1:2], v[125:126], -v[127:128]
	v_fma_f64 v[3:4], v[3:4], v[125:126], v[7:8]
.LBB57_150:
	s_and_saveexec_b32 s8, s5
	s_cbranch_execz .LBB57_154
; %bb.151:
	v_subrev_nc_u32_e32 v7, 39, v0
	s_movk_i32 s67, 0x610
	s_mov_b32 s5, 0
	s_mov_b32 s68, s26
	.p2align	6
.LBB57_152:                             ; =>This Inner Loop Header: Depth=1
	v_mov_b32_e32 v8, s68
	v_add_nc_u32_e32 v7, -1, v7
	s_add_i32 s68, s68, 16
	s_clause 0x3
	buffer_load_dword v129, v8, s[0:3], 0 offen offset:8
	buffer_load_dword v130, v8, s[0:3], 0 offen offset:12
	buffer_load_dword v131, v8, s[0:3], 0 offen
	buffer_load_dword v132, v8, s[0:3], 0 offen offset:4
	v_mov_b32_e32 v8, s67
	v_cmp_eq_u32_e32 vcc_lo, 0, v7
	s_add_i32 s67, s67, 16
	ds_read_b128 v[125:128], v8
	s_or_b32 s5, vcc_lo, s5
	s_waitcnt vmcnt(2) lgkmcnt(0)
	v_mul_f64 v[133:134], v[127:128], v[129:130]
	v_mul_f64 v[129:130], v[125:126], v[129:130]
	s_waitcnt vmcnt(0)
	v_fma_f64 v[125:126], v[125:126], v[131:132], -v[133:134]
	v_fma_f64 v[127:128], v[127:128], v[131:132], v[129:130]
	v_add_f64 v[1:2], v[1:2], v[125:126]
	v_add_f64 v[3:4], v[3:4], v[127:128]
	s_andn2_b32 exec_lo, exec_lo, s5
	s_cbranch_execnz .LBB57_152
; %bb.153:
	s_or_b32 exec_lo, exec_lo, s5
.LBB57_154:
	s_or_b32 exec_lo, exec_lo, s8
	v_mov_b32_e32 v7, 0
	ds_read_b128 v[125:128], v7 offset:608
	s_waitcnt lgkmcnt(0)
	v_mul_f64 v[7:8], v[3:4], v[127:128]
	v_mul_f64 v[127:128], v[1:2], v[127:128]
	v_fma_f64 v[1:2], v[1:2], v[125:126], -v[7:8]
	v_fma_f64 v[3:4], v[3:4], v[125:126], v[127:128]
	buffer_store_dword v2, off, s[0:3], 0 offset:612
	buffer_store_dword v1, off, s[0:3], 0 offset:608
	;; [unrolled: 1-line block ×4, first 2 shown]
.LBB57_155:
	s_or_b32 exec_lo, exec_lo, s6
	v_mov_b32_e32 v4, s28
	v_cmp_lt_u32_e64 s5, 37, v0
	s_clause 0x3
	buffer_load_dword v1, v4, s[0:3], 0 offen
	buffer_load_dword v2, v4, s[0:3], 0 offen offset:4
	buffer_load_dword v3, v4, s[0:3], 0 offen offset:8
	;; [unrolled: 1-line block ×3, first 2 shown]
	s_waitcnt vmcnt(0)
	ds_write_b128 v6, v[1:4]
	s_waitcnt lgkmcnt(0)
	s_waitcnt_vscnt null, 0x0
	s_barrier
	buffer_gl0_inv
	s_and_saveexec_b32 s6, s5
	s_cbranch_execz .LBB57_163
; %bb.156:
	ds_read_b128 v[1:4], v6
	s_andn2_b32 vcc_lo, exec_lo, s66
	s_cbranch_vccnz .LBB57_158
; %bb.157:
	s_clause 0x3
	buffer_load_dword v7, v5, s[0:3], 0 offen offset:8
	buffer_load_dword v8, v5, s[0:3], 0 offen offset:12
	buffer_load_dword v125, v5, s[0:3], 0 offen
	buffer_load_dword v126, v5, s[0:3], 0 offen offset:4
	s_waitcnt vmcnt(2) lgkmcnt(0)
	v_mul_f64 v[127:128], v[3:4], v[7:8]
	v_mul_f64 v[7:8], v[1:2], v[7:8]
	s_waitcnt vmcnt(0)
	v_fma_f64 v[1:2], v[1:2], v[125:126], -v[127:128]
	v_fma_f64 v[3:4], v[3:4], v[125:126], v[7:8]
.LBB57_158:
	s_and_saveexec_b32 s8, s4
	s_cbranch_execz .LBB57_162
; %bb.159:
	v_subrev_nc_u32_e32 v7, 38, v0
	s_movk_i32 s67, 0x600
	s_mov_b32 s4, 0
	s_mov_b32 s68, s27
	.p2align	6
.LBB57_160:                             ; =>This Inner Loop Header: Depth=1
	v_mov_b32_e32 v8, s68
	v_add_nc_u32_e32 v7, -1, v7
	s_add_i32 s68, s68, 16
	s_clause 0x3
	buffer_load_dword v129, v8, s[0:3], 0 offen offset:8
	buffer_load_dword v130, v8, s[0:3], 0 offen offset:12
	buffer_load_dword v131, v8, s[0:3], 0 offen
	buffer_load_dword v132, v8, s[0:3], 0 offen offset:4
	v_mov_b32_e32 v8, s67
	v_cmp_eq_u32_e32 vcc_lo, 0, v7
	s_add_i32 s67, s67, 16
	ds_read_b128 v[125:128], v8
	s_or_b32 s4, vcc_lo, s4
	s_waitcnt vmcnt(2) lgkmcnt(0)
	v_mul_f64 v[133:134], v[127:128], v[129:130]
	v_mul_f64 v[129:130], v[125:126], v[129:130]
	s_waitcnt vmcnt(0)
	v_fma_f64 v[125:126], v[125:126], v[131:132], -v[133:134]
	v_fma_f64 v[127:128], v[127:128], v[131:132], v[129:130]
	v_add_f64 v[1:2], v[1:2], v[125:126]
	v_add_f64 v[3:4], v[3:4], v[127:128]
	s_andn2_b32 exec_lo, exec_lo, s4
	s_cbranch_execnz .LBB57_160
; %bb.161:
	s_or_b32 exec_lo, exec_lo, s4
.LBB57_162:
	s_or_b32 exec_lo, exec_lo, s8
	v_mov_b32_e32 v7, 0
	ds_read_b128 v[125:128], v7 offset:592
	s_waitcnt lgkmcnt(0)
	v_mul_f64 v[7:8], v[3:4], v[127:128]
	v_mul_f64 v[127:128], v[1:2], v[127:128]
	v_fma_f64 v[1:2], v[1:2], v[125:126], -v[7:8]
	v_fma_f64 v[3:4], v[3:4], v[125:126], v[127:128]
	buffer_store_dword v2, off, s[0:3], 0 offset:596
	buffer_store_dword v1, off, s[0:3], 0 offset:592
	;; [unrolled: 1-line block ×4, first 2 shown]
.LBB57_163:
	s_or_b32 exec_lo, exec_lo, s6
	v_mov_b32_e32 v4, s29
	v_cmp_lt_u32_e64 s4, 36, v0
	s_clause 0x3
	buffer_load_dword v1, v4, s[0:3], 0 offen
	buffer_load_dword v2, v4, s[0:3], 0 offen offset:4
	buffer_load_dword v3, v4, s[0:3], 0 offen offset:8
	;; [unrolled: 1-line block ×3, first 2 shown]
	s_waitcnt vmcnt(0)
	ds_write_b128 v6, v[1:4]
	s_waitcnt lgkmcnt(0)
	s_waitcnt_vscnt null, 0x0
	s_barrier
	buffer_gl0_inv
	s_and_saveexec_b32 s6, s4
	s_cbranch_execz .LBB57_171
; %bb.164:
	ds_read_b128 v[1:4], v6
	s_andn2_b32 vcc_lo, exec_lo, s66
	s_cbranch_vccnz .LBB57_166
; %bb.165:
	s_clause 0x3
	buffer_load_dword v7, v5, s[0:3], 0 offen offset:8
	buffer_load_dword v8, v5, s[0:3], 0 offen offset:12
	buffer_load_dword v125, v5, s[0:3], 0 offen
	buffer_load_dword v126, v5, s[0:3], 0 offen offset:4
	s_waitcnt vmcnt(2) lgkmcnt(0)
	v_mul_f64 v[127:128], v[3:4], v[7:8]
	v_mul_f64 v[7:8], v[1:2], v[7:8]
	s_waitcnt vmcnt(0)
	v_fma_f64 v[1:2], v[1:2], v[125:126], -v[127:128]
	v_fma_f64 v[3:4], v[3:4], v[125:126], v[7:8]
.LBB57_166:
	s_and_saveexec_b32 s8, s5
	s_cbranch_execz .LBB57_170
; %bb.167:
	v_subrev_nc_u32_e32 v7, 37, v0
	s_movk_i32 s67, 0x5f0
	s_mov_b32 s5, 0
	s_mov_b32 s68, s28
	.p2align	6
.LBB57_168:                             ; =>This Inner Loop Header: Depth=1
	v_mov_b32_e32 v8, s68
	v_add_nc_u32_e32 v7, -1, v7
	s_add_i32 s68, s68, 16
	s_clause 0x3
	buffer_load_dword v129, v8, s[0:3], 0 offen offset:8
	buffer_load_dword v130, v8, s[0:3], 0 offen offset:12
	buffer_load_dword v131, v8, s[0:3], 0 offen
	buffer_load_dword v132, v8, s[0:3], 0 offen offset:4
	v_mov_b32_e32 v8, s67
	v_cmp_eq_u32_e32 vcc_lo, 0, v7
	s_add_i32 s67, s67, 16
	ds_read_b128 v[125:128], v8
	s_or_b32 s5, vcc_lo, s5
	s_waitcnt vmcnt(2) lgkmcnt(0)
	v_mul_f64 v[133:134], v[127:128], v[129:130]
	v_mul_f64 v[129:130], v[125:126], v[129:130]
	s_waitcnt vmcnt(0)
	v_fma_f64 v[125:126], v[125:126], v[131:132], -v[133:134]
	v_fma_f64 v[127:128], v[127:128], v[131:132], v[129:130]
	v_add_f64 v[1:2], v[1:2], v[125:126]
	v_add_f64 v[3:4], v[3:4], v[127:128]
	s_andn2_b32 exec_lo, exec_lo, s5
	s_cbranch_execnz .LBB57_168
; %bb.169:
	s_or_b32 exec_lo, exec_lo, s5
.LBB57_170:
	s_or_b32 exec_lo, exec_lo, s8
	v_mov_b32_e32 v7, 0
	ds_read_b128 v[125:128], v7 offset:576
	s_waitcnt lgkmcnt(0)
	v_mul_f64 v[7:8], v[3:4], v[127:128]
	v_mul_f64 v[127:128], v[1:2], v[127:128]
	v_fma_f64 v[1:2], v[1:2], v[125:126], -v[7:8]
	v_fma_f64 v[3:4], v[3:4], v[125:126], v[127:128]
	buffer_store_dword v2, off, s[0:3], 0 offset:580
	buffer_store_dword v1, off, s[0:3], 0 offset:576
	;; [unrolled: 1-line block ×4, first 2 shown]
.LBB57_171:
	s_or_b32 exec_lo, exec_lo, s6
	v_mov_b32_e32 v4, s30
	v_cmp_lt_u32_e64 s5, 35, v0
	s_clause 0x3
	buffer_load_dword v1, v4, s[0:3], 0 offen
	buffer_load_dword v2, v4, s[0:3], 0 offen offset:4
	buffer_load_dword v3, v4, s[0:3], 0 offen offset:8
	;; [unrolled: 1-line block ×3, first 2 shown]
	s_waitcnt vmcnt(0)
	ds_write_b128 v6, v[1:4]
	s_waitcnt lgkmcnt(0)
	s_waitcnt_vscnt null, 0x0
	s_barrier
	buffer_gl0_inv
	s_and_saveexec_b32 s6, s5
	s_cbranch_execz .LBB57_179
; %bb.172:
	ds_read_b128 v[1:4], v6
	s_andn2_b32 vcc_lo, exec_lo, s66
	s_cbranch_vccnz .LBB57_174
; %bb.173:
	s_clause 0x3
	buffer_load_dword v7, v5, s[0:3], 0 offen offset:8
	buffer_load_dword v8, v5, s[0:3], 0 offen offset:12
	buffer_load_dword v125, v5, s[0:3], 0 offen
	buffer_load_dword v126, v5, s[0:3], 0 offen offset:4
	s_waitcnt vmcnt(2) lgkmcnt(0)
	v_mul_f64 v[127:128], v[3:4], v[7:8]
	v_mul_f64 v[7:8], v[1:2], v[7:8]
	s_waitcnt vmcnt(0)
	v_fma_f64 v[1:2], v[1:2], v[125:126], -v[127:128]
	v_fma_f64 v[3:4], v[3:4], v[125:126], v[7:8]
.LBB57_174:
	s_and_saveexec_b32 s8, s4
	s_cbranch_execz .LBB57_178
; %bb.175:
	v_subrev_nc_u32_e32 v7, 36, v0
	s_movk_i32 s67, 0x5e0
	s_mov_b32 s4, 0
	s_mov_b32 s68, s29
	.p2align	6
.LBB57_176:                             ; =>This Inner Loop Header: Depth=1
	v_mov_b32_e32 v8, s68
	v_add_nc_u32_e32 v7, -1, v7
	s_add_i32 s68, s68, 16
	s_clause 0x3
	buffer_load_dword v129, v8, s[0:3], 0 offen offset:8
	buffer_load_dword v130, v8, s[0:3], 0 offen offset:12
	buffer_load_dword v131, v8, s[0:3], 0 offen
	buffer_load_dword v132, v8, s[0:3], 0 offen offset:4
	v_mov_b32_e32 v8, s67
	v_cmp_eq_u32_e32 vcc_lo, 0, v7
	s_add_i32 s67, s67, 16
	ds_read_b128 v[125:128], v8
	s_or_b32 s4, vcc_lo, s4
	s_waitcnt vmcnt(2) lgkmcnt(0)
	v_mul_f64 v[133:134], v[127:128], v[129:130]
	v_mul_f64 v[129:130], v[125:126], v[129:130]
	s_waitcnt vmcnt(0)
	v_fma_f64 v[125:126], v[125:126], v[131:132], -v[133:134]
	v_fma_f64 v[127:128], v[127:128], v[131:132], v[129:130]
	v_add_f64 v[1:2], v[1:2], v[125:126]
	v_add_f64 v[3:4], v[3:4], v[127:128]
	s_andn2_b32 exec_lo, exec_lo, s4
	s_cbranch_execnz .LBB57_176
; %bb.177:
	s_or_b32 exec_lo, exec_lo, s4
.LBB57_178:
	s_or_b32 exec_lo, exec_lo, s8
	v_mov_b32_e32 v7, 0
	ds_read_b128 v[125:128], v7 offset:560
	s_waitcnt lgkmcnt(0)
	v_mul_f64 v[7:8], v[3:4], v[127:128]
	v_mul_f64 v[127:128], v[1:2], v[127:128]
	v_fma_f64 v[1:2], v[1:2], v[125:126], -v[7:8]
	v_fma_f64 v[3:4], v[3:4], v[125:126], v[127:128]
	buffer_store_dword v2, off, s[0:3], 0 offset:564
	buffer_store_dword v1, off, s[0:3], 0 offset:560
	;; [unrolled: 1-line block ×4, first 2 shown]
.LBB57_179:
	s_or_b32 exec_lo, exec_lo, s6
	v_mov_b32_e32 v4, s31
	v_cmp_lt_u32_e64 s4, 34, v0
	s_clause 0x3
	buffer_load_dword v1, v4, s[0:3], 0 offen
	buffer_load_dword v2, v4, s[0:3], 0 offen offset:4
	buffer_load_dword v3, v4, s[0:3], 0 offen offset:8
	;; [unrolled: 1-line block ×3, first 2 shown]
	s_waitcnt vmcnt(0)
	ds_write_b128 v6, v[1:4]
	s_waitcnt lgkmcnt(0)
	s_waitcnt_vscnt null, 0x0
	s_barrier
	buffer_gl0_inv
	s_and_saveexec_b32 s6, s4
	s_cbranch_execz .LBB57_187
; %bb.180:
	ds_read_b128 v[1:4], v6
	s_andn2_b32 vcc_lo, exec_lo, s66
	s_cbranch_vccnz .LBB57_182
; %bb.181:
	s_clause 0x3
	buffer_load_dword v7, v5, s[0:3], 0 offen offset:8
	buffer_load_dword v8, v5, s[0:3], 0 offen offset:12
	buffer_load_dword v125, v5, s[0:3], 0 offen
	buffer_load_dword v126, v5, s[0:3], 0 offen offset:4
	s_waitcnt vmcnt(2) lgkmcnt(0)
	v_mul_f64 v[127:128], v[3:4], v[7:8]
	v_mul_f64 v[7:8], v[1:2], v[7:8]
	s_waitcnt vmcnt(0)
	v_fma_f64 v[1:2], v[1:2], v[125:126], -v[127:128]
	v_fma_f64 v[3:4], v[3:4], v[125:126], v[7:8]
.LBB57_182:
	s_and_saveexec_b32 s8, s5
	s_cbranch_execz .LBB57_186
; %bb.183:
	v_subrev_nc_u32_e32 v7, 35, v0
	s_movk_i32 s67, 0x5d0
	s_mov_b32 s5, 0
	s_mov_b32 s68, s30
	.p2align	6
.LBB57_184:                             ; =>This Inner Loop Header: Depth=1
	v_mov_b32_e32 v8, s68
	v_add_nc_u32_e32 v7, -1, v7
	s_add_i32 s68, s68, 16
	s_clause 0x3
	buffer_load_dword v129, v8, s[0:3], 0 offen offset:8
	buffer_load_dword v130, v8, s[0:3], 0 offen offset:12
	buffer_load_dword v131, v8, s[0:3], 0 offen
	buffer_load_dword v132, v8, s[0:3], 0 offen offset:4
	v_mov_b32_e32 v8, s67
	v_cmp_eq_u32_e32 vcc_lo, 0, v7
	s_add_i32 s67, s67, 16
	ds_read_b128 v[125:128], v8
	s_or_b32 s5, vcc_lo, s5
	s_waitcnt vmcnt(2) lgkmcnt(0)
	v_mul_f64 v[133:134], v[127:128], v[129:130]
	v_mul_f64 v[129:130], v[125:126], v[129:130]
	s_waitcnt vmcnt(0)
	v_fma_f64 v[125:126], v[125:126], v[131:132], -v[133:134]
	v_fma_f64 v[127:128], v[127:128], v[131:132], v[129:130]
	v_add_f64 v[1:2], v[1:2], v[125:126]
	v_add_f64 v[3:4], v[3:4], v[127:128]
	s_andn2_b32 exec_lo, exec_lo, s5
	s_cbranch_execnz .LBB57_184
; %bb.185:
	s_or_b32 exec_lo, exec_lo, s5
.LBB57_186:
	s_or_b32 exec_lo, exec_lo, s8
	v_mov_b32_e32 v7, 0
	ds_read_b128 v[125:128], v7 offset:544
	s_waitcnt lgkmcnt(0)
	v_mul_f64 v[7:8], v[3:4], v[127:128]
	v_mul_f64 v[127:128], v[1:2], v[127:128]
	v_fma_f64 v[1:2], v[1:2], v[125:126], -v[7:8]
	v_fma_f64 v[3:4], v[3:4], v[125:126], v[127:128]
	buffer_store_dword v2, off, s[0:3], 0 offset:548
	buffer_store_dword v1, off, s[0:3], 0 offset:544
	;; [unrolled: 1-line block ×4, first 2 shown]
.LBB57_187:
	s_or_b32 exec_lo, exec_lo, s6
	v_mov_b32_e32 v4, s33
	v_cmp_lt_u32_e64 s5, 33, v0
	s_clause 0x3
	buffer_load_dword v1, v4, s[0:3], 0 offen
	buffer_load_dword v2, v4, s[0:3], 0 offen offset:4
	buffer_load_dword v3, v4, s[0:3], 0 offen offset:8
	;; [unrolled: 1-line block ×3, first 2 shown]
	s_waitcnt vmcnt(0)
	ds_write_b128 v6, v[1:4]
	s_waitcnt lgkmcnt(0)
	s_waitcnt_vscnt null, 0x0
	s_barrier
	buffer_gl0_inv
	s_and_saveexec_b32 s6, s5
	s_cbranch_execz .LBB57_195
; %bb.188:
	ds_read_b128 v[1:4], v6
	s_andn2_b32 vcc_lo, exec_lo, s66
	s_cbranch_vccnz .LBB57_190
; %bb.189:
	s_clause 0x3
	buffer_load_dword v7, v5, s[0:3], 0 offen offset:8
	buffer_load_dword v8, v5, s[0:3], 0 offen offset:12
	buffer_load_dword v125, v5, s[0:3], 0 offen
	buffer_load_dword v126, v5, s[0:3], 0 offen offset:4
	s_waitcnt vmcnt(2) lgkmcnt(0)
	v_mul_f64 v[127:128], v[3:4], v[7:8]
	v_mul_f64 v[7:8], v[1:2], v[7:8]
	s_waitcnt vmcnt(0)
	v_fma_f64 v[1:2], v[1:2], v[125:126], -v[127:128]
	v_fma_f64 v[3:4], v[3:4], v[125:126], v[7:8]
.LBB57_190:
	s_and_saveexec_b32 s8, s4
	s_cbranch_execz .LBB57_194
; %bb.191:
	v_subrev_nc_u32_e32 v7, 34, v0
	s_movk_i32 s67, 0x5c0
	s_mov_b32 s4, 0
	s_mov_b32 s68, s31
	.p2align	6
.LBB57_192:                             ; =>This Inner Loop Header: Depth=1
	v_mov_b32_e32 v8, s68
	v_add_nc_u32_e32 v7, -1, v7
	s_add_i32 s68, s68, 16
	s_clause 0x3
	buffer_load_dword v129, v8, s[0:3], 0 offen offset:8
	buffer_load_dword v130, v8, s[0:3], 0 offen offset:12
	buffer_load_dword v131, v8, s[0:3], 0 offen
	buffer_load_dword v132, v8, s[0:3], 0 offen offset:4
	v_mov_b32_e32 v8, s67
	v_cmp_eq_u32_e32 vcc_lo, 0, v7
	s_add_i32 s67, s67, 16
	ds_read_b128 v[125:128], v8
	s_or_b32 s4, vcc_lo, s4
	s_waitcnt vmcnt(2) lgkmcnt(0)
	v_mul_f64 v[133:134], v[127:128], v[129:130]
	v_mul_f64 v[129:130], v[125:126], v[129:130]
	s_waitcnt vmcnt(0)
	v_fma_f64 v[125:126], v[125:126], v[131:132], -v[133:134]
	v_fma_f64 v[127:128], v[127:128], v[131:132], v[129:130]
	v_add_f64 v[1:2], v[1:2], v[125:126]
	v_add_f64 v[3:4], v[3:4], v[127:128]
	s_andn2_b32 exec_lo, exec_lo, s4
	s_cbranch_execnz .LBB57_192
; %bb.193:
	s_or_b32 exec_lo, exec_lo, s4
.LBB57_194:
	s_or_b32 exec_lo, exec_lo, s8
	v_mov_b32_e32 v7, 0
	ds_read_b128 v[125:128], v7 offset:528
	s_waitcnt lgkmcnt(0)
	v_mul_f64 v[7:8], v[3:4], v[127:128]
	v_mul_f64 v[127:128], v[1:2], v[127:128]
	v_fma_f64 v[1:2], v[1:2], v[125:126], -v[7:8]
	v_fma_f64 v[3:4], v[3:4], v[125:126], v[127:128]
	buffer_store_dword v2, off, s[0:3], 0 offset:532
	buffer_store_dword v1, off, s[0:3], 0 offset:528
	;; [unrolled: 1-line block ×4, first 2 shown]
.LBB57_195:
	s_or_b32 exec_lo, exec_lo, s6
	v_mov_b32_e32 v4, s34
	v_cmp_lt_u32_e64 s4, 32, v0
	s_clause 0x3
	buffer_load_dword v1, v4, s[0:3], 0 offen
	buffer_load_dword v2, v4, s[0:3], 0 offen offset:4
	buffer_load_dword v3, v4, s[0:3], 0 offen offset:8
	;; [unrolled: 1-line block ×3, first 2 shown]
	s_waitcnt vmcnt(0)
	ds_write_b128 v6, v[1:4]
	s_waitcnt lgkmcnt(0)
	s_waitcnt_vscnt null, 0x0
	s_barrier
	buffer_gl0_inv
	s_and_saveexec_b32 s6, s4
	s_cbranch_execz .LBB57_203
; %bb.196:
	ds_read_b128 v[1:4], v6
	s_andn2_b32 vcc_lo, exec_lo, s66
	s_cbranch_vccnz .LBB57_198
; %bb.197:
	s_clause 0x3
	buffer_load_dword v7, v5, s[0:3], 0 offen offset:8
	buffer_load_dword v8, v5, s[0:3], 0 offen offset:12
	buffer_load_dword v125, v5, s[0:3], 0 offen
	buffer_load_dword v126, v5, s[0:3], 0 offen offset:4
	s_waitcnt vmcnt(2) lgkmcnt(0)
	v_mul_f64 v[127:128], v[3:4], v[7:8]
	v_mul_f64 v[7:8], v[1:2], v[7:8]
	s_waitcnt vmcnt(0)
	v_fma_f64 v[1:2], v[1:2], v[125:126], -v[127:128]
	v_fma_f64 v[3:4], v[3:4], v[125:126], v[7:8]
.LBB57_198:
	s_and_saveexec_b32 s8, s5
	s_cbranch_execz .LBB57_202
; %bb.199:
	v_subrev_nc_u32_e32 v7, 33, v0
	s_movk_i32 s67, 0x5b0
	s_mov_b32 s5, 0
	s_mov_b32 s68, s33
	.p2align	6
.LBB57_200:                             ; =>This Inner Loop Header: Depth=1
	v_mov_b32_e32 v8, s68
	v_add_nc_u32_e32 v7, -1, v7
	s_add_i32 s68, s68, 16
	s_clause 0x3
	buffer_load_dword v129, v8, s[0:3], 0 offen offset:8
	buffer_load_dword v130, v8, s[0:3], 0 offen offset:12
	buffer_load_dword v131, v8, s[0:3], 0 offen
	buffer_load_dword v132, v8, s[0:3], 0 offen offset:4
	v_mov_b32_e32 v8, s67
	v_cmp_eq_u32_e32 vcc_lo, 0, v7
	s_add_i32 s67, s67, 16
	ds_read_b128 v[125:128], v8
	s_or_b32 s5, vcc_lo, s5
	s_waitcnt vmcnt(2) lgkmcnt(0)
	v_mul_f64 v[133:134], v[127:128], v[129:130]
	v_mul_f64 v[129:130], v[125:126], v[129:130]
	s_waitcnt vmcnt(0)
	v_fma_f64 v[125:126], v[125:126], v[131:132], -v[133:134]
	v_fma_f64 v[127:128], v[127:128], v[131:132], v[129:130]
	v_add_f64 v[1:2], v[1:2], v[125:126]
	v_add_f64 v[3:4], v[3:4], v[127:128]
	s_andn2_b32 exec_lo, exec_lo, s5
	s_cbranch_execnz .LBB57_200
; %bb.201:
	s_or_b32 exec_lo, exec_lo, s5
.LBB57_202:
	s_or_b32 exec_lo, exec_lo, s8
	v_mov_b32_e32 v7, 0
	ds_read_b128 v[125:128], v7 offset:512
	s_waitcnt lgkmcnt(0)
	v_mul_f64 v[7:8], v[3:4], v[127:128]
	v_mul_f64 v[127:128], v[1:2], v[127:128]
	v_fma_f64 v[1:2], v[1:2], v[125:126], -v[7:8]
	v_fma_f64 v[3:4], v[3:4], v[125:126], v[127:128]
	buffer_store_dword v2, off, s[0:3], 0 offset:516
	buffer_store_dword v1, off, s[0:3], 0 offset:512
	;; [unrolled: 1-line block ×4, first 2 shown]
.LBB57_203:
	s_or_b32 exec_lo, exec_lo, s6
	v_mov_b32_e32 v4, s35
	v_cmp_lt_u32_e64 s5, 31, v0
	s_clause 0x3
	buffer_load_dword v1, v4, s[0:3], 0 offen
	buffer_load_dword v2, v4, s[0:3], 0 offen offset:4
	buffer_load_dword v3, v4, s[0:3], 0 offen offset:8
	;; [unrolled: 1-line block ×3, first 2 shown]
	s_waitcnt vmcnt(0)
	ds_write_b128 v6, v[1:4]
	s_waitcnt lgkmcnt(0)
	s_waitcnt_vscnt null, 0x0
	s_barrier
	buffer_gl0_inv
	s_and_saveexec_b32 s6, s5
	s_cbranch_execz .LBB57_211
; %bb.204:
	ds_read_b128 v[1:4], v6
	s_andn2_b32 vcc_lo, exec_lo, s66
	s_cbranch_vccnz .LBB57_206
; %bb.205:
	s_clause 0x3
	buffer_load_dword v7, v5, s[0:3], 0 offen offset:8
	buffer_load_dword v8, v5, s[0:3], 0 offen offset:12
	buffer_load_dword v125, v5, s[0:3], 0 offen
	buffer_load_dword v126, v5, s[0:3], 0 offen offset:4
	s_waitcnt vmcnt(2) lgkmcnt(0)
	v_mul_f64 v[127:128], v[3:4], v[7:8]
	v_mul_f64 v[7:8], v[1:2], v[7:8]
	s_waitcnt vmcnt(0)
	v_fma_f64 v[1:2], v[1:2], v[125:126], -v[127:128]
	v_fma_f64 v[3:4], v[3:4], v[125:126], v[7:8]
.LBB57_206:
	s_and_saveexec_b32 s8, s4
	s_cbranch_execz .LBB57_210
; %bb.207:
	v_subrev_nc_u32_e32 v7, 32, v0
	s_movk_i32 s67, 0x5a0
	s_mov_b32 s4, 0
	s_mov_b32 s68, s34
	.p2align	6
.LBB57_208:                             ; =>This Inner Loop Header: Depth=1
	v_mov_b32_e32 v8, s68
	v_add_nc_u32_e32 v7, -1, v7
	s_add_i32 s68, s68, 16
	s_clause 0x3
	buffer_load_dword v129, v8, s[0:3], 0 offen offset:8
	buffer_load_dword v130, v8, s[0:3], 0 offen offset:12
	buffer_load_dword v131, v8, s[0:3], 0 offen
	buffer_load_dword v132, v8, s[0:3], 0 offen offset:4
	v_mov_b32_e32 v8, s67
	v_cmp_eq_u32_e32 vcc_lo, 0, v7
	s_add_i32 s67, s67, 16
	ds_read_b128 v[125:128], v8
	s_or_b32 s4, vcc_lo, s4
	s_waitcnt vmcnt(2) lgkmcnt(0)
	v_mul_f64 v[133:134], v[127:128], v[129:130]
	v_mul_f64 v[129:130], v[125:126], v[129:130]
	s_waitcnt vmcnt(0)
	v_fma_f64 v[125:126], v[125:126], v[131:132], -v[133:134]
	v_fma_f64 v[127:128], v[127:128], v[131:132], v[129:130]
	v_add_f64 v[1:2], v[1:2], v[125:126]
	v_add_f64 v[3:4], v[3:4], v[127:128]
	s_andn2_b32 exec_lo, exec_lo, s4
	s_cbranch_execnz .LBB57_208
; %bb.209:
	s_or_b32 exec_lo, exec_lo, s4
.LBB57_210:
	s_or_b32 exec_lo, exec_lo, s8
	v_mov_b32_e32 v7, 0
	ds_read_b128 v[125:128], v7 offset:496
	s_waitcnt lgkmcnt(0)
	v_mul_f64 v[7:8], v[3:4], v[127:128]
	v_mul_f64 v[127:128], v[1:2], v[127:128]
	v_fma_f64 v[1:2], v[1:2], v[125:126], -v[7:8]
	v_fma_f64 v[3:4], v[3:4], v[125:126], v[127:128]
	buffer_store_dword v2, off, s[0:3], 0 offset:500
	buffer_store_dword v1, off, s[0:3], 0 offset:496
	;; [unrolled: 1-line block ×4, first 2 shown]
.LBB57_211:
	s_or_b32 exec_lo, exec_lo, s6
	v_mov_b32_e32 v4, s36
	v_cmp_lt_u32_e64 s4, 30, v0
	s_clause 0x3
	buffer_load_dword v1, v4, s[0:3], 0 offen
	buffer_load_dword v2, v4, s[0:3], 0 offen offset:4
	buffer_load_dword v3, v4, s[0:3], 0 offen offset:8
	;; [unrolled: 1-line block ×3, first 2 shown]
	s_waitcnt vmcnt(0)
	ds_write_b128 v6, v[1:4]
	s_waitcnt lgkmcnt(0)
	s_waitcnt_vscnt null, 0x0
	s_barrier
	buffer_gl0_inv
	s_and_saveexec_b32 s6, s4
	s_cbranch_execz .LBB57_219
; %bb.212:
	ds_read_b128 v[1:4], v6
	s_andn2_b32 vcc_lo, exec_lo, s66
	s_cbranch_vccnz .LBB57_214
; %bb.213:
	s_clause 0x3
	buffer_load_dword v7, v5, s[0:3], 0 offen offset:8
	buffer_load_dword v8, v5, s[0:3], 0 offen offset:12
	buffer_load_dword v125, v5, s[0:3], 0 offen
	buffer_load_dword v126, v5, s[0:3], 0 offen offset:4
	s_waitcnt vmcnt(2) lgkmcnt(0)
	v_mul_f64 v[127:128], v[3:4], v[7:8]
	v_mul_f64 v[7:8], v[1:2], v[7:8]
	s_waitcnt vmcnt(0)
	v_fma_f64 v[1:2], v[1:2], v[125:126], -v[127:128]
	v_fma_f64 v[3:4], v[3:4], v[125:126], v[7:8]
.LBB57_214:
	s_and_saveexec_b32 s8, s5
	s_cbranch_execz .LBB57_218
; %bb.215:
	v_subrev_nc_u32_e32 v7, 31, v0
	s_movk_i32 s67, 0x590
	s_mov_b32 s5, 0
	s_mov_b32 s68, s35
	.p2align	6
.LBB57_216:                             ; =>This Inner Loop Header: Depth=1
	v_mov_b32_e32 v8, s68
	v_add_nc_u32_e32 v7, -1, v7
	s_add_i32 s68, s68, 16
	s_clause 0x3
	buffer_load_dword v129, v8, s[0:3], 0 offen offset:8
	buffer_load_dword v130, v8, s[0:3], 0 offen offset:12
	buffer_load_dword v131, v8, s[0:3], 0 offen
	buffer_load_dword v132, v8, s[0:3], 0 offen offset:4
	v_mov_b32_e32 v8, s67
	v_cmp_eq_u32_e32 vcc_lo, 0, v7
	s_add_i32 s67, s67, 16
	ds_read_b128 v[125:128], v8
	s_or_b32 s5, vcc_lo, s5
	s_waitcnt vmcnt(2) lgkmcnt(0)
	v_mul_f64 v[133:134], v[127:128], v[129:130]
	v_mul_f64 v[129:130], v[125:126], v[129:130]
	s_waitcnt vmcnt(0)
	v_fma_f64 v[125:126], v[125:126], v[131:132], -v[133:134]
	v_fma_f64 v[127:128], v[127:128], v[131:132], v[129:130]
	v_add_f64 v[1:2], v[1:2], v[125:126]
	v_add_f64 v[3:4], v[3:4], v[127:128]
	s_andn2_b32 exec_lo, exec_lo, s5
	s_cbranch_execnz .LBB57_216
; %bb.217:
	s_or_b32 exec_lo, exec_lo, s5
.LBB57_218:
	s_or_b32 exec_lo, exec_lo, s8
	v_mov_b32_e32 v7, 0
	ds_read_b128 v[125:128], v7 offset:480
	s_waitcnt lgkmcnt(0)
	v_mul_f64 v[7:8], v[3:4], v[127:128]
	v_mul_f64 v[127:128], v[1:2], v[127:128]
	v_fma_f64 v[1:2], v[1:2], v[125:126], -v[7:8]
	v_fma_f64 v[3:4], v[3:4], v[125:126], v[127:128]
	buffer_store_dword v2, off, s[0:3], 0 offset:484
	buffer_store_dword v1, off, s[0:3], 0 offset:480
	;; [unrolled: 1-line block ×4, first 2 shown]
.LBB57_219:
	s_or_b32 exec_lo, exec_lo, s6
	v_mov_b32_e32 v4, s37
	v_cmp_lt_u32_e64 s5, 29, v0
	s_clause 0x3
	buffer_load_dword v1, v4, s[0:3], 0 offen
	buffer_load_dword v2, v4, s[0:3], 0 offen offset:4
	buffer_load_dword v3, v4, s[0:3], 0 offen offset:8
	;; [unrolled: 1-line block ×3, first 2 shown]
	s_waitcnt vmcnt(0)
	ds_write_b128 v6, v[1:4]
	s_waitcnt lgkmcnt(0)
	s_waitcnt_vscnt null, 0x0
	s_barrier
	buffer_gl0_inv
	s_and_saveexec_b32 s6, s5
	s_cbranch_execz .LBB57_227
; %bb.220:
	ds_read_b128 v[1:4], v6
	s_andn2_b32 vcc_lo, exec_lo, s66
	s_cbranch_vccnz .LBB57_222
; %bb.221:
	s_clause 0x3
	buffer_load_dword v7, v5, s[0:3], 0 offen offset:8
	buffer_load_dword v8, v5, s[0:3], 0 offen offset:12
	buffer_load_dword v125, v5, s[0:3], 0 offen
	buffer_load_dword v126, v5, s[0:3], 0 offen offset:4
	s_waitcnt vmcnt(2) lgkmcnt(0)
	v_mul_f64 v[127:128], v[3:4], v[7:8]
	v_mul_f64 v[7:8], v[1:2], v[7:8]
	s_waitcnt vmcnt(0)
	v_fma_f64 v[1:2], v[1:2], v[125:126], -v[127:128]
	v_fma_f64 v[3:4], v[3:4], v[125:126], v[7:8]
.LBB57_222:
	s_and_saveexec_b32 s8, s4
	s_cbranch_execz .LBB57_226
; %bb.223:
	v_subrev_nc_u32_e32 v7, 30, v0
	s_movk_i32 s67, 0x580
	s_mov_b32 s4, 0
	s_mov_b32 s68, s36
	.p2align	6
.LBB57_224:                             ; =>This Inner Loop Header: Depth=1
	v_mov_b32_e32 v8, s68
	v_add_nc_u32_e32 v7, -1, v7
	s_add_i32 s68, s68, 16
	s_clause 0x3
	buffer_load_dword v129, v8, s[0:3], 0 offen offset:8
	buffer_load_dword v130, v8, s[0:3], 0 offen offset:12
	buffer_load_dword v131, v8, s[0:3], 0 offen
	buffer_load_dword v132, v8, s[0:3], 0 offen offset:4
	v_mov_b32_e32 v8, s67
	v_cmp_eq_u32_e32 vcc_lo, 0, v7
	s_add_i32 s67, s67, 16
	ds_read_b128 v[125:128], v8
	s_or_b32 s4, vcc_lo, s4
	s_waitcnt vmcnt(2) lgkmcnt(0)
	v_mul_f64 v[133:134], v[127:128], v[129:130]
	v_mul_f64 v[129:130], v[125:126], v[129:130]
	s_waitcnt vmcnt(0)
	v_fma_f64 v[125:126], v[125:126], v[131:132], -v[133:134]
	v_fma_f64 v[127:128], v[127:128], v[131:132], v[129:130]
	v_add_f64 v[1:2], v[1:2], v[125:126]
	v_add_f64 v[3:4], v[3:4], v[127:128]
	s_andn2_b32 exec_lo, exec_lo, s4
	s_cbranch_execnz .LBB57_224
; %bb.225:
	s_or_b32 exec_lo, exec_lo, s4
.LBB57_226:
	s_or_b32 exec_lo, exec_lo, s8
	v_mov_b32_e32 v7, 0
	ds_read_b128 v[125:128], v7 offset:464
	s_waitcnt lgkmcnt(0)
	v_mul_f64 v[7:8], v[3:4], v[127:128]
	v_mul_f64 v[127:128], v[1:2], v[127:128]
	v_fma_f64 v[1:2], v[1:2], v[125:126], -v[7:8]
	v_fma_f64 v[3:4], v[3:4], v[125:126], v[127:128]
	buffer_store_dword v2, off, s[0:3], 0 offset:468
	buffer_store_dword v1, off, s[0:3], 0 offset:464
	;; [unrolled: 1-line block ×4, first 2 shown]
.LBB57_227:
	s_or_b32 exec_lo, exec_lo, s6
	v_mov_b32_e32 v4, s38
	v_cmp_lt_u32_e64 s4, 28, v0
	s_clause 0x3
	buffer_load_dword v1, v4, s[0:3], 0 offen
	buffer_load_dword v2, v4, s[0:3], 0 offen offset:4
	buffer_load_dword v3, v4, s[0:3], 0 offen offset:8
	;; [unrolled: 1-line block ×3, first 2 shown]
	s_waitcnt vmcnt(0)
	ds_write_b128 v6, v[1:4]
	s_waitcnt lgkmcnt(0)
	s_waitcnt_vscnt null, 0x0
	s_barrier
	buffer_gl0_inv
	s_and_saveexec_b32 s6, s4
	s_cbranch_execz .LBB57_235
; %bb.228:
	ds_read_b128 v[1:4], v6
	s_andn2_b32 vcc_lo, exec_lo, s66
	s_cbranch_vccnz .LBB57_230
; %bb.229:
	s_clause 0x3
	buffer_load_dword v7, v5, s[0:3], 0 offen offset:8
	buffer_load_dword v8, v5, s[0:3], 0 offen offset:12
	buffer_load_dword v125, v5, s[0:3], 0 offen
	buffer_load_dword v126, v5, s[0:3], 0 offen offset:4
	s_waitcnt vmcnt(2) lgkmcnt(0)
	v_mul_f64 v[127:128], v[3:4], v[7:8]
	v_mul_f64 v[7:8], v[1:2], v[7:8]
	s_waitcnt vmcnt(0)
	v_fma_f64 v[1:2], v[1:2], v[125:126], -v[127:128]
	v_fma_f64 v[3:4], v[3:4], v[125:126], v[7:8]
.LBB57_230:
	s_and_saveexec_b32 s8, s5
	s_cbranch_execz .LBB57_234
; %bb.231:
	v_subrev_nc_u32_e32 v7, 29, v0
	s_movk_i32 s67, 0x570
	s_mov_b32 s5, 0
	s_mov_b32 s68, s37
	.p2align	6
.LBB57_232:                             ; =>This Inner Loop Header: Depth=1
	v_mov_b32_e32 v8, s68
	v_add_nc_u32_e32 v7, -1, v7
	s_add_i32 s68, s68, 16
	s_clause 0x3
	buffer_load_dword v129, v8, s[0:3], 0 offen offset:8
	buffer_load_dword v130, v8, s[0:3], 0 offen offset:12
	buffer_load_dword v131, v8, s[0:3], 0 offen
	buffer_load_dword v132, v8, s[0:3], 0 offen offset:4
	v_mov_b32_e32 v8, s67
	v_cmp_eq_u32_e32 vcc_lo, 0, v7
	s_add_i32 s67, s67, 16
	ds_read_b128 v[125:128], v8
	s_or_b32 s5, vcc_lo, s5
	s_waitcnt vmcnt(2) lgkmcnt(0)
	v_mul_f64 v[133:134], v[127:128], v[129:130]
	v_mul_f64 v[129:130], v[125:126], v[129:130]
	s_waitcnt vmcnt(0)
	v_fma_f64 v[125:126], v[125:126], v[131:132], -v[133:134]
	v_fma_f64 v[127:128], v[127:128], v[131:132], v[129:130]
	v_add_f64 v[1:2], v[1:2], v[125:126]
	v_add_f64 v[3:4], v[3:4], v[127:128]
	s_andn2_b32 exec_lo, exec_lo, s5
	s_cbranch_execnz .LBB57_232
; %bb.233:
	s_or_b32 exec_lo, exec_lo, s5
.LBB57_234:
	s_or_b32 exec_lo, exec_lo, s8
	v_mov_b32_e32 v7, 0
	ds_read_b128 v[125:128], v7 offset:448
	s_waitcnt lgkmcnt(0)
	v_mul_f64 v[7:8], v[3:4], v[127:128]
	v_mul_f64 v[127:128], v[1:2], v[127:128]
	v_fma_f64 v[1:2], v[1:2], v[125:126], -v[7:8]
	v_fma_f64 v[3:4], v[3:4], v[125:126], v[127:128]
	buffer_store_dword v2, off, s[0:3], 0 offset:452
	buffer_store_dword v1, off, s[0:3], 0 offset:448
	;; [unrolled: 1-line block ×4, first 2 shown]
.LBB57_235:
	s_or_b32 exec_lo, exec_lo, s6
	v_mov_b32_e32 v4, s39
	v_cmp_lt_u32_e64 s5, 27, v0
	s_clause 0x3
	buffer_load_dword v1, v4, s[0:3], 0 offen
	buffer_load_dword v2, v4, s[0:3], 0 offen offset:4
	buffer_load_dword v3, v4, s[0:3], 0 offen offset:8
	;; [unrolled: 1-line block ×3, first 2 shown]
	s_waitcnt vmcnt(0)
	ds_write_b128 v6, v[1:4]
	s_waitcnt lgkmcnt(0)
	s_waitcnt_vscnt null, 0x0
	s_barrier
	buffer_gl0_inv
	s_and_saveexec_b32 s6, s5
	s_cbranch_execz .LBB57_243
; %bb.236:
	ds_read_b128 v[1:4], v6
	s_andn2_b32 vcc_lo, exec_lo, s66
	s_cbranch_vccnz .LBB57_238
; %bb.237:
	s_clause 0x3
	buffer_load_dword v7, v5, s[0:3], 0 offen offset:8
	buffer_load_dword v8, v5, s[0:3], 0 offen offset:12
	buffer_load_dword v125, v5, s[0:3], 0 offen
	buffer_load_dword v126, v5, s[0:3], 0 offen offset:4
	s_waitcnt vmcnt(2) lgkmcnt(0)
	v_mul_f64 v[127:128], v[3:4], v[7:8]
	v_mul_f64 v[7:8], v[1:2], v[7:8]
	s_waitcnt vmcnt(0)
	v_fma_f64 v[1:2], v[1:2], v[125:126], -v[127:128]
	v_fma_f64 v[3:4], v[3:4], v[125:126], v[7:8]
.LBB57_238:
	s_and_saveexec_b32 s8, s4
	s_cbranch_execz .LBB57_242
; %bb.239:
	v_subrev_nc_u32_e32 v7, 28, v0
	s_movk_i32 s67, 0x560
	s_mov_b32 s4, 0
	s_mov_b32 s68, s38
	.p2align	6
.LBB57_240:                             ; =>This Inner Loop Header: Depth=1
	v_mov_b32_e32 v8, s68
	v_add_nc_u32_e32 v7, -1, v7
	s_add_i32 s68, s68, 16
	s_clause 0x3
	buffer_load_dword v129, v8, s[0:3], 0 offen offset:8
	buffer_load_dword v130, v8, s[0:3], 0 offen offset:12
	buffer_load_dword v131, v8, s[0:3], 0 offen
	buffer_load_dword v132, v8, s[0:3], 0 offen offset:4
	v_mov_b32_e32 v8, s67
	v_cmp_eq_u32_e32 vcc_lo, 0, v7
	s_add_i32 s67, s67, 16
	ds_read_b128 v[125:128], v8
	s_or_b32 s4, vcc_lo, s4
	s_waitcnt vmcnt(2) lgkmcnt(0)
	v_mul_f64 v[133:134], v[127:128], v[129:130]
	v_mul_f64 v[129:130], v[125:126], v[129:130]
	s_waitcnt vmcnt(0)
	v_fma_f64 v[125:126], v[125:126], v[131:132], -v[133:134]
	v_fma_f64 v[127:128], v[127:128], v[131:132], v[129:130]
	v_add_f64 v[1:2], v[1:2], v[125:126]
	v_add_f64 v[3:4], v[3:4], v[127:128]
	s_andn2_b32 exec_lo, exec_lo, s4
	s_cbranch_execnz .LBB57_240
; %bb.241:
	s_or_b32 exec_lo, exec_lo, s4
.LBB57_242:
	s_or_b32 exec_lo, exec_lo, s8
	v_mov_b32_e32 v7, 0
	ds_read_b128 v[125:128], v7 offset:432
	s_waitcnt lgkmcnt(0)
	v_mul_f64 v[7:8], v[3:4], v[127:128]
	v_mul_f64 v[127:128], v[1:2], v[127:128]
	v_fma_f64 v[1:2], v[1:2], v[125:126], -v[7:8]
	v_fma_f64 v[3:4], v[3:4], v[125:126], v[127:128]
	buffer_store_dword v2, off, s[0:3], 0 offset:436
	buffer_store_dword v1, off, s[0:3], 0 offset:432
	;; [unrolled: 1-line block ×4, first 2 shown]
.LBB57_243:
	s_or_b32 exec_lo, exec_lo, s6
	v_mov_b32_e32 v4, s40
	v_cmp_lt_u32_e64 s4, 26, v0
	s_clause 0x3
	buffer_load_dword v1, v4, s[0:3], 0 offen
	buffer_load_dword v2, v4, s[0:3], 0 offen offset:4
	buffer_load_dword v3, v4, s[0:3], 0 offen offset:8
	buffer_load_dword v4, v4, s[0:3], 0 offen offset:12
	s_waitcnt vmcnt(0)
	ds_write_b128 v6, v[1:4]
	s_waitcnt lgkmcnt(0)
	s_waitcnt_vscnt null, 0x0
	s_barrier
	buffer_gl0_inv
	s_and_saveexec_b32 s6, s4
	s_cbranch_execz .LBB57_251
; %bb.244:
	ds_read_b128 v[1:4], v6
	s_andn2_b32 vcc_lo, exec_lo, s66
	s_cbranch_vccnz .LBB57_246
; %bb.245:
	s_clause 0x3
	buffer_load_dword v7, v5, s[0:3], 0 offen offset:8
	buffer_load_dword v8, v5, s[0:3], 0 offen offset:12
	buffer_load_dword v125, v5, s[0:3], 0 offen
	buffer_load_dword v126, v5, s[0:3], 0 offen offset:4
	s_waitcnt vmcnt(2) lgkmcnt(0)
	v_mul_f64 v[127:128], v[3:4], v[7:8]
	v_mul_f64 v[7:8], v[1:2], v[7:8]
	s_waitcnt vmcnt(0)
	v_fma_f64 v[1:2], v[1:2], v[125:126], -v[127:128]
	v_fma_f64 v[3:4], v[3:4], v[125:126], v[7:8]
.LBB57_246:
	s_and_saveexec_b32 s8, s5
	s_cbranch_execz .LBB57_250
; %bb.247:
	v_subrev_nc_u32_e32 v7, 27, v0
	s_movk_i32 s67, 0x550
	s_mov_b32 s5, 0
	s_mov_b32 s68, s39
	.p2align	6
.LBB57_248:                             ; =>This Inner Loop Header: Depth=1
	v_mov_b32_e32 v8, s68
	v_add_nc_u32_e32 v7, -1, v7
	s_add_i32 s68, s68, 16
	s_clause 0x3
	buffer_load_dword v129, v8, s[0:3], 0 offen offset:8
	buffer_load_dword v130, v8, s[0:3], 0 offen offset:12
	buffer_load_dword v131, v8, s[0:3], 0 offen
	buffer_load_dword v132, v8, s[0:3], 0 offen offset:4
	v_mov_b32_e32 v8, s67
	v_cmp_eq_u32_e32 vcc_lo, 0, v7
	s_add_i32 s67, s67, 16
	ds_read_b128 v[125:128], v8
	s_or_b32 s5, vcc_lo, s5
	s_waitcnt vmcnt(2) lgkmcnt(0)
	v_mul_f64 v[133:134], v[127:128], v[129:130]
	v_mul_f64 v[129:130], v[125:126], v[129:130]
	s_waitcnt vmcnt(0)
	v_fma_f64 v[125:126], v[125:126], v[131:132], -v[133:134]
	v_fma_f64 v[127:128], v[127:128], v[131:132], v[129:130]
	v_add_f64 v[1:2], v[1:2], v[125:126]
	v_add_f64 v[3:4], v[3:4], v[127:128]
	s_andn2_b32 exec_lo, exec_lo, s5
	s_cbranch_execnz .LBB57_248
; %bb.249:
	s_or_b32 exec_lo, exec_lo, s5
.LBB57_250:
	s_or_b32 exec_lo, exec_lo, s8
	v_mov_b32_e32 v7, 0
	ds_read_b128 v[125:128], v7 offset:416
	s_waitcnt lgkmcnt(0)
	v_mul_f64 v[7:8], v[3:4], v[127:128]
	v_mul_f64 v[127:128], v[1:2], v[127:128]
	v_fma_f64 v[1:2], v[1:2], v[125:126], -v[7:8]
	v_fma_f64 v[3:4], v[3:4], v[125:126], v[127:128]
	buffer_store_dword v2, off, s[0:3], 0 offset:420
	buffer_store_dword v1, off, s[0:3], 0 offset:416
	;; [unrolled: 1-line block ×4, first 2 shown]
.LBB57_251:
	s_or_b32 exec_lo, exec_lo, s6
	v_mov_b32_e32 v4, s41
	v_cmp_lt_u32_e64 s5, 25, v0
	s_clause 0x3
	buffer_load_dword v1, v4, s[0:3], 0 offen
	buffer_load_dword v2, v4, s[0:3], 0 offen offset:4
	buffer_load_dword v3, v4, s[0:3], 0 offen offset:8
	;; [unrolled: 1-line block ×3, first 2 shown]
	s_waitcnt vmcnt(0)
	ds_write_b128 v6, v[1:4]
	s_waitcnt lgkmcnt(0)
	s_waitcnt_vscnt null, 0x0
	s_barrier
	buffer_gl0_inv
	s_and_saveexec_b32 s6, s5
	s_cbranch_execz .LBB57_259
; %bb.252:
	ds_read_b128 v[1:4], v6
	s_andn2_b32 vcc_lo, exec_lo, s66
	s_cbranch_vccnz .LBB57_254
; %bb.253:
	s_clause 0x3
	buffer_load_dword v7, v5, s[0:3], 0 offen offset:8
	buffer_load_dword v8, v5, s[0:3], 0 offen offset:12
	buffer_load_dword v125, v5, s[0:3], 0 offen
	buffer_load_dword v126, v5, s[0:3], 0 offen offset:4
	s_waitcnt vmcnt(2) lgkmcnt(0)
	v_mul_f64 v[127:128], v[3:4], v[7:8]
	v_mul_f64 v[7:8], v[1:2], v[7:8]
	s_waitcnt vmcnt(0)
	v_fma_f64 v[1:2], v[1:2], v[125:126], -v[127:128]
	v_fma_f64 v[3:4], v[3:4], v[125:126], v[7:8]
.LBB57_254:
	s_and_saveexec_b32 s8, s4
	s_cbranch_execz .LBB57_258
; %bb.255:
	v_subrev_nc_u32_e32 v7, 26, v0
	s_movk_i32 s67, 0x540
	s_mov_b32 s4, 0
	s_mov_b32 s68, s40
	.p2align	6
.LBB57_256:                             ; =>This Inner Loop Header: Depth=1
	v_mov_b32_e32 v8, s68
	v_add_nc_u32_e32 v7, -1, v7
	s_add_i32 s68, s68, 16
	s_clause 0x3
	buffer_load_dword v129, v8, s[0:3], 0 offen offset:8
	buffer_load_dword v130, v8, s[0:3], 0 offen offset:12
	buffer_load_dword v131, v8, s[0:3], 0 offen
	buffer_load_dword v132, v8, s[0:3], 0 offen offset:4
	v_mov_b32_e32 v8, s67
	v_cmp_eq_u32_e32 vcc_lo, 0, v7
	s_add_i32 s67, s67, 16
	ds_read_b128 v[125:128], v8
	s_or_b32 s4, vcc_lo, s4
	s_waitcnt vmcnt(2) lgkmcnt(0)
	v_mul_f64 v[133:134], v[127:128], v[129:130]
	v_mul_f64 v[129:130], v[125:126], v[129:130]
	s_waitcnt vmcnt(0)
	v_fma_f64 v[125:126], v[125:126], v[131:132], -v[133:134]
	v_fma_f64 v[127:128], v[127:128], v[131:132], v[129:130]
	v_add_f64 v[1:2], v[1:2], v[125:126]
	v_add_f64 v[3:4], v[3:4], v[127:128]
	s_andn2_b32 exec_lo, exec_lo, s4
	s_cbranch_execnz .LBB57_256
; %bb.257:
	s_or_b32 exec_lo, exec_lo, s4
.LBB57_258:
	s_or_b32 exec_lo, exec_lo, s8
	v_mov_b32_e32 v7, 0
	ds_read_b128 v[125:128], v7 offset:400
	s_waitcnt lgkmcnt(0)
	v_mul_f64 v[7:8], v[3:4], v[127:128]
	v_mul_f64 v[127:128], v[1:2], v[127:128]
	v_fma_f64 v[1:2], v[1:2], v[125:126], -v[7:8]
	v_fma_f64 v[3:4], v[3:4], v[125:126], v[127:128]
	buffer_store_dword v2, off, s[0:3], 0 offset:404
	buffer_store_dword v1, off, s[0:3], 0 offset:400
	;; [unrolled: 1-line block ×4, first 2 shown]
.LBB57_259:
	s_or_b32 exec_lo, exec_lo, s6
	v_mov_b32_e32 v4, s42
	v_cmp_lt_u32_e64 s4, 24, v0
	s_clause 0x3
	buffer_load_dword v1, v4, s[0:3], 0 offen
	buffer_load_dword v2, v4, s[0:3], 0 offen offset:4
	buffer_load_dword v3, v4, s[0:3], 0 offen offset:8
	;; [unrolled: 1-line block ×3, first 2 shown]
	s_waitcnt vmcnt(0)
	ds_write_b128 v6, v[1:4]
	s_waitcnt lgkmcnt(0)
	s_waitcnt_vscnt null, 0x0
	s_barrier
	buffer_gl0_inv
	s_and_saveexec_b32 s6, s4
	s_cbranch_execz .LBB57_267
; %bb.260:
	ds_read_b128 v[1:4], v6
	s_andn2_b32 vcc_lo, exec_lo, s66
	s_cbranch_vccnz .LBB57_262
; %bb.261:
	s_clause 0x3
	buffer_load_dword v7, v5, s[0:3], 0 offen offset:8
	buffer_load_dword v8, v5, s[0:3], 0 offen offset:12
	buffer_load_dword v125, v5, s[0:3], 0 offen
	buffer_load_dword v126, v5, s[0:3], 0 offen offset:4
	s_waitcnt vmcnt(2) lgkmcnt(0)
	v_mul_f64 v[127:128], v[3:4], v[7:8]
	v_mul_f64 v[7:8], v[1:2], v[7:8]
	s_waitcnt vmcnt(0)
	v_fma_f64 v[1:2], v[1:2], v[125:126], -v[127:128]
	v_fma_f64 v[3:4], v[3:4], v[125:126], v[7:8]
.LBB57_262:
	s_and_saveexec_b32 s8, s5
	s_cbranch_execz .LBB57_266
; %bb.263:
	v_subrev_nc_u32_e32 v7, 25, v0
	s_movk_i32 s67, 0x530
	s_mov_b32 s5, 0
	s_mov_b32 s68, s41
	.p2align	6
.LBB57_264:                             ; =>This Inner Loop Header: Depth=1
	v_mov_b32_e32 v8, s68
	v_add_nc_u32_e32 v7, -1, v7
	s_add_i32 s68, s68, 16
	s_clause 0x3
	buffer_load_dword v129, v8, s[0:3], 0 offen offset:8
	buffer_load_dword v130, v8, s[0:3], 0 offen offset:12
	buffer_load_dword v131, v8, s[0:3], 0 offen
	buffer_load_dword v132, v8, s[0:3], 0 offen offset:4
	v_mov_b32_e32 v8, s67
	v_cmp_eq_u32_e32 vcc_lo, 0, v7
	s_add_i32 s67, s67, 16
	ds_read_b128 v[125:128], v8
	s_or_b32 s5, vcc_lo, s5
	s_waitcnt vmcnt(2) lgkmcnt(0)
	v_mul_f64 v[133:134], v[127:128], v[129:130]
	v_mul_f64 v[129:130], v[125:126], v[129:130]
	s_waitcnt vmcnt(0)
	v_fma_f64 v[125:126], v[125:126], v[131:132], -v[133:134]
	v_fma_f64 v[127:128], v[127:128], v[131:132], v[129:130]
	v_add_f64 v[1:2], v[1:2], v[125:126]
	v_add_f64 v[3:4], v[3:4], v[127:128]
	s_andn2_b32 exec_lo, exec_lo, s5
	s_cbranch_execnz .LBB57_264
; %bb.265:
	s_or_b32 exec_lo, exec_lo, s5
.LBB57_266:
	s_or_b32 exec_lo, exec_lo, s8
	v_mov_b32_e32 v7, 0
	ds_read_b128 v[125:128], v7 offset:384
	s_waitcnt lgkmcnt(0)
	v_mul_f64 v[7:8], v[3:4], v[127:128]
	v_mul_f64 v[127:128], v[1:2], v[127:128]
	v_fma_f64 v[1:2], v[1:2], v[125:126], -v[7:8]
	v_fma_f64 v[3:4], v[3:4], v[125:126], v[127:128]
	buffer_store_dword v2, off, s[0:3], 0 offset:388
	buffer_store_dword v1, off, s[0:3], 0 offset:384
	;; [unrolled: 1-line block ×4, first 2 shown]
.LBB57_267:
	s_or_b32 exec_lo, exec_lo, s6
	v_mov_b32_e32 v4, s43
	v_cmp_lt_u32_e64 s5, 23, v0
	s_clause 0x3
	buffer_load_dword v1, v4, s[0:3], 0 offen
	buffer_load_dword v2, v4, s[0:3], 0 offen offset:4
	buffer_load_dword v3, v4, s[0:3], 0 offen offset:8
	;; [unrolled: 1-line block ×3, first 2 shown]
	s_waitcnt vmcnt(0)
	ds_write_b128 v6, v[1:4]
	s_waitcnt lgkmcnt(0)
	s_waitcnt_vscnt null, 0x0
	s_barrier
	buffer_gl0_inv
	s_and_saveexec_b32 s6, s5
	s_cbranch_execz .LBB57_275
; %bb.268:
	ds_read_b128 v[1:4], v6
	s_andn2_b32 vcc_lo, exec_lo, s66
	s_cbranch_vccnz .LBB57_270
; %bb.269:
	s_clause 0x3
	buffer_load_dword v7, v5, s[0:3], 0 offen offset:8
	buffer_load_dword v8, v5, s[0:3], 0 offen offset:12
	buffer_load_dword v125, v5, s[0:3], 0 offen
	buffer_load_dword v126, v5, s[0:3], 0 offen offset:4
	s_waitcnt vmcnt(2) lgkmcnt(0)
	v_mul_f64 v[127:128], v[3:4], v[7:8]
	v_mul_f64 v[7:8], v[1:2], v[7:8]
	s_waitcnt vmcnt(0)
	v_fma_f64 v[1:2], v[1:2], v[125:126], -v[127:128]
	v_fma_f64 v[3:4], v[3:4], v[125:126], v[7:8]
.LBB57_270:
	s_and_saveexec_b32 s8, s4
	s_cbranch_execz .LBB57_274
; %bb.271:
	v_subrev_nc_u32_e32 v7, 24, v0
	s_movk_i32 s67, 0x520
	s_mov_b32 s4, 0
	s_mov_b32 s68, s42
	.p2align	6
.LBB57_272:                             ; =>This Inner Loop Header: Depth=1
	v_mov_b32_e32 v8, s68
	v_add_nc_u32_e32 v7, -1, v7
	s_add_i32 s68, s68, 16
	s_clause 0x3
	buffer_load_dword v129, v8, s[0:3], 0 offen offset:8
	buffer_load_dword v130, v8, s[0:3], 0 offen offset:12
	buffer_load_dword v131, v8, s[0:3], 0 offen
	buffer_load_dword v132, v8, s[0:3], 0 offen offset:4
	v_mov_b32_e32 v8, s67
	v_cmp_eq_u32_e32 vcc_lo, 0, v7
	s_add_i32 s67, s67, 16
	ds_read_b128 v[125:128], v8
	s_or_b32 s4, vcc_lo, s4
	s_waitcnt vmcnt(2) lgkmcnt(0)
	v_mul_f64 v[133:134], v[127:128], v[129:130]
	v_mul_f64 v[129:130], v[125:126], v[129:130]
	s_waitcnt vmcnt(0)
	v_fma_f64 v[125:126], v[125:126], v[131:132], -v[133:134]
	v_fma_f64 v[127:128], v[127:128], v[131:132], v[129:130]
	v_add_f64 v[1:2], v[1:2], v[125:126]
	v_add_f64 v[3:4], v[3:4], v[127:128]
	s_andn2_b32 exec_lo, exec_lo, s4
	s_cbranch_execnz .LBB57_272
; %bb.273:
	s_or_b32 exec_lo, exec_lo, s4
.LBB57_274:
	s_or_b32 exec_lo, exec_lo, s8
	v_mov_b32_e32 v7, 0
	ds_read_b128 v[125:128], v7 offset:368
	s_waitcnt lgkmcnt(0)
	v_mul_f64 v[7:8], v[3:4], v[127:128]
	v_mul_f64 v[127:128], v[1:2], v[127:128]
	v_fma_f64 v[1:2], v[1:2], v[125:126], -v[7:8]
	v_fma_f64 v[3:4], v[3:4], v[125:126], v[127:128]
	buffer_store_dword v2, off, s[0:3], 0 offset:372
	buffer_store_dword v1, off, s[0:3], 0 offset:368
	;; [unrolled: 1-line block ×4, first 2 shown]
.LBB57_275:
	s_or_b32 exec_lo, exec_lo, s6
	v_mov_b32_e32 v4, s44
	v_cmp_lt_u32_e64 s4, 22, v0
	s_clause 0x3
	buffer_load_dword v1, v4, s[0:3], 0 offen
	buffer_load_dword v2, v4, s[0:3], 0 offen offset:4
	buffer_load_dword v3, v4, s[0:3], 0 offen offset:8
	;; [unrolled: 1-line block ×3, first 2 shown]
	s_waitcnt vmcnt(0)
	ds_write_b128 v6, v[1:4]
	s_waitcnt lgkmcnt(0)
	s_waitcnt_vscnt null, 0x0
	s_barrier
	buffer_gl0_inv
	s_and_saveexec_b32 s6, s4
	s_cbranch_execz .LBB57_283
; %bb.276:
	ds_read_b128 v[1:4], v6
	s_andn2_b32 vcc_lo, exec_lo, s66
	s_cbranch_vccnz .LBB57_278
; %bb.277:
	s_clause 0x3
	buffer_load_dword v7, v5, s[0:3], 0 offen offset:8
	buffer_load_dword v8, v5, s[0:3], 0 offen offset:12
	buffer_load_dword v125, v5, s[0:3], 0 offen
	buffer_load_dword v126, v5, s[0:3], 0 offen offset:4
	s_waitcnt vmcnt(2) lgkmcnt(0)
	v_mul_f64 v[127:128], v[3:4], v[7:8]
	v_mul_f64 v[7:8], v[1:2], v[7:8]
	s_waitcnt vmcnt(0)
	v_fma_f64 v[1:2], v[1:2], v[125:126], -v[127:128]
	v_fma_f64 v[3:4], v[3:4], v[125:126], v[7:8]
.LBB57_278:
	s_and_saveexec_b32 s8, s5
	s_cbranch_execz .LBB57_282
; %bb.279:
	v_subrev_nc_u32_e32 v7, 23, v0
	s_movk_i32 s67, 0x510
	s_mov_b32 s5, 0
	s_mov_b32 s68, s43
	.p2align	6
.LBB57_280:                             ; =>This Inner Loop Header: Depth=1
	v_mov_b32_e32 v8, s68
	v_add_nc_u32_e32 v7, -1, v7
	s_add_i32 s68, s68, 16
	s_clause 0x3
	buffer_load_dword v129, v8, s[0:3], 0 offen offset:8
	buffer_load_dword v130, v8, s[0:3], 0 offen offset:12
	buffer_load_dword v131, v8, s[0:3], 0 offen
	buffer_load_dword v132, v8, s[0:3], 0 offen offset:4
	v_mov_b32_e32 v8, s67
	v_cmp_eq_u32_e32 vcc_lo, 0, v7
	s_add_i32 s67, s67, 16
	ds_read_b128 v[125:128], v8
	s_or_b32 s5, vcc_lo, s5
	s_waitcnt vmcnt(2) lgkmcnt(0)
	v_mul_f64 v[133:134], v[127:128], v[129:130]
	v_mul_f64 v[129:130], v[125:126], v[129:130]
	s_waitcnt vmcnt(0)
	v_fma_f64 v[125:126], v[125:126], v[131:132], -v[133:134]
	v_fma_f64 v[127:128], v[127:128], v[131:132], v[129:130]
	v_add_f64 v[1:2], v[1:2], v[125:126]
	v_add_f64 v[3:4], v[3:4], v[127:128]
	s_andn2_b32 exec_lo, exec_lo, s5
	s_cbranch_execnz .LBB57_280
; %bb.281:
	s_or_b32 exec_lo, exec_lo, s5
.LBB57_282:
	s_or_b32 exec_lo, exec_lo, s8
	v_mov_b32_e32 v7, 0
	ds_read_b128 v[125:128], v7 offset:352
	s_waitcnt lgkmcnt(0)
	v_mul_f64 v[7:8], v[3:4], v[127:128]
	v_mul_f64 v[127:128], v[1:2], v[127:128]
	v_fma_f64 v[1:2], v[1:2], v[125:126], -v[7:8]
	v_fma_f64 v[3:4], v[3:4], v[125:126], v[127:128]
	buffer_store_dword v2, off, s[0:3], 0 offset:356
	buffer_store_dword v1, off, s[0:3], 0 offset:352
	;; [unrolled: 1-line block ×4, first 2 shown]
.LBB57_283:
	s_or_b32 exec_lo, exec_lo, s6
	v_mov_b32_e32 v4, s45
	v_cmp_lt_u32_e64 s5, 21, v0
	s_clause 0x3
	buffer_load_dword v1, v4, s[0:3], 0 offen
	buffer_load_dword v2, v4, s[0:3], 0 offen offset:4
	buffer_load_dword v3, v4, s[0:3], 0 offen offset:8
	;; [unrolled: 1-line block ×3, first 2 shown]
	s_waitcnt vmcnt(0)
	ds_write_b128 v6, v[1:4]
	s_waitcnt lgkmcnt(0)
	s_waitcnt_vscnt null, 0x0
	s_barrier
	buffer_gl0_inv
	s_and_saveexec_b32 s6, s5
	s_cbranch_execz .LBB57_291
; %bb.284:
	ds_read_b128 v[1:4], v6
	s_andn2_b32 vcc_lo, exec_lo, s66
	s_cbranch_vccnz .LBB57_286
; %bb.285:
	s_clause 0x3
	buffer_load_dword v7, v5, s[0:3], 0 offen offset:8
	buffer_load_dword v8, v5, s[0:3], 0 offen offset:12
	buffer_load_dword v125, v5, s[0:3], 0 offen
	buffer_load_dword v126, v5, s[0:3], 0 offen offset:4
	s_waitcnt vmcnt(2) lgkmcnt(0)
	v_mul_f64 v[127:128], v[3:4], v[7:8]
	v_mul_f64 v[7:8], v[1:2], v[7:8]
	s_waitcnt vmcnt(0)
	v_fma_f64 v[1:2], v[1:2], v[125:126], -v[127:128]
	v_fma_f64 v[3:4], v[3:4], v[125:126], v[7:8]
.LBB57_286:
	s_and_saveexec_b32 s8, s4
	s_cbranch_execz .LBB57_290
; %bb.287:
	v_subrev_nc_u32_e32 v7, 22, v0
	s_movk_i32 s67, 0x500
	s_mov_b32 s4, 0
	s_mov_b32 s68, s44
	.p2align	6
.LBB57_288:                             ; =>This Inner Loop Header: Depth=1
	v_mov_b32_e32 v8, s68
	v_add_nc_u32_e32 v7, -1, v7
	s_add_i32 s68, s68, 16
	s_clause 0x3
	buffer_load_dword v129, v8, s[0:3], 0 offen offset:8
	buffer_load_dword v130, v8, s[0:3], 0 offen offset:12
	buffer_load_dword v131, v8, s[0:3], 0 offen
	buffer_load_dword v132, v8, s[0:3], 0 offen offset:4
	v_mov_b32_e32 v8, s67
	v_cmp_eq_u32_e32 vcc_lo, 0, v7
	s_add_i32 s67, s67, 16
	ds_read_b128 v[125:128], v8
	s_or_b32 s4, vcc_lo, s4
	s_waitcnt vmcnt(2) lgkmcnt(0)
	v_mul_f64 v[133:134], v[127:128], v[129:130]
	v_mul_f64 v[129:130], v[125:126], v[129:130]
	s_waitcnt vmcnt(0)
	v_fma_f64 v[125:126], v[125:126], v[131:132], -v[133:134]
	v_fma_f64 v[127:128], v[127:128], v[131:132], v[129:130]
	v_add_f64 v[1:2], v[1:2], v[125:126]
	v_add_f64 v[3:4], v[3:4], v[127:128]
	s_andn2_b32 exec_lo, exec_lo, s4
	s_cbranch_execnz .LBB57_288
; %bb.289:
	s_or_b32 exec_lo, exec_lo, s4
.LBB57_290:
	s_or_b32 exec_lo, exec_lo, s8
	v_mov_b32_e32 v7, 0
	ds_read_b128 v[125:128], v7 offset:336
	s_waitcnt lgkmcnt(0)
	v_mul_f64 v[7:8], v[3:4], v[127:128]
	v_mul_f64 v[127:128], v[1:2], v[127:128]
	v_fma_f64 v[1:2], v[1:2], v[125:126], -v[7:8]
	v_fma_f64 v[3:4], v[3:4], v[125:126], v[127:128]
	buffer_store_dword v2, off, s[0:3], 0 offset:340
	buffer_store_dword v1, off, s[0:3], 0 offset:336
	buffer_store_dword v4, off, s[0:3], 0 offset:348
	buffer_store_dword v3, off, s[0:3], 0 offset:344
.LBB57_291:
	s_or_b32 exec_lo, exec_lo, s6
	v_mov_b32_e32 v4, s46
	v_cmp_lt_u32_e64 s4, 20, v0
	s_clause 0x3
	buffer_load_dword v1, v4, s[0:3], 0 offen
	buffer_load_dword v2, v4, s[0:3], 0 offen offset:4
	buffer_load_dword v3, v4, s[0:3], 0 offen offset:8
	;; [unrolled: 1-line block ×3, first 2 shown]
	s_waitcnt vmcnt(0)
	ds_write_b128 v6, v[1:4]
	s_waitcnt lgkmcnt(0)
	s_waitcnt_vscnt null, 0x0
	s_barrier
	buffer_gl0_inv
	s_and_saveexec_b32 s6, s4
	s_cbranch_execz .LBB57_299
; %bb.292:
	ds_read_b128 v[1:4], v6
	s_andn2_b32 vcc_lo, exec_lo, s66
	s_cbranch_vccnz .LBB57_294
; %bb.293:
	s_clause 0x3
	buffer_load_dword v7, v5, s[0:3], 0 offen offset:8
	buffer_load_dword v8, v5, s[0:3], 0 offen offset:12
	buffer_load_dword v125, v5, s[0:3], 0 offen
	buffer_load_dword v126, v5, s[0:3], 0 offen offset:4
	s_waitcnt vmcnt(2) lgkmcnt(0)
	v_mul_f64 v[127:128], v[3:4], v[7:8]
	v_mul_f64 v[7:8], v[1:2], v[7:8]
	s_waitcnt vmcnt(0)
	v_fma_f64 v[1:2], v[1:2], v[125:126], -v[127:128]
	v_fma_f64 v[3:4], v[3:4], v[125:126], v[7:8]
.LBB57_294:
	s_and_saveexec_b32 s8, s5
	s_cbranch_execz .LBB57_298
; %bb.295:
	v_subrev_nc_u32_e32 v7, 21, v0
	s_movk_i32 s67, 0x4f0
	s_mov_b32 s5, 0
	s_mov_b32 s68, s45
	.p2align	6
.LBB57_296:                             ; =>This Inner Loop Header: Depth=1
	v_mov_b32_e32 v8, s68
	v_add_nc_u32_e32 v7, -1, v7
	s_add_i32 s68, s68, 16
	s_clause 0x3
	buffer_load_dword v129, v8, s[0:3], 0 offen offset:8
	buffer_load_dword v130, v8, s[0:3], 0 offen offset:12
	buffer_load_dword v131, v8, s[0:3], 0 offen
	buffer_load_dword v132, v8, s[0:3], 0 offen offset:4
	v_mov_b32_e32 v8, s67
	v_cmp_eq_u32_e32 vcc_lo, 0, v7
	s_add_i32 s67, s67, 16
	ds_read_b128 v[125:128], v8
	s_or_b32 s5, vcc_lo, s5
	s_waitcnt vmcnt(2) lgkmcnt(0)
	v_mul_f64 v[133:134], v[127:128], v[129:130]
	v_mul_f64 v[129:130], v[125:126], v[129:130]
	s_waitcnt vmcnt(0)
	v_fma_f64 v[125:126], v[125:126], v[131:132], -v[133:134]
	v_fma_f64 v[127:128], v[127:128], v[131:132], v[129:130]
	v_add_f64 v[1:2], v[1:2], v[125:126]
	v_add_f64 v[3:4], v[3:4], v[127:128]
	s_andn2_b32 exec_lo, exec_lo, s5
	s_cbranch_execnz .LBB57_296
; %bb.297:
	s_or_b32 exec_lo, exec_lo, s5
.LBB57_298:
	s_or_b32 exec_lo, exec_lo, s8
	v_mov_b32_e32 v7, 0
	ds_read_b128 v[125:128], v7 offset:320
	s_waitcnt lgkmcnt(0)
	v_mul_f64 v[7:8], v[3:4], v[127:128]
	v_mul_f64 v[127:128], v[1:2], v[127:128]
	v_fma_f64 v[1:2], v[1:2], v[125:126], -v[7:8]
	v_fma_f64 v[3:4], v[3:4], v[125:126], v[127:128]
	buffer_store_dword v2, off, s[0:3], 0 offset:324
	buffer_store_dword v1, off, s[0:3], 0 offset:320
	;; [unrolled: 1-line block ×4, first 2 shown]
.LBB57_299:
	s_or_b32 exec_lo, exec_lo, s6
	v_mov_b32_e32 v4, s47
	v_cmp_lt_u32_e64 s5, 19, v0
	s_clause 0x3
	buffer_load_dword v1, v4, s[0:3], 0 offen
	buffer_load_dword v2, v4, s[0:3], 0 offen offset:4
	buffer_load_dword v3, v4, s[0:3], 0 offen offset:8
	;; [unrolled: 1-line block ×3, first 2 shown]
	s_waitcnt vmcnt(0)
	ds_write_b128 v6, v[1:4]
	s_waitcnt lgkmcnt(0)
	s_waitcnt_vscnt null, 0x0
	s_barrier
	buffer_gl0_inv
	s_and_saveexec_b32 s6, s5
	s_cbranch_execz .LBB57_307
; %bb.300:
	ds_read_b128 v[1:4], v6
	s_andn2_b32 vcc_lo, exec_lo, s66
	s_cbranch_vccnz .LBB57_302
; %bb.301:
	s_clause 0x3
	buffer_load_dword v7, v5, s[0:3], 0 offen offset:8
	buffer_load_dword v8, v5, s[0:3], 0 offen offset:12
	buffer_load_dword v125, v5, s[0:3], 0 offen
	buffer_load_dword v126, v5, s[0:3], 0 offen offset:4
	s_waitcnt vmcnt(2) lgkmcnt(0)
	v_mul_f64 v[127:128], v[3:4], v[7:8]
	v_mul_f64 v[7:8], v[1:2], v[7:8]
	s_waitcnt vmcnt(0)
	v_fma_f64 v[1:2], v[1:2], v[125:126], -v[127:128]
	v_fma_f64 v[3:4], v[3:4], v[125:126], v[7:8]
.LBB57_302:
	s_and_saveexec_b32 s8, s4
	s_cbranch_execz .LBB57_306
; %bb.303:
	v_subrev_nc_u32_e32 v7, 20, v0
	s_movk_i32 s67, 0x4e0
	s_mov_b32 s4, 0
	s_mov_b32 s68, s46
	.p2align	6
.LBB57_304:                             ; =>This Inner Loop Header: Depth=1
	v_mov_b32_e32 v8, s68
	v_add_nc_u32_e32 v7, -1, v7
	s_add_i32 s68, s68, 16
	s_clause 0x3
	buffer_load_dword v129, v8, s[0:3], 0 offen offset:8
	buffer_load_dword v130, v8, s[0:3], 0 offen offset:12
	buffer_load_dword v131, v8, s[0:3], 0 offen
	buffer_load_dword v132, v8, s[0:3], 0 offen offset:4
	v_mov_b32_e32 v8, s67
	v_cmp_eq_u32_e32 vcc_lo, 0, v7
	s_add_i32 s67, s67, 16
	ds_read_b128 v[125:128], v8
	s_or_b32 s4, vcc_lo, s4
	s_waitcnt vmcnt(2) lgkmcnt(0)
	v_mul_f64 v[133:134], v[127:128], v[129:130]
	v_mul_f64 v[129:130], v[125:126], v[129:130]
	s_waitcnt vmcnt(0)
	v_fma_f64 v[125:126], v[125:126], v[131:132], -v[133:134]
	v_fma_f64 v[127:128], v[127:128], v[131:132], v[129:130]
	v_add_f64 v[1:2], v[1:2], v[125:126]
	v_add_f64 v[3:4], v[3:4], v[127:128]
	s_andn2_b32 exec_lo, exec_lo, s4
	s_cbranch_execnz .LBB57_304
; %bb.305:
	s_or_b32 exec_lo, exec_lo, s4
.LBB57_306:
	s_or_b32 exec_lo, exec_lo, s8
	v_mov_b32_e32 v7, 0
	ds_read_b128 v[125:128], v7 offset:304
	s_waitcnt lgkmcnt(0)
	v_mul_f64 v[7:8], v[3:4], v[127:128]
	v_mul_f64 v[127:128], v[1:2], v[127:128]
	v_fma_f64 v[1:2], v[1:2], v[125:126], -v[7:8]
	v_fma_f64 v[3:4], v[3:4], v[125:126], v[127:128]
	buffer_store_dword v2, off, s[0:3], 0 offset:308
	buffer_store_dword v1, off, s[0:3], 0 offset:304
	buffer_store_dword v4, off, s[0:3], 0 offset:316
	buffer_store_dword v3, off, s[0:3], 0 offset:312
.LBB57_307:
	s_or_b32 exec_lo, exec_lo, s6
	v_mov_b32_e32 v4, s48
	v_cmp_lt_u32_e64 s4, 18, v0
	s_clause 0x3
	buffer_load_dword v1, v4, s[0:3], 0 offen
	buffer_load_dword v2, v4, s[0:3], 0 offen offset:4
	buffer_load_dword v3, v4, s[0:3], 0 offen offset:8
	;; [unrolled: 1-line block ×3, first 2 shown]
	s_waitcnt vmcnt(0)
	ds_write_b128 v6, v[1:4]
	s_waitcnt lgkmcnt(0)
	s_waitcnt_vscnt null, 0x0
	s_barrier
	buffer_gl0_inv
	s_and_saveexec_b32 s6, s4
	s_cbranch_execz .LBB57_315
; %bb.308:
	ds_read_b128 v[1:4], v6
	s_andn2_b32 vcc_lo, exec_lo, s66
	s_cbranch_vccnz .LBB57_310
; %bb.309:
	s_clause 0x3
	buffer_load_dword v7, v5, s[0:3], 0 offen offset:8
	buffer_load_dword v8, v5, s[0:3], 0 offen offset:12
	buffer_load_dword v125, v5, s[0:3], 0 offen
	buffer_load_dword v126, v5, s[0:3], 0 offen offset:4
	s_waitcnt vmcnt(2) lgkmcnt(0)
	v_mul_f64 v[127:128], v[3:4], v[7:8]
	v_mul_f64 v[7:8], v[1:2], v[7:8]
	s_waitcnt vmcnt(0)
	v_fma_f64 v[1:2], v[1:2], v[125:126], -v[127:128]
	v_fma_f64 v[3:4], v[3:4], v[125:126], v[7:8]
.LBB57_310:
	s_and_saveexec_b32 s8, s5
	s_cbranch_execz .LBB57_314
; %bb.311:
	v_subrev_nc_u32_e32 v7, 19, v0
	s_movk_i32 s67, 0x4d0
	s_mov_b32 s5, 0
	s_mov_b32 s68, s47
	.p2align	6
.LBB57_312:                             ; =>This Inner Loop Header: Depth=1
	v_mov_b32_e32 v8, s68
	v_add_nc_u32_e32 v7, -1, v7
	s_add_i32 s68, s68, 16
	s_clause 0x3
	buffer_load_dword v129, v8, s[0:3], 0 offen offset:8
	buffer_load_dword v130, v8, s[0:3], 0 offen offset:12
	buffer_load_dword v131, v8, s[0:3], 0 offen
	buffer_load_dword v132, v8, s[0:3], 0 offen offset:4
	v_mov_b32_e32 v8, s67
	v_cmp_eq_u32_e32 vcc_lo, 0, v7
	s_add_i32 s67, s67, 16
	ds_read_b128 v[125:128], v8
	s_or_b32 s5, vcc_lo, s5
	s_waitcnt vmcnt(2) lgkmcnt(0)
	v_mul_f64 v[133:134], v[127:128], v[129:130]
	v_mul_f64 v[129:130], v[125:126], v[129:130]
	s_waitcnt vmcnt(0)
	v_fma_f64 v[125:126], v[125:126], v[131:132], -v[133:134]
	v_fma_f64 v[127:128], v[127:128], v[131:132], v[129:130]
	v_add_f64 v[1:2], v[1:2], v[125:126]
	v_add_f64 v[3:4], v[3:4], v[127:128]
	s_andn2_b32 exec_lo, exec_lo, s5
	s_cbranch_execnz .LBB57_312
; %bb.313:
	s_or_b32 exec_lo, exec_lo, s5
.LBB57_314:
	s_or_b32 exec_lo, exec_lo, s8
	v_mov_b32_e32 v7, 0
	ds_read_b128 v[125:128], v7 offset:288
	s_waitcnt lgkmcnt(0)
	v_mul_f64 v[7:8], v[3:4], v[127:128]
	v_mul_f64 v[127:128], v[1:2], v[127:128]
	v_fma_f64 v[1:2], v[1:2], v[125:126], -v[7:8]
	v_fma_f64 v[3:4], v[3:4], v[125:126], v[127:128]
	buffer_store_dword v2, off, s[0:3], 0 offset:292
	buffer_store_dword v1, off, s[0:3], 0 offset:288
	buffer_store_dword v4, off, s[0:3], 0 offset:300
	buffer_store_dword v3, off, s[0:3], 0 offset:296
.LBB57_315:
	s_or_b32 exec_lo, exec_lo, s6
	v_mov_b32_e32 v4, s49
	v_cmp_lt_u32_e64 s5, 17, v0
	s_clause 0x3
	buffer_load_dword v1, v4, s[0:3], 0 offen
	buffer_load_dword v2, v4, s[0:3], 0 offen offset:4
	buffer_load_dword v3, v4, s[0:3], 0 offen offset:8
	;; [unrolled: 1-line block ×3, first 2 shown]
	s_waitcnt vmcnt(0)
	ds_write_b128 v6, v[1:4]
	s_waitcnt lgkmcnt(0)
	s_waitcnt_vscnt null, 0x0
	s_barrier
	buffer_gl0_inv
	s_and_saveexec_b32 s6, s5
	s_cbranch_execz .LBB57_323
; %bb.316:
	ds_read_b128 v[1:4], v6
	s_andn2_b32 vcc_lo, exec_lo, s66
	s_cbranch_vccnz .LBB57_318
; %bb.317:
	s_clause 0x3
	buffer_load_dword v7, v5, s[0:3], 0 offen offset:8
	buffer_load_dword v8, v5, s[0:3], 0 offen offset:12
	buffer_load_dword v125, v5, s[0:3], 0 offen
	buffer_load_dword v126, v5, s[0:3], 0 offen offset:4
	s_waitcnt vmcnt(2) lgkmcnt(0)
	v_mul_f64 v[127:128], v[3:4], v[7:8]
	v_mul_f64 v[7:8], v[1:2], v[7:8]
	s_waitcnt vmcnt(0)
	v_fma_f64 v[1:2], v[1:2], v[125:126], -v[127:128]
	v_fma_f64 v[3:4], v[3:4], v[125:126], v[7:8]
.LBB57_318:
	s_and_saveexec_b32 s8, s4
	s_cbranch_execz .LBB57_322
; %bb.319:
	v_subrev_nc_u32_e32 v7, 18, v0
	s_movk_i32 s67, 0x4c0
	s_mov_b32 s4, 0
	s_mov_b32 s68, s48
	.p2align	6
.LBB57_320:                             ; =>This Inner Loop Header: Depth=1
	v_mov_b32_e32 v8, s68
	v_add_nc_u32_e32 v7, -1, v7
	s_add_i32 s68, s68, 16
	s_clause 0x3
	buffer_load_dword v129, v8, s[0:3], 0 offen offset:8
	buffer_load_dword v130, v8, s[0:3], 0 offen offset:12
	buffer_load_dword v131, v8, s[0:3], 0 offen
	buffer_load_dword v132, v8, s[0:3], 0 offen offset:4
	v_mov_b32_e32 v8, s67
	v_cmp_eq_u32_e32 vcc_lo, 0, v7
	s_add_i32 s67, s67, 16
	ds_read_b128 v[125:128], v8
	s_or_b32 s4, vcc_lo, s4
	s_waitcnt vmcnt(2) lgkmcnt(0)
	v_mul_f64 v[133:134], v[127:128], v[129:130]
	v_mul_f64 v[129:130], v[125:126], v[129:130]
	s_waitcnt vmcnt(0)
	v_fma_f64 v[125:126], v[125:126], v[131:132], -v[133:134]
	v_fma_f64 v[127:128], v[127:128], v[131:132], v[129:130]
	v_add_f64 v[1:2], v[1:2], v[125:126]
	v_add_f64 v[3:4], v[3:4], v[127:128]
	s_andn2_b32 exec_lo, exec_lo, s4
	s_cbranch_execnz .LBB57_320
; %bb.321:
	s_or_b32 exec_lo, exec_lo, s4
.LBB57_322:
	s_or_b32 exec_lo, exec_lo, s8
	v_mov_b32_e32 v7, 0
	ds_read_b128 v[125:128], v7 offset:272
	s_waitcnt lgkmcnt(0)
	v_mul_f64 v[7:8], v[3:4], v[127:128]
	v_mul_f64 v[127:128], v[1:2], v[127:128]
	v_fma_f64 v[1:2], v[1:2], v[125:126], -v[7:8]
	v_fma_f64 v[3:4], v[3:4], v[125:126], v[127:128]
	buffer_store_dword v2, off, s[0:3], 0 offset:276
	buffer_store_dword v1, off, s[0:3], 0 offset:272
	;; [unrolled: 1-line block ×4, first 2 shown]
.LBB57_323:
	s_or_b32 exec_lo, exec_lo, s6
	v_mov_b32_e32 v4, s50
	v_cmp_lt_u32_e64 s4, 16, v0
	s_clause 0x3
	buffer_load_dword v1, v4, s[0:3], 0 offen
	buffer_load_dword v2, v4, s[0:3], 0 offen offset:4
	buffer_load_dword v3, v4, s[0:3], 0 offen offset:8
	buffer_load_dword v4, v4, s[0:3], 0 offen offset:12
	s_waitcnt vmcnt(0)
	ds_write_b128 v6, v[1:4]
	s_waitcnt lgkmcnt(0)
	s_waitcnt_vscnt null, 0x0
	s_barrier
	buffer_gl0_inv
	s_and_saveexec_b32 s6, s4
	s_cbranch_execz .LBB57_331
; %bb.324:
	ds_read_b128 v[1:4], v6
	s_andn2_b32 vcc_lo, exec_lo, s66
	s_cbranch_vccnz .LBB57_326
; %bb.325:
	s_clause 0x3
	buffer_load_dword v7, v5, s[0:3], 0 offen offset:8
	buffer_load_dword v8, v5, s[0:3], 0 offen offset:12
	buffer_load_dword v125, v5, s[0:3], 0 offen
	buffer_load_dword v126, v5, s[0:3], 0 offen offset:4
	s_waitcnt vmcnt(2) lgkmcnt(0)
	v_mul_f64 v[127:128], v[3:4], v[7:8]
	v_mul_f64 v[7:8], v[1:2], v[7:8]
	s_waitcnt vmcnt(0)
	v_fma_f64 v[1:2], v[1:2], v[125:126], -v[127:128]
	v_fma_f64 v[3:4], v[3:4], v[125:126], v[7:8]
.LBB57_326:
	s_and_saveexec_b32 s8, s5
	s_cbranch_execz .LBB57_330
; %bb.327:
	v_subrev_nc_u32_e32 v7, 17, v0
	s_movk_i32 s67, 0x4b0
	s_mov_b32 s5, 0
	s_mov_b32 s68, s49
	.p2align	6
.LBB57_328:                             ; =>This Inner Loop Header: Depth=1
	v_mov_b32_e32 v8, s68
	v_add_nc_u32_e32 v7, -1, v7
	s_add_i32 s68, s68, 16
	s_clause 0x3
	buffer_load_dword v129, v8, s[0:3], 0 offen offset:8
	buffer_load_dword v130, v8, s[0:3], 0 offen offset:12
	buffer_load_dword v131, v8, s[0:3], 0 offen
	buffer_load_dword v132, v8, s[0:3], 0 offen offset:4
	v_mov_b32_e32 v8, s67
	v_cmp_eq_u32_e32 vcc_lo, 0, v7
	s_add_i32 s67, s67, 16
	ds_read_b128 v[125:128], v8
	s_or_b32 s5, vcc_lo, s5
	s_waitcnt vmcnt(2) lgkmcnt(0)
	v_mul_f64 v[133:134], v[127:128], v[129:130]
	v_mul_f64 v[129:130], v[125:126], v[129:130]
	s_waitcnt vmcnt(0)
	v_fma_f64 v[125:126], v[125:126], v[131:132], -v[133:134]
	v_fma_f64 v[127:128], v[127:128], v[131:132], v[129:130]
	v_add_f64 v[1:2], v[1:2], v[125:126]
	v_add_f64 v[3:4], v[3:4], v[127:128]
	s_andn2_b32 exec_lo, exec_lo, s5
	s_cbranch_execnz .LBB57_328
; %bb.329:
	s_or_b32 exec_lo, exec_lo, s5
.LBB57_330:
	s_or_b32 exec_lo, exec_lo, s8
	v_mov_b32_e32 v7, 0
	ds_read_b128 v[125:128], v7 offset:256
	s_waitcnt lgkmcnt(0)
	v_mul_f64 v[7:8], v[3:4], v[127:128]
	v_mul_f64 v[127:128], v[1:2], v[127:128]
	v_fma_f64 v[1:2], v[1:2], v[125:126], -v[7:8]
	v_fma_f64 v[3:4], v[3:4], v[125:126], v[127:128]
	buffer_store_dword v2, off, s[0:3], 0 offset:260
	buffer_store_dword v1, off, s[0:3], 0 offset:256
	;; [unrolled: 1-line block ×4, first 2 shown]
.LBB57_331:
	s_or_b32 exec_lo, exec_lo, s6
	v_mov_b32_e32 v4, s51
	v_cmp_lt_u32_e64 s5, 15, v0
	s_clause 0x3
	buffer_load_dword v1, v4, s[0:3], 0 offen
	buffer_load_dword v2, v4, s[0:3], 0 offen offset:4
	buffer_load_dword v3, v4, s[0:3], 0 offen offset:8
	;; [unrolled: 1-line block ×3, first 2 shown]
	s_waitcnt vmcnt(0)
	ds_write_b128 v6, v[1:4]
	s_waitcnt lgkmcnt(0)
	s_waitcnt_vscnt null, 0x0
	s_barrier
	buffer_gl0_inv
	s_and_saveexec_b32 s6, s5
	s_cbranch_execz .LBB57_339
; %bb.332:
	ds_read_b128 v[1:4], v6
	s_andn2_b32 vcc_lo, exec_lo, s66
	s_cbranch_vccnz .LBB57_334
; %bb.333:
	s_clause 0x3
	buffer_load_dword v7, v5, s[0:3], 0 offen offset:8
	buffer_load_dword v8, v5, s[0:3], 0 offen offset:12
	buffer_load_dword v125, v5, s[0:3], 0 offen
	buffer_load_dword v126, v5, s[0:3], 0 offen offset:4
	s_waitcnt vmcnt(2) lgkmcnt(0)
	v_mul_f64 v[127:128], v[3:4], v[7:8]
	v_mul_f64 v[7:8], v[1:2], v[7:8]
	s_waitcnt vmcnt(0)
	v_fma_f64 v[1:2], v[1:2], v[125:126], -v[127:128]
	v_fma_f64 v[3:4], v[3:4], v[125:126], v[7:8]
.LBB57_334:
	s_and_saveexec_b32 s8, s4
	s_cbranch_execz .LBB57_338
; %bb.335:
	v_add_nc_u32_e32 v7, -16, v0
	s_movk_i32 s67, 0x4a0
	s_mov_b32 s4, 0
	s_mov_b32 s68, s50
	.p2align	6
.LBB57_336:                             ; =>This Inner Loop Header: Depth=1
	v_mov_b32_e32 v8, s68
	v_add_nc_u32_e32 v7, -1, v7
	s_add_i32 s68, s68, 16
	s_clause 0x3
	buffer_load_dword v129, v8, s[0:3], 0 offen offset:8
	buffer_load_dword v130, v8, s[0:3], 0 offen offset:12
	buffer_load_dword v131, v8, s[0:3], 0 offen
	buffer_load_dword v132, v8, s[0:3], 0 offen offset:4
	v_mov_b32_e32 v8, s67
	v_cmp_eq_u32_e32 vcc_lo, 0, v7
	s_add_i32 s67, s67, 16
	ds_read_b128 v[125:128], v8
	s_or_b32 s4, vcc_lo, s4
	s_waitcnt vmcnt(2) lgkmcnt(0)
	v_mul_f64 v[133:134], v[127:128], v[129:130]
	v_mul_f64 v[129:130], v[125:126], v[129:130]
	s_waitcnt vmcnt(0)
	v_fma_f64 v[125:126], v[125:126], v[131:132], -v[133:134]
	v_fma_f64 v[127:128], v[127:128], v[131:132], v[129:130]
	v_add_f64 v[1:2], v[1:2], v[125:126]
	v_add_f64 v[3:4], v[3:4], v[127:128]
	s_andn2_b32 exec_lo, exec_lo, s4
	s_cbranch_execnz .LBB57_336
; %bb.337:
	s_or_b32 exec_lo, exec_lo, s4
.LBB57_338:
	s_or_b32 exec_lo, exec_lo, s8
	v_mov_b32_e32 v7, 0
	ds_read_b128 v[125:128], v7 offset:240
	s_waitcnt lgkmcnt(0)
	v_mul_f64 v[7:8], v[3:4], v[127:128]
	v_mul_f64 v[127:128], v[1:2], v[127:128]
	v_fma_f64 v[1:2], v[1:2], v[125:126], -v[7:8]
	v_fma_f64 v[3:4], v[3:4], v[125:126], v[127:128]
	buffer_store_dword v2, off, s[0:3], 0 offset:244
	buffer_store_dword v1, off, s[0:3], 0 offset:240
	;; [unrolled: 1-line block ×4, first 2 shown]
.LBB57_339:
	s_or_b32 exec_lo, exec_lo, s6
	v_mov_b32_e32 v4, s52
	v_cmp_lt_u32_e64 s4, 14, v0
	s_clause 0x3
	buffer_load_dword v1, v4, s[0:3], 0 offen
	buffer_load_dword v2, v4, s[0:3], 0 offen offset:4
	buffer_load_dword v3, v4, s[0:3], 0 offen offset:8
	buffer_load_dword v4, v4, s[0:3], 0 offen offset:12
	s_waitcnt vmcnt(0)
	ds_write_b128 v6, v[1:4]
	s_waitcnt lgkmcnt(0)
	s_waitcnt_vscnt null, 0x0
	s_barrier
	buffer_gl0_inv
	s_and_saveexec_b32 s6, s4
	s_cbranch_execz .LBB57_347
; %bb.340:
	ds_read_b128 v[1:4], v6
	s_andn2_b32 vcc_lo, exec_lo, s66
	s_cbranch_vccnz .LBB57_342
; %bb.341:
	s_clause 0x3
	buffer_load_dword v7, v5, s[0:3], 0 offen offset:8
	buffer_load_dword v8, v5, s[0:3], 0 offen offset:12
	buffer_load_dword v125, v5, s[0:3], 0 offen
	buffer_load_dword v126, v5, s[0:3], 0 offen offset:4
	s_waitcnt vmcnt(2) lgkmcnt(0)
	v_mul_f64 v[127:128], v[3:4], v[7:8]
	v_mul_f64 v[7:8], v[1:2], v[7:8]
	s_waitcnt vmcnt(0)
	v_fma_f64 v[1:2], v[1:2], v[125:126], -v[127:128]
	v_fma_f64 v[3:4], v[3:4], v[125:126], v[7:8]
.LBB57_342:
	s_and_saveexec_b32 s8, s5
	s_cbranch_execz .LBB57_346
; %bb.343:
	v_add_nc_u32_e32 v7, -15, v0
	s_movk_i32 s67, 0x490
	s_mov_b32 s5, 0
	s_mov_b32 s68, s51
	.p2align	6
.LBB57_344:                             ; =>This Inner Loop Header: Depth=1
	v_mov_b32_e32 v8, s68
	v_add_nc_u32_e32 v7, -1, v7
	s_add_i32 s68, s68, 16
	s_clause 0x3
	buffer_load_dword v129, v8, s[0:3], 0 offen offset:8
	buffer_load_dword v130, v8, s[0:3], 0 offen offset:12
	buffer_load_dword v131, v8, s[0:3], 0 offen
	buffer_load_dword v132, v8, s[0:3], 0 offen offset:4
	v_mov_b32_e32 v8, s67
	v_cmp_eq_u32_e32 vcc_lo, 0, v7
	s_add_i32 s67, s67, 16
	ds_read_b128 v[125:128], v8
	s_or_b32 s5, vcc_lo, s5
	s_waitcnt vmcnt(2) lgkmcnt(0)
	v_mul_f64 v[133:134], v[127:128], v[129:130]
	v_mul_f64 v[129:130], v[125:126], v[129:130]
	s_waitcnt vmcnt(0)
	v_fma_f64 v[125:126], v[125:126], v[131:132], -v[133:134]
	v_fma_f64 v[127:128], v[127:128], v[131:132], v[129:130]
	v_add_f64 v[1:2], v[1:2], v[125:126]
	v_add_f64 v[3:4], v[3:4], v[127:128]
	s_andn2_b32 exec_lo, exec_lo, s5
	s_cbranch_execnz .LBB57_344
; %bb.345:
	s_or_b32 exec_lo, exec_lo, s5
.LBB57_346:
	s_or_b32 exec_lo, exec_lo, s8
	v_mov_b32_e32 v7, 0
	ds_read_b128 v[125:128], v7 offset:224
	s_waitcnt lgkmcnt(0)
	v_mul_f64 v[7:8], v[3:4], v[127:128]
	v_mul_f64 v[127:128], v[1:2], v[127:128]
	v_fma_f64 v[1:2], v[1:2], v[125:126], -v[7:8]
	v_fma_f64 v[3:4], v[3:4], v[125:126], v[127:128]
	buffer_store_dword v2, off, s[0:3], 0 offset:228
	buffer_store_dword v1, off, s[0:3], 0 offset:224
	;; [unrolled: 1-line block ×4, first 2 shown]
.LBB57_347:
	s_or_b32 exec_lo, exec_lo, s6
	v_mov_b32_e32 v4, s53
	v_cmp_lt_u32_e64 s5, 13, v0
	s_clause 0x3
	buffer_load_dword v1, v4, s[0:3], 0 offen
	buffer_load_dword v2, v4, s[0:3], 0 offen offset:4
	buffer_load_dword v3, v4, s[0:3], 0 offen offset:8
	;; [unrolled: 1-line block ×3, first 2 shown]
	s_waitcnt vmcnt(0)
	ds_write_b128 v6, v[1:4]
	s_waitcnt lgkmcnt(0)
	s_waitcnt_vscnt null, 0x0
	s_barrier
	buffer_gl0_inv
	s_and_saveexec_b32 s6, s5
	s_cbranch_execz .LBB57_355
; %bb.348:
	ds_read_b128 v[1:4], v6
	s_andn2_b32 vcc_lo, exec_lo, s66
	s_cbranch_vccnz .LBB57_350
; %bb.349:
	s_clause 0x3
	buffer_load_dword v7, v5, s[0:3], 0 offen offset:8
	buffer_load_dword v8, v5, s[0:3], 0 offen offset:12
	buffer_load_dword v125, v5, s[0:3], 0 offen
	buffer_load_dword v126, v5, s[0:3], 0 offen offset:4
	s_waitcnt vmcnt(2) lgkmcnt(0)
	v_mul_f64 v[127:128], v[3:4], v[7:8]
	v_mul_f64 v[7:8], v[1:2], v[7:8]
	s_waitcnt vmcnt(0)
	v_fma_f64 v[1:2], v[1:2], v[125:126], -v[127:128]
	v_fma_f64 v[3:4], v[3:4], v[125:126], v[7:8]
.LBB57_350:
	s_and_saveexec_b32 s8, s4
	s_cbranch_execz .LBB57_354
; %bb.351:
	v_add_nc_u32_e32 v7, -14, v0
	s_movk_i32 s67, 0x480
	s_mov_b32 s4, 0
	s_mov_b32 s68, s52
	.p2align	6
.LBB57_352:                             ; =>This Inner Loop Header: Depth=1
	v_mov_b32_e32 v8, s68
	v_add_nc_u32_e32 v7, -1, v7
	s_add_i32 s68, s68, 16
	s_clause 0x3
	buffer_load_dword v129, v8, s[0:3], 0 offen offset:8
	buffer_load_dword v130, v8, s[0:3], 0 offen offset:12
	buffer_load_dword v131, v8, s[0:3], 0 offen
	buffer_load_dword v132, v8, s[0:3], 0 offen offset:4
	v_mov_b32_e32 v8, s67
	v_cmp_eq_u32_e32 vcc_lo, 0, v7
	s_add_i32 s67, s67, 16
	ds_read_b128 v[125:128], v8
	s_or_b32 s4, vcc_lo, s4
	s_waitcnt vmcnt(2) lgkmcnt(0)
	v_mul_f64 v[133:134], v[127:128], v[129:130]
	v_mul_f64 v[129:130], v[125:126], v[129:130]
	s_waitcnt vmcnt(0)
	v_fma_f64 v[125:126], v[125:126], v[131:132], -v[133:134]
	v_fma_f64 v[127:128], v[127:128], v[131:132], v[129:130]
	v_add_f64 v[1:2], v[1:2], v[125:126]
	v_add_f64 v[3:4], v[3:4], v[127:128]
	s_andn2_b32 exec_lo, exec_lo, s4
	s_cbranch_execnz .LBB57_352
; %bb.353:
	s_or_b32 exec_lo, exec_lo, s4
.LBB57_354:
	s_or_b32 exec_lo, exec_lo, s8
	v_mov_b32_e32 v7, 0
	ds_read_b128 v[125:128], v7 offset:208
	s_waitcnt lgkmcnt(0)
	v_mul_f64 v[7:8], v[3:4], v[127:128]
	v_mul_f64 v[127:128], v[1:2], v[127:128]
	v_fma_f64 v[1:2], v[1:2], v[125:126], -v[7:8]
	v_fma_f64 v[3:4], v[3:4], v[125:126], v[127:128]
	buffer_store_dword v2, off, s[0:3], 0 offset:212
	buffer_store_dword v1, off, s[0:3], 0 offset:208
	;; [unrolled: 1-line block ×4, first 2 shown]
.LBB57_355:
	s_or_b32 exec_lo, exec_lo, s6
	v_mov_b32_e32 v4, s54
	v_cmp_lt_u32_e64 s4, 12, v0
	s_clause 0x3
	buffer_load_dword v1, v4, s[0:3], 0 offen
	buffer_load_dword v2, v4, s[0:3], 0 offen offset:4
	buffer_load_dword v3, v4, s[0:3], 0 offen offset:8
	;; [unrolled: 1-line block ×3, first 2 shown]
	s_waitcnt vmcnt(0)
	ds_write_b128 v6, v[1:4]
	s_waitcnt lgkmcnt(0)
	s_waitcnt_vscnt null, 0x0
	s_barrier
	buffer_gl0_inv
	s_and_saveexec_b32 s6, s4
	s_cbranch_execz .LBB57_363
; %bb.356:
	ds_read_b128 v[1:4], v6
	s_andn2_b32 vcc_lo, exec_lo, s66
	s_cbranch_vccnz .LBB57_358
; %bb.357:
	s_clause 0x3
	buffer_load_dword v7, v5, s[0:3], 0 offen offset:8
	buffer_load_dword v8, v5, s[0:3], 0 offen offset:12
	buffer_load_dword v125, v5, s[0:3], 0 offen
	buffer_load_dword v126, v5, s[0:3], 0 offen offset:4
	s_waitcnt vmcnt(2) lgkmcnt(0)
	v_mul_f64 v[127:128], v[3:4], v[7:8]
	v_mul_f64 v[7:8], v[1:2], v[7:8]
	s_waitcnt vmcnt(0)
	v_fma_f64 v[1:2], v[1:2], v[125:126], -v[127:128]
	v_fma_f64 v[3:4], v[3:4], v[125:126], v[7:8]
.LBB57_358:
	s_and_saveexec_b32 s8, s5
	s_cbranch_execz .LBB57_362
; %bb.359:
	v_add_nc_u32_e32 v7, -13, v0
	s_movk_i32 s67, 0x470
	s_mov_b32 s5, 0
	s_mov_b32 s68, s53
	.p2align	6
.LBB57_360:                             ; =>This Inner Loop Header: Depth=1
	v_mov_b32_e32 v8, s68
	v_add_nc_u32_e32 v7, -1, v7
	s_add_i32 s68, s68, 16
	s_clause 0x3
	buffer_load_dword v129, v8, s[0:3], 0 offen offset:8
	buffer_load_dword v130, v8, s[0:3], 0 offen offset:12
	buffer_load_dword v131, v8, s[0:3], 0 offen
	buffer_load_dword v132, v8, s[0:3], 0 offen offset:4
	v_mov_b32_e32 v8, s67
	v_cmp_eq_u32_e32 vcc_lo, 0, v7
	s_add_i32 s67, s67, 16
	ds_read_b128 v[125:128], v8
	s_or_b32 s5, vcc_lo, s5
	s_waitcnt vmcnt(2) lgkmcnt(0)
	v_mul_f64 v[133:134], v[127:128], v[129:130]
	v_mul_f64 v[129:130], v[125:126], v[129:130]
	s_waitcnt vmcnt(0)
	v_fma_f64 v[125:126], v[125:126], v[131:132], -v[133:134]
	v_fma_f64 v[127:128], v[127:128], v[131:132], v[129:130]
	v_add_f64 v[1:2], v[1:2], v[125:126]
	v_add_f64 v[3:4], v[3:4], v[127:128]
	s_andn2_b32 exec_lo, exec_lo, s5
	s_cbranch_execnz .LBB57_360
; %bb.361:
	s_or_b32 exec_lo, exec_lo, s5
.LBB57_362:
	s_or_b32 exec_lo, exec_lo, s8
	v_mov_b32_e32 v7, 0
	ds_read_b128 v[125:128], v7 offset:192
	s_waitcnt lgkmcnt(0)
	v_mul_f64 v[7:8], v[3:4], v[127:128]
	v_mul_f64 v[127:128], v[1:2], v[127:128]
	v_fma_f64 v[1:2], v[1:2], v[125:126], -v[7:8]
	v_fma_f64 v[3:4], v[3:4], v[125:126], v[127:128]
	buffer_store_dword v2, off, s[0:3], 0 offset:196
	buffer_store_dword v1, off, s[0:3], 0 offset:192
	;; [unrolled: 1-line block ×4, first 2 shown]
.LBB57_363:
	s_or_b32 exec_lo, exec_lo, s6
	v_mov_b32_e32 v4, s55
	v_cmp_lt_u32_e64 s5, 11, v0
	s_clause 0x3
	buffer_load_dword v1, v4, s[0:3], 0 offen
	buffer_load_dword v2, v4, s[0:3], 0 offen offset:4
	buffer_load_dword v3, v4, s[0:3], 0 offen offset:8
	;; [unrolled: 1-line block ×3, first 2 shown]
	s_waitcnt vmcnt(0)
	ds_write_b128 v6, v[1:4]
	s_waitcnt lgkmcnt(0)
	s_waitcnt_vscnt null, 0x0
	s_barrier
	buffer_gl0_inv
	s_and_saveexec_b32 s6, s5
	s_cbranch_execz .LBB57_371
; %bb.364:
	ds_read_b128 v[1:4], v6
	s_andn2_b32 vcc_lo, exec_lo, s66
	s_cbranch_vccnz .LBB57_366
; %bb.365:
	s_clause 0x3
	buffer_load_dword v7, v5, s[0:3], 0 offen offset:8
	buffer_load_dword v8, v5, s[0:3], 0 offen offset:12
	buffer_load_dword v125, v5, s[0:3], 0 offen
	buffer_load_dword v126, v5, s[0:3], 0 offen offset:4
	s_waitcnt vmcnt(2) lgkmcnt(0)
	v_mul_f64 v[127:128], v[3:4], v[7:8]
	v_mul_f64 v[7:8], v[1:2], v[7:8]
	s_waitcnt vmcnt(0)
	v_fma_f64 v[1:2], v[1:2], v[125:126], -v[127:128]
	v_fma_f64 v[3:4], v[3:4], v[125:126], v[7:8]
.LBB57_366:
	s_and_saveexec_b32 s8, s4
	s_cbranch_execz .LBB57_370
; %bb.367:
	v_add_nc_u32_e32 v7, -12, v0
	s_movk_i32 s67, 0x460
	s_mov_b32 s4, 0
	s_mov_b32 s68, s54
	.p2align	6
.LBB57_368:                             ; =>This Inner Loop Header: Depth=1
	v_mov_b32_e32 v8, s68
	v_add_nc_u32_e32 v7, -1, v7
	s_add_i32 s68, s68, 16
	s_clause 0x3
	buffer_load_dword v129, v8, s[0:3], 0 offen offset:8
	buffer_load_dword v130, v8, s[0:3], 0 offen offset:12
	buffer_load_dword v131, v8, s[0:3], 0 offen
	buffer_load_dword v132, v8, s[0:3], 0 offen offset:4
	v_mov_b32_e32 v8, s67
	v_cmp_eq_u32_e32 vcc_lo, 0, v7
	s_add_i32 s67, s67, 16
	ds_read_b128 v[125:128], v8
	s_or_b32 s4, vcc_lo, s4
	s_waitcnt vmcnt(2) lgkmcnt(0)
	v_mul_f64 v[133:134], v[127:128], v[129:130]
	v_mul_f64 v[129:130], v[125:126], v[129:130]
	s_waitcnt vmcnt(0)
	v_fma_f64 v[125:126], v[125:126], v[131:132], -v[133:134]
	v_fma_f64 v[127:128], v[127:128], v[131:132], v[129:130]
	v_add_f64 v[1:2], v[1:2], v[125:126]
	v_add_f64 v[3:4], v[3:4], v[127:128]
	s_andn2_b32 exec_lo, exec_lo, s4
	s_cbranch_execnz .LBB57_368
; %bb.369:
	s_or_b32 exec_lo, exec_lo, s4
.LBB57_370:
	s_or_b32 exec_lo, exec_lo, s8
	v_mov_b32_e32 v7, 0
	ds_read_b128 v[125:128], v7 offset:176
	s_waitcnt lgkmcnt(0)
	v_mul_f64 v[7:8], v[3:4], v[127:128]
	v_mul_f64 v[127:128], v[1:2], v[127:128]
	v_fma_f64 v[1:2], v[1:2], v[125:126], -v[7:8]
	v_fma_f64 v[3:4], v[3:4], v[125:126], v[127:128]
	buffer_store_dword v2, off, s[0:3], 0 offset:180
	buffer_store_dword v1, off, s[0:3], 0 offset:176
	;; [unrolled: 1-line block ×4, first 2 shown]
.LBB57_371:
	s_or_b32 exec_lo, exec_lo, s6
	v_mov_b32_e32 v4, s56
	v_cmp_lt_u32_e64 s4, 10, v0
	s_clause 0x3
	buffer_load_dword v1, v4, s[0:3], 0 offen
	buffer_load_dword v2, v4, s[0:3], 0 offen offset:4
	buffer_load_dword v3, v4, s[0:3], 0 offen offset:8
	;; [unrolled: 1-line block ×3, first 2 shown]
	s_waitcnt vmcnt(0)
	ds_write_b128 v6, v[1:4]
	s_waitcnt lgkmcnt(0)
	s_waitcnt_vscnt null, 0x0
	s_barrier
	buffer_gl0_inv
	s_and_saveexec_b32 s6, s4
	s_cbranch_execz .LBB57_379
; %bb.372:
	ds_read_b128 v[1:4], v6
	s_andn2_b32 vcc_lo, exec_lo, s66
	s_cbranch_vccnz .LBB57_374
; %bb.373:
	s_clause 0x3
	buffer_load_dword v7, v5, s[0:3], 0 offen offset:8
	buffer_load_dword v8, v5, s[0:3], 0 offen offset:12
	buffer_load_dword v125, v5, s[0:3], 0 offen
	buffer_load_dword v126, v5, s[0:3], 0 offen offset:4
	s_waitcnt vmcnt(2) lgkmcnt(0)
	v_mul_f64 v[127:128], v[3:4], v[7:8]
	v_mul_f64 v[7:8], v[1:2], v[7:8]
	s_waitcnt vmcnt(0)
	v_fma_f64 v[1:2], v[1:2], v[125:126], -v[127:128]
	v_fma_f64 v[3:4], v[3:4], v[125:126], v[7:8]
.LBB57_374:
	s_and_saveexec_b32 s8, s5
	s_cbranch_execz .LBB57_378
; %bb.375:
	v_add_nc_u32_e32 v7, -11, v0
	s_movk_i32 s67, 0x450
	s_mov_b32 s5, 0
	s_mov_b32 s68, s55
	.p2align	6
.LBB57_376:                             ; =>This Inner Loop Header: Depth=1
	v_mov_b32_e32 v8, s68
	v_add_nc_u32_e32 v7, -1, v7
	s_add_i32 s68, s68, 16
	s_clause 0x3
	buffer_load_dword v129, v8, s[0:3], 0 offen offset:8
	buffer_load_dword v130, v8, s[0:3], 0 offen offset:12
	buffer_load_dword v131, v8, s[0:3], 0 offen
	buffer_load_dword v132, v8, s[0:3], 0 offen offset:4
	v_mov_b32_e32 v8, s67
	v_cmp_eq_u32_e32 vcc_lo, 0, v7
	s_add_i32 s67, s67, 16
	ds_read_b128 v[125:128], v8
	s_or_b32 s5, vcc_lo, s5
	s_waitcnt vmcnt(2) lgkmcnt(0)
	v_mul_f64 v[133:134], v[127:128], v[129:130]
	v_mul_f64 v[129:130], v[125:126], v[129:130]
	s_waitcnt vmcnt(0)
	v_fma_f64 v[125:126], v[125:126], v[131:132], -v[133:134]
	v_fma_f64 v[127:128], v[127:128], v[131:132], v[129:130]
	v_add_f64 v[1:2], v[1:2], v[125:126]
	v_add_f64 v[3:4], v[3:4], v[127:128]
	s_andn2_b32 exec_lo, exec_lo, s5
	s_cbranch_execnz .LBB57_376
; %bb.377:
	s_or_b32 exec_lo, exec_lo, s5
.LBB57_378:
	s_or_b32 exec_lo, exec_lo, s8
	v_mov_b32_e32 v7, 0
	ds_read_b128 v[125:128], v7 offset:160
	s_waitcnt lgkmcnt(0)
	v_mul_f64 v[7:8], v[3:4], v[127:128]
	v_mul_f64 v[127:128], v[1:2], v[127:128]
	v_fma_f64 v[1:2], v[1:2], v[125:126], -v[7:8]
	v_fma_f64 v[3:4], v[3:4], v[125:126], v[127:128]
	buffer_store_dword v2, off, s[0:3], 0 offset:164
	buffer_store_dword v1, off, s[0:3], 0 offset:160
	;; [unrolled: 1-line block ×4, first 2 shown]
.LBB57_379:
	s_or_b32 exec_lo, exec_lo, s6
	v_mov_b32_e32 v4, s57
	v_cmp_lt_u32_e64 s5, 9, v0
	s_clause 0x3
	buffer_load_dword v1, v4, s[0:3], 0 offen
	buffer_load_dword v2, v4, s[0:3], 0 offen offset:4
	buffer_load_dword v3, v4, s[0:3], 0 offen offset:8
	;; [unrolled: 1-line block ×3, first 2 shown]
	s_waitcnt vmcnt(0)
	ds_write_b128 v6, v[1:4]
	s_waitcnt lgkmcnt(0)
	s_waitcnt_vscnt null, 0x0
	s_barrier
	buffer_gl0_inv
	s_and_saveexec_b32 s6, s5
	s_cbranch_execz .LBB57_387
; %bb.380:
	ds_read_b128 v[1:4], v6
	s_andn2_b32 vcc_lo, exec_lo, s66
	s_cbranch_vccnz .LBB57_382
; %bb.381:
	s_clause 0x3
	buffer_load_dword v7, v5, s[0:3], 0 offen offset:8
	buffer_load_dword v8, v5, s[0:3], 0 offen offset:12
	buffer_load_dword v125, v5, s[0:3], 0 offen
	buffer_load_dword v126, v5, s[0:3], 0 offen offset:4
	s_waitcnt vmcnt(2) lgkmcnt(0)
	v_mul_f64 v[127:128], v[3:4], v[7:8]
	v_mul_f64 v[7:8], v[1:2], v[7:8]
	s_waitcnt vmcnt(0)
	v_fma_f64 v[1:2], v[1:2], v[125:126], -v[127:128]
	v_fma_f64 v[3:4], v[3:4], v[125:126], v[7:8]
.LBB57_382:
	s_and_saveexec_b32 s8, s4
	s_cbranch_execz .LBB57_386
; %bb.383:
	v_add_nc_u32_e32 v7, -10, v0
	s_movk_i32 s67, 0x440
	s_mov_b32 s4, 0
	s_mov_b32 s68, s56
	.p2align	6
.LBB57_384:                             ; =>This Inner Loop Header: Depth=1
	v_mov_b32_e32 v8, s68
	v_add_nc_u32_e32 v7, -1, v7
	s_add_i32 s68, s68, 16
	s_clause 0x3
	buffer_load_dword v129, v8, s[0:3], 0 offen offset:8
	buffer_load_dword v130, v8, s[0:3], 0 offen offset:12
	buffer_load_dword v131, v8, s[0:3], 0 offen
	buffer_load_dword v132, v8, s[0:3], 0 offen offset:4
	v_mov_b32_e32 v8, s67
	v_cmp_eq_u32_e32 vcc_lo, 0, v7
	s_add_i32 s67, s67, 16
	ds_read_b128 v[125:128], v8
	s_or_b32 s4, vcc_lo, s4
	s_waitcnt vmcnt(2) lgkmcnt(0)
	v_mul_f64 v[133:134], v[127:128], v[129:130]
	v_mul_f64 v[129:130], v[125:126], v[129:130]
	s_waitcnt vmcnt(0)
	v_fma_f64 v[125:126], v[125:126], v[131:132], -v[133:134]
	v_fma_f64 v[127:128], v[127:128], v[131:132], v[129:130]
	v_add_f64 v[1:2], v[1:2], v[125:126]
	v_add_f64 v[3:4], v[3:4], v[127:128]
	s_andn2_b32 exec_lo, exec_lo, s4
	s_cbranch_execnz .LBB57_384
; %bb.385:
	s_or_b32 exec_lo, exec_lo, s4
.LBB57_386:
	s_or_b32 exec_lo, exec_lo, s8
	v_mov_b32_e32 v7, 0
	ds_read_b128 v[125:128], v7 offset:144
	s_waitcnt lgkmcnt(0)
	v_mul_f64 v[7:8], v[3:4], v[127:128]
	v_mul_f64 v[127:128], v[1:2], v[127:128]
	v_fma_f64 v[1:2], v[1:2], v[125:126], -v[7:8]
	v_fma_f64 v[3:4], v[3:4], v[125:126], v[127:128]
	buffer_store_dword v2, off, s[0:3], 0 offset:148
	buffer_store_dword v1, off, s[0:3], 0 offset:144
	;; [unrolled: 1-line block ×4, first 2 shown]
.LBB57_387:
	s_or_b32 exec_lo, exec_lo, s6
	v_mov_b32_e32 v4, s58
	v_cmp_lt_u32_e64 s4, 8, v0
	s_clause 0x3
	buffer_load_dword v1, v4, s[0:3], 0 offen
	buffer_load_dword v2, v4, s[0:3], 0 offen offset:4
	buffer_load_dword v3, v4, s[0:3], 0 offen offset:8
	;; [unrolled: 1-line block ×3, first 2 shown]
	s_waitcnt vmcnt(0)
	ds_write_b128 v6, v[1:4]
	s_waitcnt lgkmcnt(0)
	s_waitcnt_vscnt null, 0x0
	s_barrier
	buffer_gl0_inv
	s_and_saveexec_b32 s6, s4
	s_cbranch_execz .LBB57_395
; %bb.388:
	ds_read_b128 v[1:4], v6
	s_andn2_b32 vcc_lo, exec_lo, s66
	s_cbranch_vccnz .LBB57_390
; %bb.389:
	s_clause 0x3
	buffer_load_dword v7, v5, s[0:3], 0 offen offset:8
	buffer_load_dword v8, v5, s[0:3], 0 offen offset:12
	buffer_load_dword v125, v5, s[0:3], 0 offen
	buffer_load_dword v126, v5, s[0:3], 0 offen offset:4
	s_waitcnt vmcnt(2) lgkmcnt(0)
	v_mul_f64 v[127:128], v[3:4], v[7:8]
	v_mul_f64 v[7:8], v[1:2], v[7:8]
	s_waitcnt vmcnt(0)
	v_fma_f64 v[1:2], v[1:2], v[125:126], -v[127:128]
	v_fma_f64 v[3:4], v[3:4], v[125:126], v[7:8]
.LBB57_390:
	s_and_saveexec_b32 s8, s5
	s_cbranch_execz .LBB57_394
; %bb.391:
	v_add_nc_u32_e32 v7, -9, v0
	s_movk_i32 s67, 0x430
	s_mov_b32 s5, 0
	s_mov_b32 s68, s57
	.p2align	6
.LBB57_392:                             ; =>This Inner Loop Header: Depth=1
	v_mov_b32_e32 v8, s68
	v_add_nc_u32_e32 v7, -1, v7
	s_add_i32 s68, s68, 16
	s_clause 0x3
	buffer_load_dword v129, v8, s[0:3], 0 offen offset:8
	buffer_load_dword v130, v8, s[0:3], 0 offen offset:12
	buffer_load_dword v131, v8, s[0:3], 0 offen
	buffer_load_dword v132, v8, s[0:3], 0 offen offset:4
	v_mov_b32_e32 v8, s67
	v_cmp_eq_u32_e32 vcc_lo, 0, v7
	s_add_i32 s67, s67, 16
	ds_read_b128 v[125:128], v8
	s_or_b32 s5, vcc_lo, s5
	s_waitcnt vmcnt(2) lgkmcnt(0)
	v_mul_f64 v[133:134], v[127:128], v[129:130]
	v_mul_f64 v[129:130], v[125:126], v[129:130]
	s_waitcnt vmcnt(0)
	v_fma_f64 v[125:126], v[125:126], v[131:132], -v[133:134]
	v_fma_f64 v[127:128], v[127:128], v[131:132], v[129:130]
	v_add_f64 v[1:2], v[1:2], v[125:126]
	v_add_f64 v[3:4], v[3:4], v[127:128]
	s_andn2_b32 exec_lo, exec_lo, s5
	s_cbranch_execnz .LBB57_392
; %bb.393:
	s_or_b32 exec_lo, exec_lo, s5
.LBB57_394:
	s_or_b32 exec_lo, exec_lo, s8
	v_mov_b32_e32 v7, 0
	ds_read_b128 v[125:128], v7 offset:128
	s_waitcnt lgkmcnt(0)
	v_mul_f64 v[7:8], v[3:4], v[127:128]
	v_mul_f64 v[127:128], v[1:2], v[127:128]
	v_fma_f64 v[1:2], v[1:2], v[125:126], -v[7:8]
	v_fma_f64 v[3:4], v[3:4], v[125:126], v[127:128]
	buffer_store_dword v2, off, s[0:3], 0 offset:132
	buffer_store_dword v1, off, s[0:3], 0 offset:128
	;; [unrolled: 1-line block ×4, first 2 shown]
.LBB57_395:
	s_or_b32 exec_lo, exec_lo, s6
	v_mov_b32_e32 v4, s59
	v_cmp_lt_u32_e64 s5, 7, v0
	s_clause 0x3
	buffer_load_dword v1, v4, s[0:3], 0 offen
	buffer_load_dword v2, v4, s[0:3], 0 offen offset:4
	buffer_load_dword v3, v4, s[0:3], 0 offen offset:8
	;; [unrolled: 1-line block ×3, first 2 shown]
	s_waitcnt vmcnt(0)
	ds_write_b128 v6, v[1:4]
	s_waitcnt lgkmcnt(0)
	s_waitcnt_vscnt null, 0x0
	s_barrier
	buffer_gl0_inv
	s_and_saveexec_b32 s6, s5
	s_cbranch_execz .LBB57_403
; %bb.396:
	ds_read_b128 v[1:4], v6
	s_andn2_b32 vcc_lo, exec_lo, s66
	s_cbranch_vccnz .LBB57_398
; %bb.397:
	s_clause 0x3
	buffer_load_dword v7, v5, s[0:3], 0 offen offset:8
	buffer_load_dword v8, v5, s[0:3], 0 offen offset:12
	buffer_load_dword v125, v5, s[0:3], 0 offen
	buffer_load_dword v126, v5, s[0:3], 0 offen offset:4
	s_waitcnt vmcnt(2) lgkmcnt(0)
	v_mul_f64 v[127:128], v[3:4], v[7:8]
	v_mul_f64 v[7:8], v[1:2], v[7:8]
	s_waitcnt vmcnt(0)
	v_fma_f64 v[1:2], v[1:2], v[125:126], -v[127:128]
	v_fma_f64 v[3:4], v[3:4], v[125:126], v[7:8]
.LBB57_398:
	s_and_saveexec_b32 s8, s4
	s_cbranch_execz .LBB57_402
; %bb.399:
	v_add_nc_u32_e32 v7, -8, v0
	s_movk_i32 s67, 0x420
	s_mov_b32 s4, 0
	s_mov_b32 s68, s58
	.p2align	6
.LBB57_400:                             ; =>This Inner Loop Header: Depth=1
	v_mov_b32_e32 v8, s68
	v_add_nc_u32_e32 v7, -1, v7
	s_add_i32 s68, s68, 16
	s_clause 0x3
	buffer_load_dword v129, v8, s[0:3], 0 offen offset:8
	buffer_load_dword v130, v8, s[0:3], 0 offen offset:12
	buffer_load_dword v131, v8, s[0:3], 0 offen
	buffer_load_dword v132, v8, s[0:3], 0 offen offset:4
	v_mov_b32_e32 v8, s67
	v_cmp_eq_u32_e32 vcc_lo, 0, v7
	s_add_i32 s67, s67, 16
	ds_read_b128 v[125:128], v8
	s_or_b32 s4, vcc_lo, s4
	s_waitcnt vmcnt(2) lgkmcnt(0)
	v_mul_f64 v[133:134], v[127:128], v[129:130]
	v_mul_f64 v[129:130], v[125:126], v[129:130]
	s_waitcnt vmcnt(0)
	v_fma_f64 v[125:126], v[125:126], v[131:132], -v[133:134]
	v_fma_f64 v[127:128], v[127:128], v[131:132], v[129:130]
	v_add_f64 v[1:2], v[1:2], v[125:126]
	v_add_f64 v[3:4], v[3:4], v[127:128]
	s_andn2_b32 exec_lo, exec_lo, s4
	s_cbranch_execnz .LBB57_400
; %bb.401:
	s_or_b32 exec_lo, exec_lo, s4
.LBB57_402:
	s_or_b32 exec_lo, exec_lo, s8
	v_mov_b32_e32 v7, 0
	ds_read_b128 v[125:128], v7 offset:112
	s_waitcnt lgkmcnt(0)
	v_mul_f64 v[7:8], v[3:4], v[127:128]
	v_mul_f64 v[127:128], v[1:2], v[127:128]
	v_fma_f64 v[1:2], v[1:2], v[125:126], -v[7:8]
	v_fma_f64 v[3:4], v[3:4], v[125:126], v[127:128]
	buffer_store_dword v2, off, s[0:3], 0 offset:116
	buffer_store_dword v1, off, s[0:3], 0 offset:112
	;; [unrolled: 1-line block ×4, first 2 shown]
.LBB57_403:
	s_or_b32 exec_lo, exec_lo, s6
	v_mov_b32_e32 v4, s60
	v_cmp_lt_u32_e64 s4, 6, v0
	s_clause 0x3
	buffer_load_dword v1, v4, s[0:3], 0 offen
	buffer_load_dword v2, v4, s[0:3], 0 offen offset:4
	buffer_load_dword v3, v4, s[0:3], 0 offen offset:8
	;; [unrolled: 1-line block ×3, first 2 shown]
	s_waitcnt vmcnt(0)
	ds_write_b128 v6, v[1:4]
	s_waitcnt lgkmcnt(0)
	s_waitcnt_vscnt null, 0x0
	s_barrier
	buffer_gl0_inv
	s_and_saveexec_b32 s6, s4
	s_cbranch_execz .LBB57_411
; %bb.404:
	ds_read_b128 v[1:4], v6
	s_andn2_b32 vcc_lo, exec_lo, s66
	s_cbranch_vccnz .LBB57_406
; %bb.405:
	s_clause 0x3
	buffer_load_dword v7, v5, s[0:3], 0 offen offset:8
	buffer_load_dword v8, v5, s[0:3], 0 offen offset:12
	buffer_load_dword v125, v5, s[0:3], 0 offen
	buffer_load_dword v126, v5, s[0:3], 0 offen offset:4
	s_waitcnt vmcnt(2) lgkmcnt(0)
	v_mul_f64 v[127:128], v[3:4], v[7:8]
	v_mul_f64 v[7:8], v[1:2], v[7:8]
	s_waitcnt vmcnt(0)
	v_fma_f64 v[1:2], v[1:2], v[125:126], -v[127:128]
	v_fma_f64 v[3:4], v[3:4], v[125:126], v[7:8]
.LBB57_406:
	s_and_saveexec_b32 s8, s5
	s_cbranch_execz .LBB57_410
; %bb.407:
	v_add_nc_u32_e32 v7, -7, v0
	s_movk_i32 s67, 0x410
	s_mov_b32 s5, 0
	s_mov_b32 s68, s59
	.p2align	6
.LBB57_408:                             ; =>This Inner Loop Header: Depth=1
	v_mov_b32_e32 v8, s68
	v_add_nc_u32_e32 v7, -1, v7
	s_add_i32 s68, s68, 16
	s_clause 0x3
	buffer_load_dword v129, v8, s[0:3], 0 offen offset:8
	buffer_load_dword v130, v8, s[0:3], 0 offen offset:12
	buffer_load_dword v131, v8, s[0:3], 0 offen
	buffer_load_dword v132, v8, s[0:3], 0 offen offset:4
	v_mov_b32_e32 v8, s67
	v_cmp_eq_u32_e32 vcc_lo, 0, v7
	s_add_i32 s67, s67, 16
	ds_read_b128 v[125:128], v8
	s_or_b32 s5, vcc_lo, s5
	s_waitcnt vmcnt(2) lgkmcnt(0)
	v_mul_f64 v[133:134], v[127:128], v[129:130]
	v_mul_f64 v[129:130], v[125:126], v[129:130]
	s_waitcnt vmcnt(0)
	v_fma_f64 v[125:126], v[125:126], v[131:132], -v[133:134]
	v_fma_f64 v[127:128], v[127:128], v[131:132], v[129:130]
	v_add_f64 v[1:2], v[1:2], v[125:126]
	v_add_f64 v[3:4], v[3:4], v[127:128]
	s_andn2_b32 exec_lo, exec_lo, s5
	s_cbranch_execnz .LBB57_408
; %bb.409:
	s_or_b32 exec_lo, exec_lo, s5
.LBB57_410:
	s_or_b32 exec_lo, exec_lo, s8
	v_mov_b32_e32 v7, 0
	ds_read_b128 v[125:128], v7 offset:96
	s_waitcnt lgkmcnt(0)
	v_mul_f64 v[7:8], v[3:4], v[127:128]
	v_mul_f64 v[127:128], v[1:2], v[127:128]
	v_fma_f64 v[1:2], v[1:2], v[125:126], -v[7:8]
	v_fma_f64 v[3:4], v[3:4], v[125:126], v[127:128]
	buffer_store_dword v2, off, s[0:3], 0 offset:100
	buffer_store_dword v1, off, s[0:3], 0 offset:96
	buffer_store_dword v4, off, s[0:3], 0 offset:108
	buffer_store_dword v3, off, s[0:3], 0 offset:104
.LBB57_411:
	s_or_b32 exec_lo, exec_lo, s6
	v_mov_b32_e32 v4, s61
	v_cmp_lt_u32_e64 s5, 5, v0
	s_clause 0x3
	buffer_load_dword v1, v4, s[0:3], 0 offen
	buffer_load_dword v2, v4, s[0:3], 0 offen offset:4
	buffer_load_dword v3, v4, s[0:3], 0 offen offset:8
	buffer_load_dword v4, v4, s[0:3], 0 offen offset:12
	s_waitcnt vmcnt(0)
	ds_write_b128 v6, v[1:4]
	s_waitcnt lgkmcnt(0)
	s_waitcnt_vscnt null, 0x0
	s_barrier
	buffer_gl0_inv
	s_and_saveexec_b32 s6, s5
	s_cbranch_execz .LBB57_419
; %bb.412:
	ds_read_b128 v[1:4], v6
	s_andn2_b32 vcc_lo, exec_lo, s66
	s_cbranch_vccnz .LBB57_414
; %bb.413:
	s_clause 0x3
	buffer_load_dword v7, v5, s[0:3], 0 offen offset:8
	buffer_load_dword v8, v5, s[0:3], 0 offen offset:12
	buffer_load_dword v125, v5, s[0:3], 0 offen
	buffer_load_dword v126, v5, s[0:3], 0 offen offset:4
	s_waitcnt vmcnt(2) lgkmcnt(0)
	v_mul_f64 v[127:128], v[3:4], v[7:8]
	v_mul_f64 v[7:8], v[1:2], v[7:8]
	s_waitcnt vmcnt(0)
	v_fma_f64 v[1:2], v[1:2], v[125:126], -v[127:128]
	v_fma_f64 v[3:4], v[3:4], v[125:126], v[7:8]
.LBB57_414:
	s_and_saveexec_b32 s8, s4
	s_cbranch_execz .LBB57_418
; %bb.415:
	v_add_nc_u32_e32 v7, -6, v0
	s_movk_i32 s67, 0x400
	s_mov_b32 s4, 0
	s_mov_b32 s68, s60
	.p2align	6
.LBB57_416:                             ; =>This Inner Loop Header: Depth=1
	v_mov_b32_e32 v8, s68
	v_add_nc_u32_e32 v7, -1, v7
	s_add_i32 s68, s68, 16
	s_clause 0x3
	buffer_load_dword v129, v8, s[0:3], 0 offen offset:8
	buffer_load_dword v130, v8, s[0:3], 0 offen offset:12
	buffer_load_dword v131, v8, s[0:3], 0 offen
	buffer_load_dword v132, v8, s[0:3], 0 offen offset:4
	v_mov_b32_e32 v8, s67
	v_cmp_eq_u32_e32 vcc_lo, 0, v7
	s_add_i32 s67, s67, 16
	ds_read_b128 v[125:128], v8
	s_or_b32 s4, vcc_lo, s4
	s_waitcnt vmcnt(2) lgkmcnt(0)
	v_mul_f64 v[133:134], v[127:128], v[129:130]
	v_mul_f64 v[129:130], v[125:126], v[129:130]
	s_waitcnt vmcnt(0)
	v_fma_f64 v[125:126], v[125:126], v[131:132], -v[133:134]
	v_fma_f64 v[127:128], v[127:128], v[131:132], v[129:130]
	v_add_f64 v[1:2], v[1:2], v[125:126]
	v_add_f64 v[3:4], v[3:4], v[127:128]
	s_andn2_b32 exec_lo, exec_lo, s4
	s_cbranch_execnz .LBB57_416
; %bb.417:
	s_or_b32 exec_lo, exec_lo, s4
.LBB57_418:
	s_or_b32 exec_lo, exec_lo, s8
	v_mov_b32_e32 v7, 0
	ds_read_b128 v[125:128], v7 offset:80
	s_waitcnt lgkmcnt(0)
	v_mul_f64 v[7:8], v[3:4], v[127:128]
	v_mul_f64 v[127:128], v[1:2], v[127:128]
	v_fma_f64 v[1:2], v[1:2], v[125:126], -v[7:8]
	v_fma_f64 v[3:4], v[3:4], v[125:126], v[127:128]
	buffer_store_dword v2, off, s[0:3], 0 offset:84
	buffer_store_dword v1, off, s[0:3], 0 offset:80
	;; [unrolled: 1-line block ×4, first 2 shown]
.LBB57_419:
	s_or_b32 exec_lo, exec_lo, s6
	v_mov_b32_e32 v4, s62
	v_cmp_lt_u32_e64 s4, 4, v0
	s_clause 0x3
	buffer_load_dword v1, v4, s[0:3], 0 offen
	buffer_load_dword v2, v4, s[0:3], 0 offen offset:4
	buffer_load_dword v3, v4, s[0:3], 0 offen offset:8
	;; [unrolled: 1-line block ×3, first 2 shown]
	s_waitcnt vmcnt(0)
	ds_write_b128 v6, v[1:4]
	s_waitcnt lgkmcnt(0)
	s_waitcnt_vscnt null, 0x0
	s_barrier
	buffer_gl0_inv
	s_and_saveexec_b32 s6, s4
	s_cbranch_execz .LBB57_427
; %bb.420:
	ds_read_b128 v[1:4], v6
	s_andn2_b32 vcc_lo, exec_lo, s66
	s_cbranch_vccnz .LBB57_422
; %bb.421:
	s_clause 0x3
	buffer_load_dword v7, v5, s[0:3], 0 offen offset:8
	buffer_load_dword v8, v5, s[0:3], 0 offen offset:12
	buffer_load_dword v125, v5, s[0:3], 0 offen
	buffer_load_dword v126, v5, s[0:3], 0 offen offset:4
	s_waitcnt vmcnt(2) lgkmcnt(0)
	v_mul_f64 v[127:128], v[3:4], v[7:8]
	v_mul_f64 v[7:8], v[1:2], v[7:8]
	s_waitcnt vmcnt(0)
	v_fma_f64 v[1:2], v[1:2], v[125:126], -v[127:128]
	v_fma_f64 v[3:4], v[3:4], v[125:126], v[7:8]
.LBB57_422:
	s_and_saveexec_b32 s8, s5
	s_cbranch_execz .LBB57_426
; %bb.423:
	v_add_nc_u32_e32 v7, -5, v0
	s_movk_i32 s67, 0x3f0
	s_mov_b32 s5, 0
	s_mov_b32 s68, s61
	.p2align	6
.LBB57_424:                             ; =>This Inner Loop Header: Depth=1
	v_mov_b32_e32 v8, s68
	v_add_nc_u32_e32 v7, -1, v7
	s_add_i32 s68, s68, 16
	s_clause 0x3
	buffer_load_dword v129, v8, s[0:3], 0 offen offset:8
	buffer_load_dword v130, v8, s[0:3], 0 offen offset:12
	buffer_load_dword v131, v8, s[0:3], 0 offen
	buffer_load_dword v132, v8, s[0:3], 0 offen offset:4
	v_mov_b32_e32 v8, s67
	v_cmp_eq_u32_e32 vcc_lo, 0, v7
	s_add_i32 s67, s67, 16
	ds_read_b128 v[125:128], v8
	s_or_b32 s5, vcc_lo, s5
	s_waitcnt vmcnt(2) lgkmcnt(0)
	v_mul_f64 v[133:134], v[127:128], v[129:130]
	v_mul_f64 v[129:130], v[125:126], v[129:130]
	s_waitcnt vmcnt(0)
	v_fma_f64 v[125:126], v[125:126], v[131:132], -v[133:134]
	v_fma_f64 v[127:128], v[127:128], v[131:132], v[129:130]
	v_add_f64 v[1:2], v[1:2], v[125:126]
	v_add_f64 v[3:4], v[3:4], v[127:128]
	s_andn2_b32 exec_lo, exec_lo, s5
	s_cbranch_execnz .LBB57_424
; %bb.425:
	s_or_b32 exec_lo, exec_lo, s5
.LBB57_426:
	s_or_b32 exec_lo, exec_lo, s8
	v_mov_b32_e32 v7, 0
	ds_read_b128 v[125:128], v7 offset:64
	s_waitcnt lgkmcnt(0)
	v_mul_f64 v[7:8], v[3:4], v[127:128]
	v_mul_f64 v[127:128], v[1:2], v[127:128]
	v_fma_f64 v[1:2], v[1:2], v[125:126], -v[7:8]
	v_fma_f64 v[3:4], v[3:4], v[125:126], v[127:128]
	buffer_store_dword v2, off, s[0:3], 0 offset:68
	buffer_store_dword v1, off, s[0:3], 0 offset:64
	;; [unrolled: 1-line block ×4, first 2 shown]
.LBB57_427:
	s_or_b32 exec_lo, exec_lo, s6
	v_mov_b32_e32 v4, s63
	v_cmp_lt_u32_e64 s5, 3, v0
	s_clause 0x3
	buffer_load_dword v1, v4, s[0:3], 0 offen
	buffer_load_dword v2, v4, s[0:3], 0 offen offset:4
	buffer_load_dword v3, v4, s[0:3], 0 offen offset:8
	;; [unrolled: 1-line block ×3, first 2 shown]
	s_waitcnt vmcnt(0)
	ds_write_b128 v6, v[1:4]
	s_waitcnt lgkmcnt(0)
	s_waitcnt_vscnt null, 0x0
	s_barrier
	buffer_gl0_inv
	s_and_saveexec_b32 s6, s5
	s_cbranch_execz .LBB57_435
; %bb.428:
	ds_read_b128 v[1:4], v6
	s_andn2_b32 vcc_lo, exec_lo, s66
	s_cbranch_vccnz .LBB57_430
; %bb.429:
	s_clause 0x3
	buffer_load_dword v7, v5, s[0:3], 0 offen offset:8
	buffer_load_dword v8, v5, s[0:3], 0 offen offset:12
	buffer_load_dword v125, v5, s[0:3], 0 offen
	buffer_load_dword v126, v5, s[0:3], 0 offen offset:4
	s_waitcnt vmcnt(2) lgkmcnt(0)
	v_mul_f64 v[127:128], v[3:4], v[7:8]
	v_mul_f64 v[7:8], v[1:2], v[7:8]
	s_waitcnt vmcnt(0)
	v_fma_f64 v[1:2], v[1:2], v[125:126], -v[127:128]
	v_fma_f64 v[3:4], v[3:4], v[125:126], v[7:8]
.LBB57_430:
	s_and_saveexec_b32 s8, s4
	s_cbranch_execz .LBB57_434
; %bb.431:
	v_add_nc_u32_e32 v7, -4, v0
	s_movk_i32 s67, 0x3e0
	s_mov_b32 s4, 0
	s_mov_b32 s68, s62
	.p2align	6
.LBB57_432:                             ; =>This Inner Loop Header: Depth=1
	v_mov_b32_e32 v8, s68
	v_add_nc_u32_e32 v7, -1, v7
	s_add_i32 s68, s68, 16
	s_clause 0x3
	buffer_load_dword v129, v8, s[0:3], 0 offen offset:8
	buffer_load_dword v130, v8, s[0:3], 0 offen offset:12
	buffer_load_dword v131, v8, s[0:3], 0 offen
	buffer_load_dword v132, v8, s[0:3], 0 offen offset:4
	v_mov_b32_e32 v8, s67
	v_cmp_eq_u32_e32 vcc_lo, 0, v7
	s_add_i32 s67, s67, 16
	ds_read_b128 v[125:128], v8
	s_or_b32 s4, vcc_lo, s4
	s_waitcnt vmcnt(2) lgkmcnt(0)
	v_mul_f64 v[133:134], v[127:128], v[129:130]
	v_mul_f64 v[129:130], v[125:126], v[129:130]
	s_waitcnt vmcnt(0)
	v_fma_f64 v[125:126], v[125:126], v[131:132], -v[133:134]
	v_fma_f64 v[127:128], v[127:128], v[131:132], v[129:130]
	v_add_f64 v[1:2], v[1:2], v[125:126]
	v_add_f64 v[3:4], v[3:4], v[127:128]
	s_andn2_b32 exec_lo, exec_lo, s4
	s_cbranch_execnz .LBB57_432
; %bb.433:
	s_or_b32 exec_lo, exec_lo, s4
.LBB57_434:
	s_or_b32 exec_lo, exec_lo, s8
	v_mov_b32_e32 v7, 0
	ds_read_b128 v[125:128], v7 offset:48
	s_waitcnt lgkmcnt(0)
	v_mul_f64 v[7:8], v[3:4], v[127:128]
	v_mul_f64 v[127:128], v[1:2], v[127:128]
	v_fma_f64 v[1:2], v[1:2], v[125:126], -v[7:8]
	v_fma_f64 v[3:4], v[3:4], v[125:126], v[127:128]
	buffer_store_dword v2, off, s[0:3], 0 offset:52
	buffer_store_dword v1, off, s[0:3], 0 offset:48
	;; [unrolled: 1-line block ×4, first 2 shown]
.LBB57_435:
	s_or_b32 exec_lo, exec_lo, s6
	v_mov_b32_e32 v4, s65
	v_cmp_lt_u32_e64 s6, 2, v0
	s_clause 0x3
	buffer_load_dword v1, v4, s[0:3], 0 offen
	buffer_load_dword v2, v4, s[0:3], 0 offen offset:4
	buffer_load_dword v3, v4, s[0:3], 0 offen offset:8
	;; [unrolled: 1-line block ×3, first 2 shown]
	s_waitcnt vmcnt(0)
	ds_write_b128 v6, v[1:4]
	s_waitcnt lgkmcnt(0)
	s_waitcnt_vscnt null, 0x0
	s_barrier
	buffer_gl0_inv
	s_and_saveexec_b32 s4, s6
	s_cbranch_execz .LBB57_443
; %bb.436:
	ds_read_b128 v[1:4], v6
	s_andn2_b32 vcc_lo, exec_lo, s66
	s_cbranch_vccnz .LBB57_438
; %bb.437:
	s_clause 0x3
	buffer_load_dword v7, v5, s[0:3], 0 offen offset:8
	buffer_load_dword v8, v5, s[0:3], 0 offen offset:12
	buffer_load_dword v125, v5, s[0:3], 0 offen
	buffer_load_dword v126, v5, s[0:3], 0 offen offset:4
	s_waitcnt vmcnt(2) lgkmcnt(0)
	v_mul_f64 v[127:128], v[3:4], v[7:8]
	v_mul_f64 v[7:8], v[1:2], v[7:8]
	s_waitcnt vmcnt(0)
	v_fma_f64 v[1:2], v[1:2], v[125:126], -v[127:128]
	v_fma_f64 v[3:4], v[3:4], v[125:126], v[7:8]
.LBB57_438:
	s_and_saveexec_b32 s8, s5
	s_cbranch_execz .LBB57_442
; %bb.439:
	v_add_nc_u32_e32 v7, -3, v0
	s_movk_i32 s67, 0x3d0
	s_mov_b32 s5, 0
	s_mov_b32 s68, s63
	.p2align	6
.LBB57_440:                             ; =>This Inner Loop Header: Depth=1
	v_mov_b32_e32 v8, s68
	v_add_nc_u32_e32 v7, -1, v7
	s_add_i32 s68, s68, 16
	s_clause 0x3
	buffer_load_dword v129, v8, s[0:3], 0 offen offset:8
	buffer_load_dword v130, v8, s[0:3], 0 offen offset:12
	buffer_load_dword v131, v8, s[0:3], 0 offen
	buffer_load_dword v132, v8, s[0:3], 0 offen offset:4
	v_mov_b32_e32 v8, s67
	v_cmp_eq_u32_e32 vcc_lo, 0, v7
	s_add_i32 s67, s67, 16
	ds_read_b128 v[125:128], v8
	s_or_b32 s5, vcc_lo, s5
	s_waitcnt vmcnt(2) lgkmcnt(0)
	v_mul_f64 v[133:134], v[127:128], v[129:130]
	v_mul_f64 v[129:130], v[125:126], v[129:130]
	s_waitcnt vmcnt(0)
	v_fma_f64 v[125:126], v[125:126], v[131:132], -v[133:134]
	v_fma_f64 v[127:128], v[127:128], v[131:132], v[129:130]
	v_add_f64 v[1:2], v[1:2], v[125:126]
	v_add_f64 v[3:4], v[3:4], v[127:128]
	s_andn2_b32 exec_lo, exec_lo, s5
	s_cbranch_execnz .LBB57_440
; %bb.441:
	s_or_b32 exec_lo, exec_lo, s5
.LBB57_442:
	s_or_b32 exec_lo, exec_lo, s8
	v_mov_b32_e32 v7, 0
	ds_read_b128 v[125:128], v7 offset:32
	s_waitcnt lgkmcnt(0)
	v_mul_f64 v[7:8], v[3:4], v[127:128]
	v_mul_f64 v[127:128], v[1:2], v[127:128]
	v_fma_f64 v[1:2], v[1:2], v[125:126], -v[7:8]
	v_fma_f64 v[3:4], v[3:4], v[125:126], v[127:128]
	buffer_store_dword v2, off, s[0:3], 0 offset:36
	buffer_store_dword v1, off, s[0:3], 0 offset:32
	;; [unrolled: 1-line block ×4, first 2 shown]
.LBB57_443:
	s_or_b32 exec_lo, exec_lo, s4
	v_mov_b32_e32 v4, s64
	v_cmp_lt_u32_e64 s4, 1, v0
	s_clause 0x3
	buffer_load_dword v1, v4, s[0:3], 0 offen
	buffer_load_dword v2, v4, s[0:3], 0 offen offset:4
	buffer_load_dword v3, v4, s[0:3], 0 offen offset:8
	;; [unrolled: 1-line block ×3, first 2 shown]
	s_waitcnt vmcnt(0)
	ds_write_b128 v6, v[1:4]
	s_waitcnt lgkmcnt(0)
	s_waitcnt_vscnt null, 0x0
	s_barrier
	buffer_gl0_inv
	s_and_saveexec_b32 s5, s4
	s_cbranch_execz .LBB57_451
; %bb.444:
	ds_read_b128 v[1:4], v6
	s_andn2_b32 vcc_lo, exec_lo, s66
	s_cbranch_vccnz .LBB57_446
; %bb.445:
	s_clause 0x3
	buffer_load_dword v7, v5, s[0:3], 0 offen offset:8
	buffer_load_dword v8, v5, s[0:3], 0 offen offset:12
	buffer_load_dword v125, v5, s[0:3], 0 offen
	buffer_load_dword v126, v5, s[0:3], 0 offen offset:4
	s_waitcnt vmcnt(2) lgkmcnt(0)
	v_mul_f64 v[127:128], v[3:4], v[7:8]
	v_mul_f64 v[7:8], v[1:2], v[7:8]
	s_waitcnt vmcnt(0)
	v_fma_f64 v[1:2], v[1:2], v[125:126], -v[127:128]
	v_fma_f64 v[3:4], v[3:4], v[125:126], v[7:8]
.LBB57_446:
	s_and_saveexec_b32 s8, s6
	s_cbranch_execz .LBB57_450
; %bb.447:
	v_add_nc_u32_e32 v7, -2, v0
	s_movk_i32 s67, 0x3c0
	s_mov_b32 s6, 0
	s_mov_b32 s68, s65
	.p2align	6
.LBB57_448:                             ; =>This Inner Loop Header: Depth=1
	v_mov_b32_e32 v8, s68
	v_add_nc_u32_e32 v7, -1, v7
	s_add_i32 s68, s68, 16
	s_clause 0x3
	buffer_load_dword v129, v8, s[0:3], 0 offen offset:8
	buffer_load_dword v130, v8, s[0:3], 0 offen offset:12
	buffer_load_dword v131, v8, s[0:3], 0 offen
	buffer_load_dword v132, v8, s[0:3], 0 offen offset:4
	v_mov_b32_e32 v8, s67
	v_cmp_eq_u32_e32 vcc_lo, 0, v7
	s_add_i32 s67, s67, 16
	ds_read_b128 v[125:128], v8
	s_or_b32 s6, vcc_lo, s6
	s_waitcnt vmcnt(2) lgkmcnt(0)
	v_mul_f64 v[133:134], v[127:128], v[129:130]
	v_mul_f64 v[129:130], v[125:126], v[129:130]
	s_waitcnt vmcnt(0)
	v_fma_f64 v[125:126], v[125:126], v[131:132], -v[133:134]
	v_fma_f64 v[127:128], v[127:128], v[131:132], v[129:130]
	v_add_f64 v[1:2], v[1:2], v[125:126]
	v_add_f64 v[3:4], v[3:4], v[127:128]
	s_andn2_b32 exec_lo, exec_lo, s6
	s_cbranch_execnz .LBB57_448
; %bb.449:
	s_or_b32 exec_lo, exec_lo, s6
.LBB57_450:
	s_or_b32 exec_lo, exec_lo, s8
	v_mov_b32_e32 v7, 0
	ds_read_b128 v[125:128], v7 offset:16
	s_waitcnt lgkmcnt(0)
	v_mul_f64 v[7:8], v[3:4], v[127:128]
	v_mul_f64 v[127:128], v[1:2], v[127:128]
	v_fma_f64 v[1:2], v[1:2], v[125:126], -v[7:8]
	v_fma_f64 v[3:4], v[3:4], v[125:126], v[127:128]
	buffer_store_dword v2, off, s[0:3], 0 offset:20
	buffer_store_dword v1, off, s[0:3], 0 offset:16
	;; [unrolled: 1-line block ×4, first 2 shown]
.LBB57_451:
	s_or_b32 exec_lo, exec_lo, s5
	s_clause 0x3
	buffer_load_dword v1, off, s[0:3], 0
	buffer_load_dword v2, off, s[0:3], 0 offset:4
	buffer_load_dword v3, off, s[0:3], 0 offset:8
	;; [unrolled: 1-line block ×3, first 2 shown]
	s_mov_b32 s6, 0
	s_mov_b32 s5, 0
	s_mov_b32 s8, exec_lo
                                        ; implicit-def: $sgpr67
	s_waitcnt vmcnt(0)
	ds_write_b128 v6, v[1:4]
	s_waitcnt lgkmcnt(0)
	s_waitcnt_vscnt null, 0x0
	s_barrier
	buffer_gl0_inv
                                        ; implicit-def: $vgpr1_vgpr2
	v_cmpx_ne_u32_e32 0, v0
	s_cbranch_execz .LBB57_459
; %bb.452:
	ds_read_b128 v[1:4], v6
	s_andn2_b32 vcc_lo, exec_lo, s66
	s_cbranch_vccnz .LBB57_454
; %bb.453:
	s_clause 0x3
	buffer_load_dword v7, v5, s[0:3], 0 offen offset:8
	buffer_load_dword v8, v5, s[0:3], 0 offen offset:12
	buffer_load_dword v125, v5, s[0:3], 0 offen
	buffer_load_dword v126, v5, s[0:3], 0 offen offset:4
	s_waitcnt vmcnt(2) lgkmcnt(0)
	v_mul_f64 v[127:128], v[3:4], v[7:8]
	v_mul_f64 v[7:8], v[1:2], v[7:8]
	s_waitcnt vmcnt(0)
	v_fma_f64 v[1:2], v[1:2], v[125:126], -v[127:128]
	v_fma_f64 v[3:4], v[3:4], v[125:126], v[7:8]
.LBB57_454:
	s_and_saveexec_b32 s5, s4
	s_cbranch_execz .LBB57_458
; %bb.455:
	v_add_nc_u32_e32 v7, -1, v0
	s_movk_i32 s67, 0x3b0
	s_mov_b32 s4, 0
	s_mov_b32 s68, s64
	.p2align	6
.LBB57_456:                             ; =>This Inner Loop Header: Depth=1
	v_mov_b32_e32 v8, s68
	v_add_nc_u32_e32 v7, -1, v7
	s_add_i32 s68, s68, 16
	s_clause 0x3
	buffer_load_dword v129, v8, s[0:3], 0 offen offset:8
	buffer_load_dword v130, v8, s[0:3], 0 offen offset:12
	buffer_load_dword v131, v8, s[0:3], 0 offen
	buffer_load_dword v132, v8, s[0:3], 0 offen offset:4
	v_mov_b32_e32 v8, s67
	v_cmp_eq_u32_e32 vcc_lo, 0, v7
	s_add_i32 s67, s67, 16
	ds_read_b128 v[125:128], v8
	s_or_b32 s4, vcc_lo, s4
	s_waitcnt vmcnt(2) lgkmcnt(0)
	v_mul_f64 v[133:134], v[127:128], v[129:130]
	v_mul_f64 v[129:130], v[125:126], v[129:130]
	s_waitcnt vmcnt(0)
	v_fma_f64 v[125:126], v[125:126], v[131:132], -v[133:134]
	v_fma_f64 v[127:128], v[127:128], v[131:132], v[129:130]
	v_add_f64 v[1:2], v[1:2], v[125:126]
	v_add_f64 v[3:4], v[3:4], v[127:128]
	s_andn2_b32 exec_lo, exec_lo, s4
	s_cbranch_execnz .LBB57_456
; %bb.457:
	s_or_b32 exec_lo, exec_lo, s4
.LBB57_458:
	s_or_b32 exec_lo, exec_lo, s5
	v_mov_b32_e32 v7, 0
	s_mov_b32 s5, exec_lo
	s_or_b32 s67, 0, 8
	ds_read_b128 v[125:128], v7
	s_waitcnt lgkmcnt(0)
	v_mul_f64 v[7:8], v[3:4], v[127:128]
	v_mul_f64 v[127:128], v[1:2], v[127:128]
	v_fma_f64 v[7:8], v[1:2], v[125:126], -v[7:8]
	v_fma_f64 v[1:2], v[3:4], v[125:126], v[127:128]
	buffer_store_dword v8, off, s[0:3], 0 offset:4
	buffer_store_dword v7, off, s[0:3], 0
.LBB57_459:
	s_or_b32 exec_lo, exec_lo, s8
	s_and_b32 vcc_lo, exec_lo, s6
	s_cbranch_vccnz .LBB57_461
	s_branch .LBB57_912
.LBB57_460:
	s_mov_b32 s5, 0
                                        ; implicit-def: $vgpr1_vgpr2
                                        ; implicit-def: $sgpr67
	s_cbranch_execz .LBB57_912
.LBB57_461:
	v_mov_b32_e32 v4, s64
	v_cmp_eq_u32_e64 s4, 0, v0
	v_cndmask_b32_e64 v7, 0, 1, s66
	s_clause 0x3
	buffer_load_dword v1, v4, s[0:3], 0 offen
	buffer_load_dword v2, v4, s[0:3], 0 offen offset:4
	buffer_load_dword v3, v4, s[0:3], 0 offen offset:8
	;; [unrolled: 1-line block ×3, first 2 shown]
	s_waitcnt vmcnt(0)
	ds_write_b128 v6, v[1:4]
	s_waitcnt lgkmcnt(0)
	s_waitcnt_vscnt null, 0x0
	s_barrier
	buffer_gl0_inv
	s_and_saveexec_b32 s6, s4
	s_cbranch_execz .LBB57_465
; %bb.462:
	ds_read_b128 v[1:4], v6
	s_andn2_b32 vcc_lo, exec_lo, s66
	s_cbranch_vccnz .LBB57_464
; %bb.463:
	s_clause 0x3
	buffer_load_dword v125, v5, s[0:3], 0 offen offset:8
	buffer_load_dword v126, v5, s[0:3], 0 offen offset:12
	buffer_load_dword v127, v5, s[0:3], 0 offen
	buffer_load_dword v128, v5, s[0:3], 0 offen offset:4
	s_waitcnt vmcnt(2) lgkmcnt(0)
	v_mul_f64 v[129:130], v[3:4], v[125:126]
	v_mul_f64 v[125:126], v[1:2], v[125:126]
	s_waitcnt vmcnt(0)
	v_fma_f64 v[1:2], v[1:2], v[127:128], -v[129:130]
	v_fma_f64 v[3:4], v[3:4], v[127:128], v[125:126]
.LBB57_464:
	v_mov_b32_e32 v8, 0
	ds_read_b128 v[125:128], v8 offset:16
	s_waitcnt lgkmcnt(0)
	v_mul_f64 v[129:130], v[3:4], v[127:128]
	v_mul_f64 v[127:128], v[1:2], v[127:128]
	v_fma_f64 v[1:2], v[1:2], v[125:126], -v[129:130]
	v_fma_f64 v[3:4], v[3:4], v[125:126], v[127:128]
	buffer_store_dword v2, off, s[0:3], 0 offset:20
	buffer_store_dword v1, off, s[0:3], 0 offset:16
	;; [unrolled: 1-line block ×4, first 2 shown]
.LBB57_465:
	s_or_b32 exec_lo, exec_lo, s6
	v_mov_b32_e32 v4, s65
	s_mov_b32 s6, exec_lo
	s_clause 0x3
	buffer_load_dword v1, v4, s[0:3], 0 offen
	buffer_load_dword v2, v4, s[0:3], 0 offen offset:4
	buffer_load_dword v3, v4, s[0:3], 0 offen offset:8
	;; [unrolled: 1-line block ×3, first 2 shown]
	s_waitcnt vmcnt(0)
	ds_write_b128 v6, v[1:4]
	s_waitcnt lgkmcnt(0)
	s_waitcnt_vscnt null, 0x0
	s_barrier
	buffer_gl0_inv
	v_cmpx_gt_u32_e32 2, v0
	s_cbranch_execz .LBB57_471
; %bb.466:
	ds_read_b128 v[1:4], v6
	v_cmp_ne_u32_e32 vcc_lo, 1, v7
	s_cbranch_vccnz .LBB57_468
; %bb.467:
	s_clause 0x3
	buffer_load_dword v125, v5, s[0:3], 0 offen offset:8
	buffer_load_dword v126, v5, s[0:3], 0 offen offset:12
	buffer_load_dword v127, v5, s[0:3], 0 offen
	buffer_load_dword v128, v5, s[0:3], 0 offen offset:4
	s_waitcnt vmcnt(2) lgkmcnt(0)
	v_mul_f64 v[129:130], v[3:4], v[125:126]
	v_mul_f64 v[125:126], v[1:2], v[125:126]
	s_waitcnt vmcnt(0)
	v_fma_f64 v[1:2], v[1:2], v[127:128], -v[129:130]
	v_fma_f64 v[3:4], v[3:4], v[127:128], v[125:126]
.LBB57_468:
	s_and_saveexec_b32 s8, s4
	s_cbranch_execz .LBB57_470
; %bb.469:
	s_clause 0x3
	buffer_load_dword v129, off, s[0:3], 0 offset:24
	buffer_load_dword v130, off, s[0:3], 0 offset:28
	;; [unrolled: 1-line block ×4, first 2 shown]
	v_mov_b32_e32 v8, 0
	ds_read_b128 v[125:128], v8 offset:944
	s_waitcnt vmcnt(2) lgkmcnt(0)
	v_mul_f64 v[133:134], v[127:128], v[129:130]
	v_mul_f64 v[129:130], v[125:126], v[129:130]
	s_waitcnt vmcnt(0)
	v_fma_f64 v[125:126], v[125:126], v[131:132], -v[133:134]
	v_fma_f64 v[127:128], v[127:128], v[131:132], v[129:130]
	v_add_f64 v[1:2], v[1:2], v[125:126]
	v_add_f64 v[3:4], v[3:4], v[127:128]
.LBB57_470:
	s_or_b32 exec_lo, exec_lo, s8
	v_mov_b32_e32 v8, 0
	ds_read_b128 v[125:128], v8 offset:32
	s_waitcnt lgkmcnt(0)
	v_mul_f64 v[129:130], v[3:4], v[127:128]
	v_mul_f64 v[127:128], v[1:2], v[127:128]
	v_fma_f64 v[1:2], v[1:2], v[125:126], -v[129:130]
	v_fma_f64 v[3:4], v[3:4], v[125:126], v[127:128]
	buffer_store_dword v2, off, s[0:3], 0 offset:36
	buffer_store_dword v1, off, s[0:3], 0 offset:32
	;; [unrolled: 1-line block ×4, first 2 shown]
.LBB57_471:
	s_or_b32 exec_lo, exec_lo, s6
	v_mov_b32_e32 v4, s63
	s_mov_b32 s6, exec_lo
	s_clause 0x3
	buffer_load_dword v1, v4, s[0:3], 0 offen
	buffer_load_dword v2, v4, s[0:3], 0 offen offset:4
	buffer_load_dword v3, v4, s[0:3], 0 offen offset:8
	;; [unrolled: 1-line block ×3, first 2 shown]
	s_waitcnt vmcnt(0)
	ds_write_b128 v6, v[1:4]
	s_waitcnt lgkmcnt(0)
	s_waitcnt_vscnt null, 0x0
	s_barrier
	buffer_gl0_inv
	v_cmpx_gt_u32_e32 3, v0
	s_cbranch_execz .LBB57_479
; %bb.472:
	ds_read_b128 v[1:4], v6
	v_cmp_ne_u32_e32 vcc_lo, 1, v7
	s_cbranch_vccnz .LBB57_474
; %bb.473:
	s_clause 0x3
	buffer_load_dword v125, v5, s[0:3], 0 offen offset:8
	buffer_load_dword v126, v5, s[0:3], 0 offen offset:12
	buffer_load_dword v127, v5, s[0:3], 0 offen
	buffer_load_dword v128, v5, s[0:3], 0 offen offset:4
	s_waitcnt vmcnt(2) lgkmcnt(0)
	v_mul_f64 v[129:130], v[3:4], v[125:126]
	v_mul_f64 v[125:126], v[1:2], v[125:126]
	s_waitcnt vmcnt(0)
	v_fma_f64 v[1:2], v[1:2], v[127:128], -v[129:130]
	v_fma_f64 v[3:4], v[3:4], v[127:128], v[125:126]
.LBB57_474:
	s_mov_b32 s8, exec_lo
	v_cmpx_ne_u32_e32 2, v0
	s_cbranch_execz .LBB57_478
; %bb.475:
	s_clause 0x3
	buffer_load_dword v129, v5, s[0:3], 0 offen offset:24
	buffer_load_dword v130, v5, s[0:3], 0 offen offset:28
	;; [unrolled: 1-line block ×4, first 2 shown]
	ds_read_b128 v[125:128], v6 offset:16
	s_waitcnt vmcnt(2) lgkmcnt(0)
	v_mul_f64 v[133:134], v[127:128], v[129:130]
	v_mul_f64 v[129:130], v[125:126], v[129:130]
	s_waitcnt vmcnt(0)
	v_fma_f64 v[125:126], v[125:126], v[131:132], -v[133:134]
	v_fma_f64 v[127:128], v[127:128], v[131:132], v[129:130]
	v_add_f64 v[1:2], v[1:2], v[125:126]
	v_add_f64 v[3:4], v[3:4], v[127:128]
	s_and_saveexec_b32 s66, s4
	s_cbranch_execz .LBB57_477
; %bb.476:
	s_clause 0x3
	buffer_load_dword v129, off, s[0:3], 0 offset:40
	buffer_load_dword v130, off, s[0:3], 0 offset:44
	;; [unrolled: 1-line block ×4, first 2 shown]
	v_mov_b32_e32 v8, 0
	ds_read_b128 v[125:128], v8 offset:960
	s_waitcnt vmcnt(2) lgkmcnt(0)
	v_mul_f64 v[133:134], v[125:126], v[129:130]
	v_mul_f64 v[129:130], v[127:128], v[129:130]
	s_waitcnt vmcnt(0)
	v_fma_f64 v[127:128], v[127:128], v[131:132], v[133:134]
	v_fma_f64 v[125:126], v[125:126], v[131:132], -v[129:130]
	v_add_f64 v[3:4], v[3:4], v[127:128]
	v_add_f64 v[1:2], v[1:2], v[125:126]
.LBB57_477:
	s_or_b32 exec_lo, exec_lo, s66
.LBB57_478:
	s_or_b32 exec_lo, exec_lo, s8
	v_mov_b32_e32 v8, 0
	ds_read_b128 v[125:128], v8 offset:48
	s_waitcnt lgkmcnt(0)
	v_mul_f64 v[129:130], v[3:4], v[127:128]
	v_mul_f64 v[127:128], v[1:2], v[127:128]
	v_fma_f64 v[1:2], v[1:2], v[125:126], -v[129:130]
	v_fma_f64 v[3:4], v[3:4], v[125:126], v[127:128]
	buffer_store_dword v2, off, s[0:3], 0 offset:52
	buffer_store_dword v1, off, s[0:3], 0 offset:48
	;; [unrolled: 1-line block ×4, first 2 shown]
.LBB57_479:
	s_or_b32 exec_lo, exec_lo, s6
	v_mov_b32_e32 v4, s62
	s_mov_b32 s4, exec_lo
	s_clause 0x3
	buffer_load_dword v1, v4, s[0:3], 0 offen
	buffer_load_dword v2, v4, s[0:3], 0 offen offset:4
	buffer_load_dword v3, v4, s[0:3], 0 offen offset:8
	;; [unrolled: 1-line block ×3, first 2 shown]
	s_waitcnt vmcnt(0)
	ds_write_b128 v6, v[1:4]
	s_waitcnt lgkmcnt(0)
	s_waitcnt_vscnt null, 0x0
	s_barrier
	buffer_gl0_inv
	v_cmpx_gt_u32_e32 4, v0
	s_cbranch_execz .LBB57_487
; %bb.480:
	ds_read_b128 v[1:4], v6
	v_cmp_ne_u32_e32 vcc_lo, 1, v7
	s_cbranch_vccnz .LBB57_482
; %bb.481:
	s_clause 0x3
	buffer_load_dword v125, v5, s[0:3], 0 offen offset:8
	buffer_load_dword v126, v5, s[0:3], 0 offen offset:12
	buffer_load_dword v127, v5, s[0:3], 0 offen
	buffer_load_dword v128, v5, s[0:3], 0 offen offset:4
	s_waitcnt vmcnt(2) lgkmcnt(0)
	v_mul_f64 v[129:130], v[3:4], v[125:126]
	v_mul_f64 v[125:126], v[1:2], v[125:126]
	s_waitcnt vmcnt(0)
	v_fma_f64 v[1:2], v[1:2], v[127:128], -v[129:130]
	v_fma_f64 v[3:4], v[3:4], v[127:128], v[125:126]
.LBB57_482:
	s_mov_b32 s6, exec_lo
	v_cmpx_ne_u32_e32 3, v0
	s_cbranch_execz .LBB57_486
; %bb.483:
	v_add_nc_u32_e32 v8, 0x3b0, v161
	v_add3_u32 v125, 0, v161, 16
	v_mov_b32_e32 v126, v0
	s_mov_b32 s8, 0
	.p2align	6
.LBB57_484:                             ; =>This Inner Loop Header: Depth=1
	s_clause 0x3
	buffer_load_dword v131, v125, s[0:3], 0 offen offset:8
	buffer_load_dword v132, v125, s[0:3], 0 offen offset:12
	buffer_load_dword v133, v125, s[0:3], 0 offen
	buffer_load_dword v134, v125, s[0:3], 0 offen offset:4
	ds_read_b128 v[127:130], v8
	v_add_nc_u32_e32 v126, 1, v126
	v_add_nc_u32_e32 v8, 16, v8
	;; [unrolled: 1-line block ×3, first 2 shown]
	v_cmp_lt_u32_e32 vcc_lo, 2, v126
	s_or_b32 s8, vcc_lo, s8
	s_waitcnt vmcnt(2) lgkmcnt(0)
	v_mul_f64 v[135:136], v[129:130], v[131:132]
	v_mul_f64 v[131:132], v[127:128], v[131:132]
	s_waitcnt vmcnt(0)
	v_fma_f64 v[127:128], v[127:128], v[133:134], -v[135:136]
	v_fma_f64 v[129:130], v[129:130], v[133:134], v[131:132]
	v_add_f64 v[1:2], v[1:2], v[127:128]
	v_add_f64 v[3:4], v[3:4], v[129:130]
	s_andn2_b32 exec_lo, exec_lo, s8
	s_cbranch_execnz .LBB57_484
; %bb.485:
	s_or_b32 exec_lo, exec_lo, s8
.LBB57_486:
	s_or_b32 exec_lo, exec_lo, s6
	v_mov_b32_e32 v8, 0
	ds_read_b128 v[125:128], v8 offset:64
	s_waitcnt lgkmcnt(0)
	v_mul_f64 v[129:130], v[3:4], v[127:128]
	v_mul_f64 v[127:128], v[1:2], v[127:128]
	v_fma_f64 v[1:2], v[1:2], v[125:126], -v[129:130]
	v_fma_f64 v[3:4], v[3:4], v[125:126], v[127:128]
	buffer_store_dword v2, off, s[0:3], 0 offset:68
	buffer_store_dword v1, off, s[0:3], 0 offset:64
	;; [unrolled: 1-line block ×4, first 2 shown]
.LBB57_487:
	s_or_b32 exec_lo, exec_lo, s4
	v_mov_b32_e32 v4, s61
	s_mov_b32 s4, exec_lo
	s_clause 0x3
	buffer_load_dword v1, v4, s[0:3], 0 offen
	buffer_load_dword v2, v4, s[0:3], 0 offen offset:4
	buffer_load_dword v3, v4, s[0:3], 0 offen offset:8
	;; [unrolled: 1-line block ×3, first 2 shown]
	s_waitcnt vmcnt(0)
	ds_write_b128 v6, v[1:4]
	s_waitcnt lgkmcnt(0)
	s_waitcnt_vscnt null, 0x0
	s_barrier
	buffer_gl0_inv
	v_cmpx_gt_u32_e32 5, v0
	s_cbranch_execz .LBB57_495
; %bb.488:
	ds_read_b128 v[1:4], v6
	v_cmp_ne_u32_e32 vcc_lo, 1, v7
	s_cbranch_vccnz .LBB57_490
; %bb.489:
	s_clause 0x3
	buffer_load_dword v125, v5, s[0:3], 0 offen offset:8
	buffer_load_dword v126, v5, s[0:3], 0 offen offset:12
	buffer_load_dword v127, v5, s[0:3], 0 offen
	buffer_load_dword v128, v5, s[0:3], 0 offen offset:4
	s_waitcnt vmcnt(2) lgkmcnt(0)
	v_mul_f64 v[129:130], v[3:4], v[125:126]
	v_mul_f64 v[125:126], v[1:2], v[125:126]
	s_waitcnt vmcnt(0)
	v_fma_f64 v[1:2], v[1:2], v[127:128], -v[129:130]
	v_fma_f64 v[3:4], v[3:4], v[127:128], v[125:126]
.LBB57_490:
	s_mov_b32 s6, exec_lo
	v_cmpx_ne_u32_e32 4, v0
	s_cbranch_execz .LBB57_494
; %bb.491:
	v_add_nc_u32_e32 v8, 0x3b0, v161
	v_add3_u32 v125, 0, v161, 16
	v_mov_b32_e32 v126, v0
	s_mov_b32 s8, 0
	.p2align	6
.LBB57_492:                             ; =>This Inner Loop Header: Depth=1
	s_clause 0x3
	buffer_load_dword v131, v125, s[0:3], 0 offen offset:8
	buffer_load_dword v132, v125, s[0:3], 0 offen offset:12
	buffer_load_dword v133, v125, s[0:3], 0 offen
	buffer_load_dword v134, v125, s[0:3], 0 offen offset:4
	ds_read_b128 v[127:130], v8
	v_add_nc_u32_e32 v126, 1, v126
	v_add_nc_u32_e32 v8, 16, v8
	;; [unrolled: 1-line block ×3, first 2 shown]
	v_cmp_lt_u32_e32 vcc_lo, 3, v126
	s_or_b32 s8, vcc_lo, s8
	s_waitcnt vmcnt(2) lgkmcnt(0)
	v_mul_f64 v[135:136], v[129:130], v[131:132]
	v_mul_f64 v[131:132], v[127:128], v[131:132]
	s_waitcnt vmcnt(0)
	v_fma_f64 v[127:128], v[127:128], v[133:134], -v[135:136]
	v_fma_f64 v[129:130], v[129:130], v[133:134], v[131:132]
	v_add_f64 v[1:2], v[1:2], v[127:128]
	v_add_f64 v[3:4], v[3:4], v[129:130]
	s_andn2_b32 exec_lo, exec_lo, s8
	s_cbranch_execnz .LBB57_492
; %bb.493:
	s_or_b32 exec_lo, exec_lo, s8
.LBB57_494:
	s_or_b32 exec_lo, exec_lo, s6
	v_mov_b32_e32 v8, 0
	ds_read_b128 v[125:128], v8 offset:80
	s_waitcnt lgkmcnt(0)
	v_mul_f64 v[129:130], v[3:4], v[127:128]
	v_mul_f64 v[127:128], v[1:2], v[127:128]
	v_fma_f64 v[1:2], v[1:2], v[125:126], -v[129:130]
	v_fma_f64 v[3:4], v[3:4], v[125:126], v[127:128]
	buffer_store_dword v2, off, s[0:3], 0 offset:84
	buffer_store_dword v1, off, s[0:3], 0 offset:80
	;; [unrolled: 1-line block ×4, first 2 shown]
.LBB57_495:
	s_or_b32 exec_lo, exec_lo, s4
	v_mov_b32_e32 v4, s60
	s_mov_b32 s4, exec_lo
	s_clause 0x3
	buffer_load_dword v1, v4, s[0:3], 0 offen
	buffer_load_dword v2, v4, s[0:3], 0 offen offset:4
	buffer_load_dword v3, v4, s[0:3], 0 offen offset:8
	;; [unrolled: 1-line block ×3, first 2 shown]
	s_waitcnt vmcnt(0)
	ds_write_b128 v6, v[1:4]
	s_waitcnt lgkmcnt(0)
	s_waitcnt_vscnt null, 0x0
	s_barrier
	buffer_gl0_inv
	v_cmpx_gt_u32_e32 6, v0
	s_cbranch_execz .LBB57_503
; %bb.496:
	ds_read_b128 v[1:4], v6
	v_cmp_ne_u32_e32 vcc_lo, 1, v7
	s_cbranch_vccnz .LBB57_498
; %bb.497:
	s_clause 0x3
	buffer_load_dword v125, v5, s[0:3], 0 offen offset:8
	buffer_load_dword v126, v5, s[0:3], 0 offen offset:12
	buffer_load_dword v127, v5, s[0:3], 0 offen
	buffer_load_dword v128, v5, s[0:3], 0 offen offset:4
	s_waitcnt vmcnt(2) lgkmcnt(0)
	v_mul_f64 v[129:130], v[3:4], v[125:126]
	v_mul_f64 v[125:126], v[1:2], v[125:126]
	s_waitcnt vmcnt(0)
	v_fma_f64 v[1:2], v[1:2], v[127:128], -v[129:130]
	v_fma_f64 v[3:4], v[3:4], v[127:128], v[125:126]
.LBB57_498:
	s_mov_b32 s6, exec_lo
	v_cmpx_ne_u32_e32 5, v0
	s_cbranch_execz .LBB57_502
; %bb.499:
	v_add_nc_u32_e32 v8, 0x3b0, v161
	v_add3_u32 v125, 0, v161, 16
	v_mov_b32_e32 v126, v0
	s_mov_b32 s8, 0
	.p2align	6
.LBB57_500:                             ; =>This Inner Loop Header: Depth=1
	s_clause 0x3
	buffer_load_dword v131, v125, s[0:3], 0 offen offset:8
	buffer_load_dword v132, v125, s[0:3], 0 offen offset:12
	buffer_load_dword v133, v125, s[0:3], 0 offen
	buffer_load_dword v134, v125, s[0:3], 0 offen offset:4
	ds_read_b128 v[127:130], v8
	v_add_nc_u32_e32 v126, 1, v126
	v_add_nc_u32_e32 v8, 16, v8
	v_add_nc_u32_e32 v125, 16, v125
	v_cmp_lt_u32_e32 vcc_lo, 4, v126
	s_or_b32 s8, vcc_lo, s8
	s_waitcnt vmcnt(2) lgkmcnt(0)
	v_mul_f64 v[135:136], v[129:130], v[131:132]
	v_mul_f64 v[131:132], v[127:128], v[131:132]
	s_waitcnt vmcnt(0)
	v_fma_f64 v[127:128], v[127:128], v[133:134], -v[135:136]
	v_fma_f64 v[129:130], v[129:130], v[133:134], v[131:132]
	v_add_f64 v[1:2], v[1:2], v[127:128]
	v_add_f64 v[3:4], v[3:4], v[129:130]
	s_andn2_b32 exec_lo, exec_lo, s8
	s_cbranch_execnz .LBB57_500
; %bb.501:
	s_or_b32 exec_lo, exec_lo, s8
.LBB57_502:
	s_or_b32 exec_lo, exec_lo, s6
	v_mov_b32_e32 v8, 0
	ds_read_b128 v[125:128], v8 offset:96
	s_waitcnt lgkmcnt(0)
	v_mul_f64 v[129:130], v[3:4], v[127:128]
	v_mul_f64 v[127:128], v[1:2], v[127:128]
	v_fma_f64 v[1:2], v[1:2], v[125:126], -v[129:130]
	v_fma_f64 v[3:4], v[3:4], v[125:126], v[127:128]
	buffer_store_dword v2, off, s[0:3], 0 offset:100
	buffer_store_dword v1, off, s[0:3], 0 offset:96
	;; [unrolled: 1-line block ×4, first 2 shown]
.LBB57_503:
	s_or_b32 exec_lo, exec_lo, s4
	v_mov_b32_e32 v4, s59
	s_mov_b32 s4, exec_lo
	s_clause 0x3
	buffer_load_dword v1, v4, s[0:3], 0 offen
	buffer_load_dword v2, v4, s[0:3], 0 offen offset:4
	buffer_load_dword v3, v4, s[0:3], 0 offen offset:8
	;; [unrolled: 1-line block ×3, first 2 shown]
	s_waitcnt vmcnt(0)
	ds_write_b128 v6, v[1:4]
	s_waitcnt lgkmcnt(0)
	s_waitcnt_vscnt null, 0x0
	s_barrier
	buffer_gl0_inv
	v_cmpx_gt_u32_e32 7, v0
	s_cbranch_execz .LBB57_511
; %bb.504:
	ds_read_b128 v[1:4], v6
	v_cmp_ne_u32_e32 vcc_lo, 1, v7
	s_cbranch_vccnz .LBB57_506
; %bb.505:
	s_clause 0x3
	buffer_load_dword v125, v5, s[0:3], 0 offen offset:8
	buffer_load_dword v126, v5, s[0:3], 0 offen offset:12
	buffer_load_dword v127, v5, s[0:3], 0 offen
	buffer_load_dword v128, v5, s[0:3], 0 offen offset:4
	s_waitcnt vmcnt(2) lgkmcnt(0)
	v_mul_f64 v[129:130], v[3:4], v[125:126]
	v_mul_f64 v[125:126], v[1:2], v[125:126]
	s_waitcnt vmcnt(0)
	v_fma_f64 v[1:2], v[1:2], v[127:128], -v[129:130]
	v_fma_f64 v[3:4], v[3:4], v[127:128], v[125:126]
.LBB57_506:
	s_mov_b32 s6, exec_lo
	v_cmpx_ne_u32_e32 6, v0
	s_cbranch_execz .LBB57_510
; %bb.507:
	v_add_nc_u32_e32 v8, 0x3b0, v161
	v_add3_u32 v125, 0, v161, 16
	v_mov_b32_e32 v126, v0
	s_mov_b32 s8, 0
	.p2align	6
.LBB57_508:                             ; =>This Inner Loop Header: Depth=1
	s_clause 0x3
	buffer_load_dword v131, v125, s[0:3], 0 offen offset:8
	buffer_load_dword v132, v125, s[0:3], 0 offen offset:12
	buffer_load_dword v133, v125, s[0:3], 0 offen
	buffer_load_dword v134, v125, s[0:3], 0 offen offset:4
	ds_read_b128 v[127:130], v8
	v_add_nc_u32_e32 v126, 1, v126
	v_add_nc_u32_e32 v8, 16, v8
	;; [unrolled: 1-line block ×3, first 2 shown]
	v_cmp_lt_u32_e32 vcc_lo, 5, v126
	s_or_b32 s8, vcc_lo, s8
	s_waitcnt vmcnt(2) lgkmcnt(0)
	v_mul_f64 v[135:136], v[129:130], v[131:132]
	v_mul_f64 v[131:132], v[127:128], v[131:132]
	s_waitcnt vmcnt(0)
	v_fma_f64 v[127:128], v[127:128], v[133:134], -v[135:136]
	v_fma_f64 v[129:130], v[129:130], v[133:134], v[131:132]
	v_add_f64 v[1:2], v[1:2], v[127:128]
	v_add_f64 v[3:4], v[3:4], v[129:130]
	s_andn2_b32 exec_lo, exec_lo, s8
	s_cbranch_execnz .LBB57_508
; %bb.509:
	s_or_b32 exec_lo, exec_lo, s8
.LBB57_510:
	s_or_b32 exec_lo, exec_lo, s6
	v_mov_b32_e32 v8, 0
	ds_read_b128 v[125:128], v8 offset:112
	s_waitcnt lgkmcnt(0)
	v_mul_f64 v[129:130], v[3:4], v[127:128]
	v_mul_f64 v[127:128], v[1:2], v[127:128]
	v_fma_f64 v[1:2], v[1:2], v[125:126], -v[129:130]
	v_fma_f64 v[3:4], v[3:4], v[125:126], v[127:128]
	buffer_store_dword v2, off, s[0:3], 0 offset:116
	buffer_store_dword v1, off, s[0:3], 0 offset:112
	;; [unrolled: 1-line block ×4, first 2 shown]
.LBB57_511:
	s_or_b32 exec_lo, exec_lo, s4
	v_mov_b32_e32 v4, s58
	s_mov_b32 s4, exec_lo
	s_clause 0x3
	buffer_load_dword v1, v4, s[0:3], 0 offen
	buffer_load_dword v2, v4, s[0:3], 0 offen offset:4
	buffer_load_dword v3, v4, s[0:3], 0 offen offset:8
	;; [unrolled: 1-line block ×3, first 2 shown]
	s_waitcnt vmcnt(0)
	ds_write_b128 v6, v[1:4]
	s_waitcnt lgkmcnt(0)
	s_waitcnt_vscnt null, 0x0
	s_barrier
	buffer_gl0_inv
	v_cmpx_gt_u32_e32 8, v0
	s_cbranch_execz .LBB57_519
; %bb.512:
	ds_read_b128 v[1:4], v6
	v_cmp_ne_u32_e32 vcc_lo, 1, v7
	s_cbranch_vccnz .LBB57_514
; %bb.513:
	s_clause 0x3
	buffer_load_dword v125, v5, s[0:3], 0 offen offset:8
	buffer_load_dword v126, v5, s[0:3], 0 offen offset:12
	buffer_load_dword v127, v5, s[0:3], 0 offen
	buffer_load_dword v128, v5, s[0:3], 0 offen offset:4
	s_waitcnt vmcnt(2) lgkmcnt(0)
	v_mul_f64 v[129:130], v[3:4], v[125:126]
	v_mul_f64 v[125:126], v[1:2], v[125:126]
	s_waitcnt vmcnt(0)
	v_fma_f64 v[1:2], v[1:2], v[127:128], -v[129:130]
	v_fma_f64 v[3:4], v[3:4], v[127:128], v[125:126]
.LBB57_514:
	s_mov_b32 s6, exec_lo
	v_cmpx_ne_u32_e32 7, v0
	s_cbranch_execz .LBB57_518
; %bb.515:
	v_add_nc_u32_e32 v8, 0x3b0, v161
	v_add3_u32 v125, 0, v161, 16
	v_mov_b32_e32 v126, v0
	s_mov_b32 s8, 0
	.p2align	6
.LBB57_516:                             ; =>This Inner Loop Header: Depth=1
	s_clause 0x3
	buffer_load_dword v131, v125, s[0:3], 0 offen offset:8
	buffer_load_dword v132, v125, s[0:3], 0 offen offset:12
	buffer_load_dword v133, v125, s[0:3], 0 offen
	buffer_load_dword v134, v125, s[0:3], 0 offen offset:4
	ds_read_b128 v[127:130], v8
	v_add_nc_u32_e32 v126, 1, v126
	v_add_nc_u32_e32 v8, 16, v8
	;; [unrolled: 1-line block ×3, first 2 shown]
	v_cmp_lt_u32_e32 vcc_lo, 6, v126
	s_or_b32 s8, vcc_lo, s8
	s_waitcnt vmcnt(2) lgkmcnt(0)
	v_mul_f64 v[135:136], v[129:130], v[131:132]
	v_mul_f64 v[131:132], v[127:128], v[131:132]
	s_waitcnt vmcnt(0)
	v_fma_f64 v[127:128], v[127:128], v[133:134], -v[135:136]
	v_fma_f64 v[129:130], v[129:130], v[133:134], v[131:132]
	v_add_f64 v[1:2], v[1:2], v[127:128]
	v_add_f64 v[3:4], v[3:4], v[129:130]
	s_andn2_b32 exec_lo, exec_lo, s8
	s_cbranch_execnz .LBB57_516
; %bb.517:
	s_or_b32 exec_lo, exec_lo, s8
.LBB57_518:
	s_or_b32 exec_lo, exec_lo, s6
	v_mov_b32_e32 v8, 0
	ds_read_b128 v[125:128], v8 offset:128
	s_waitcnt lgkmcnt(0)
	v_mul_f64 v[129:130], v[3:4], v[127:128]
	v_mul_f64 v[127:128], v[1:2], v[127:128]
	v_fma_f64 v[1:2], v[1:2], v[125:126], -v[129:130]
	v_fma_f64 v[3:4], v[3:4], v[125:126], v[127:128]
	buffer_store_dword v2, off, s[0:3], 0 offset:132
	buffer_store_dword v1, off, s[0:3], 0 offset:128
	;; [unrolled: 1-line block ×4, first 2 shown]
.LBB57_519:
	s_or_b32 exec_lo, exec_lo, s4
	v_mov_b32_e32 v4, s57
	s_mov_b32 s4, exec_lo
	s_clause 0x3
	buffer_load_dword v1, v4, s[0:3], 0 offen
	buffer_load_dword v2, v4, s[0:3], 0 offen offset:4
	buffer_load_dword v3, v4, s[0:3], 0 offen offset:8
	buffer_load_dword v4, v4, s[0:3], 0 offen offset:12
	s_waitcnt vmcnt(0)
	ds_write_b128 v6, v[1:4]
	s_waitcnt lgkmcnt(0)
	s_waitcnt_vscnt null, 0x0
	s_barrier
	buffer_gl0_inv
	v_cmpx_gt_u32_e32 9, v0
	s_cbranch_execz .LBB57_527
; %bb.520:
	ds_read_b128 v[1:4], v6
	v_cmp_ne_u32_e32 vcc_lo, 1, v7
	s_cbranch_vccnz .LBB57_522
; %bb.521:
	s_clause 0x3
	buffer_load_dword v125, v5, s[0:3], 0 offen offset:8
	buffer_load_dword v126, v5, s[0:3], 0 offen offset:12
	buffer_load_dword v127, v5, s[0:3], 0 offen
	buffer_load_dword v128, v5, s[0:3], 0 offen offset:4
	s_waitcnt vmcnt(2) lgkmcnt(0)
	v_mul_f64 v[129:130], v[3:4], v[125:126]
	v_mul_f64 v[125:126], v[1:2], v[125:126]
	s_waitcnt vmcnt(0)
	v_fma_f64 v[1:2], v[1:2], v[127:128], -v[129:130]
	v_fma_f64 v[3:4], v[3:4], v[127:128], v[125:126]
.LBB57_522:
	s_mov_b32 s6, exec_lo
	v_cmpx_ne_u32_e32 8, v0
	s_cbranch_execz .LBB57_526
; %bb.523:
	v_add_nc_u32_e32 v8, 0x3b0, v161
	v_add3_u32 v125, 0, v161, 16
	v_mov_b32_e32 v126, v0
	s_mov_b32 s8, 0
	.p2align	6
.LBB57_524:                             ; =>This Inner Loop Header: Depth=1
	s_clause 0x3
	buffer_load_dword v131, v125, s[0:3], 0 offen offset:8
	buffer_load_dword v132, v125, s[0:3], 0 offen offset:12
	buffer_load_dword v133, v125, s[0:3], 0 offen
	buffer_load_dword v134, v125, s[0:3], 0 offen offset:4
	ds_read_b128 v[127:130], v8
	v_add_nc_u32_e32 v126, 1, v126
	v_add_nc_u32_e32 v8, 16, v8
	;; [unrolled: 1-line block ×3, first 2 shown]
	v_cmp_lt_u32_e32 vcc_lo, 7, v126
	s_or_b32 s8, vcc_lo, s8
	s_waitcnt vmcnt(2) lgkmcnt(0)
	v_mul_f64 v[135:136], v[129:130], v[131:132]
	v_mul_f64 v[131:132], v[127:128], v[131:132]
	s_waitcnt vmcnt(0)
	v_fma_f64 v[127:128], v[127:128], v[133:134], -v[135:136]
	v_fma_f64 v[129:130], v[129:130], v[133:134], v[131:132]
	v_add_f64 v[1:2], v[1:2], v[127:128]
	v_add_f64 v[3:4], v[3:4], v[129:130]
	s_andn2_b32 exec_lo, exec_lo, s8
	s_cbranch_execnz .LBB57_524
; %bb.525:
	s_or_b32 exec_lo, exec_lo, s8
.LBB57_526:
	s_or_b32 exec_lo, exec_lo, s6
	v_mov_b32_e32 v8, 0
	ds_read_b128 v[125:128], v8 offset:144
	s_waitcnt lgkmcnt(0)
	v_mul_f64 v[129:130], v[3:4], v[127:128]
	v_mul_f64 v[127:128], v[1:2], v[127:128]
	v_fma_f64 v[1:2], v[1:2], v[125:126], -v[129:130]
	v_fma_f64 v[3:4], v[3:4], v[125:126], v[127:128]
	buffer_store_dword v2, off, s[0:3], 0 offset:148
	buffer_store_dword v1, off, s[0:3], 0 offset:144
	;; [unrolled: 1-line block ×4, first 2 shown]
.LBB57_527:
	s_or_b32 exec_lo, exec_lo, s4
	v_mov_b32_e32 v4, s56
	s_mov_b32 s4, exec_lo
	s_clause 0x3
	buffer_load_dword v1, v4, s[0:3], 0 offen
	buffer_load_dword v2, v4, s[0:3], 0 offen offset:4
	buffer_load_dword v3, v4, s[0:3], 0 offen offset:8
	;; [unrolled: 1-line block ×3, first 2 shown]
	s_waitcnt vmcnt(0)
	ds_write_b128 v6, v[1:4]
	s_waitcnt lgkmcnt(0)
	s_waitcnt_vscnt null, 0x0
	s_barrier
	buffer_gl0_inv
	v_cmpx_gt_u32_e32 10, v0
	s_cbranch_execz .LBB57_535
; %bb.528:
	ds_read_b128 v[1:4], v6
	v_cmp_ne_u32_e32 vcc_lo, 1, v7
	s_cbranch_vccnz .LBB57_530
; %bb.529:
	s_clause 0x3
	buffer_load_dword v125, v5, s[0:3], 0 offen offset:8
	buffer_load_dword v126, v5, s[0:3], 0 offen offset:12
	buffer_load_dword v127, v5, s[0:3], 0 offen
	buffer_load_dword v128, v5, s[0:3], 0 offen offset:4
	s_waitcnt vmcnt(2) lgkmcnt(0)
	v_mul_f64 v[129:130], v[3:4], v[125:126]
	v_mul_f64 v[125:126], v[1:2], v[125:126]
	s_waitcnt vmcnt(0)
	v_fma_f64 v[1:2], v[1:2], v[127:128], -v[129:130]
	v_fma_f64 v[3:4], v[3:4], v[127:128], v[125:126]
.LBB57_530:
	s_mov_b32 s6, exec_lo
	v_cmpx_ne_u32_e32 9, v0
	s_cbranch_execz .LBB57_534
; %bb.531:
	v_add_nc_u32_e32 v8, 0x3b0, v161
	v_add3_u32 v125, 0, v161, 16
	v_mov_b32_e32 v126, v0
	s_mov_b32 s8, 0
	.p2align	6
.LBB57_532:                             ; =>This Inner Loop Header: Depth=1
	s_clause 0x3
	buffer_load_dword v131, v125, s[0:3], 0 offen offset:8
	buffer_load_dword v132, v125, s[0:3], 0 offen offset:12
	buffer_load_dword v133, v125, s[0:3], 0 offen
	buffer_load_dword v134, v125, s[0:3], 0 offen offset:4
	ds_read_b128 v[127:130], v8
	v_add_nc_u32_e32 v126, 1, v126
	v_add_nc_u32_e32 v8, 16, v8
	;; [unrolled: 1-line block ×3, first 2 shown]
	v_cmp_lt_u32_e32 vcc_lo, 8, v126
	s_or_b32 s8, vcc_lo, s8
	s_waitcnt vmcnt(2) lgkmcnt(0)
	v_mul_f64 v[135:136], v[129:130], v[131:132]
	v_mul_f64 v[131:132], v[127:128], v[131:132]
	s_waitcnt vmcnt(0)
	v_fma_f64 v[127:128], v[127:128], v[133:134], -v[135:136]
	v_fma_f64 v[129:130], v[129:130], v[133:134], v[131:132]
	v_add_f64 v[1:2], v[1:2], v[127:128]
	v_add_f64 v[3:4], v[3:4], v[129:130]
	s_andn2_b32 exec_lo, exec_lo, s8
	s_cbranch_execnz .LBB57_532
; %bb.533:
	s_or_b32 exec_lo, exec_lo, s8
.LBB57_534:
	s_or_b32 exec_lo, exec_lo, s6
	v_mov_b32_e32 v8, 0
	ds_read_b128 v[125:128], v8 offset:160
	s_waitcnt lgkmcnt(0)
	v_mul_f64 v[129:130], v[3:4], v[127:128]
	v_mul_f64 v[127:128], v[1:2], v[127:128]
	v_fma_f64 v[1:2], v[1:2], v[125:126], -v[129:130]
	v_fma_f64 v[3:4], v[3:4], v[125:126], v[127:128]
	buffer_store_dword v2, off, s[0:3], 0 offset:164
	buffer_store_dword v1, off, s[0:3], 0 offset:160
	;; [unrolled: 1-line block ×4, first 2 shown]
.LBB57_535:
	s_or_b32 exec_lo, exec_lo, s4
	v_mov_b32_e32 v4, s55
	s_mov_b32 s4, exec_lo
	s_clause 0x3
	buffer_load_dword v1, v4, s[0:3], 0 offen
	buffer_load_dword v2, v4, s[0:3], 0 offen offset:4
	buffer_load_dword v3, v4, s[0:3], 0 offen offset:8
	;; [unrolled: 1-line block ×3, first 2 shown]
	s_waitcnt vmcnt(0)
	ds_write_b128 v6, v[1:4]
	s_waitcnt lgkmcnt(0)
	s_waitcnt_vscnt null, 0x0
	s_barrier
	buffer_gl0_inv
	v_cmpx_gt_u32_e32 11, v0
	s_cbranch_execz .LBB57_543
; %bb.536:
	ds_read_b128 v[1:4], v6
	v_cmp_ne_u32_e32 vcc_lo, 1, v7
	s_cbranch_vccnz .LBB57_538
; %bb.537:
	s_clause 0x3
	buffer_load_dword v125, v5, s[0:3], 0 offen offset:8
	buffer_load_dword v126, v5, s[0:3], 0 offen offset:12
	buffer_load_dword v127, v5, s[0:3], 0 offen
	buffer_load_dword v128, v5, s[0:3], 0 offen offset:4
	s_waitcnt vmcnt(2) lgkmcnt(0)
	v_mul_f64 v[129:130], v[3:4], v[125:126]
	v_mul_f64 v[125:126], v[1:2], v[125:126]
	s_waitcnt vmcnt(0)
	v_fma_f64 v[1:2], v[1:2], v[127:128], -v[129:130]
	v_fma_f64 v[3:4], v[3:4], v[127:128], v[125:126]
.LBB57_538:
	s_mov_b32 s6, exec_lo
	v_cmpx_ne_u32_e32 10, v0
	s_cbranch_execz .LBB57_542
; %bb.539:
	v_add_nc_u32_e32 v8, 0x3b0, v161
	v_add3_u32 v125, 0, v161, 16
	v_mov_b32_e32 v126, v0
	s_mov_b32 s8, 0
	.p2align	6
.LBB57_540:                             ; =>This Inner Loop Header: Depth=1
	s_clause 0x3
	buffer_load_dword v131, v125, s[0:3], 0 offen offset:8
	buffer_load_dword v132, v125, s[0:3], 0 offen offset:12
	buffer_load_dword v133, v125, s[0:3], 0 offen
	buffer_load_dword v134, v125, s[0:3], 0 offen offset:4
	ds_read_b128 v[127:130], v8
	v_add_nc_u32_e32 v126, 1, v126
	v_add_nc_u32_e32 v8, 16, v8
	;; [unrolled: 1-line block ×3, first 2 shown]
	v_cmp_lt_u32_e32 vcc_lo, 9, v126
	s_or_b32 s8, vcc_lo, s8
	s_waitcnt vmcnt(2) lgkmcnt(0)
	v_mul_f64 v[135:136], v[129:130], v[131:132]
	v_mul_f64 v[131:132], v[127:128], v[131:132]
	s_waitcnt vmcnt(0)
	v_fma_f64 v[127:128], v[127:128], v[133:134], -v[135:136]
	v_fma_f64 v[129:130], v[129:130], v[133:134], v[131:132]
	v_add_f64 v[1:2], v[1:2], v[127:128]
	v_add_f64 v[3:4], v[3:4], v[129:130]
	s_andn2_b32 exec_lo, exec_lo, s8
	s_cbranch_execnz .LBB57_540
; %bb.541:
	s_or_b32 exec_lo, exec_lo, s8
.LBB57_542:
	s_or_b32 exec_lo, exec_lo, s6
	v_mov_b32_e32 v8, 0
	ds_read_b128 v[125:128], v8 offset:176
	s_waitcnt lgkmcnt(0)
	v_mul_f64 v[129:130], v[3:4], v[127:128]
	v_mul_f64 v[127:128], v[1:2], v[127:128]
	v_fma_f64 v[1:2], v[1:2], v[125:126], -v[129:130]
	v_fma_f64 v[3:4], v[3:4], v[125:126], v[127:128]
	buffer_store_dword v2, off, s[0:3], 0 offset:180
	buffer_store_dword v1, off, s[0:3], 0 offset:176
	;; [unrolled: 1-line block ×4, first 2 shown]
.LBB57_543:
	s_or_b32 exec_lo, exec_lo, s4
	v_mov_b32_e32 v4, s54
	s_mov_b32 s4, exec_lo
	s_clause 0x3
	buffer_load_dword v1, v4, s[0:3], 0 offen
	buffer_load_dword v2, v4, s[0:3], 0 offen offset:4
	buffer_load_dword v3, v4, s[0:3], 0 offen offset:8
	;; [unrolled: 1-line block ×3, first 2 shown]
	s_waitcnt vmcnt(0)
	ds_write_b128 v6, v[1:4]
	s_waitcnt lgkmcnt(0)
	s_waitcnt_vscnt null, 0x0
	s_barrier
	buffer_gl0_inv
	v_cmpx_gt_u32_e32 12, v0
	s_cbranch_execz .LBB57_551
; %bb.544:
	ds_read_b128 v[1:4], v6
	v_cmp_ne_u32_e32 vcc_lo, 1, v7
	s_cbranch_vccnz .LBB57_546
; %bb.545:
	s_clause 0x3
	buffer_load_dword v125, v5, s[0:3], 0 offen offset:8
	buffer_load_dword v126, v5, s[0:3], 0 offen offset:12
	buffer_load_dword v127, v5, s[0:3], 0 offen
	buffer_load_dword v128, v5, s[0:3], 0 offen offset:4
	s_waitcnt vmcnt(2) lgkmcnt(0)
	v_mul_f64 v[129:130], v[3:4], v[125:126]
	v_mul_f64 v[125:126], v[1:2], v[125:126]
	s_waitcnt vmcnt(0)
	v_fma_f64 v[1:2], v[1:2], v[127:128], -v[129:130]
	v_fma_f64 v[3:4], v[3:4], v[127:128], v[125:126]
.LBB57_546:
	s_mov_b32 s6, exec_lo
	v_cmpx_ne_u32_e32 11, v0
	s_cbranch_execz .LBB57_550
; %bb.547:
	v_add_nc_u32_e32 v8, 0x3b0, v161
	v_add3_u32 v125, 0, v161, 16
	v_mov_b32_e32 v126, v0
	s_mov_b32 s8, 0
	.p2align	6
.LBB57_548:                             ; =>This Inner Loop Header: Depth=1
	s_clause 0x3
	buffer_load_dword v131, v125, s[0:3], 0 offen offset:8
	buffer_load_dword v132, v125, s[0:3], 0 offen offset:12
	buffer_load_dword v133, v125, s[0:3], 0 offen
	buffer_load_dword v134, v125, s[0:3], 0 offen offset:4
	ds_read_b128 v[127:130], v8
	v_add_nc_u32_e32 v126, 1, v126
	v_add_nc_u32_e32 v8, 16, v8
	;; [unrolled: 1-line block ×3, first 2 shown]
	v_cmp_lt_u32_e32 vcc_lo, 10, v126
	s_or_b32 s8, vcc_lo, s8
	s_waitcnt vmcnt(2) lgkmcnt(0)
	v_mul_f64 v[135:136], v[129:130], v[131:132]
	v_mul_f64 v[131:132], v[127:128], v[131:132]
	s_waitcnt vmcnt(0)
	v_fma_f64 v[127:128], v[127:128], v[133:134], -v[135:136]
	v_fma_f64 v[129:130], v[129:130], v[133:134], v[131:132]
	v_add_f64 v[1:2], v[1:2], v[127:128]
	v_add_f64 v[3:4], v[3:4], v[129:130]
	s_andn2_b32 exec_lo, exec_lo, s8
	s_cbranch_execnz .LBB57_548
; %bb.549:
	s_or_b32 exec_lo, exec_lo, s8
.LBB57_550:
	s_or_b32 exec_lo, exec_lo, s6
	v_mov_b32_e32 v8, 0
	ds_read_b128 v[125:128], v8 offset:192
	s_waitcnt lgkmcnt(0)
	v_mul_f64 v[129:130], v[3:4], v[127:128]
	v_mul_f64 v[127:128], v[1:2], v[127:128]
	v_fma_f64 v[1:2], v[1:2], v[125:126], -v[129:130]
	v_fma_f64 v[3:4], v[3:4], v[125:126], v[127:128]
	buffer_store_dword v2, off, s[0:3], 0 offset:196
	buffer_store_dword v1, off, s[0:3], 0 offset:192
	;; [unrolled: 1-line block ×4, first 2 shown]
.LBB57_551:
	s_or_b32 exec_lo, exec_lo, s4
	v_mov_b32_e32 v4, s53
	s_mov_b32 s4, exec_lo
	s_clause 0x3
	buffer_load_dword v1, v4, s[0:3], 0 offen
	buffer_load_dword v2, v4, s[0:3], 0 offen offset:4
	buffer_load_dword v3, v4, s[0:3], 0 offen offset:8
	;; [unrolled: 1-line block ×3, first 2 shown]
	s_waitcnt vmcnt(0)
	ds_write_b128 v6, v[1:4]
	s_waitcnt lgkmcnt(0)
	s_waitcnt_vscnt null, 0x0
	s_barrier
	buffer_gl0_inv
	v_cmpx_gt_u32_e32 13, v0
	s_cbranch_execz .LBB57_559
; %bb.552:
	ds_read_b128 v[1:4], v6
	v_cmp_ne_u32_e32 vcc_lo, 1, v7
	s_cbranch_vccnz .LBB57_554
; %bb.553:
	s_clause 0x3
	buffer_load_dword v125, v5, s[0:3], 0 offen offset:8
	buffer_load_dword v126, v5, s[0:3], 0 offen offset:12
	buffer_load_dword v127, v5, s[0:3], 0 offen
	buffer_load_dword v128, v5, s[0:3], 0 offen offset:4
	s_waitcnt vmcnt(2) lgkmcnt(0)
	v_mul_f64 v[129:130], v[3:4], v[125:126]
	v_mul_f64 v[125:126], v[1:2], v[125:126]
	s_waitcnt vmcnt(0)
	v_fma_f64 v[1:2], v[1:2], v[127:128], -v[129:130]
	v_fma_f64 v[3:4], v[3:4], v[127:128], v[125:126]
.LBB57_554:
	s_mov_b32 s6, exec_lo
	v_cmpx_ne_u32_e32 12, v0
	s_cbranch_execz .LBB57_558
; %bb.555:
	v_add_nc_u32_e32 v8, 0x3b0, v161
	v_add3_u32 v125, 0, v161, 16
	v_mov_b32_e32 v126, v0
	s_mov_b32 s8, 0
	.p2align	6
.LBB57_556:                             ; =>This Inner Loop Header: Depth=1
	s_clause 0x3
	buffer_load_dword v131, v125, s[0:3], 0 offen offset:8
	buffer_load_dword v132, v125, s[0:3], 0 offen offset:12
	buffer_load_dword v133, v125, s[0:3], 0 offen
	buffer_load_dword v134, v125, s[0:3], 0 offen offset:4
	ds_read_b128 v[127:130], v8
	v_add_nc_u32_e32 v126, 1, v126
	v_add_nc_u32_e32 v8, 16, v8
	v_add_nc_u32_e32 v125, 16, v125
	v_cmp_lt_u32_e32 vcc_lo, 11, v126
	s_or_b32 s8, vcc_lo, s8
	s_waitcnt vmcnt(2) lgkmcnt(0)
	v_mul_f64 v[135:136], v[129:130], v[131:132]
	v_mul_f64 v[131:132], v[127:128], v[131:132]
	s_waitcnt vmcnt(0)
	v_fma_f64 v[127:128], v[127:128], v[133:134], -v[135:136]
	v_fma_f64 v[129:130], v[129:130], v[133:134], v[131:132]
	v_add_f64 v[1:2], v[1:2], v[127:128]
	v_add_f64 v[3:4], v[3:4], v[129:130]
	s_andn2_b32 exec_lo, exec_lo, s8
	s_cbranch_execnz .LBB57_556
; %bb.557:
	s_or_b32 exec_lo, exec_lo, s8
.LBB57_558:
	s_or_b32 exec_lo, exec_lo, s6
	v_mov_b32_e32 v8, 0
	ds_read_b128 v[125:128], v8 offset:208
	s_waitcnt lgkmcnt(0)
	v_mul_f64 v[129:130], v[3:4], v[127:128]
	v_mul_f64 v[127:128], v[1:2], v[127:128]
	v_fma_f64 v[1:2], v[1:2], v[125:126], -v[129:130]
	v_fma_f64 v[3:4], v[3:4], v[125:126], v[127:128]
	buffer_store_dword v2, off, s[0:3], 0 offset:212
	buffer_store_dword v1, off, s[0:3], 0 offset:208
	;; [unrolled: 1-line block ×4, first 2 shown]
.LBB57_559:
	s_or_b32 exec_lo, exec_lo, s4
	v_mov_b32_e32 v4, s52
	s_mov_b32 s4, exec_lo
	s_clause 0x3
	buffer_load_dword v1, v4, s[0:3], 0 offen
	buffer_load_dword v2, v4, s[0:3], 0 offen offset:4
	buffer_load_dword v3, v4, s[0:3], 0 offen offset:8
	;; [unrolled: 1-line block ×3, first 2 shown]
	s_waitcnt vmcnt(0)
	ds_write_b128 v6, v[1:4]
	s_waitcnt lgkmcnt(0)
	s_waitcnt_vscnt null, 0x0
	s_barrier
	buffer_gl0_inv
	v_cmpx_gt_u32_e32 14, v0
	s_cbranch_execz .LBB57_567
; %bb.560:
	ds_read_b128 v[1:4], v6
	v_cmp_ne_u32_e32 vcc_lo, 1, v7
	s_cbranch_vccnz .LBB57_562
; %bb.561:
	s_clause 0x3
	buffer_load_dword v125, v5, s[0:3], 0 offen offset:8
	buffer_load_dword v126, v5, s[0:3], 0 offen offset:12
	buffer_load_dword v127, v5, s[0:3], 0 offen
	buffer_load_dword v128, v5, s[0:3], 0 offen offset:4
	s_waitcnt vmcnt(2) lgkmcnt(0)
	v_mul_f64 v[129:130], v[3:4], v[125:126]
	v_mul_f64 v[125:126], v[1:2], v[125:126]
	s_waitcnt vmcnt(0)
	v_fma_f64 v[1:2], v[1:2], v[127:128], -v[129:130]
	v_fma_f64 v[3:4], v[3:4], v[127:128], v[125:126]
.LBB57_562:
	s_mov_b32 s6, exec_lo
	v_cmpx_ne_u32_e32 13, v0
	s_cbranch_execz .LBB57_566
; %bb.563:
	v_add_nc_u32_e32 v8, 0x3b0, v161
	v_add3_u32 v125, 0, v161, 16
	v_mov_b32_e32 v126, v0
	s_mov_b32 s8, 0
	.p2align	6
.LBB57_564:                             ; =>This Inner Loop Header: Depth=1
	s_clause 0x3
	buffer_load_dword v131, v125, s[0:3], 0 offen offset:8
	buffer_load_dword v132, v125, s[0:3], 0 offen offset:12
	buffer_load_dword v133, v125, s[0:3], 0 offen
	buffer_load_dword v134, v125, s[0:3], 0 offen offset:4
	ds_read_b128 v[127:130], v8
	v_add_nc_u32_e32 v126, 1, v126
	v_add_nc_u32_e32 v8, 16, v8
	;; [unrolled: 1-line block ×3, first 2 shown]
	v_cmp_lt_u32_e32 vcc_lo, 12, v126
	s_or_b32 s8, vcc_lo, s8
	s_waitcnt vmcnt(2) lgkmcnt(0)
	v_mul_f64 v[135:136], v[129:130], v[131:132]
	v_mul_f64 v[131:132], v[127:128], v[131:132]
	s_waitcnt vmcnt(0)
	v_fma_f64 v[127:128], v[127:128], v[133:134], -v[135:136]
	v_fma_f64 v[129:130], v[129:130], v[133:134], v[131:132]
	v_add_f64 v[1:2], v[1:2], v[127:128]
	v_add_f64 v[3:4], v[3:4], v[129:130]
	s_andn2_b32 exec_lo, exec_lo, s8
	s_cbranch_execnz .LBB57_564
; %bb.565:
	s_or_b32 exec_lo, exec_lo, s8
.LBB57_566:
	s_or_b32 exec_lo, exec_lo, s6
	v_mov_b32_e32 v8, 0
	ds_read_b128 v[125:128], v8 offset:224
	s_waitcnt lgkmcnt(0)
	v_mul_f64 v[129:130], v[3:4], v[127:128]
	v_mul_f64 v[127:128], v[1:2], v[127:128]
	v_fma_f64 v[1:2], v[1:2], v[125:126], -v[129:130]
	v_fma_f64 v[3:4], v[3:4], v[125:126], v[127:128]
	buffer_store_dword v2, off, s[0:3], 0 offset:228
	buffer_store_dword v1, off, s[0:3], 0 offset:224
	;; [unrolled: 1-line block ×4, first 2 shown]
.LBB57_567:
	s_or_b32 exec_lo, exec_lo, s4
	v_mov_b32_e32 v4, s51
	s_mov_b32 s4, exec_lo
	s_clause 0x3
	buffer_load_dword v1, v4, s[0:3], 0 offen
	buffer_load_dword v2, v4, s[0:3], 0 offen offset:4
	buffer_load_dword v3, v4, s[0:3], 0 offen offset:8
	;; [unrolled: 1-line block ×3, first 2 shown]
	s_waitcnt vmcnt(0)
	ds_write_b128 v6, v[1:4]
	s_waitcnt lgkmcnt(0)
	s_waitcnt_vscnt null, 0x0
	s_barrier
	buffer_gl0_inv
	v_cmpx_gt_u32_e32 15, v0
	s_cbranch_execz .LBB57_575
; %bb.568:
	ds_read_b128 v[1:4], v6
	v_cmp_ne_u32_e32 vcc_lo, 1, v7
	s_cbranch_vccnz .LBB57_570
; %bb.569:
	s_clause 0x3
	buffer_load_dword v125, v5, s[0:3], 0 offen offset:8
	buffer_load_dword v126, v5, s[0:3], 0 offen offset:12
	buffer_load_dword v127, v5, s[0:3], 0 offen
	buffer_load_dword v128, v5, s[0:3], 0 offen offset:4
	s_waitcnt vmcnt(2) lgkmcnt(0)
	v_mul_f64 v[129:130], v[3:4], v[125:126]
	v_mul_f64 v[125:126], v[1:2], v[125:126]
	s_waitcnt vmcnt(0)
	v_fma_f64 v[1:2], v[1:2], v[127:128], -v[129:130]
	v_fma_f64 v[3:4], v[3:4], v[127:128], v[125:126]
.LBB57_570:
	s_mov_b32 s6, exec_lo
	v_cmpx_ne_u32_e32 14, v0
	s_cbranch_execz .LBB57_574
; %bb.571:
	v_add_nc_u32_e32 v8, 0x3b0, v161
	v_add3_u32 v125, 0, v161, 16
	v_mov_b32_e32 v126, v0
	s_mov_b32 s8, 0
	.p2align	6
.LBB57_572:                             ; =>This Inner Loop Header: Depth=1
	s_clause 0x3
	buffer_load_dword v131, v125, s[0:3], 0 offen offset:8
	buffer_load_dword v132, v125, s[0:3], 0 offen offset:12
	buffer_load_dword v133, v125, s[0:3], 0 offen
	buffer_load_dword v134, v125, s[0:3], 0 offen offset:4
	ds_read_b128 v[127:130], v8
	v_add_nc_u32_e32 v126, 1, v126
	v_add_nc_u32_e32 v8, 16, v8
	;; [unrolled: 1-line block ×3, first 2 shown]
	v_cmp_lt_u32_e32 vcc_lo, 13, v126
	s_or_b32 s8, vcc_lo, s8
	s_waitcnt vmcnt(2) lgkmcnt(0)
	v_mul_f64 v[135:136], v[129:130], v[131:132]
	v_mul_f64 v[131:132], v[127:128], v[131:132]
	s_waitcnt vmcnt(0)
	v_fma_f64 v[127:128], v[127:128], v[133:134], -v[135:136]
	v_fma_f64 v[129:130], v[129:130], v[133:134], v[131:132]
	v_add_f64 v[1:2], v[1:2], v[127:128]
	v_add_f64 v[3:4], v[3:4], v[129:130]
	s_andn2_b32 exec_lo, exec_lo, s8
	s_cbranch_execnz .LBB57_572
; %bb.573:
	s_or_b32 exec_lo, exec_lo, s8
.LBB57_574:
	s_or_b32 exec_lo, exec_lo, s6
	v_mov_b32_e32 v8, 0
	ds_read_b128 v[125:128], v8 offset:240
	s_waitcnt lgkmcnt(0)
	v_mul_f64 v[129:130], v[3:4], v[127:128]
	v_mul_f64 v[127:128], v[1:2], v[127:128]
	v_fma_f64 v[1:2], v[1:2], v[125:126], -v[129:130]
	v_fma_f64 v[3:4], v[3:4], v[125:126], v[127:128]
	buffer_store_dword v2, off, s[0:3], 0 offset:244
	buffer_store_dword v1, off, s[0:3], 0 offset:240
	;; [unrolled: 1-line block ×4, first 2 shown]
.LBB57_575:
	s_or_b32 exec_lo, exec_lo, s4
	v_mov_b32_e32 v4, s50
	s_mov_b32 s4, exec_lo
	s_clause 0x3
	buffer_load_dword v1, v4, s[0:3], 0 offen
	buffer_load_dword v2, v4, s[0:3], 0 offen offset:4
	buffer_load_dword v3, v4, s[0:3], 0 offen offset:8
	;; [unrolled: 1-line block ×3, first 2 shown]
	s_waitcnt vmcnt(0)
	ds_write_b128 v6, v[1:4]
	s_waitcnt lgkmcnt(0)
	s_waitcnt_vscnt null, 0x0
	s_barrier
	buffer_gl0_inv
	v_cmpx_gt_u32_e32 16, v0
	s_cbranch_execz .LBB57_583
; %bb.576:
	ds_read_b128 v[1:4], v6
	v_cmp_ne_u32_e32 vcc_lo, 1, v7
	s_cbranch_vccnz .LBB57_578
; %bb.577:
	s_clause 0x3
	buffer_load_dword v125, v5, s[0:3], 0 offen offset:8
	buffer_load_dword v126, v5, s[0:3], 0 offen offset:12
	buffer_load_dword v127, v5, s[0:3], 0 offen
	buffer_load_dword v128, v5, s[0:3], 0 offen offset:4
	s_waitcnt vmcnt(2) lgkmcnt(0)
	v_mul_f64 v[129:130], v[3:4], v[125:126]
	v_mul_f64 v[125:126], v[1:2], v[125:126]
	s_waitcnt vmcnt(0)
	v_fma_f64 v[1:2], v[1:2], v[127:128], -v[129:130]
	v_fma_f64 v[3:4], v[3:4], v[127:128], v[125:126]
.LBB57_578:
	s_mov_b32 s6, exec_lo
	v_cmpx_ne_u32_e32 15, v0
	s_cbranch_execz .LBB57_582
; %bb.579:
	v_add_nc_u32_e32 v8, 0x3b0, v161
	v_add3_u32 v125, 0, v161, 16
	v_mov_b32_e32 v126, v0
	s_mov_b32 s8, 0
	.p2align	6
.LBB57_580:                             ; =>This Inner Loop Header: Depth=1
	s_clause 0x3
	buffer_load_dword v131, v125, s[0:3], 0 offen offset:8
	buffer_load_dword v132, v125, s[0:3], 0 offen offset:12
	buffer_load_dword v133, v125, s[0:3], 0 offen
	buffer_load_dword v134, v125, s[0:3], 0 offen offset:4
	ds_read_b128 v[127:130], v8
	v_add_nc_u32_e32 v126, 1, v126
	v_add_nc_u32_e32 v8, 16, v8
	;; [unrolled: 1-line block ×3, first 2 shown]
	v_cmp_lt_u32_e32 vcc_lo, 14, v126
	s_or_b32 s8, vcc_lo, s8
	s_waitcnt vmcnt(2) lgkmcnt(0)
	v_mul_f64 v[135:136], v[129:130], v[131:132]
	v_mul_f64 v[131:132], v[127:128], v[131:132]
	s_waitcnt vmcnt(0)
	v_fma_f64 v[127:128], v[127:128], v[133:134], -v[135:136]
	v_fma_f64 v[129:130], v[129:130], v[133:134], v[131:132]
	v_add_f64 v[1:2], v[1:2], v[127:128]
	v_add_f64 v[3:4], v[3:4], v[129:130]
	s_andn2_b32 exec_lo, exec_lo, s8
	s_cbranch_execnz .LBB57_580
; %bb.581:
	s_or_b32 exec_lo, exec_lo, s8
.LBB57_582:
	s_or_b32 exec_lo, exec_lo, s6
	v_mov_b32_e32 v8, 0
	ds_read_b128 v[125:128], v8 offset:256
	s_waitcnt lgkmcnt(0)
	v_mul_f64 v[129:130], v[3:4], v[127:128]
	v_mul_f64 v[127:128], v[1:2], v[127:128]
	v_fma_f64 v[1:2], v[1:2], v[125:126], -v[129:130]
	v_fma_f64 v[3:4], v[3:4], v[125:126], v[127:128]
	buffer_store_dword v2, off, s[0:3], 0 offset:260
	buffer_store_dword v1, off, s[0:3], 0 offset:256
	;; [unrolled: 1-line block ×4, first 2 shown]
.LBB57_583:
	s_or_b32 exec_lo, exec_lo, s4
	v_mov_b32_e32 v4, s49
	s_mov_b32 s4, exec_lo
	s_clause 0x3
	buffer_load_dword v1, v4, s[0:3], 0 offen
	buffer_load_dword v2, v4, s[0:3], 0 offen offset:4
	buffer_load_dword v3, v4, s[0:3], 0 offen offset:8
	;; [unrolled: 1-line block ×3, first 2 shown]
	s_waitcnt vmcnt(0)
	ds_write_b128 v6, v[1:4]
	s_waitcnt lgkmcnt(0)
	s_waitcnt_vscnt null, 0x0
	s_barrier
	buffer_gl0_inv
	v_cmpx_gt_u32_e32 17, v0
	s_cbranch_execz .LBB57_591
; %bb.584:
	ds_read_b128 v[1:4], v6
	v_cmp_ne_u32_e32 vcc_lo, 1, v7
	s_cbranch_vccnz .LBB57_586
; %bb.585:
	s_clause 0x3
	buffer_load_dword v125, v5, s[0:3], 0 offen offset:8
	buffer_load_dword v126, v5, s[0:3], 0 offen offset:12
	buffer_load_dword v127, v5, s[0:3], 0 offen
	buffer_load_dword v128, v5, s[0:3], 0 offen offset:4
	s_waitcnt vmcnt(2) lgkmcnt(0)
	v_mul_f64 v[129:130], v[3:4], v[125:126]
	v_mul_f64 v[125:126], v[1:2], v[125:126]
	s_waitcnt vmcnt(0)
	v_fma_f64 v[1:2], v[1:2], v[127:128], -v[129:130]
	v_fma_f64 v[3:4], v[3:4], v[127:128], v[125:126]
.LBB57_586:
	s_mov_b32 s6, exec_lo
	v_cmpx_ne_u32_e32 16, v0
	s_cbranch_execz .LBB57_590
; %bb.587:
	v_add_nc_u32_e32 v8, 0x3b0, v161
	v_add3_u32 v125, 0, v161, 16
	v_mov_b32_e32 v126, v0
	s_mov_b32 s8, 0
	.p2align	6
.LBB57_588:                             ; =>This Inner Loop Header: Depth=1
	s_clause 0x3
	buffer_load_dword v131, v125, s[0:3], 0 offen offset:8
	buffer_load_dword v132, v125, s[0:3], 0 offen offset:12
	buffer_load_dword v133, v125, s[0:3], 0 offen
	buffer_load_dword v134, v125, s[0:3], 0 offen offset:4
	ds_read_b128 v[127:130], v8
	v_add_nc_u32_e32 v126, 1, v126
	v_add_nc_u32_e32 v8, 16, v8
	;; [unrolled: 1-line block ×3, first 2 shown]
	v_cmp_lt_u32_e32 vcc_lo, 15, v126
	s_or_b32 s8, vcc_lo, s8
	s_waitcnt vmcnt(2) lgkmcnt(0)
	v_mul_f64 v[135:136], v[129:130], v[131:132]
	v_mul_f64 v[131:132], v[127:128], v[131:132]
	s_waitcnt vmcnt(0)
	v_fma_f64 v[127:128], v[127:128], v[133:134], -v[135:136]
	v_fma_f64 v[129:130], v[129:130], v[133:134], v[131:132]
	v_add_f64 v[1:2], v[1:2], v[127:128]
	v_add_f64 v[3:4], v[3:4], v[129:130]
	s_andn2_b32 exec_lo, exec_lo, s8
	s_cbranch_execnz .LBB57_588
; %bb.589:
	s_or_b32 exec_lo, exec_lo, s8
.LBB57_590:
	s_or_b32 exec_lo, exec_lo, s6
	v_mov_b32_e32 v8, 0
	ds_read_b128 v[125:128], v8 offset:272
	s_waitcnt lgkmcnt(0)
	v_mul_f64 v[129:130], v[3:4], v[127:128]
	v_mul_f64 v[127:128], v[1:2], v[127:128]
	v_fma_f64 v[1:2], v[1:2], v[125:126], -v[129:130]
	v_fma_f64 v[3:4], v[3:4], v[125:126], v[127:128]
	buffer_store_dword v2, off, s[0:3], 0 offset:276
	buffer_store_dword v1, off, s[0:3], 0 offset:272
	;; [unrolled: 1-line block ×4, first 2 shown]
.LBB57_591:
	s_or_b32 exec_lo, exec_lo, s4
	v_mov_b32_e32 v4, s48
	s_mov_b32 s4, exec_lo
	s_clause 0x3
	buffer_load_dword v1, v4, s[0:3], 0 offen
	buffer_load_dword v2, v4, s[0:3], 0 offen offset:4
	buffer_load_dword v3, v4, s[0:3], 0 offen offset:8
	;; [unrolled: 1-line block ×3, first 2 shown]
	s_waitcnt vmcnt(0)
	ds_write_b128 v6, v[1:4]
	s_waitcnt lgkmcnt(0)
	s_waitcnt_vscnt null, 0x0
	s_barrier
	buffer_gl0_inv
	v_cmpx_gt_u32_e32 18, v0
	s_cbranch_execz .LBB57_599
; %bb.592:
	ds_read_b128 v[1:4], v6
	v_cmp_ne_u32_e32 vcc_lo, 1, v7
	s_cbranch_vccnz .LBB57_594
; %bb.593:
	s_clause 0x3
	buffer_load_dword v125, v5, s[0:3], 0 offen offset:8
	buffer_load_dword v126, v5, s[0:3], 0 offen offset:12
	buffer_load_dword v127, v5, s[0:3], 0 offen
	buffer_load_dword v128, v5, s[0:3], 0 offen offset:4
	s_waitcnt vmcnt(2) lgkmcnt(0)
	v_mul_f64 v[129:130], v[3:4], v[125:126]
	v_mul_f64 v[125:126], v[1:2], v[125:126]
	s_waitcnt vmcnt(0)
	v_fma_f64 v[1:2], v[1:2], v[127:128], -v[129:130]
	v_fma_f64 v[3:4], v[3:4], v[127:128], v[125:126]
.LBB57_594:
	s_mov_b32 s6, exec_lo
	v_cmpx_ne_u32_e32 17, v0
	s_cbranch_execz .LBB57_598
; %bb.595:
	v_add_nc_u32_e32 v8, 0x3b0, v161
	v_add3_u32 v125, 0, v161, 16
	v_mov_b32_e32 v126, v0
	s_mov_b32 s8, 0
	.p2align	6
.LBB57_596:                             ; =>This Inner Loop Header: Depth=1
	s_clause 0x3
	buffer_load_dword v131, v125, s[0:3], 0 offen offset:8
	buffer_load_dword v132, v125, s[0:3], 0 offen offset:12
	buffer_load_dword v133, v125, s[0:3], 0 offen
	buffer_load_dword v134, v125, s[0:3], 0 offen offset:4
	ds_read_b128 v[127:130], v8
	v_add_nc_u32_e32 v126, 1, v126
	v_add_nc_u32_e32 v8, 16, v8
	;; [unrolled: 1-line block ×3, first 2 shown]
	v_cmp_lt_u32_e32 vcc_lo, 16, v126
	s_or_b32 s8, vcc_lo, s8
	s_waitcnt vmcnt(2) lgkmcnt(0)
	v_mul_f64 v[135:136], v[129:130], v[131:132]
	v_mul_f64 v[131:132], v[127:128], v[131:132]
	s_waitcnt vmcnt(0)
	v_fma_f64 v[127:128], v[127:128], v[133:134], -v[135:136]
	v_fma_f64 v[129:130], v[129:130], v[133:134], v[131:132]
	v_add_f64 v[1:2], v[1:2], v[127:128]
	v_add_f64 v[3:4], v[3:4], v[129:130]
	s_andn2_b32 exec_lo, exec_lo, s8
	s_cbranch_execnz .LBB57_596
; %bb.597:
	s_or_b32 exec_lo, exec_lo, s8
.LBB57_598:
	s_or_b32 exec_lo, exec_lo, s6
	v_mov_b32_e32 v8, 0
	ds_read_b128 v[125:128], v8 offset:288
	s_waitcnt lgkmcnt(0)
	v_mul_f64 v[129:130], v[3:4], v[127:128]
	v_mul_f64 v[127:128], v[1:2], v[127:128]
	v_fma_f64 v[1:2], v[1:2], v[125:126], -v[129:130]
	v_fma_f64 v[3:4], v[3:4], v[125:126], v[127:128]
	buffer_store_dword v2, off, s[0:3], 0 offset:292
	buffer_store_dword v1, off, s[0:3], 0 offset:288
	;; [unrolled: 1-line block ×4, first 2 shown]
.LBB57_599:
	s_or_b32 exec_lo, exec_lo, s4
	v_mov_b32_e32 v4, s47
	s_mov_b32 s4, exec_lo
	s_clause 0x3
	buffer_load_dword v1, v4, s[0:3], 0 offen
	buffer_load_dword v2, v4, s[0:3], 0 offen offset:4
	buffer_load_dword v3, v4, s[0:3], 0 offen offset:8
	;; [unrolled: 1-line block ×3, first 2 shown]
	s_waitcnt vmcnt(0)
	ds_write_b128 v6, v[1:4]
	s_waitcnt lgkmcnt(0)
	s_waitcnt_vscnt null, 0x0
	s_barrier
	buffer_gl0_inv
	v_cmpx_gt_u32_e32 19, v0
	s_cbranch_execz .LBB57_607
; %bb.600:
	ds_read_b128 v[1:4], v6
	v_cmp_ne_u32_e32 vcc_lo, 1, v7
	s_cbranch_vccnz .LBB57_602
; %bb.601:
	s_clause 0x3
	buffer_load_dword v125, v5, s[0:3], 0 offen offset:8
	buffer_load_dword v126, v5, s[0:3], 0 offen offset:12
	buffer_load_dword v127, v5, s[0:3], 0 offen
	buffer_load_dword v128, v5, s[0:3], 0 offen offset:4
	s_waitcnt vmcnt(2) lgkmcnt(0)
	v_mul_f64 v[129:130], v[3:4], v[125:126]
	v_mul_f64 v[125:126], v[1:2], v[125:126]
	s_waitcnt vmcnt(0)
	v_fma_f64 v[1:2], v[1:2], v[127:128], -v[129:130]
	v_fma_f64 v[3:4], v[3:4], v[127:128], v[125:126]
.LBB57_602:
	s_mov_b32 s6, exec_lo
	v_cmpx_ne_u32_e32 18, v0
	s_cbranch_execz .LBB57_606
; %bb.603:
	v_add_nc_u32_e32 v8, 0x3b0, v161
	v_add3_u32 v125, 0, v161, 16
	v_mov_b32_e32 v126, v0
	s_mov_b32 s8, 0
	.p2align	6
.LBB57_604:                             ; =>This Inner Loop Header: Depth=1
	s_clause 0x3
	buffer_load_dword v131, v125, s[0:3], 0 offen offset:8
	buffer_load_dword v132, v125, s[0:3], 0 offen offset:12
	buffer_load_dword v133, v125, s[0:3], 0 offen
	buffer_load_dword v134, v125, s[0:3], 0 offen offset:4
	ds_read_b128 v[127:130], v8
	v_add_nc_u32_e32 v126, 1, v126
	v_add_nc_u32_e32 v8, 16, v8
	;; [unrolled: 1-line block ×3, first 2 shown]
	v_cmp_lt_u32_e32 vcc_lo, 17, v126
	s_or_b32 s8, vcc_lo, s8
	s_waitcnt vmcnt(2) lgkmcnt(0)
	v_mul_f64 v[135:136], v[129:130], v[131:132]
	v_mul_f64 v[131:132], v[127:128], v[131:132]
	s_waitcnt vmcnt(0)
	v_fma_f64 v[127:128], v[127:128], v[133:134], -v[135:136]
	v_fma_f64 v[129:130], v[129:130], v[133:134], v[131:132]
	v_add_f64 v[1:2], v[1:2], v[127:128]
	v_add_f64 v[3:4], v[3:4], v[129:130]
	s_andn2_b32 exec_lo, exec_lo, s8
	s_cbranch_execnz .LBB57_604
; %bb.605:
	s_or_b32 exec_lo, exec_lo, s8
.LBB57_606:
	s_or_b32 exec_lo, exec_lo, s6
	v_mov_b32_e32 v8, 0
	ds_read_b128 v[125:128], v8 offset:304
	s_waitcnt lgkmcnt(0)
	v_mul_f64 v[129:130], v[3:4], v[127:128]
	v_mul_f64 v[127:128], v[1:2], v[127:128]
	v_fma_f64 v[1:2], v[1:2], v[125:126], -v[129:130]
	v_fma_f64 v[3:4], v[3:4], v[125:126], v[127:128]
	buffer_store_dword v2, off, s[0:3], 0 offset:308
	buffer_store_dword v1, off, s[0:3], 0 offset:304
	buffer_store_dword v4, off, s[0:3], 0 offset:316
	buffer_store_dword v3, off, s[0:3], 0 offset:312
.LBB57_607:
	s_or_b32 exec_lo, exec_lo, s4
	v_mov_b32_e32 v4, s46
	s_mov_b32 s4, exec_lo
	s_clause 0x3
	buffer_load_dword v1, v4, s[0:3], 0 offen
	buffer_load_dword v2, v4, s[0:3], 0 offen offset:4
	buffer_load_dword v3, v4, s[0:3], 0 offen offset:8
	;; [unrolled: 1-line block ×3, first 2 shown]
	s_waitcnt vmcnt(0)
	ds_write_b128 v6, v[1:4]
	s_waitcnt lgkmcnt(0)
	s_waitcnt_vscnt null, 0x0
	s_barrier
	buffer_gl0_inv
	v_cmpx_gt_u32_e32 20, v0
	s_cbranch_execz .LBB57_615
; %bb.608:
	ds_read_b128 v[1:4], v6
	v_cmp_ne_u32_e32 vcc_lo, 1, v7
	s_cbranch_vccnz .LBB57_610
; %bb.609:
	s_clause 0x3
	buffer_load_dword v125, v5, s[0:3], 0 offen offset:8
	buffer_load_dword v126, v5, s[0:3], 0 offen offset:12
	buffer_load_dword v127, v5, s[0:3], 0 offen
	buffer_load_dword v128, v5, s[0:3], 0 offen offset:4
	s_waitcnt vmcnt(2) lgkmcnt(0)
	v_mul_f64 v[129:130], v[3:4], v[125:126]
	v_mul_f64 v[125:126], v[1:2], v[125:126]
	s_waitcnt vmcnt(0)
	v_fma_f64 v[1:2], v[1:2], v[127:128], -v[129:130]
	v_fma_f64 v[3:4], v[3:4], v[127:128], v[125:126]
.LBB57_610:
	s_mov_b32 s6, exec_lo
	v_cmpx_ne_u32_e32 19, v0
	s_cbranch_execz .LBB57_614
; %bb.611:
	v_add_nc_u32_e32 v8, 0x3b0, v161
	v_add3_u32 v125, 0, v161, 16
	v_mov_b32_e32 v126, v0
	s_mov_b32 s8, 0
	.p2align	6
.LBB57_612:                             ; =>This Inner Loop Header: Depth=1
	s_clause 0x3
	buffer_load_dword v131, v125, s[0:3], 0 offen offset:8
	buffer_load_dword v132, v125, s[0:3], 0 offen offset:12
	buffer_load_dword v133, v125, s[0:3], 0 offen
	buffer_load_dword v134, v125, s[0:3], 0 offen offset:4
	ds_read_b128 v[127:130], v8
	v_add_nc_u32_e32 v126, 1, v126
	v_add_nc_u32_e32 v8, 16, v8
	;; [unrolled: 1-line block ×3, first 2 shown]
	v_cmp_lt_u32_e32 vcc_lo, 18, v126
	s_or_b32 s8, vcc_lo, s8
	s_waitcnt vmcnt(2) lgkmcnt(0)
	v_mul_f64 v[135:136], v[129:130], v[131:132]
	v_mul_f64 v[131:132], v[127:128], v[131:132]
	s_waitcnt vmcnt(0)
	v_fma_f64 v[127:128], v[127:128], v[133:134], -v[135:136]
	v_fma_f64 v[129:130], v[129:130], v[133:134], v[131:132]
	v_add_f64 v[1:2], v[1:2], v[127:128]
	v_add_f64 v[3:4], v[3:4], v[129:130]
	s_andn2_b32 exec_lo, exec_lo, s8
	s_cbranch_execnz .LBB57_612
; %bb.613:
	s_or_b32 exec_lo, exec_lo, s8
.LBB57_614:
	s_or_b32 exec_lo, exec_lo, s6
	v_mov_b32_e32 v8, 0
	ds_read_b128 v[125:128], v8 offset:320
	s_waitcnt lgkmcnt(0)
	v_mul_f64 v[129:130], v[3:4], v[127:128]
	v_mul_f64 v[127:128], v[1:2], v[127:128]
	v_fma_f64 v[1:2], v[1:2], v[125:126], -v[129:130]
	v_fma_f64 v[3:4], v[3:4], v[125:126], v[127:128]
	buffer_store_dword v2, off, s[0:3], 0 offset:324
	buffer_store_dword v1, off, s[0:3], 0 offset:320
	;; [unrolled: 1-line block ×4, first 2 shown]
.LBB57_615:
	s_or_b32 exec_lo, exec_lo, s4
	v_mov_b32_e32 v4, s45
	s_mov_b32 s4, exec_lo
	s_clause 0x3
	buffer_load_dword v1, v4, s[0:3], 0 offen
	buffer_load_dword v2, v4, s[0:3], 0 offen offset:4
	buffer_load_dword v3, v4, s[0:3], 0 offen offset:8
	;; [unrolled: 1-line block ×3, first 2 shown]
	s_waitcnt vmcnt(0)
	ds_write_b128 v6, v[1:4]
	s_waitcnt lgkmcnt(0)
	s_waitcnt_vscnt null, 0x0
	s_barrier
	buffer_gl0_inv
	v_cmpx_gt_u32_e32 21, v0
	s_cbranch_execz .LBB57_623
; %bb.616:
	ds_read_b128 v[1:4], v6
	v_cmp_ne_u32_e32 vcc_lo, 1, v7
	s_cbranch_vccnz .LBB57_618
; %bb.617:
	s_clause 0x3
	buffer_load_dword v125, v5, s[0:3], 0 offen offset:8
	buffer_load_dword v126, v5, s[0:3], 0 offen offset:12
	buffer_load_dword v127, v5, s[0:3], 0 offen
	buffer_load_dword v128, v5, s[0:3], 0 offen offset:4
	s_waitcnt vmcnt(2) lgkmcnt(0)
	v_mul_f64 v[129:130], v[3:4], v[125:126]
	v_mul_f64 v[125:126], v[1:2], v[125:126]
	s_waitcnt vmcnt(0)
	v_fma_f64 v[1:2], v[1:2], v[127:128], -v[129:130]
	v_fma_f64 v[3:4], v[3:4], v[127:128], v[125:126]
.LBB57_618:
	s_mov_b32 s6, exec_lo
	v_cmpx_ne_u32_e32 20, v0
	s_cbranch_execz .LBB57_622
; %bb.619:
	v_add_nc_u32_e32 v8, 0x3b0, v161
	v_add3_u32 v125, 0, v161, 16
	v_mov_b32_e32 v126, v0
	s_mov_b32 s8, 0
	.p2align	6
.LBB57_620:                             ; =>This Inner Loop Header: Depth=1
	s_clause 0x3
	buffer_load_dword v131, v125, s[0:3], 0 offen offset:8
	buffer_load_dword v132, v125, s[0:3], 0 offen offset:12
	buffer_load_dword v133, v125, s[0:3], 0 offen
	buffer_load_dword v134, v125, s[0:3], 0 offen offset:4
	ds_read_b128 v[127:130], v8
	v_add_nc_u32_e32 v126, 1, v126
	v_add_nc_u32_e32 v8, 16, v8
	;; [unrolled: 1-line block ×3, first 2 shown]
	v_cmp_lt_u32_e32 vcc_lo, 19, v126
	s_or_b32 s8, vcc_lo, s8
	s_waitcnt vmcnt(2) lgkmcnt(0)
	v_mul_f64 v[135:136], v[129:130], v[131:132]
	v_mul_f64 v[131:132], v[127:128], v[131:132]
	s_waitcnt vmcnt(0)
	v_fma_f64 v[127:128], v[127:128], v[133:134], -v[135:136]
	v_fma_f64 v[129:130], v[129:130], v[133:134], v[131:132]
	v_add_f64 v[1:2], v[1:2], v[127:128]
	v_add_f64 v[3:4], v[3:4], v[129:130]
	s_andn2_b32 exec_lo, exec_lo, s8
	s_cbranch_execnz .LBB57_620
; %bb.621:
	s_or_b32 exec_lo, exec_lo, s8
.LBB57_622:
	s_or_b32 exec_lo, exec_lo, s6
	v_mov_b32_e32 v8, 0
	ds_read_b128 v[125:128], v8 offset:336
	s_waitcnt lgkmcnt(0)
	v_mul_f64 v[129:130], v[3:4], v[127:128]
	v_mul_f64 v[127:128], v[1:2], v[127:128]
	v_fma_f64 v[1:2], v[1:2], v[125:126], -v[129:130]
	v_fma_f64 v[3:4], v[3:4], v[125:126], v[127:128]
	buffer_store_dword v2, off, s[0:3], 0 offset:340
	buffer_store_dword v1, off, s[0:3], 0 offset:336
	;; [unrolled: 1-line block ×4, first 2 shown]
.LBB57_623:
	s_or_b32 exec_lo, exec_lo, s4
	v_mov_b32_e32 v4, s44
	s_mov_b32 s4, exec_lo
	s_clause 0x3
	buffer_load_dword v1, v4, s[0:3], 0 offen
	buffer_load_dword v2, v4, s[0:3], 0 offen offset:4
	buffer_load_dword v3, v4, s[0:3], 0 offen offset:8
	;; [unrolled: 1-line block ×3, first 2 shown]
	s_waitcnt vmcnt(0)
	ds_write_b128 v6, v[1:4]
	s_waitcnt lgkmcnt(0)
	s_waitcnt_vscnt null, 0x0
	s_barrier
	buffer_gl0_inv
	v_cmpx_gt_u32_e32 22, v0
	s_cbranch_execz .LBB57_631
; %bb.624:
	ds_read_b128 v[1:4], v6
	v_cmp_ne_u32_e32 vcc_lo, 1, v7
	s_cbranch_vccnz .LBB57_626
; %bb.625:
	s_clause 0x3
	buffer_load_dword v125, v5, s[0:3], 0 offen offset:8
	buffer_load_dword v126, v5, s[0:3], 0 offen offset:12
	buffer_load_dword v127, v5, s[0:3], 0 offen
	buffer_load_dword v128, v5, s[0:3], 0 offen offset:4
	s_waitcnt vmcnt(2) lgkmcnt(0)
	v_mul_f64 v[129:130], v[3:4], v[125:126]
	v_mul_f64 v[125:126], v[1:2], v[125:126]
	s_waitcnt vmcnt(0)
	v_fma_f64 v[1:2], v[1:2], v[127:128], -v[129:130]
	v_fma_f64 v[3:4], v[3:4], v[127:128], v[125:126]
.LBB57_626:
	s_mov_b32 s6, exec_lo
	v_cmpx_ne_u32_e32 21, v0
	s_cbranch_execz .LBB57_630
; %bb.627:
	v_add_nc_u32_e32 v8, 0x3b0, v161
	v_add3_u32 v125, 0, v161, 16
	v_mov_b32_e32 v126, v0
	s_mov_b32 s8, 0
	.p2align	6
.LBB57_628:                             ; =>This Inner Loop Header: Depth=1
	s_clause 0x3
	buffer_load_dword v131, v125, s[0:3], 0 offen offset:8
	buffer_load_dword v132, v125, s[0:3], 0 offen offset:12
	buffer_load_dword v133, v125, s[0:3], 0 offen
	buffer_load_dword v134, v125, s[0:3], 0 offen offset:4
	ds_read_b128 v[127:130], v8
	v_add_nc_u32_e32 v126, 1, v126
	v_add_nc_u32_e32 v8, 16, v8
	;; [unrolled: 1-line block ×3, first 2 shown]
	v_cmp_lt_u32_e32 vcc_lo, 20, v126
	s_or_b32 s8, vcc_lo, s8
	s_waitcnt vmcnt(2) lgkmcnt(0)
	v_mul_f64 v[135:136], v[129:130], v[131:132]
	v_mul_f64 v[131:132], v[127:128], v[131:132]
	s_waitcnt vmcnt(0)
	v_fma_f64 v[127:128], v[127:128], v[133:134], -v[135:136]
	v_fma_f64 v[129:130], v[129:130], v[133:134], v[131:132]
	v_add_f64 v[1:2], v[1:2], v[127:128]
	v_add_f64 v[3:4], v[3:4], v[129:130]
	s_andn2_b32 exec_lo, exec_lo, s8
	s_cbranch_execnz .LBB57_628
; %bb.629:
	s_or_b32 exec_lo, exec_lo, s8
.LBB57_630:
	s_or_b32 exec_lo, exec_lo, s6
	v_mov_b32_e32 v8, 0
	ds_read_b128 v[125:128], v8 offset:352
	s_waitcnt lgkmcnt(0)
	v_mul_f64 v[129:130], v[3:4], v[127:128]
	v_mul_f64 v[127:128], v[1:2], v[127:128]
	v_fma_f64 v[1:2], v[1:2], v[125:126], -v[129:130]
	v_fma_f64 v[3:4], v[3:4], v[125:126], v[127:128]
	buffer_store_dword v2, off, s[0:3], 0 offset:356
	buffer_store_dword v1, off, s[0:3], 0 offset:352
	;; [unrolled: 1-line block ×4, first 2 shown]
.LBB57_631:
	s_or_b32 exec_lo, exec_lo, s4
	v_mov_b32_e32 v4, s43
	s_mov_b32 s4, exec_lo
	s_clause 0x3
	buffer_load_dword v1, v4, s[0:3], 0 offen
	buffer_load_dword v2, v4, s[0:3], 0 offen offset:4
	buffer_load_dword v3, v4, s[0:3], 0 offen offset:8
	;; [unrolled: 1-line block ×3, first 2 shown]
	s_waitcnt vmcnt(0)
	ds_write_b128 v6, v[1:4]
	s_waitcnt lgkmcnt(0)
	s_waitcnt_vscnt null, 0x0
	s_barrier
	buffer_gl0_inv
	v_cmpx_gt_u32_e32 23, v0
	s_cbranch_execz .LBB57_639
; %bb.632:
	ds_read_b128 v[1:4], v6
	v_cmp_ne_u32_e32 vcc_lo, 1, v7
	s_cbranch_vccnz .LBB57_634
; %bb.633:
	s_clause 0x3
	buffer_load_dword v125, v5, s[0:3], 0 offen offset:8
	buffer_load_dword v126, v5, s[0:3], 0 offen offset:12
	buffer_load_dword v127, v5, s[0:3], 0 offen
	buffer_load_dword v128, v5, s[0:3], 0 offen offset:4
	s_waitcnt vmcnt(2) lgkmcnt(0)
	v_mul_f64 v[129:130], v[3:4], v[125:126]
	v_mul_f64 v[125:126], v[1:2], v[125:126]
	s_waitcnt vmcnt(0)
	v_fma_f64 v[1:2], v[1:2], v[127:128], -v[129:130]
	v_fma_f64 v[3:4], v[3:4], v[127:128], v[125:126]
.LBB57_634:
	s_mov_b32 s6, exec_lo
	v_cmpx_ne_u32_e32 22, v0
	s_cbranch_execz .LBB57_638
; %bb.635:
	v_add_nc_u32_e32 v8, 0x3b0, v161
	v_add3_u32 v125, 0, v161, 16
	v_mov_b32_e32 v126, v0
	s_mov_b32 s8, 0
	.p2align	6
.LBB57_636:                             ; =>This Inner Loop Header: Depth=1
	s_clause 0x3
	buffer_load_dword v131, v125, s[0:3], 0 offen offset:8
	buffer_load_dword v132, v125, s[0:3], 0 offen offset:12
	buffer_load_dword v133, v125, s[0:3], 0 offen
	buffer_load_dword v134, v125, s[0:3], 0 offen offset:4
	ds_read_b128 v[127:130], v8
	v_add_nc_u32_e32 v126, 1, v126
	v_add_nc_u32_e32 v8, 16, v8
	;; [unrolled: 1-line block ×3, first 2 shown]
	v_cmp_lt_u32_e32 vcc_lo, 21, v126
	s_or_b32 s8, vcc_lo, s8
	s_waitcnt vmcnt(2) lgkmcnt(0)
	v_mul_f64 v[135:136], v[129:130], v[131:132]
	v_mul_f64 v[131:132], v[127:128], v[131:132]
	s_waitcnt vmcnt(0)
	v_fma_f64 v[127:128], v[127:128], v[133:134], -v[135:136]
	v_fma_f64 v[129:130], v[129:130], v[133:134], v[131:132]
	v_add_f64 v[1:2], v[1:2], v[127:128]
	v_add_f64 v[3:4], v[3:4], v[129:130]
	s_andn2_b32 exec_lo, exec_lo, s8
	s_cbranch_execnz .LBB57_636
; %bb.637:
	s_or_b32 exec_lo, exec_lo, s8
.LBB57_638:
	s_or_b32 exec_lo, exec_lo, s6
	v_mov_b32_e32 v8, 0
	ds_read_b128 v[125:128], v8 offset:368
	s_waitcnt lgkmcnt(0)
	v_mul_f64 v[129:130], v[3:4], v[127:128]
	v_mul_f64 v[127:128], v[1:2], v[127:128]
	v_fma_f64 v[1:2], v[1:2], v[125:126], -v[129:130]
	v_fma_f64 v[3:4], v[3:4], v[125:126], v[127:128]
	buffer_store_dword v2, off, s[0:3], 0 offset:372
	buffer_store_dword v1, off, s[0:3], 0 offset:368
	;; [unrolled: 1-line block ×4, first 2 shown]
.LBB57_639:
	s_or_b32 exec_lo, exec_lo, s4
	v_mov_b32_e32 v4, s42
	s_mov_b32 s4, exec_lo
	s_clause 0x3
	buffer_load_dword v1, v4, s[0:3], 0 offen
	buffer_load_dword v2, v4, s[0:3], 0 offen offset:4
	buffer_load_dword v3, v4, s[0:3], 0 offen offset:8
	;; [unrolled: 1-line block ×3, first 2 shown]
	s_waitcnt vmcnt(0)
	ds_write_b128 v6, v[1:4]
	s_waitcnt lgkmcnt(0)
	s_waitcnt_vscnt null, 0x0
	s_barrier
	buffer_gl0_inv
	v_cmpx_gt_u32_e32 24, v0
	s_cbranch_execz .LBB57_647
; %bb.640:
	ds_read_b128 v[1:4], v6
	v_cmp_ne_u32_e32 vcc_lo, 1, v7
	s_cbranch_vccnz .LBB57_642
; %bb.641:
	s_clause 0x3
	buffer_load_dword v125, v5, s[0:3], 0 offen offset:8
	buffer_load_dword v126, v5, s[0:3], 0 offen offset:12
	buffer_load_dword v127, v5, s[0:3], 0 offen
	buffer_load_dword v128, v5, s[0:3], 0 offen offset:4
	s_waitcnt vmcnt(2) lgkmcnt(0)
	v_mul_f64 v[129:130], v[3:4], v[125:126]
	v_mul_f64 v[125:126], v[1:2], v[125:126]
	s_waitcnt vmcnt(0)
	v_fma_f64 v[1:2], v[1:2], v[127:128], -v[129:130]
	v_fma_f64 v[3:4], v[3:4], v[127:128], v[125:126]
.LBB57_642:
	s_mov_b32 s6, exec_lo
	v_cmpx_ne_u32_e32 23, v0
	s_cbranch_execz .LBB57_646
; %bb.643:
	v_add_nc_u32_e32 v8, 0x3b0, v161
	v_add3_u32 v125, 0, v161, 16
	v_mov_b32_e32 v126, v0
	s_mov_b32 s8, 0
	.p2align	6
.LBB57_644:                             ; =>This Inner Loop Header: Depth=1
	s_clause 0x3
	buffer_load_dword v131, v125, s[0:3], 0 offen offset:8
	buffer_load_dword v132, v125, s[0:3], 0 offen offset:12
	buffer_load_dword v133, v125, s[0:3], 0 offen
	buffer_load_dword v134, v125, s[0:3], 0 offen offset:4
	ds_read_b128 v[127:130], v8
	v_add_nc_u32_e32 v126, 1, v126
	v_add_nc_u32_e32 v8, 16, v8
	;; [unrolled: 1-line block ×3, first 2 shown]
	v_cmp_lt_u32_e32 vcc_lo, 22, v126
	s_or_b32 s8, vcc_lo, s8
	s_waitcnt vmcnt(2) lgkmcnt(0)
	v_mul_f64 v[135:136], v[129:130], v[131:132]
	v_mul_f64 v[131:132], v[127:128], v[131:132]
	s_waitcnt vmcnt(0)
	v_fma_f64 v[127:128], v[127:128], v[133:134], -v[135:136]
	v_fma_f64 v[129:130], v[129:130], v[133:134], v[131:132]
	v_add_f64 v[1:2], v[1:2], v[127:128]
	v_add_f64 v[3:4], v[3:4], v[129:130]
	s_andn2_b32 exec_lo, exec_lo, s8
	s_cbranch_execnz .LBB57_644
; %bb.645:
	s_or_b32 exec_lo, exec_lo, s8
.LBB57_646:
	s_or_b32 exec_lo, exec_lo, s6
	v_mov_b32_e32 v8, 0
	ds_read_b128 v[125:128], v8 offset:384
	s_waitcnt lgkmcnt(0)
	v_mul_f64 v[129:130], v[3:4], v[127:128]
	v_mul_f64 v[127:128], v[1:2], v[127:128]
	v_fma_f64 v[1:2], v[1:2], v[125:126], -v[129:130]
	v_fma_f64 v[3:4], v[3:4], v[125:126], v[127:128]
	buffer_store_dword v2, off, s[0:3], 0 offset:388
	buffer_store_dword v1, off, s[0:3], 0 offset:384
	;; [unrolled: 1-line block ×4, first 2 shown]
.LBB57_647:
	s_or_b32 exec_lo, exec_lo, s4
	v_mov_b32_e32 v4, s41
	s_mov_b32 s4, exec_lo
	s_clause 0x3
	buffer_load_dword v1, v4, s[0:3], 0 offen
	buffer_load_dword v2, v4, s[0:3], 0 offen offset:4
	buffer_load_dword v3, v4, s[0:3], 0 offen offset:8
	;; [unrolled: 1-line block ×3, first 2 shown]
	s_waitcnt vmcnt(0)
	ds_write_b128 v6, v[1:4]
	s_waitcnt lgkmcnt(0)
	s_waitcnt_vscnt null, 0x0
	s_barrier
	buffer_gl0_inv
	v_cmpx_gt_u32_e32 25, v0
	s_cbranch_execz .LBB57_655
; %bb.648:
	ds_read_b128 v[1:4], v6
	v_cmp_ne_u32_e32 vcc_lo, 1, v7
	s_cbranch_vccnz .LBB57_650
; %bb.649:
	s_clause 0x3
	buffer_load_dword v125, v5, s[0:3], 0 offen offset:8
	buffer_load_dword v126, v5, s[0:3], 0 offen offset:12
	buffer_load_dword v127, v5, s[0:3], 0 offen
	buffer_load_dword v128, v5, s[0:3], 0 offen offset:4
	s_waitcnt vmcnt(2) lgkmcnt(0)
	v_mul_f64 v[129:130], v[3:4], v[125:126]
	v_mul_f64 v[125:126], v[1:2], v[125:126]
	s_waitcnt vmcnt(0)
	v_fma_f64 v[1:2], v[1:2], v[127:128], -v[129:130]
	v_fma_f64 v[3:4], v[3:4], v[127:128], v[125:126]
.LBB57_650:
	s_mov_b32 s6, exec_lo
	v_cmpx_ne_u32_e32 24, v0
	s_cbranch_execz .LBB57_654
; %bb.651:
	v_add_nc_u32_e32 v8, 0x3b0, v161
	v_add3_u32 v125, 0, v161, 16
	v_mov_b32_e32 v126, v0
	s_mov_b32 s8, 0
	.p2align	6
.LBB57_652:                             ; =>This Inner Loop Header: Depth=1
	s_clause 0x3
	buffer_load_dword v131, v125, s[0:3], 0 offen offset:8
	buffer_load_dword v132, v125, s[0:3], 0 offen offset:12
	buffer_load_dword v133, v125, s[0:3], 0 offen
	buffer_load_dword v134, v125, s[0:3], 0 offen offset:4
	ds_read_b128 v[127:130], v8
	v_add_nc_u32_e32 v126, 1, v126
	v_add_nc_u32_e32 v8, 16, v8
	;; [unrolled: 1-line block ×3, first 2 shown]
	v_cmp_lt_u32_e32 vcc_lo, 23, v126
	s_or_b32 s8, vcc_lo, s8
	s_waitcnt vmcnt(2) lgkmcnt(0)
	v_mul_f64 v[135:136], v[129:130], v[131:132]
	v_mul_f64 v[131:132], v[127:128], v[131:132]
	s_waitcnt vmcnt(0)
	v_fma_f64 v[127:128], v[127:128], v[133:134], -v[135:136]
	v_fma_f64 v[129:130], v[129:130], v[133:134], v[131:132]
	v_add_f64 v[1:2], v[1:2], v[127:128]
	v_add_f64 v[3:4], v[3:4], v[129:130]
	s_andn2_b32 exec_lo, exec_lo, s8
	s_cbranch_execnz .LBB57_652
; %bb.653:
	s_or_b32 exec_lo, exec_lo, s8
.LBB57_654:
	s_or_b32 exec_lo, exec_lo, s6
	v_mov_b32_e32 v8, 0
	ds_read_b128 v[125:128], v8 offset:400
	s_waitcnt lgkmcnt(0)
	v_mul_f64 v[129:130], v[3:4], v[127:128]
	v_mul_f64 v[127:128], v[1:2], v[127:128]
	v_fma_f64 v[1:2], v[1:2], v[125:126], -v[129:130]
	v_fma_f64 v[3:4], v[3:4], v[125:126], v[127:128]
	buffer_store_dword v2, off, s[0:3], 0 offset:404
	buffer_store_dword v1, off, s[0:3], 0 offset:400
	;; [unrolled: 1-line block ×4, first 2 shown]
.LBB57_655:
	s_or_b32 exec_lo, exec_lo, s4
	v_mov_b32_e32 v4, s40
	s_mov_b32 s4, exec_lo
	s_clause 0x3
	buffer_load_dword v1, v4, s[0:3], 0 offen
	buffer_load_dword v2, v4, s[0:3], 0 offen offset:4
	buffer_load_dword v3, v4, s[0:3], 0 offen offset:8
	;; [unrolled: 1-line block ×3, first 2 shown]
	s_waitcnt vmcnt(0)
	ds_write_b128 v6, v[1:4]
	s_waitcnt lgkmcnt(0)
	s_waitcnt_vscnt null, 0x0
	s_barrier
	buffer_gl0_inv
	v_cmpx_gt_u32_e32 26, v0
	s_cbranch_execz .LBB57_663
; %bb.656:
	ds_read_b128 v[1:4], v6
	v_cmp_ne_u32_e32 vcc_lo, 1, v7
	s_cbranch_vccnz .LBB57_658
; %bb.657:
	s_clause 0x3
	buffer_load_dword v125, v5, s[0:3], 0 offen offset:8
	buffer_load_dword v126, v5, s[0:3], 0 offen offset:12
	buffer_load_dword v127, v5, s[0:3], 0 offen
	buffer_load_dword v128, v5, s[0:3], 0 offen offset:4
	s_waitcnt vmcnt(2) lgkmcnt(0)
	v_mul_f64 v[129:130], v[3:4], v[125:126]
	v_mul_f64 v[125:126], v[1:2], v[125:126]
	s_waitcnt vmcnt(0)
	v_fma_f64 v[1:2], v[1:2], v[127:128], -v[129:130]
	v_fma_f64 v[3:4], v[3:4], v[127:128], v[125:126]
.LBB57_658:
	s_mov_b32 s6, exec_lo
	v_cmpx_ne_u32_e32 25, v0
	s_cbranch_execz .LBB57_662
; %bb.659:
	v_add_nc_u32_e32 v8, 0x3b0, v161
	v_add3_u32 v125, 0, v161, 16
	v_mov_b32_e32 v126, v0
	s_mov_b32 s8, 0
	.p2align	6
.LBB57_660:                             ; =>This Inner Loop Header: Depth=1
	s_clause 0x3
	buffer_load_dword v131, v125, s[0:3], 0 offen offset:8
	buffer_load_dword v132, v125, s[0:3], 0 offen offset:12
	buffer_load_dword v133, v125, s[0:3], 0 offen
	buffer_load_dword v134, v125, s[0:3], 0 offen offset:4
	ds_read_b128 v[127:130], v8
	v_add_nc_u32_e32 v126, 1, v126
	v_add_nc_u32_e32 v8, 16, v8
	;; [unrolled: 1-line block ×3, first 2 shown]
	v_cmp_lt_u32_e32 vcc_lo, 24, v126
	s_or_b32 s8, vcc_lo, s8
	s_waitcnt vmcnt(2) lgkmcnt(0)
	v_mul_f64 v[135:136], v[129:130], v[131:132]
	v_mul_f64 v[131:132], v[127:128], v[131:132]
	s_waitcnt vmcnt(0)
	v_fma_f64 v[127:128], v[127:128], v[133:134], -v[135:136]
	v_fma_f64 v[129:130], v[129:130], v[133:134], v[131:132]
	v_add_f64 v[1:2], v[1:2], v[127:128]
	v_add_f64 v[3:4], v[3:4], v[129:130]
	s_andn2_b32 exec_lo, exec_lo, s8
	s_cbranch_execnz .LBB57_660
; %bb.661:
	s_or_b32 exec_lo, exec_lo, s8
.LBB57_662:
	s_or_b32 exec_lo, exec_lo, s6
	v_mov_b32_e32 v8, 0
	ds_read_b128 v[125:128], v8 offset:416
	s_waitcnt lgkmcnt(0)
	v_mul_f64 v[129:130], v[3:4], v[127:128]
	v_mul_f64 v[127:128], v[1:2], v[127:128]
	v_fma_f64 v[1:2], v[1:2], v[125:126], -v[129:130]
	v_fma_f64 v[3:4], v[3:4], v[125:126], v[127:128]
	buffer_store_dword v2, off, s[0:3], 0 offset:420
	buffer_store_dword v1, off, s[0:3], 0 offset:416
	;; [unrolled: 1-line block ×4, first 2 shown]
.LBB57_663:
	s_or_b32 exec_lo, exec_lo, s4
	v_mov_b32_e32 v4, s39
	s_mov_b32 s4, exec_lo
	s_clause 0x3
	buffer_load_dword v1, v4, s[0:3], 0 offen
	buffer_load_dword v2, v4, s[0:3], 0 offen offset:4
	buffer_load_dword v3, v4, s[0:3], 0 offen offset:8
	;; [unrolled: 1-line block ×3, first 2 shown]
	s_waitcnt vmcnt(0)
	ds_write_b128 v6, v[1:4]
	s_waitcnt lgkmcnt(0)
	s_waitcnt_vscnt null, 0x0
	s_barrier
	buffer_gl0_inv
	v_cmpx_gt_u32_e32 27, v0
	s_cbranch_execz .LBB57_671
; %bb.664:
	ds_read_b128 v[1:4], v6
	v_cmp_ne_u32_e32 vcc_lo, 1, v7
	s_cbranch_vccnz .LBB57_666
; %bb.665:
	s_clause 0x3
	buffer_load_dword v125, v5, s[0:3], 0 offen offset:8
	buffer_load_dword v126, v5, s[0:3], 0 offen offset:12
	buffer_load_dword v127, v5, s[0:3], 0 offen
	buffer_load_dword v128, v5, s[0:3], 0 offen offset:4
	s_waitcnt vmcnt(2) lgkmcnt(0)
	v_mul_f64 v[129:130], v[3:4], v[125:126]
	v_mul_f64 v[125:126], v[1:2], v[125:126]
	s_waitcnt vmcnt(0)
	v_fma_f64 v[1:2], v[1:2], v[127:128], -v[129:130]
	v_fma_f64 v[3:4], v[3:4], v[127:128], v[125:126]
.LBB57_666:
	s_mov_b32 s6, exec_lo
	v_cmpx_ne_u32_e32 26, v0
	s_cbranch_execz .LBB57_670
; %bb.667:
	v_add_nc_u32_e32 v8, 0x3b0, v161
	v_add3_u32 v125, 0, v161, 16
	v_mov_b32_e32 v126, v0
	s_mov_b32 s8, 0
	.p2align	6
.LBB57_668:                             ; =>This Inner Loop Header: Depth=1
	s_clause 0x3
	buffer_load_dword v131, v125, s[0:3], 0 offen offset:8
	buffer_load_dword v132, v125, s[0:3], 0 offen offset:12
	buffer_load_dword v133, v125, s[0:3], 0 offen
	buffer_load_dword v134, v125, s[0:3], 0 offen offset:4
	ds_read_b128 v[127:130], v8
	v_add_nc_u32_e32 v126, 1, v126
	v_add_nc_u32_e32 v8, 16, v8
	;; [unrolled: 1-line block ×3, first 2 shown]
	v_cmp_lt_u32_e32 vcc_lo, 25, v126
	s_or_b32 s8, vcc_lo, s8
	s_waitcnt vmcnt(2) lgkmcnt(0)
	v_mul_f64 v[135:136], v[129:130], v[131:132]
	v_mul_f64 v[131:132], v[127:128], v[131:132]
	s_waitcnt vmcnt(0)
	v_fma_f64 v[127:128], v[127:128], v[133:134], -v[135:136]
	v_fma_f64 v[129:130], v[129:130], v[133:134], v[131:132]
	v_add_f64 v[1:2], v[1:2], v[127:128]
	v_add_f64 v[3:4], v[3:4], v[129:130]
	s_andn2_b32 exec_lo, exec_lo, s8
	s_cbranch_execnz .LBB57_668
; %bb.669:
	s_or_b32 exec_lo, exec_lo, s8
.LBB57_670:
	s_or_b32 exec_lo, exec_lo, s6
	v_mov_b32_e32 v8, 0
	ds_read_b128 v[125:128], v8 offset:432
	s_waitcnt lgkmcnt(0)
	v_mul_f64 v[129:130], v[3:4], v[127:128]
	v_mul_f64 v[127:128], v[1:2], v[127:128]
	v_fma_f64 v[1:2], v[1:2], v[125:126], -v[129:130]
	v_fma_f64 v[3:4], v[3:4], v[125:126], v[127:128]
	buffer_store_dword v2, off, s[0:3], 0 offset:436
	buffer_store_dword v1, off, s[0:3], 0 offset:432
	buffer_store_dword v4, off, s[0:3], 0 offset:444
	buffer_store_dword v3, off, s[0:3], 0 offset:440
.LBB57_671:
	s_or_b32 exec_lo, exec_lo, s4
	v_mov_b32_e32 v4, s38
	s_mov_b32 s4, exec_lo
	s_clause 0x3
	buffer_load_dword v1, v4, s[0:3], 0 offen
	buffer_load_dword v2, v4, s[0:3], 0 offen offset:4
	buffer_load_dword v3, v4, s[0:3], 0 offen offset:8
	;; [unrolled: 1-line block ×3, first 2 shown]
	s_waitcnt vmcnt(0)
	ds_write_b128 v6, v[1:4]
	s_waitcnt lgkmcnt(0)
	s_waitcnt_vscnt null, 0x0
	s_barrier
	buffer_gl0_inv
	v_cmpx_gt_u32_e32 28, v0
	s_cbranch_execz .LBB57_679
; %bb.672:
	ds_read_b128 v[1:4], v6
	v_cmp_ne_u32_e32 vcc_lo, 1, v7
	s_cbranch_vccnz .LBB57_674
; %bb.673:
	s_clause 0x3
	buffer_load_dword v125, v5, s[0:3], 0 offen offset:8
	buffer_load_dword v126, v5, s[0:3], 0 offen offset:12
	buffer_load_dword v127, v5, s[0:3], 0 offen
	buffer_load_dword v128, v5, s[0:3], 0 offen offset:4
	s_waitcnt vmcnt(2) lgkmcnt(0)
	v_mul_f64 v[129:130], v[3:4], v[125:126]
	v_mul_f64 v[125:126], v[1:2], v[125:126]
	s_waitcnt vmcnt(0)
	v_fma_f64 v[1:2], v[1:2], v[127:128], -v[129:130]
	v_fma_f64 v[3:4], v[3:4], v[127:128], v[125:126]
.LBB57_674:
	s_mov_b32 s6, exec_lo
	v_cmpx_ne_u32_e32 27, v0
	s_cbranch_execz .LBB57_678
; %bb.675:
	v_add_nc_u32_e32 v8, 0x3b0, v161
	v_add3_u32 v125, 0, v161, 16
	v_mov_b32_e32 v126, v0
	s_mov_b32 s8, 0
	.p2align	6
.LBB57_676:                             ; =>This Inner Loop Header: Depth=1
	s_clause 0x3
	buffer_load_dword v131, v125, s[0:3], 0 offen offset:8
	buffer_load_dword v132, v125, s[0:3], 0 offen offset:12
	buffer_load_dword v133, v125, s[0:3], 0 offen
	buffer_load_dword v134, v125, s[0:3], 0 offen offset:4
	ds_read_b128 v[127:130], v8
	v_add_nc_u32_e32 v126, 1, v126
	v_add_nc_u32_e32 v8, 16, v8
	;; [unrolled: 1-line block ×3, first 2 shown]
	v_cmp_lt_u32_e32 vcc_lo, 26, v126
	s_or_b32 s8, vcc_lo, s8
	s_waitcnt vmcnt(2) lgkmcnt(0)
	v_mul_f64 v[135:136], v[129:130], v[131:132]
	v_mul_f64 v[131:132], v[127:128], v[131:132]
	s_waitcnt vmcnt(0)
	v_fma_f64 v[127:128], v[127:128], v[133:134], -v[135:136]
	v_fma_f64 v[129:130], v[129:130], v[133:134], v[131:132]
	v_add_f64 v[1:2], v[1:2], v[127:128]
	v_add_f64 v[3:4], v[3:4], v[129:130]
	s_andn2_b32 exec_lo, exec_lo, s8
	s_cbranch_execnz .LBB57_676
; %bb.677:
	s_or_b32 exec_lo, exec_lo, s8
.LBB57_678:
	s_or_b32 exec_lo, exec_lo, s6
	v_mov_b32_e32 v8, 0
	ds_read_b128 v[125:128], v8 offset:448
	s_waitcnt lgkmcnt(0)
	v_mul_f64 v[129:130], v[3:4], v[127:128]
	v_mul_f64 v[127:128], v[1:2], v[127:128]
	v_fma_f64 v[1:2], v[1:2], v[125:126], -v[129:130]
	v_fma_f64 v[3:4], v[3:4], v[125:126], v[127:128]
	buffer_store_dword v2, off, s[0:3], 0 offset:452
	buffer_store_dword v1, off, s[0:3], 0 offset:448
	;; [unrolled: 1-line block ×4, first 2 shown]
.LBB57_679:
	s_or_b32 exec_lo, exec_lo, s4
	v_mov_b32_e32 v4, s37
	s_mov_b32 s4, exec_lo
	s_clause 0x3
	buffer_load_dword v1, v4, s[0:3], 0 offen
	buffer_load_dword v2, v4, s[0:3], 0 offen offset:4
	buffer_load_dword v3, v4, s[0:3], 0 offen offset:8
	;; [unrolled: 1-line block ×3, first 2 shown]
	s_waitcnt vmcnt(0)
	ds_write_b128 v6, v[1:4]
	s_waitcnt lgkmcnt(0)
	s_waitcnt_vscnt null, 0x0
	s_barrier
	buffer_gl0_inv
	v_cmpx_gt_u32_e32 29, v0
	s_cbranch_execz .LBB57_687
; %bb.680:
	ds_read_b128 v[1:4], v6
	v_cmp_ne_u32_e32 vcc_lo, 1, v7
	s_cbranch_vccnz .LBB57_682
; %bb.681:
	s_clause 0x3
	buffer_load_dword v125, v5, s[0:3], 0 offen offset:8
	buffer_load_dword v126, v5, s[0:3], 0 offen offset:12
	buffer_load_dword v127, v5, s[0:3], 0 offen
	buffer_load_dword v128, v5, s[0:3], 0 offen offset:4
	s_waitcnt vmcnt(2) lgkmcnt(0)
	v_mul_f64 v[129:130], v[3:4], v[125:126]
	v_mul_f64 v[125:126], v[1:2], v[125:126]
	s_waitcnt vmcnt(0)
	v_fma_f64 v[1:2], v[1:2], v[127:128], -v[129:130]
	v_fma_f64 v[3:4], v[3:4], v[127:128], v[125:126]
.LBB57_682:
	s_mov_b32 s6, exec_lo
	v_cmpx_ne_u32_e32 28, v0
	s_cbranch_execz .LBB57_686
; %bb.683:
	v_add_nc_u32_e32 v8, 0x3b0, v161
	v_add3_u32 v125, 0, v161, 16
	v_mov_b32_e32 v126, v0
	s_mov_b32 s8, 0
	.p2align	6
.LBB57_684:                             ; =>This Inner Loop Header: Depth=1
	s_clause 0x3
	buffer_load_dword v131, v125, s[0:3], 0 offen offset:8
	buffer_load_dword v132, v125, s[0:3], 0 offen offset:12
	buffer_load_dword v133, v125, s[0:3], 0 offen
	buffer_load_dword v134, v125, s[0:3], 0 offen offset:4
	ds_read_b128 v[127:130], v8
	v_add_nc_u32_e32 v126, 1, v126
	v_add_nc_u32_e32 v8, 16, v8
	;; [unrolled: 1-line block ×3, first 2 shown]
	v_cmp_lt_u32_e32 vcc_lo, 27, v126
	s_or_b32 s8, vcc_lo, s8
	s_waitcnt vmcnt(2) lgkmcnt(0)
	v_mul_f64 v[135:136], v[129:130], v[131:132]
	v_mul_f64 v[131:132], v[127:128], v[131:132]
	s_waitcnt vmcnt(0)
	v_fma_f64 v[127:128], v[127:128], v[133:134], -v[135:136]
	v_fma_f64 v[129:130], v[129:130], v[133:134], v[131:132]
	v_add_f64 v[1:2], v[1:2], v[127:128]
	v_add_f64 v[3:4], v[3:4], v[129:130]
	s_andn2_b32 exec_lo, exec_lo, s8
	s_cbranch_execnz .LBB57_684
; %bb.685:
	s_or_b32 exec_lo, exec_lo, s8
.LBB57_686:
	s_or_b32 exec_lo, exec_lo, s6
	v_mov_b32_e32 v8, 0
	ds_read_b128 v[125:128], v8 offset:464
	s_waitcnt lgkmcnt(0)
	v_mul_f64 v[129:130], v[3:4], v[127:128]
	v_mul_f64 v[127:128], v[1:2], v[127:128]
	v_fma_f64 v[1:2], v[1:2], v[125:126], -v[129:130]
	v_fma_f64 v[3:4], v[3:4], v[125:126], v[127:128]
	buffer_store_dword v2, off, s[0:3], 0 offset:468
	buffer_store_dword v1, off, s[0:3], 0 offset:464
	;; [unrolled: 1-line block ×4, first 2 shown]
.LBB57_687:
	s_or_b32 exec_lo, exec_lo, s4
	v_mov_b32_e32 v4, s36
	s_mov_b32 s4, exec_lo
	s_clause 0x3
	buffer_load_dword v1, v4, s[0:3], 0 offen
	buffer_load_dword v2, v4, s[0:3], 0 offen offset:4
	buffer_load_dword v3, v4, s[0:3], 0 offen offset:8
	;; [unrolled: 1-line block ×3, first 2 shown]
	s_waitcnt vmcnt(0)
	ds_write_b128 v6, v[1:4]
	s_waitcnt lgkmcnt(0)
	s_waitcnt_vscnt null, 0x0
	s_barrier
	buffer_gl0_inv
	v_cmpx_gt_u32_e32 30, v0
	s_cbranch_execz .LBB57_695
; %bb.688:
	ds_read_b128 v[1:4], v6
	v_cmp_ne_u32_e32 vcc_lo, 1, v7
	s_cbranch_vccnz .LBB57_690
; %bb.689:
	s_clause 0x3
	buffer_load_dword v125, v5, s[0:3], 0 offen offset:8
	buffer_load_dword v126, v5, s[0:3], 0 offen offset:12
	buffer_load_dword v127, v5, s[0:3], 0 offen
	buffer_load_dword v128, v5, s[0:3], 0 offen offset:4
	s_waitcnt vmcnt(2) lgkmcnt(0)
	v_mul_f64 v[129:130], v[3:4], v[125:126]
	v_mul_f64 v[125:126], v[1:2], v[125:126]
	s_waitcnt vmcnt(0)
	v_fma_f64 v[1:2], v[1:2], v[127:128], -v[129:130]
	v_fma_f64 v[3:4], v[3:4], v[127:128], v[125:126]
.LBB57_690:
	s_mov_b32 s6, exec_lo
	v_cmpx_ne_u32_e32 29, v0
	s_cbranch_execz .LBB57_694
; %bb.691:
	v_add_nc_u32_e32 v8, 0x3b0, v161
	v_add3_u32 v125, 0, v161, 16
	v_mov_b32_e32 v126, v0
	s_mov_b32 s8, 0
	.p2align	6
.LBB57_692:                             ; =>This Inner Loop Header: Depth=1
	s_clause 0x3
	buffer_load_dword v131, v125, s[0:3], 0 offen offset:8
	buffer_load_dword v132, v125, s[0:3], 0 offen offset:12
	buffer_load_dword v133, v125, s[0:3], 0 offen
	buffer_load_dword v134, v125, s[0:3], 0 offen offset:4
	ds_read_b128 v[127:130], v8
	v_add_nc_u32_e32 v126, 1, v126
	v_add_nc_u32_e32 v8, 16, v8
	;; [unrolled: 1-line block ×3, first 2 shown]
	v_cmp_lt_u32_e32 vcc_lo, 28, v126
	s_or_b32 s8, vcc_lo, s8
	s_waitcnt vmcnt(2) lgkmcnt(0)
	v_mul_f64 v[135:136], v[129:130], v[131:132]
	v_mul_f64 v[131:132], v[127:128], v[131:132]
	s_waitcnt vmcnt(0)
	v_fma_f64 v[127:128], v[127:128], v[133:134], -v[135:136]
	v_fma_f64 v[129:130], v[129:130], v[133:134], v[131:132]
	v_add_f64 v[1:2], v[1:2], v[127:128]
	v_add_f64 v[3:4], v[3:4], v[129:130]
	s_andn2_b32 exec_lo, exec_lo, s8
	s_cbranch_execnz .LBB57_692
; %bb.693:
	s_or_b32 exec_lo, exec_lo, s8
.LBB57_694:
	s_or_b32 exec_lo, exec_lo, s6
	v_mov_b32_e32 v8, 0
	ds_read_b128 v[125:128], v8 offset:480
	s_waitcnt lgkmcnt(0)
	v_mul_f64 v[129:130], v[3:4], v[127:128]
	v_mul_f64 v[127:128], v[1:2], v[127:128]
	v_fma_f64 v[1:2], v[1:2], v[125:126], -v[129:130]
	v_fma_f64 v[3:4], v[3:4], v[125:126], v[127:128]
	buffer_store_dword v2, off, s[0:3], 0 offset:484
	buffer_store_dword v1, off, s[0:3], 0 offset:480
	;; [unrolled: 1-line block ×4, first 2 shown]
.LBB57_695:
	s_or_b32 exec_lo, exec_lo, s4
	v_mov_b32_e32 v4, s35
	s_mov_b32 s4, exec_lo
	s_clause 0x3
	buffer_load_dword v1, v4, s[0:3], 0 offen
	buffer_load_dword v2, v4, s[0:3], 0 offen offset:4
	buffer_load_dword v3, v4, s[0:3], 0 offen offset:8
	;; [unrolled: 1-line block ×3, first 2 shown]
	s_waitcnt vmcnt(0)
	ds_write_b128 v6, v[1:4]
	s_waitcnt lgkmcnt(0)
	s_waitcnt_vscnt null, 0x0
	s_barrier
	buffer_gl0_inv
	v_cmpx_gt_u32_e32 31, v0
	s_cbranch_execz .LBB57_703
; %bb.696:
	ds_read_b128 v[1:4], v6
	v_cmp_ne_u32_e32 vcc_lo, 1, v7
	s_cbranch_vccnz .LBB57_698
; %bb.697:
	s_clause 0x3
	buffer_load_dword v125, v5, s[0:3], 0 offen offset:8
	buffer_load_dword v126, v5, s[0:3], 0 offen offset:12
	buffer_load_dword v127, v5, s[0:3], 0 offen
	buffer_load_dword v128, v5, s[0:3], 0 offen offset:4
	s_waitcnt vmcnt(2) lgkmcnt(0)
	v_mul_f64 v[129:130], v[3:4], v[125:126]
	v_mul_f64 v[125:126], v[1:2], v[125:126]
	s_waitcnt vmcnt(0)
	v_fma_f64 v[1:2], v[1:2], v[127:128], -v[129:130]
	v_fma_f64 v[3:4], v[3:4], v[127:128], v[125:126]
.LBB57_698:
	s_mov_b32 s6, exec_lo
	v_cmpx_ne_u32_e32 30, v0
	s_cbranch_execz .LBB57_702
; %bb.699:
	v_add_nc_u32_e32 v8, 0x3b0, v161
	v_add3_u32 v125, 0, v161, 16
	v_mov_b32_e32 v126, v0
	s_mov_b32 s8, 0
	.p2align	6
.LBB57_700:                             ; =>This Inner Loop Header: Depth=1
	s_clause 0x3
	buffer_load_dword v131, v125, s[0:3], 0 offen offset:8
	buffer_load_dword v132, v125, s[0:3], 0 offen offset:12
	buffer_load_dword v133, v125, s[0:3], 0 offen
	buffer_load_dword v134, v125, s[0:3], 0 offen offset:4
	ds_read_b128 v[127:130], v8
	v_add_nc_u32_e32 v126, 1, v126
	v_add_nc_u32_e32 v8, 16, v8
	;; [unrolled: 1-line block ×3, first 2 shown]
	v_cmp_lt_u32_e32 vcc_lo, 29, v126
	s_or_b32 s8, vcc_lo, s8
	s_waitcnt vmcnt(2) lgkmcnt(0)
	v_mul_f64 v[135:136], v[129:130], v[131:132]
	v_mul_f64 v[131:132], v[127:128], v[131:132]
	s_waitcnt vmcnt(0)
	v_fma_f64 v[127:128], v[127:128], v[133:134], -v[135:136]
	v_fma_f64 v[129:130], v[129:130], v[133:134], v[131:132]
	v_add_f64 v[1:2], v[1:2], v[127:128]
	v_add_f64 v[3:4], v[3:4], v[129:130]
	s_andn2_b32 exec_lo, exec_lo, s8
	s_cbranch_execnz .LBB57_700
; %bb.701:
	s_or_b32 exec_lo, exec_lo, s8
.LBB57_702:
	s_or_b32 exec_lo, exec_lo, s6
	v_mov_b32_e32 v8, 0
	ds_read_b128 v[125:128], v8 offset:496
	s_waitcnt lgkmcnt(0)
	v_mul_f64 v[129:130], v[3:4], v[127:128]
	v_mul_f64 v[127:128], v[1:2], v[127:128]
	v_fma_f64 v[1:2], v[1:2], v[125:126], -v[129:130]
	v_fma_f64 v[3:4], v[3:4], v[125:126], v[127:128]
	buffer_store_dword v2, off, s[0:3], 0 offset:500
	buffer_store_dword v1, off, s[0:3], 0 offset:496
	;; [unrolled: 1-line block ×4, first 2 shown]
.LBB57_703:
	s_or_b32 exec_lo, exec_lo, s4
	v_mov_b32_e32 v4, s34
	s_mov_b32 s4, exec_lo
	s_clause 0x3
	buffer_load_dword v1, v4, s[0:3], 0 offen
	buffer_load_dword v2, v4, s[0:3], 0 offen offset:4
	buffer_load_dword v3, v4, s[0:3], 0 offen offset:8
	;; [unrolled: 1-line block ×3, first 2 shown]
	s_waitcnt vmcnt(0)
	ds_write_b128 v6, v[1:4]
	s_waitcnt lgkmcnt(0)
	s_waitcnt_vscnt null, 0x0
	s_barrier
	buffer_gl0_inv
	v_cmpx_gt_u32_e32 32, v0
	s_cbranch_execz .LBB57_711
; %bb.704:
	ds_read_b128 v[1:4], v6
	v_cmp_ne_u32_e32 vcc_lo, 1, v7
	s_cbranch_vccnz .LBB57_706
; %bb.705:
	s_clause 0x3
	buffer_load_dword v125, v5, s[0:3], 0 offen offset:8
	buffer_load_dword v126, v5, s[0:3], 0 offen offset:12
	buffer_load_dword v127, v5, s[0:3], 0 offen
	buffer_load_dword v128, v5, s[0:3], 0 offen offset:4
	s_waitcnt vmcnt(2) lgkmcnt(0)
	v_mul_f64 v[129:130], v[3:4], v[125:126]
	v_mul_f64 v[125:126], v[1:2], v[125:126]
	s_waitcnt vmcnt(0)
	v_fma_f64 v[1:2], v[1:2], v[127:128], -v[129:130]
	v_fma_f64 v[3:4], v[3:4], v[127:128], v[125:126]
.LBB57_706:
	s_mov_b32 s6, exec_lo
	v_cmpx_ne_u32_e32 31, v0
	s_cbranch_execz .LBB57_710
; %bb.707:
	v_add_nc_u32_e32 v8, 0x3b0, v161
	v_add3_u32 v125, 0, v161, 16
	v_mov_b32_e32 v126, v0
	s_mov_b32 s8, 0
	.p2align	6
.LBB57_708:                             ; =>This Inner Loop Header: Depth=1
	s_clause 0x3
	buffer_load_dword v131, v125, s[0:3], 0 offen offset:8
	buffer_load_dword v132, v125, s[0:3], 0 offen offset:12
	buffer_load_dword v133, v125, s[0:3], 0 offen
	buffer_load_dword v134, v125, s[0:3], 0 offen offset:4
	ds_read_b128 v[127:130], v8
	v_add_nc_u32_e32 v126, 1, v126
	v_add_nc_u32_e32 v8, 16, v8
	;; [unrolled: 1-line block ×3, first 2 shown]
	v_cmp_lt_u32_e32 vcc_lo, 30, v126
	s_or_b32 s8, vcc_lo, s8
	s_waitcnt vmcnt(2) lgkmcnt(0)
	v_mul_f64 v[135:136], v[129:130], v[131:132]
	v_mul_f64 v[131:132], v[127:128], v[131:132]
	s_waitcnt vmcnt(0)
	v_fma_f64 v[127:128], v[127:128], v[133:134], -v[135:136]
	v_fma_f64 v[129:130], v[129:130], v[133:134], v[131:132]
	v_add_f64 v[1:2], v[1:2], v[127:128]
	v_add_f64 v[3:4], v[3:4], v[129:130]
	s_andn2_b32 exec_lo, exec_lo, s8
	s_cbranch_execnz .LBB57_708
; %bb.709:
	s_or_b32 exec_lo, exec_lo, s8
.LBB57_710:
	s_or_b32 exec_lo, exec_lo, s6
	v_mov_b32_e32 v8, 0
	ds_read_b128 v[125:128], v8 offset:512
	s_waitcnt lgkmcnt(0)
	v_mul_f64 v[129:130], v[3:4], v[127:128]
	v_mul_f64 v[127:128], v[1:2], v[127:128]
	v_fma_f64 v[1:2], v[1:2], v[125:126], -v[129:130]
	v_fma_f64 v[3:4], v[3:4], v[125:126], v[127:128]
	buffer_store_dword v2, off, s[0:3], 0 offset:516
	buffer_store_dword v1, off, s[0:3], 0 offset:512
	;; [unrolled: 1-line block ×4, first 2 shown]
.LBB57_711:
	s_or_b32 exec_lo, exec_lo, s4
	v_mov_b32_e32 v4, s33
	s_mov_b32 s4, exec_lo
	s_clause 0x3
	buffer_load_dword v1, v4, s[0:3], 0 offen
	buffer_load_dword v2, v4, s[0:3], 0 offen offset:4
	buffer_load_dword v3, v4, s[0:3], 0 offen offset:8
	;; [unrolled: 1-line block ×3, first 2 shown]
	s_waitcnt vmcnt(0)
	ds_write_b128 v6, v[1:4]
	s_waitcnt lgkmcnt(0)
	s_waitcnt_vscnt null, 0x0
	s_barrier
	buffer_gl0_inv
	v_cmpx_gt_u32_e32 33, v0
	s_cbranch_execz .LBB57_719
; %bb.712:
	ds_read_b128 v[1:4], v6
	v_cmp_ne_u32_e32 vcc_lo, 1, v7
	s_cbranch_vccnz .LBB57_714
; %bb.713:
	s_clause 0x3
	buffer_load_dword v125, v5, s[0:3], 0 offen offset:8
	buffer_load_dword v126, v5, s[0:3], 0 offen offset:12
	buffer_load_dword v127, v5, s[0:3], 0 offen
	buffer_load_dword v128, v5, s[0:3], 0 offen offset:4
	s_waitcnt vmcnt(2) lgkmcnt(0)
	v_mul_f64 v[129:130], v[3:4], v[125:126]
	v_mul_f64 v[125:126], v[1:2], v[125:126]
	s_waitcnt vmcnt(0)
	v_fma_f64 v[1:2], v[1:2], v[127:128], -v[129:130]
	v_fma_f64 v[3:4], v[3:4], v[127:128], v[125:126]
.LBB57_714:
	s_mov_b32 s6, exec_lo
	v_cmpx_ne_u32_e32 32, v0
	s_cbranch_execz .LBB57_718
; %bb.715:
	v_add_nc_u32_e32 v8, 0x3b0, v161
	v_add3_u32 v125, 0, v161, 16
	v_mov_b32_e32 v126, v0
	s_mov_b32 s8, 0
	.p2align	6
.LBB57_716:                             ; =>This Inner Loop Header: Depth=1
	s_clause 0x3
	buffer_load_dword v131, v125, s[0:3], 0 offen offset:8
	buffer_load_dword v132, v125, s[0:3], 0 offen offset:12
	buffer_load_dword v133, v125, s[0:3], 0 offen
	buffer_load_dword v134, v125, s[0:3], 0 offen offset:4
	ds_read_b128 v[127:130], v8
	v_add_nc_u32_e32 v126, 1, v126
	v_add_nc_u32_e32 v8, 16, v8
	;; [unrolled: 1-line block ×3, first 2 shown]
	v_cmp_lt_u32_e32 vcc_lo, 31, v126
	s_or_b32 s8, vcc_lo, s8
	s_waitcnt vmcnt(2) lgkmcnt(0)
	v_mul_f64 v[135:136], v[129:130], v[131:132]
	v_mul_f64 v[131:132], v[127:128], v[131:132]
	s_waitcnt vmcnt(0)
	v_fma_f64 v[127:128], v[127:128], v[133:134], -v[135:136]
	v_fma_f64 v[129:130], v[129:130], v[133:134], v[131:132]
	v_add_f64 v[1:2], v[1:2], v[127:128]
	v_add_f64 v[3:4], v[3:4], v[129:130]
	s_andn2_b32 exec_lo, exec_lo, s8
	s_cbranch_execnz .LBB57_716
; %bb.717:
	s_or_b32 exec_lo, exec_lo, s8
.LBB57_718:
	s_or_b32 exec_lo, exec_lo, s6
	v_mov_b32_e32 v8, 0
	ds_read_b128 v[125:128], v8 offset:528
	s_waitcnt lgkmcnt(0)
	v_mul_f64 v[129:130], v[3:4], v[127:128]
	v_mul_f64 v[127:128], v[1:2], v[127:128]
	v_fma_f64 v[1:2], v[1:2], v[125:126], -v[129:130]
	v_fma_f64 v[3:4], v[3:4], v[125:126], v[127:128]
	buffer_store_dword v2, off, s[0:3], 0 offset:532
	buffer_store_dword v1, off, s[0:3], 0 offset:528
	;; [unrolled: 1-line block ×4, first 2 shown]
.LBB57_719:
	s_or_b32 exec_lo, exec_lo, s4
	v_mov_b32_e32 v4, s31
	s_mov_b32 s4, exec_lo
	s_clause 0x3
	buffer_load_dword v1, v4, s[0:3], 0 offen
	buffer_load_dword v2, v4, s[0:3], 0 offen offset:4
	buffer_load_dword v3, v4, s[0:3], 0 offen offset:8
	buffer_load_dword v4, v4, s[0:3], 0 offen offset:12
	s_waitcnt vmcnt(0)
	ds_write_b128 v6, v[1:4]
	s_waitcnt lgkmcnt(0)
	s_waitcnt_vscnt null, 0x0
	s_barrier
	buffer_gl0_inv
	v_cmpx_gt_u32_e32 34, v0
	s_cbranch_execz .LBB57_727
; %bb.720:
	ds_read_b128 v[1:4], v6
	v_cmp_ne_u32_e32 vcc_lo, 1, v7
	s_cbranch_vccnz .LBB57_722
; %bb.721:
	s_clause 0x3
	buffer_load_dword v125, v5, s[0:3], 0 offen offset:8
	buffer_load_dword v126, v5, s[0:3], 0 offen offset:12
	buffer_load_dword v127, v5, s[0:3], 0 offen
	buffer_load_dword v128, v5, s[0:3], 0 offen offset:4
	s_waitcnt vmcnt(2) lgkmcnt(0)
	v_mul_f64 v[129:130], v[3:4], v[125:126]
	v_mul_f64 v[125:126], v[1:2], v[125:126]
	s_waitcnt vmcnt(0)
	v_fma_f64 v[1:2], v[1:2], v[127:128], -v[129:130]
	v_fma_f64 v[3:4], v[3:4], v[127:128], v[125:126]
.LBB57_722:
	s_mov_b32 s6, exec_lo
	v_cmpx_ne_u32_e32 33, v0
	s_cbranch_execz .LBB57_726
; %bb.723:
	v_add_nc_u32_e32 v8, 0x3b0, v161
	v_add3_u32 v125, 0, v161, 16
	v_mov_b32_e32 v126, v0
	s_mov_b32 s8, 0
	.p2align	6
.LBB57_724:                             ; =>This Inner Loop Header: Depth=1
	s_clause 0x3
	buffer_load_dword v131, v125, s[0:3], 0 offen offset:8
	buffer_load_dword v132, v125, s[0:3], 0 offen offset:12
	buffer_load_dword v133, v125, s[0:3], 0 offen
	buffer_load_dword v134, v125, s[0:3], 0 offen offset:4
	ds_read_b128 v[127:130], v8
	v_add_nc_u32_e32 v126, 1, v126
	v_add_nc_u32_e32 v8, 16, v8
	;; [unrolled: 1-line block ×3, first 2 shown]
	v_cmp_lt_u32_e32 vcc_lo, 32, v126
	s_or_b32 s8, vcc_lo, s8
	s_waitcnt vmcnt(2) lgkmcnt(0)
	v_mul_f64 v[135:136], v[129:130], v[131:132]
	v_mul_f64 v[131:132], v[127:128], v[131:132]
	s_waitcnt vmcnt(0)
	v_fma_f64 v[127:128], v[127:128], v[133:134], -v[135:136]
	v_fma_f64 v[129:130], v[129:130], v[133:134], v[131:132]
	v_add_f64 v[1:2], v[1:2], v[127:128]
	v_add_f64 v[3:4], v[3:4], v[129:130]
	s_andn2_b32 exec_lo, exec_lo, s8
	s_cbranch_execnz .LBB57_724
; %bb.725:
	s_or_b32 exec_lo, exec_lo, s8
.LBB57_726:
	s_or_b32 exec_lo, exec_lo, s6
	v_mov_b32_e32 v8, 0
	ds_read_b128 v[125:128], v8 offset:544
	s_waitcnt lgkmcnt(0)
	v_mul_f64 v[129:130], v[3:4], v[127:128]
	v_mul_f64 v[127:128], v[1:2], v[127:128]
	v_fma_f64 v[1:2], v[1:2], v[125:126], -v[129:130]
	v_fma_f64 v[3:4], v[3:4], v[125:126], v[127:128]
	buffer_store_dword v2, off, s[0:3], 0 offset:548
	buffer_store_dword v1, off, s[0:3], 0 offset:544
	;; [unrolled: 1-line block ×4, first 2 shown]
.LBB57_727:
	s_or_b32 exec_lo, exec_lo, s4
	v_mov_b32_e32 v4, s30
	s_mov_b32 s4, exec_lo
	s_clause 0x3
	buffer_load_dword v1, v4, s[0:3], 0 offen
	buffer_load_dword v2, v4, s[0:3], 0 offen offset:4
	buffer_load_dword v3, v4, s[0:3], 0 offen offset:8
	;; [unrolled: 1-line block ×3, first 2 shown]
	s_waitcnt vmcnt(0)
	ds_write_b128 v6, v[1:4]
	s_waitcnt lgkmcnt(0)
	s_waitcnt_vscnt null, 0x0
	s_barrier
	buffer_gl0_inv
	v_cmpx_gt_u32_e32 35, v0
	s_cbranch_execz .LBB57_735
; %bb.728:
	ds_read_b128 v[1:4], v6
	v_cmp_ne_u32_e32 vcc_lo, 1, v7
	s_cbranch_vccnz .LBB57_730
; %bb.729:
	s_clause 0x3
	buffer_load_dword v125, v5, s[0:3], 0 offen offset:8
	buffer_load_dword v126, v5, s[0:3], 0 offen offset:12
	buffer_load_dword v127, v5, s[0:3], 0 offen
	buffer_load_dword v128, v5, s[0:3], 0 offen offset:4
	s_waitcnt vmcnt(2) lgkmcnt(0)
	v_mul_f64 v[129:130], v[3:4], v[125:126]
	v_mul_f64 v[125:126], v[1:2], v[125:126]
	s_waitcnt vmcnt(0)
	v_fma_f64 v[1:2], v[1:2], v[127:128], -v[129:130]
	v_fma_f64 v[3:4], v[3:4], v[127:128], v[125:126]
.LBB57_730:
	s_mov_b32 s6, exec_lo
	v_cmpx_ne_u32_e32 34, v0
	s_cbranch_execz .LBB57_734
; %bb.731:
	v_add_nc_u32_e32 v8, 0x3b0, v161
	v_add3_u32 v125, 0, v161, 16
	v_mov_b32_e32 v126, v0
	s_mov_b32 s8, 0
	.p2align	6
.LBB57_732:                             ; =>This Inner Loop Header: Depth=1
	s_clause 0x3
	buffer_load_dword v131, v125, s[0:3], 0 offen offset:8
	buffer_load_dword v132, v125, s[0:3], 0 offen offset:12
	buffer_load_dword v133, v125, s[0:3], 0 offen
	buffer_load_dword v134, v125, s[0:3], 0 offen offset:4
	ds_read_b128 v[127:130], v8
	v_add_nc_u32_e32 v126, 1, v126
	v_add_nc_u32_e32 v8, 16, v8
	;; [unrolled: 1-line block ×3, first 2 shown]
	v_cmp_lt_u32_e32 vcc_lo, 33, v126
	s_or_b32 s8, vcc_lo, s8
	s_waitcnt vmcnt(2) lgkmcnt(0)
	v_mul_f64 v[135:136], v[129:130], v[131:132]
	v_mul_f64 v[131:132], v[127:128], v[131:132]
	s_waitcnt vmcnt(0)
	v_fma_f64 v[127:128], v[127:128], v[133:134], -v[135:136]
	v_fma_f64 v[129:130], v[129:130], v[133:134], v[131:132]
	v_add_f64 v[1:2], v[1:2], v[127:128]
	v_add_f64 v[3:4], v[3:4], v[129:130]
	s_andn2_b32 exec_lo, exec_lo, s8
	s_cbranch_execnz .LBB57_732
; %bb.733:
	s_or_b32 exec_lo, exec_lo, s8
.LBB57_734:
	s_or_b32 exec_lo, exec_lo, s6
	v_mov_b32_e32 v8, 0
	ds_read_b128 v[125:128], v8 offset:560
	s_waitcnt lgkmcnt(0)
	v_mul_f64 v[129:130], v[3:4], v[127:128]
	v_mul_f64 v[127:128], v[1:2], v[127:128]
	v_fma_f64 v[1:2], v[1:2], v[125:126], -v[129:130]
	v_fma_f64 v[3:4], v[3:4], v[125:126], v[127:128]
	buffer_store_dword v2, off, s[0:3], 0 offset:564
	buffer_store_dword v1, off, s[0:3], 0 offset:560
	;; [unrolled: 1-line block ×4, first 2 shown]
.LBB57_735:
	s_or_b32 exec_lo, exec_lo, s4
	v_mov_b32_e32 v4, s29
	s_mov_b32 s4, exec_lo
	s_clause 0x3
	buffer_load_dword v1, v4, s[0:3], 0 offen
	buffer_load_dword v2, v4, s[0:3], 0 offen offset:4
	buffer_load_dword v3, v4, s[0:3], 0 offen offset:8
	;; [unrolled: 1-line block ×3, first 2 shown]
	s_waitcnt vmcnt(0)
	ds_write_b128 v6, v[1:4]
	s_waitcnt lgkmcnt(0)
	s_waitcnt_vscnt null, 0x0
	s_barrier
	buffer_gl0_inv
	v_cmpx_gt_u32_e32 36, v0
	s_cbranch_execz .LBB57_743
; %bb.736:
	ds_read_b128 v[1:4], v6
	v_cmp_ne_u32_e32 vcc_lo, 1, v7
	s_cbranch_vccnz .LBB57_738
; %bb.737:
	s_clause 0x3
	buffer_load_dword v125, v5, s[0:3], 0 offen offset:8
	buffer_load_dword v126, v5, s[0:3], 0 offen offset:12
	buffer_load_dword v127, v5, s[0:3], 0 offen
	buffer_load_dword v128, v5, s[0:3], 0 offen offset:4
	s_waitcnt vmcnt(2) lgkmcnt(0)
	v_mul_f64 v[129:130], v[3:4], v[125:126]
	v_mul_f64 v[125:126], v[1:2], v[125:126]
	s_waitcnt vmcnt(0)
	v_fma_f64 v[1:2], v[1:2], v[127:128], -v[129:130]
	v_fma_f64 v[3:4], v[3:4], v[127:128], v[125:126]
.LBB57_738:
	s_mov_b32 s6, exec_lo
	v_cmpx_ne_u32_e32 35, v0
	s_cbranch_execz .LBB57_742
; %bb.739:
	v_add_nc_u32_e32 v8, 0x3b0, v161
	v_add3_u32 v125, 0, v161, 16
	v_mov_b32_e32 v126, v0
	s_mov_b32 s8, 0
	.p2align	6
.LBB57_740:                             ; =>This Inner Loop Header: Depth=1
	s_clause 0x3
	buffer_load_dword v131, v125, s[0:3], 0 offen offset:8
	buffer_load_dword v132, v125, s[0:3], 0 offen offset:12
	buffer_load_dword v133, v125, s[0:3], 0 offen
	buffer_load_dword v134, v125, s[0:3], 0 offen offset:4
	ds_read_b128 v[127:130], v8
	v_add_nc_u32_e32 v126, 1, v126
	v_add_nc_u32_e32 v8, 16, v8
	;; [unrolled: 1-line block ×3, first 2 shown]
	v_cmp_lt_u32_e32 vcc_lo, 34, v126
	s_or_b32 s8, vcc_lo, s8
	s_waitcnt vmcnt(2) lgkmcnt(0)
	v_mul_f64 v[135:136], v[129:130], v[131:132]
	v_mul_f64 v[131:132], v[127:128], v[131:132]
	s_waitcnt vmcnt(0)
	v_fma_f64 v[127:128], v[127:128], v[133:134], -v[135:136]
	v_fma_f64 v[129:130], v[129:130], v[133:134], v[131:132]
	v_add_f64 v[1:2], v[1:2], v[127:128]
	v_add_f64 v[3:4], v[3:4], v[129:130]
	s_andn2_b32 exec_lo, exec_lo, s8
	s_cbranch_execnz .LBB57_740
; %bb.741:
	s_or_b32 exec_lo, exec_lo, s8
.LBB57_742:
	s_or_b32 exec_lo, exec_lo, s6
	v_mov_b32_e32 v8, 0
	ds_read_b128 v[125:128], v8 offset:576
	s_waitcnt lgkmcnt(0)
	v_mul_f64 v[129:130], v[3:4], v[127:128]
	v_mul_f64 v[127:128], v[1:2], v[127:128]
	v_fma_f64 v[1:2], v[1:2], v[125:126], -v[129:130]
	v_fma_f64 v[3:4], v[3:4], v[125:126], v[127:128]
	buffer_store_dword v2, off, s[0:3], 0 offset:580
	buffer_store_dword v1, off, s[0:3], 0 offset:576
	;; [unrolled: 1-line block ×4, first 2 shown]
.LBB57_743:
	s_or_b32 exec_lo, exec_lo, s4
	v_mov_b32_e32 v4, s28
	s_mov_b32 s4, exec_lo
	s_clause 0x3
	buffer_load_dword v1, v4, s[0:3], 0 offen
	buffer_load_dword v2, v4, s[0:3], 0 offen offset:4
	buffer_load_dword v3, v4, s[0:3], 0 offen offset:8
	;; [unrolled: 1-line block ×3, first 2 shown]
	s_waitcnt vmcnt(0)
	ds_write_b128 v6, v[1:4]
	s_waitcnt lgkmcnt(0)
	s_waitcnt_vscnt null, 0x0
	s_barrier
	buffer_gl0_inv
	v_cmpx_gt_u32_e32 37, v0
	s_cbranch_execz .LBB57_751
; %bb.744:
	ds_read_b128 v[1:4], v6
	v_cmp_ne_u32_e32 vcc_lo, 1, v7
	s_cbranch_vccnz .LBB57_746
; %bb.745:
	s_clause 0x3
	buffer_load_dword v125, v5, s[0:3], 0 offen offset:8
	buffer_load_dword v126, v5, s[0:3], 0 offen offset:12
	buffer_load_dword v127, v5, s[0:3], 0 offen
	buffer_load_dword v128, v5, s[0:3], 0 offen offset:4
	s_waitcnt vmcnt(2) lgkmcnt(0)
	v_mul_f64 v[129:130], v[3:4], v[125:126]
	v_mul_f64 v[125:126], v[1:2], v[125:126]
	s_waitcnt vmcnt(0)
	v_fma_f64 v[1:2], v[1:2], v[127:128], -v[129:130]
	v_fma_f64 v[3:4], v[3:4], v[127:128], v[125:126]
.LBB57_746:
	s_mov_b32 s6, exec_lo
	v_cmpx_ne_u32_e32 36, v0
	s_cbranch_execz .LBB57_750
; %bb.747:
	v_add_nc_u32_e32 v8, 0x3b0, v161
	v_add3_u32 v125, 0, v161, 16
	v_mov_b32_e32 v126, v0
	s_mov_b32 s8, 0
	.p2align	6
.LBB57_748:                             ; =>This Inner Loop Header: Depth=1
	s_clause 0x3
	buffer_load_dword v131, v125, s[0:3], 0 offen offset:8
	buffer_load_dword v132, v125, s[0:3], 0 offen offset:12
	buffer_load_dword v133, v125, s[0:3], 0 offen
	buffer_load_dword v134, v125, s[0:3], 0 offen offset:4
	ds_read_b128 v[127:130], v8
	v_add_nc_u32_e32 v126, 1, v126
	v_add_nc_u32_e32 v8, 16, v8
	;; [unrolled: 1-line block ×3, first 2 shown]
	v_cmp_lt_u32_e32 vcc_lo, 35, v126
	s_or_b32 s8, vcc_lo, s8
	s_waitcnt vmcnt(2) lgkmcnt(0)
	v_mul_f64 v[135:136], v[129:130], v[131:132]
	v_mul_f64 v[131:132], v[127:128], v[131:132]
	s_waitcnt vmcnt(0)
	v_fma_f64 v[127:128], v[127:128], v[133:134], -v[135:136]
	v_fma_f64 v[129:130], v[129:130], v[133:134], v[131:132]
	v_add_f64 v[1:2], v[1:2], v[127:128]
	v_add_f64 v[3:4], v[3:4], v[129:130]
	s_andn2_b32 exec_lo, exec_lo, s8
	s_cbranch_execnz .LBB57_748
; %bb.749:
	s_or_b32 exec_lo, exec_lo, s8
.LBB57_750:
	s_or_b32 exec_lo, exec_lo, s6
	v_mov_b32_e32 v8, 0
	ds_read_b128 v[125:128], v8 offset:592
	s_waitcnt lgkmcnt(0)
	v_mul_f64 v[129:130], v[3:4], v[127:128]
	v_mul_f64 v[127:128], v[1:2], v[127:128]
	v_fma_f64 v[1:2], v[1:2], v[125:126], -v[129:130]
	v_fma_f64 v[3:4], v[3:4], v[125:126], v[127:128]
	buffer_store_dword v2, off, s[0:3], 0 offset:596
	buffer_store_dword v1, off, s[0:3], 0 offset:592
	;; [unrolled: 1-line block ×4, first 2 shown]
.LBB57_751:
	s_or_b32 exec_lo, exec_lo, s4
	v_mov_b32_e32 v4, s27
	s_mov_b32 s4, exec_lo
	s_clause 0x3
	buffer_load_dword v1, v4, s[0:3], 0 offen
	buffer_load_dword v2, v4, s[0:3], 0 offen offset:4
	buffer_load_dword v3, v4, s[0:3], 0 offen offset:8
	;; [unrolled: 1-line block ×3, first 2 shown]
	s_waitcnt vmcnt(0)
	ds_write_b128 v6, v[1:4]
	s_waitcnt lgkmcnt(0)
	s_waitcnt_vscnt null, 0x0
	s_barrier
	buffer_gl0_inv
	v_cmpx_gt_u32_e32 38, v0
	s_cbranch_execz .LBB57_759
; %bb.752:
	ds_read_b128 v[1:4], v6
	v_cmp_ne_u32_e32 vcc_lo, 1, v7
	s_cbranch_vccnz .LBB57_754
; %bb.753:
	s_clause 0x3
	buffer_load_dword v125, v5, s[0:3], 0 offen offset:8
	buffer_load_dword v126, v5, s[0:3], 0 offen offset:12
	buffer_load_dword v127, v5, s[0:3], 0 offen
	buffer_load_dword v128, v5, s[0:3], 0 offen offset:4
	s_waitcnt vmcnt(2) lgkmcnt(0)
	v_mul_f64 v[129:130], v[3:4], v[125:126]
	v_mul_f64 v[125:126], v[1:2], v[125:126]
	s_waitcnt vmcnt(0)
	v_fma_f64 v[1:2], v[1:2], v[127:128], -v[129:130]
	v_fma_f64 v[3:4], v[3:4], v[127:128], v[125:126]
.LBB57_754:
	s_mov_b32 s6, exec_lo
	v_cmpx_ne_u32_e32 37, v0
	s_cbranch_execz .LBB57_758
; %bb.755:
	v_add_nc_u32_e32 v8, 0x3b0, v161
	v_add3_u32 v125, 0, v161, 16
	v_mov_b32_e32 v126, v0
	s_mov_b32 s8, 0
	.p2align	6
.LBB57_756:                             ; =>This Inner Loop Header: Depth=1
	s_clause 0x3
	buffer_load_dword v131, v125, s[0:3], 0 offen offset:8
	buffer_load_dword v132, v125, s[0:3], 0 offen offset:12
	buffer_load_dword v133, v125, s[0:3], 0 offen
	buffer_load_dword v134, v125, s[0:3], 0 offen offset:4
	ds_read_b128 v[127:130], v8
	v_add_nc_u32_e32 v126, 1, v126
	v_add_nc_u32_e32 v8, 16, v8
	;; [unrolled: 1-line block ×3, first 2 shown]
	v_cmp_lt_u32_e32 vcc_lo, 36, v126
	s_or_b32 s8, vcc_lo, s8
	s_waitcnt vmcnt(2) lgkmcnt(0)
	v_mul_f64 v[135:136], v[129:130], v[131:132]
	v_mul_f64 v[131:132], v[127:128], v[131:132]
	s_waitcnt vmcnt(0)
	v_fma_f64 v[127:128], v[127:128], v[133:134], -v[135:136]
	v_fma_f64 v[129:130], v[129:130], v[133:134], v[131:132]
	v_add_f64 v[1:2], v[1:2], v[127:128]
	v_add_f64 v[3:4], v[3:4], v[129:130]
	s_andn2_b32 exec_lo, exec_lo, s8
	s_cbranch_execnz .LBB57_756
; %bb.757:
	s_or_b32 exec_lo, exec_lo, s8
.LBB57_758:
	s_or_b32 exec_lo, exec_lo, s6
	v_mov_b32_e32 v8, 0
	ds_read_b128 v[125:128], v8 offset:608
	s_waitcnt lgkmcnt(0)
	v_mul_f64 v[129:130], v[3:4], v[127:128]
	v_mul_f64 v[127:128], v[1:2], v[127:128]
	v_fma_f64 v[1:2], v[1:2], v[125:126], -v[129:130]
	v_fma_f64 v[3:4], v[3:4], v[125:126], v[127:128]
	buffer_store_dword v2, off, s[0:3], 0 offset:612
	buffer_store_dword v1, off, s[0:3], 0 offset:608
	;; [unrolled: 1-line block ×4, first 2 shown]
.LBB57_759:
	s_or_b32 exec_lo, exec_lo, s4
	v_mov_b32_e32 v4, s26
	s_mov_b32 s4, exec_lo
	s_clause 0x3
	buffer_load_dword v1, v4, s[0:3], 0 offen
	buffer_load_dword v2, v4, s[0:3], 0 offen offset:4
	buffer_load_dword v3, v4, s[0:3], 0 offen offset:8
	;; [unrolled: 1-line block ×3, first 2 shown]
	s_waitcnt vmcnt(0)
	ds_write_b128 v6, v[1:4]
	s_waitcnt lgkmcnt(0)
	s_waitcnt_vscnt null, 0x0
	s_barrier
	buffer_gl0_inv
	v_cmpx_gt_u32_e32 39, v0
	s_cbranch_execz .LBB57_767
; %bb.760:
	ds_read_b128 v[1:4], v6
	v_cmp_ne_u32_e32 vcc_lo, 1, v7
	s_cbranch_vccnz .LBB57_762
; %bb.761:
	s_clause 0x3
	buffer_load_dword v125, v5, s[0:3], 0 offen offset:8
	buffer_load_dword v126, v5, s[0:3], 0 offen offset:12
	buffer_load_dword v127, v5, s[0:3], 0 offen
	buffer_load_dword v128, v5, s[0:3], 0 offen offset:4
	s_waitcnt vmcnt(2) lgkmcnt(0)
	v_mul_f64 v[129:130], v[3:4], v[125:126]
	v_mul_f64 v[125:126], v[1:2], v[125:126]
	s_waitcnt vmcnt(0)
	v_fma_f64 v[1:2], v[1:2], v[127:128], -v[129:130]
	v_fma_f64 v[3:4], v[3:4], v[127:128], v[125:126]
.LBB57_762:
	s_mov_b32 s6, exec_lo
	v_cmpx_ne_u32_e32 38, v0
	s_cbranch_execz .LBB57_766
; %bb.763:
	v_add_nc_u32_e32 v8, 0x3b0, v161
	v_add3_u32 v125, 0, v161, 16
	v_mov_b32_e32 v126, v0
	s_mov_b32 s8, 0
	.p2align	6
.LBB57_764:                             ; =>This Inner Loop Header: Depth=1
	s_clause 0x3
	buffer_load_dword v131, v125, s[0:3], 0 offen offset:8
	buffer_load_dword v132, v125, s[0:3], 0 offen offset:12
	buffer_load_dword v133, v125, s[0:3], 0 offen
	buffer_load_dword v134, v125, s[0:3], 0 offen offset:4
	ds_read_b128 v[127:130], v8
	v_add_nc_u32_e32 v126, 1, v126
	v_add_nc_u32_e32 v8, 16, v8
	;; [unrolled: 1-line block ×3, first 2 shown]
	v_cmp_lt_u32_e32 vcc_lo, 37, v126
	s_or_b32 s8, vcc_lo, s8
	s_waitcnt vmcnt(2) lgkmcnt(0)
	v_mul_f64 v[135:136], v[129:130], v[131:132]
	v_mul_f64 v[131:132], v[127:128], v[131:132]
	s_waitcnt vmcnt(0)
	v_fma_f64 v[127:128], v[127:128], v[133:134], -v[135:136]
	v_fma_f64 v[129:130], v[129:130], v[133:134], v[131:132]
	v_add_f64 v[1:2], v[1:2], v[127:128]
	v_add_f64 v[3:4], v[3:4], v[129:130]
	s_andn2_b32 exec_lo, exec_lo, s8
	s_cbranch_execnz .LBB57_764
; %bb.765:
	s_or_b32 exec_lo, exec_lo, s8
.LBB57_766:
	s_or_b32 exec_lo, exec_lo, s6
	v_mov_b32_e32 v8, 0
	ds_read_b128 v[125:128], v8 offset:624
	s_waitcnt lgkmcnt(0)
	v_mul_f64 v[129:130], v[3:4], v[127:128]
	v_mul_f64 v[127:128], v[1:2], v[127:128]
	v_fma_f64 v[1:2], v[1:2], v[125:126], -v[129:130]
	v_fma_f64 v[3:4], v[3:4], v[125:126], v[127:128]
	buffer_store_dword v2, off, s[0:3], 0 offset:628
	buffer_store_dword v1, off, s[0:3], 0 offset:624
	;; [unrolled: 1-line block ×4, first 2 shown]
.LBB57_767:
	s_or_b32 exec_lo, exec_lo, s4
	v_mov_b32_e32 v4, s25
	s_mov_b32 s4, exec_lo
	s_clause 0x3
	buffer_load_dword v1, v4, s[0:3], 0 offen
	buffer_load_dword v2, v4, s[0:3], 0 offen offset:4
	buffer_load_dword v3, v4, s[0:3], 0 offen offset:8
	;; [unrolled: 1-line block ×3, first 2 shown]
	s_waitcnt vmcnt(0)
	ds_write_b128 v6, v[1:4]
	s_waitcnt lgkmcnt(0)
	s_waitcnt_vscnt null, 0x0
	s_barrier
	buffer_gl0_inv
	v_cmpx_gt_u32_e32 40, v0
	s_cbranch_execz .LBB57_775
; %bb.768:
	ds_read_b128 v[1:4], v6
	v_cmp_ne_u32_e32 vcc_lo, 1, v7
	s_cbranch_vccnz .LBB57_770
; %bb.769:
	s_clause 0x3
	buffer_load_dword v125, v5, s[0:3], 0 offen offset:8
	buffer_load_dword v126, v5, s[0:3], 0 offen offset:12
	buffer_load_dword v127, v5, s[0:3], 0 offen
	buffer_load_dword v128, v5, s[0:3], 0 offen offset:4
	s_waitcnt vmcnt(2) lgkmcnt(0)
	v_mul_f64 v[129:130], v[3:4], v[125:126]
	v_mul_f64 v[125:126], v[1:2], v[125:126]
	s_waitcnt vmcnt(0)
	v_fma_f64 v[1:2], v[1:2], v[127:128], -v[129:130]
	v_fma_f64 v[3:4], v[3:4], v[127:128], v[125:126]
.LBB57_770:
	s_mov_b32 s6, exec_lo
	v_cmpx_ne_u32_e32 39, v0
	s_cbranch_execz .LBB57_774
; %bb.771:
	v_add_nc_u32_e32 v8, 0x3b0, v161
	v_add3_u32 v125, 0, v161, 16
	v_mov_b32_e32 v126, v0
	s_mov_b32 s8, 0
	.p2align	6
.LBB57_772:                             ; =>This Inner Loop Header: Depth=1
	s_clause 0x3
	buffer_load_dword v131, v125, s[0:3], 0 offen offset:8
	buffer_load_dword v132, v125, s[0:3], 0 offen offset:12
	buffer_load_dword v133, v125, s[0:3], 0 offen
	buffer_load_dword v134, v125, s[0:3], 0 offen offset:4
	ds_read_b128 v[127:130], v8
	v_add_nc_u32_e32 v126, 1, v126
	v_add_nc_u32_e32 v8, 16, v8
	;; [unrolled: 1-line block ×3, first 2 shown]
	v_cmp_lt_u32_e32 vcc_lo, 38, v126
	s_or_b32 s8, vcc_lo, s8
	s_waitcnt vmcnt(2) lgkmcnt(0)
	v_mul_f64 v[135:136], v[129:130], v[131:132]
	v_mul_f64 v[131:132], v[127:128], v[131:132]
	s_waitcnt vmcnt(0)
	v_fma_f64 v[127:128], v[127:128], v[133:134], -v[135:136]
	v_fma_f64 v[129:130], v[129:130], v[133:134], v[131:132]
	v_add_f64 v[1:2], v[1:2], v[127:128]
	v_add_f64 v[3:4], v[3:4], v[129:130]
	s_andn2_b32 exec_lo, exec_lo, s8
	s_cbranch_execnz .LBB57_772
; %bb.773:
	s_or_b32 exec_lo, exec_lo, s8
.LBB57_774:
	s_or_b32 exec_lo, exec_lo, s6
	v_mov_b32_e32 v8, 0
	ds_read_b128 v[125:128], v8 offset:640
	s_waitcnt lgkmcnt(0)
	v_mul_f64 v[129:130], v[3:4], v[127:128]
	v_mul_f64 v[127:128], v[1:2], v[127:128]
	v_fma_f64 v[1:2], v[1:2], v[125:126], -v[129:130]
	v_fma_f64 v[3:4], v[3:4], v[125:126], v[127:128]
	buffer_store_dword v2, off, s[0:3], 0 offset:644
	buffer_store_dword v1, off, s[0:3], 0 offset:640
	;; [unrolled: 1-line block ×4, first 2 shown]
.LBB57_775:
	s_or_b32 exec_lo, exec_lo, s4
	v_mov_b32_e32 v4, s24
	s_mov_b32 s4, exec_lo
	s_clause 0x3
	buffer_load_dword v1, v4, s[0:3], 0 offen
	buffer_load_dword v2, v4, s[0:3], 0 offen offset:4
	buffer_load_dword v3, v4, s[0:3], 0 offen offset:8
	;; [unrolled: 1-line block ×3, first 2 shown]
	s_waitcnt vmcnt(0)
	ds_write_b128 v6, v[1:4]
	s_waitcnt lgkmcnt(0)
	s_waitcnt_vscnt null, 0x0
	s_barrier
	buffer_gl0_inv
	v_cmpx_gt_u32_e32 41, v0
	s_cbranch_execz .LBB57_783
; %bb.776:
	ds_read_b128 v[1:4], v6
	v_cmp_ne_u32_e32 vcc_lo, 1, v7
	s_cbranch_vccnz .LBB57_778
; %bb.777:
	s_clause 0x3
	buffer_load_dword v125, v5, s[0:3], 0 offen offset:8
	buffer_load_dword v126, v5, s[0:3], 0 offen offset:12
	buffer_load_dword v127, v5, s[0:3], 0 offen
	buffer_load_dword v128, v5, s[0:3], 0 offen offset:4
	s_waitcnt vmcnt(2) lgkmcnt(0)
	v_mul_f64 v[129:130], v[3:4], v[125:126]
	v_mul_f64 v[125:126], v[1:2], v[125:126]
	s_waitcnt vmcnt(0)
	v_fma_f64 v[1:2], v[1:2], v[127:128], -v[129:130]
	v_fma_f64 v[3:4], v[3:4], v[127:128], v[125:126]
.LBB57_778:
	s_mov_b32 s6, exec_lo
	v_cmpx_ne_u32_e32 40, v0
	s_cbranch_execz .LBB57_782
; %bb.779:
	v_add_nc_u32_e32 v8, 0x3b0, v161
	v_add3_u32 v125, 0, v161, 16
	v_mov_b32_e32 v126, v0
	s_mov_b32 s8, 0
	.p2align	6
.LBB57_780:                             ; =>This Inner Loop Header: Depth=1
	s_clause 0x3
	buffer_load_dword v131, v125, s[0:3], 0 offen offset:8
	buffer_load_dword v132, v125, s[0:3], 0 offen offset:12
	buffer_load_dword v133, v125, s[0:3], 0 offen
	buffer_load_dword v134, v125, s[0:3], 0 offen offset:4
	ds_read_b128 v[127:130], v8
	v_add_nc_u32_e32 v126, 1, v126
	v_add_nc_u32_e32 v8, 16, v8
	;; [unrolled: 1-line block ×3, first 2 shown]
	v_cmp_lt_u32_e32 vcc_lo, 39, v126
	s_or_b32 s8, vcc_lo, s8
	s_waitcnt vmcnt(2) lgkmcnt(0)
	v_mul_f64 v[135:136], v[129:130], v[131:132]
	v_mul_f64 v[131:132], v[127:128], v[131:132]
	s_waitcnt vmcnt(0)
	v_fma_f64 v[127:128], v[127:128], v[133:134], -v[135:136]
	v_fma_f64 v[129:130], v[129:130], v[133:134], v[131:132]
	v_add_f64 v[1:2], v[1:2], v[127:128]
	v_add_f64 v[3:4], v[3:4], v[129:130]
	s_andn2_b32 exec_lo, exec_lo, s8
	s_cbranch_execnz .LBB57_780
; %bb.781:
	s_or_b32 exec_lo, exec_lo, s8
.LBB57_782:
	s_or_b32 exec_lo, exec_lo, s6
	v_mov_b32_e32 v8, 0
	ds_read_b128 v[125:128], v8 offset:656
	s_waitcnt lgkmcnt(0)
	v_mul_f64 v[129:130], v[3:4], v[127:128]
	v_mul_f64 v[127:128], v[1:2], v[127:128]
	v_fma_f64 v[1:2], v[1:2], v[125:126], -v[129:130]
	v_fma_f64 v[3:4], v[3:4], v[125:126], v[127:128]
	buffer_store_dword v2, off, s[0:3], 0 offset:660
	buffer_store_dword v1, off, s[0:3], 0 offset:656
	;; [unrolled: 1-line block ×4, first 2 shown]
.LBB57_783:
	s_or_b32 exec_lo, exec_lo, s4
	v_mov_b32_e32 v4, s23
	s_mov_b32 s4, exec_lo
	s_clause 0x3
	buffer_load_dword v1, v4, s[0:3], 0 offen
	buffer_load_dword v2, v4, s[0:3], 0 offen offset:4
	buffer_load_dword v3, v4, s[0:3], 0 offen offset:8
	;; [unrolled: 1-line block ×3, first 2 shown]
	s_waitcnt vmcnt(0)
	ds_write_b128 v6, v[1:4]
	s_waitcnt lgkmcnt(0)
	s_waitcnt_vscnt null, 0x0
	s_barrier
	buffer_gl0_inv
	v_cmpx_gt_u32_e32 42, v0
	s_cbranch_execz .LBB57_791
; %bb.784:
	ds_read_b128 v[1:4], v6
	v_cmp_ne_u32_e32 vcc_lo, 1, v7
	s_cbranch_vccnz .LBB57_786
; %bb.785:
	s_clause 0x3
	buffer_load_dword v125, v5, s[0:3], 0 offen offset:8
	buffer_load_dword v126, v5, s[0:3], 0 offen offset:12
	buffer_load_dword v127, v5, s[0:3], 0 offen
	buffer_load_dword v128, v5, s[0:3], 0 offen offset:4
	s_waitcnt vmcnt(2) lgkmcnt(0)
	v_mul_f64 v[129:130], v[3:4], v[125:126]
	v_mul_f64 v[125:126], v[1:2], v[125:126]
	s_waitcnt vmcnt(0)
	v_fma_f64 v[1:2], v[1:2], v[127:128], -v[129:130]
	v_fma_f64 v[3:4], v[3:4], v[127:128], v[125:126]
.LBB57_786:
	s_mov_b32 s6, exec_lo
	v_cmpx_ne_u32_e32 41, v0
	s_cbranch_execz .LBB57_790
; %bb.787:
	v_add_nc_u32_e32 v8, 0x3b0, v161
	v_add3_u32 v125, 0, v161, 16
	v_mov_b32_e32 v126, v0
	s_mov_b32 s8, 0
	.p2align	6
.LBB57_788:                             ; =>This Inner Loop Header: Depth=1
	s_clause 0x3
	buffer_load_dword v131, v125, s[0:3], 0 offen offset:8
	buffer_load_dword v132, v125, s[0:3], 0 offen offset:12
	buffer_load_dword v133, v125, s[0:3], 0 offen
	buffer_load_dword v134, v125, s[0:3], 0 offen offset:4
	ds_read_b128 v[127:130], v8
	v_add_nc_u32_e32 v126, 1, v126
	v_add_nc_u32_e32 v8, 16, v8
	;; [unrolled: 1-line block ×3, first 2 shown]
	v_cmp_lt_u32_e32 vcc_lo, 40, v126
	s_or_b32 s8, vcc_lo, s8
	s_waitcnt vmcnt(2) lgkmcnt(0)
	v_mul_f64 v[135:136], v[129:130], v[131:132]
	v_mul_f64 v[131:132], v[127:128], v[131:132]
	s_waitcnt vmcnt(0)
	v_fma_f64 v[127:128], v[127:128], v[133:134], -v[135:136]
	v_fma_f64 v[129:130], v[129:130], v[133:134], v[131:132]
	v_add_f64 v[1:2], v[1:2], v[127:128]
	v_add_f64 v[3:4], v[3:4], v[129:130]
	s_andn2_b32 exec_lo, exec_lo, s8
	s_cbranch_execnz .LBB57_788
; %bb.789:
	s_or_b32 exec_lo, exec_lo, s8
.LBB57_790:
	s_or_b32 exec_lo, exec_lo, s6
	v_mov_b32_e32 v8, 0
	ds_read_b128 v[125:128], v8 offset:672
	s_waitcnt lgkmcnt(0)
	v_mul_f64 v[129:130], v[3:4], v[127:128]
	v_mul_f64 v[127:128], v[1:2], v[127:128]
	v_fma_f64 v[1:2], v[1:2], v[125:126], -v[129:130]
	v_fma_f64 v[3:4], v[3:4], v[125:126], v[127:128]
	buffer_store_dword v2, off, s[0:3], 0 offset:676
	buffer_store_dword v1, off, s[0:3], 0 offset:672
	;; [unrolled: 1-line block ×4, first 2 shown]
.LBB57_791:
	s_or_b32 exec_lo, exec_lo, s4
	v_mov_b32_e32 v4, s22
	s_mov_b32 s4, exec_lo
	s_clause 0x3
	buffer_load_dword v1, v4, s[0:3], 0 offen
	buffer_load_dword v2, v4, s[0:3], 0 offen offset:4
	buffer_load_dword v3, v4, s[0:3], 0 offen offset:8
	;; [unrolled: 1-line block ×3, first 2 shown]
	s_waitcnt vmcnt(0)
	ds_write_b128 v6, v[1:4]
	s_waitcnt lgkmcnt(0)
	s_waitcnt_vscnt null, 0x0
	s_barrier
	buffer_gl0_inv
	v_cmpx_gt_u32_e32 43, v0
	s_cbranch_execz .LBB57_799
; %bb.792:
	ds_read_b128 v[1:4], v6
	v_cmp_ne_u32_e32 vcc_lo, 1, v7
	s_cbranch_vccnz .LBB57_794
; %bb.793:
	s_clause 0x3
	buffer_load_dword v125, v5, s[0:3], 0 offen offset:8
	buffer_load_dword v126, v5, s[0:3], 0 offen offset:12
	buffer_load_dword v127, v5, s[0:3], 0 offen
	buffer_load_dword v128, v5, s[0:3], 0 offen offset:4
	s_waitcnt vmcnt(2) lgkmcnt(0)
	v_mul_f64 v[129:130], v[3:4], v[125:126]
	v_mul_f64 v[125:126], v[1:2], v[125:126]
	s_waitcnt vmcnt(0)
	v_fma_f64 v[1:2], v[1:2], v[127:128], -v[129:130]
	v_fma_f64 v[3:4], v[3:4], v[127:128], v[125:126]
.LBB57_794:
	s_mov_b32 s6, exec_lo
	v_cmpx_ne_u32_e32 42, v0
	s_cbranch_execz .LBB57_798
; %bb.795:
	v_add_nc_u32_e32 v8, 0x3b0, v161
	v_add3_u32 v125, 0, v161, 16
	v_mov_b32_e32 v126, v0
	s_mov_b32 s8, 0
	.p2align	6
.LBB57_796:                             ; =>This Inner Loop Header: Depth=1
	s_clause 0x3
	buffer_load_dword v131, v125, s[0:3], 0 offen offset:8
	buffer_load_dword v132, v125, s[0:3], 0 offen offset:12
	buffer_load_dword v133, v125, s[0:3], 0 offen
	buffer_load_dword v134, v125, s[0:3], 0 offen offset:4
	ds_read_b128 v[127:130], v8
	v_add_nc_u32_e32 v126, 1, v126
	v_add_nc_u32_e32 v8, 16, v8
	;; [unrolled: 1-line block ×3, first 2 shown]
	v_cmp_lt_u32_e32 vcc_lo, 41, v126
	s_or_b32 s8, vcc_lo, s8
	s_waitcnt vmcnt(2) lgkmcnt(0)
	v_mul_f64 v[135:136], v[129:130], v[131:132]
	v_mul_f64 v[131:132], v[127:128], v[131:132]
	s_waitcnt vmcnt(0)
	v_fma_f64 v[127:128], v[127:128], v[133:134], -v[135:136]
	v_fma_f64 v[129:130], v[129:130], v[133:134], v[131:132]
	v_add_f64 v[1:2], v[1:2], v[127:128]
	v_add_f64 v[3:4], v[3:4], v[129:130]
	s_andn2_b32 exec_lo, exec_lo, s8
	s_cbranch_execnz .LBB57_796
; %bb.797:
	s_or_b32 exec_lo, exec_lo, s8
.LBB57_798:
	s_or_b32 exec_lo, exec_lo, s6
	v_mov_b32_e32 v8, 0
	ds_read_b128 v[125:128], v8 offset:688
	s_waitcnt lgkmcnt(0)
	v_mul_f64 v[129:130], v[3:4], v[127:128]
	v_mul_f64 v[127:128], v[1:2], v[127:128]
	v_fma_f64 v[1:2], v[1:2], v[125:126], -v[129:130]
	v_fma_f64 v[3:4], v[3:4], v[125:126], v[127:128]
	buffer_store_dword v2, off, s[0:3], 0 offset:692
	buffer_store_dword v1, off, s[0:3], 0 offset:688
	;; [unrolled: 1-line block ×4, first 2 shown]
.LBB57_799:
	s_or_b32 exec_lo, exec_lo, s4
	v_mov_b32_e32 v4, s21
	s_mov_b32 s4, exec_lo
	s_clause 0x3
	buffer_load_dword v1, v4, s[0:3], 0 offen
	buffer_load_dword v2, v4, s[0:3], 0 offen offset:4
	buffer_load_dword v3, v4, s[0:3], 0 offen offset:8
	;; [unrolled: 1-line block ×3, first 2 shown]
	s_waitcnt vmcnt(0)
	ds_write_b128 v6, v[1:4]
	s_waitcnt lgkmcnt(0)
	s_waitcnt_vscnt null, 0x0
	s_barrier
	buffer_gl0_inv
	v_cmpx_gt_u32_e32 44, v0
	s_cbranch_execz .LBB57_807
; %bb.800:
	ds_read_b128 v[1:4], v6
	v_cmp_ne_u32_e32 vcc_lo, 1, v7
	s_cbranch_vccnz .LBB57_802
; %bb.801:
	s_clause 0x3
	buffer_load_dword v125, v5, s[0:3], 0 offen offset:8
	buffer_load_dword v126, v5, s[0:3], 0 offen offset:12
	buffer_load_dword v127, v5, s[0:3], 0 offen
	buffer_load_dword v128, v5, s[0:3], 0 offen offset:4
	s_waitcnt vmcnt(2) lgkmcnt(0)
	v_mul_f64 v[129:130], v[3:4], v[125:126]
	v_mul_f64 v[125:126], v[1:2], v[125:126]
	s_waitcnt vmcnt(0)
	v_fma_f64 v[1:2], v[1:2], v[127:128], -v[129:130]
	v_fma_f64 v[3:4], v[3:4], v[127:128], v[125:126]
.LBB57_802:
	s_mov_b32 s6, exec_lo
	v_cmpx_ne_u32_e32 43, v0
	s_cbranch_execz .LBB57_806
; %bb.803:
	v_add_nc_u32_e32 v8, 0x3b0, v161
	v_add3_u32 v125, 0, v161, 16
	v_mov_b32_e32 v126, v0
	s_mov_b32 s8, 0
	.p2align	6
.LBB57_804:                             ; =>This Inner Loop Header: Depth=1
	s_clause 0x3
	buffer_load_dword v131, v125, s[0:3], 0 offen offset:8
	buffer_load_dword v132, v125, s[0:3], 0 offen offset:12
	buffer_load_dword v133, v125, s[0:3], 0 offen
	buffer_load_dword v134, v125, s[0:3], 0 offen offset:4
	ds_read_b128 v[127:130], v8
	v_add_nc_u32_e32 v126, 1, v126
	v_add_nc_u32_e32 v8, 16, v8
	;; [unrolled: 1-line block ×3, first 2 shown]
	v_cmp_lt_u32_e32 vcc_lo, 42, v126
	s_or_b32 s8, vcc_lo, s8
	s_waitcnt vmcnt(2) lgkmcnt(0)
	v_mul_f64 v[135:136], v[129:130], v[131:132]
	v_mul_f64 v[131:132], v[127:128], v[131:132]
	s_waitcnt vmcnt(0)
	v_fma_f64 v[127:128], v[127:128], v[133:134], -v[135:136]
	v_fma_f64 v[129:130], v[129:130], v[133:134], v[131:132]
	v_add_f64 v[1:2], v[1:2], v[127:128]
	v_add_f64 v[3:4], v[3:4], v[129:130]
	s_andn2_b32 exec_lo, exec_lo, s8
	s_cbranch_execnz .LBB57_804
; %bb.805:
	s_or_b32 exec_lo, exec_lo, s8
.LBB57_806:
	s_or_b32 exec_lo, exec_lo, s6
	v_mov_b32_e32 v8, 0
	ds_read_b128 v[125:128], v8 offset:704
	s_waitcnt lgkmcnt(0)
	v_mul_f64 v[129:130], v[3:4], v[127:128]
	v_mul_f64 v[127:128], v[1:2], v[127:128]
	v_fma_f64 v[1:2], v[1:2], v[125:126], -v[129:130]
	v_fma_f64 v[3:4], v[3:4], v[125:126], v[127:128]
	buffer_store_dword v2, off, s[0:3], 0 offset:708
	buffer_store_dword v1, off, s[0:3], 0 offset:704
	;; [unrolled: 1-line block ×4, first 2 shown]
.LBB57_807:
	s_or_b32 exec_lo, exec_lo, s4
	v_mov_b32_e32 v4, s20
	s_mov_b32 s4, exec_lo
	s_clause 0x3
	buffer_load_dword v1, v4, s[0:3], 0 offen
	buffer_load_dword v2, v4, s[0:3], 0 offen offset:4
	buffer_load_dword v3, v4, s[0:3], 0 offen offset:8
	;; [unrolled: 1-line block ×3, first 2 shown]
	s_waitcnt vmcnt(0)
	ds_write_b128 v6, v[1:4]
	s_waitcnt lgkmcnt(0)
	s_waitcnt_vscnt null, 0x0
	s_barrier
	buffer_gl0_inv
	v_cmpx_gt_u32_e32 45, v0
	s_cbranch_execz .LBB57_815
; %bb.808:
	ds_read_b128 v[1:4], v6
	v_cmp_ne_u32_e32 vcc_lo, 1, v7
	s_cbranch_vccnz .LBB57_810
; %bb.809:
	s_clause 0x3
	buffer_load_dword v125, v5, s[0:3], 0 offen offset:8
	buffer_load_dword v126, v5, s[0:3], 0 offen offset:12
	buffer_load_dword v127, v5, s[0:3], 0 offen
	buffer_load_dword v128, v5, s[0:3], 0 offen offset:4
	s_waitcnt vmcnt(2) lgkmcnt(0)
	v_mul_f64 v[129:130], v[3:4], v[125:126]
	v_mul_f64 v[125:126], v[1:2], v[125:126]
	s_waitcnt vmcnt(0)
	v_fma_f64 v[1:2], v[1:2], v[127:128], -v[129:130]
	v_fma_f64 v[3:4], v[3:4], v[127:128], v[125:126]
.LBB57_810:
	s_mov_b32 s6, exec_lo
	v_cmpx_ne_u32_e32 44, v0
	s_cbranch_execz .LBB57_814
; %bb.811:
	v_add_nc_u32_e32 v8, 0x3b0, v161
	v_add3_u32 v125, 0, v161, 16
	v_mov_b32_e32 v126, v0
	s_mov_b32 s8, 0
	.p2align	6
.LBB57_812:                             ; =>This Inner Loop Header: Depth=1
	s_clause 0x3
	buffer_load_dword v131, v125, s[0:3], 0 offen offset:8
	buffer_load_dword v132, v125, s[0:3], 0 offen offset:12
	buffer_load_dword v133, v125, s[0:3], 0 offen
	buffer_load_dword v134, v125, s[0:3], 0 offen offset:4
	ds_read_b128 v[127:130], v8
	v_add_nc_u32_e32 v126, 1, v126
	v_add_nc_u32_e32 v8, 16, v8
	;; [unrolled: 1-line block ×3, first 2 shown]
	v_cmp_lt_u32_e32 vcc_lo, 43, v126
	s_or_b32 s8, vcc_lo, s8
	s_waitcnt vmcnt(2) lgkmcnt(0)
	v_mul_f64 v[135:136], v[129:130], v[131:132]
	v_mul_f64 v[131:132], v[127:128], v[131:132]
	s_waitcnt vmcnt(0)
	v_fma_f64 v[127:128], v[127:128], v[133:134], -v[135:136]
	v_fma_f64 v[129:130], v[129:130], v[133:134], v[131:132]
	v_add_f64 v[1:2], v[1:2], v[127:128]
	v_add_f64 v[3:4], v[3:4], v[129:130]
	s_andn2_b32 exec_lo, exec_lo, s8
	s_cbranch_execnz .LBB57_812
; %bb.813:
	s_or_b32 exec_lo, exec_lo, s8
.LBB57_814:
	s_or_b32 exec_lo, exec_lo, s6
	v_mov_b32_e32 v8, 0
	ds_read_b128 v[125:128], v8 offset:720
	s_waitcnt lgkmcnt(0)
	v_mul_f64 v[129:130], v[3:4], v[127:128]
	v_mul_f64 v[127:128], v[1:2], v[127:128]
	v_fma_f64 v[1:2], v[1:2], v[125:126], -v[129:130]
	v_fma_f64 v[3:4], v[3:4], v[125:126], v[127:128]
	buffer_store_dword v2, off, s[0:3], 0 offset:724
	buffer_store_dword v1, off, s[0:3], 0 offset:720
	;; [unrolled: 1-line block ×4, first 2 shown]
.LBB57_815:
	s_or_b32 exec_lo, exec_lo, s4
	v_mov_b32_e32 v4, s19
	s_mov_b32 s4, exec_lo
	s_clause 0x3
	buffer_load_dword v1, v4, s[0:3], 0 offen
	buffer_load_dword v2, v4, s[0:3], 0 offen offset:4
	buffer_load_dword v3, v4, s[0:3], 0 offen offset:8
	;; [unrolled: 1-line block ×3, first 2 shown]
	s_waitcnt vmcnt(0)
	ds_write_b128 v6, v[1:4]
	s_waitcnt lgkmcnt(0)
	s_waitcnt_vscnt null, 0x0
	s_barrier
	buffer_gl0_inv
	v_cmpx_gt_u32_e32 46, v0
	s_cbranch_execz .LBB57_823
; %bb.816:
	ds_read_b128 v[1:4], v6
	v_cmp_ne_u32_e32 vcc_lo, 1, v7
	s_cbranch_vccnz .LBB57_818
; %bb.817:
	s_clause 0x3
	buffer_load_dword v125, v5, s[0:3], 0 offen offset:8
	buffer_load_dword v126, v5, s[0:3], 0 offen offset:12
	buffer_load_dword v127, v5, s[0:3], 0 offen
	buffer_load_dword v128, v5, s[0:3], 0 offen offset:4
	s_waitcnt vmcnt(2) lgkmcnt(0)
	v_mul_f64 v[129:130], v[3:4], v[125:126]
	v_mul_f64 v[125:126], v[1:2], v[125:126]
	s_waitcnt vmcnt(0)
	v_fma_f64 v[1:2], v[1:2], v[127:128], -v[129:130]
	v_fma_f64 v[3:4], v[3:4], v[127:128], v[125:126]
.LBB57_818:
	s_mov_b32 s6, exec_lo
	v_cmpx_ne_u32_e32 45, v0
	s_cbranch_execz .LBB57_822
; %bb.819:
	v_add_nc_u32_e32 v8, 0x3b0, v161
	v_add3_u32 v125, 0, v161, 16
	v_mov_b32_e32 v126, v0
	s_mov_b32 s8, 0
	.p2align	6
.LBB57_820:                             ; =>This Inner Loop Header: Depth=1
	s_clause 0x3
	buffer_load_dword v131, v125, s[0:3], 0 offen offset:8
	buffer_load_dword v132, v125, s[0:3], 0 offen offset:12
	buffer_load_dword v133, v125, s[0:3], 0 offen
	buffer_load_dword v134, v125, s[0:3], 0 offen offset:4
	ds_read_b128 v[127:130], v8
	v_add_nc_u32_e32 v126, 1, v126
	v_add_nc_u32_e32 v8, 16, v8
	v_add_nc_u32_e32 v125, 16, v125
	v_cmp_lt_u32_e32 vcc_lo, 44, v126
	s_or_b32 s8, vcc_lo, s8
	s_waitcnt vmcnt(2) lgkmcnt(0)
	v_mul_f64 v[135:136], v[129:130], v[131:132]
	v_mul_f64 v[131:132], v[127:128], v[131:132]
	s_waitcnt vmcnt(0)
	v_fma_f64 v[127:128], v[127:128], v[133:134], -v[135:136]
	v_fma_f64 v[129:130], v[129:130], v[133:134], v[131:132]
	v_add_f64 v[1:2], v[1:2], v[127:128]
	v_add_f64 v[3:4], v[3:4], v[129:130]
	s_andn2_b32 exec_lo, exec_lo, s8
	s_cbranch_execnz .LBB57_820
; %bb.821:
	s_or_b32 exec_lo, exec_lo, s8
.LBB57_822:
	s_or_b32 exec_lo, exec_lo, s6
	v_mov_b32_e32 v8, 0
	ds_read_b128 v[125:128], v8 offset:736
	s_waitcnt lgkmcnt(0)
	v_mul_f64 v[129:130], v[3:4], v[127:128]
	v_mul_f64 v[127:128], v[1:2], v[127:128]
	v_fma_f64 v[1:2], v[1:2], v[125:126], -v[129:130]
	v_fma_f64 v[3:4], v[3:4], v[125:126], v[127:128]
	buffer_store_dword v2, off, s[0:3], 0 offset:740
	buffer_store_dword v1, off, s[0:3], 0 offset:736
	buffer_store_dword v4, off, s[0:3], 0 offset:748
	buffer_store_dword v3, off, s[0:3], 0 offset:744
.LBB57_823:
	s_or_b32 exec_lo, exec_lo, s4
	v_mov_b32_e32 v4, s18
	s_mov_b32 s4, exec_lo
	s_clause 0x3
	buffer_load_dword v1, v4, s[0:3], 0 offen
	buffer_load_dword v2, v4, s[0:3], 0 offen offset:4
	buffer_load_dword v3, v4, s[0:3], 0 offen offset:8
	;; [unrolled: 1-line block ×3, first 2 shown]
	s_waitcnt vmcnt(0)
	ds_write_b128 v6, v[1:4]
	s_waitcnt lgkmcnt(0)
	s_waitcnt_vscnt null, 0x0
	s_barrier
	buffer_gl0_inv
	v_cmpx_gt_u32_e32 47, v0
	s_cbranch_execz .LBB57_831
; %bb.824:
	ds_read_b128 v[1:4], v6
	v_cmp_ne_u32_e32 vcc_lo, 1, v7
	s_cbranch_vccnz .LBB57_826
; %bb.825:
	s_clause 0x3
	buffer_load_dword v125, v5, s[0:3], 0 offen offset:8
	buffer_load_dword v126, v5, s[0:3], 0 offen offset:12
	buffer_load_dword v127, v5, s[0:3], 0 offen
	buffer_load_dword v128, v5, s[0:3], 0 offen offset:4
	s_waitcnt vmcnt(2) lgkmcnt(0)
	v_mul_f64 v[129:130], v[3:4], v[125:126]
	v_mul_f64 v[125:126], v[1:2], v[125:126]
	s_waitcnt vmcnt(0)
	v_fma_f64 v[1:2], v[1:2], v[127:128], -v[129:130]
	v_fma_f64 v[3:4], v[3:4], v[127:128], v[125:126]
.LBB57_826:
	s_mov_b32 s6, exec_lo
	v_cmpx_ne_u32_e32 46, v0
	s_cbranch_execz .LBB57_830
; %bb.827:
	v_add_nc_u32_e32 v8, 0x3b0, v161
	v_add3_u32 v125, 0, v161, 16
	v_mov_b32_e32 v126, v0
	s_mov_b32 s8, 0
	.p2align	6
.LBB57_828:                             ; =>This Inner Loop Header: Depth=1
	s_clause 0x3
	buffer_load_dword v131, v125, s[0:3], 0 offen offset:8
	buffer_load_dword v132, v125, s[0:3], 0 offen offset:12
	buffer_load_dword v133, v125, s[0:3], 0 offen
	buffer_load_dword v134, v125, s[0:3], 0 offen offset:4
	ds_read_b128 v[127:130], v8
	v_add_nc_u32_e32 v126, 1, v126
	v_add_nc_u32_e32 v8, 16, v8
	;; [unrolled: 1-line block ×3, first 2 shown]
	v_cmp_lt_u32_e32 vcc_lo, 45, v126
	s_or_b32 s8, vcc_lo, s8
	s_waitcnt vmcnt(2) lgkmcnt(0)
	v_mul_f64 v[135:136], v[129:130], v[131:132]
	v_mul_f64 v[131:132], v[127:128], v[131:132]
	s_waitcnt vmcnt(0)
	v_fma_f64 v[127:128], v[127:128], v[133:134], -v[135:136]
	v_fma_f64 v[129:130], v[129:130], v[133:134], v[131:132]
	v_add_f64 v[1:2], v[1:2], v[127:128]
	v_add_f64 v[3:4], v[3:4], v[129:130]
	s_andn2_b32 exec_lo, exec_lo, s8
	s_cbranch_execnz .LBB57_828
; %bb.829:
	s_or_b32 exec_lo, exec_lo, s8
.LBB57_830:
	s_or_b32 exec_lo, exec_lo, s6
	v_mov_b32_e32 v8, 0
	ds_read_b128 v[125:128], v8 offset:752
	s_waitcnt lgkmcnt(0)
	v_mul_f64 v[129:130], v[3:4], v[127:128]
	v_mul_f64 v[127:128], v[1:2], v[127:128]
	v_fma_f64 v[1:2], v[1:2], v[125:126], -v[129:130]
	v_fma_f64 v[3:4], v[3:4], v[125:126], v[127:128]
	buffer_store_dword v2, off, s[0:3], 0 offset:756
	buffer_store_dword v1, off, s[0:3], 0 offset:752
	;; [unrolled: 1-line block ×4, first 2 shown]
.LBB57_831:
	s_or_b32 exec_lo, exec_lo, s4
	v_mov_b32_e32 v4, s17
	s_mov_b32 s4, exec_lo
	s_clause 0x3
	buffer_load_dword v1, v4, s[0:3], 0 offen
	buffer_load_dword v2, v4, s[0:3], 0 offen offset:4
	buffer_load_dword v3, v4, s[0:3], 0 offen offset:8
	;; [unrolled: 1-line block ×3, first 2 shown]
	s_waitcnt vmcnt(0)
	ds_write_b128 v6, v[1:4]
	s_waitcnt lgkmcnt(0)
	s_waitcnt_vscnt null, 0x0
	s_barrier
	buffer_gl0_inv
	v_cmpx_gt_u32_e32 48, v0
	s_cbranch_execz .LBB57_839
; %bb.832:
	ds_read_b128 v[1:4], v6
	v_cmp_ne_u32_e32 vcc_lo, 1, v7
	s_cbranch_vccnz .LBB57_834
; %bb.833:
	s_clause 0x3
	buffer_load_dword v125, v5, s[0:3], 0 offen offset:8
	buffer_load_dword v126, v5, s[0:3], 0 offen offset:12
	buffer_load_dword v127, v5, s[0:3], 0 offen
	buffer_load_dword v128, v5, s[0:3], 0 offen offset:4
	s_waitcnt vmcnt(2) lgkmcnt(0)
	v_mul_f64 v[129:130], v[3:4], v[125:126]
	v_mul_f64 v[125:126], v[1:2], v[125:126]
	s_waitcnt vmcnt(0)
	v_fma_f64 v[1:2], v[1:2], v[127:128], -v[129:130]
	v_fma_f64 v[3:4], v[3:4], v[127:128], v[125:126]
.LBB57_834:
	s_mov_b32 s6, exec_lo
	v_cmpx_ne_u32_e32 47, v0
	s_cbranch_execz .LBB57_838
; %bb.835:
	v_add_nc_u32_e32 v8, 0x3b0, v161
	v_add3_u32 v125, 0, v161, 16
	v_mov_b32_e32 v126, v0
	s_mov_b32 s8, 0
	.p2align	6
.LBB57_836:                             ; =>This Inner Loop Header: Depth=1
	s_clause 0x3
	buffer_load_dword v131, v125, s[0:3], 0 offen offset:8
	buffer_load_dword v132, v125, s[0:3], 0 offen offset:12
	buffer_load_dword v133, v125, s[0:3], 0 offen
	buffer_load_dword v134, v125, s[0:3], 0 offen offset:4
	ds_read_b128 v[127:130], v8
	v_add_nc_u32_e32 v126, 1, v126
	v_add_nc_u32_e32 v8, 16, v8
	;; [unrolled: 1-line block ×3, first 2 shown]
	v_cmp_lt_u32_e32 vcc_lo, 46, v126
	s_or_b32 s8, vcc_lo, s8
	s_waitcnt vmcnt(2) lgkmcnt(0)
	v_mul_f64 v[135:136], v[129:130], v[131:132]
	v_mul_f64 v[131:132], v[127:128], v[131:132]
	s_waitcnt vmcnt(0)
	v_fma_f64 v[127:128], v[127:128], v[133:134], -v[135:136]
	v_fma_f64 v[129:130], v[129:130], v[133:134], v[131:132]
	v_add_f64 v[1:2], v[1:2], v[127:128]
	v_add_f64 v[3:4], v[3:4], v[129:130]
	s_andn2_b32 exec_lo, exec_lo, s8
	s_cbranch_execnz .LBB57_836
; %bb.837:
	s_or_b32 exec_lo, exec_lo, s8
.LBB57_838:
	s_or_b32 exec_lo, exec_lo, s6
	v_mov_b32_e32 v8, 0
	ds_read_b128 v[125:128], v8 offset:768
	s_waitcnt lgkmcnt(0)
	v_mul_f64 v[129:130], v[3:4], v[127:128]
	v_mul_f64 v[127:128], v[1:2], v[127:128]
	v_fma_f64 v[1:2], v[1:2], v[125:126], -v[129:130]
	v_fma_f64 v[3:4], v[3:4], v[125:126], v[127:128]
	buffer_store_dword v2, off, s[0:3], 0 offset:772
	buffer_store_dword v1, off, s[0:3], 0 offset:768
	;; [unrolled: 1-line block ×4, first 2 shown]
.LBB57_839:
	s_or_b32 exec_lo, exec_lo, s4
	v_mov_b32_e32 v4, s16
	s_mov_b32 s4, exec_lo
	s_clause 0x3
	buffer_load_dword v1, v4, s[0:3], 0 offen
	buffer_load_dword v2, v4, s[0:3], 0 offen offset:4
	buffer_load_dword v3, v4, s[0:3], 0 offen offset:8
	buffer_load_dword v4, v4, s[0:3], 0 offen offset:12
	s_waitcnt vmcnt(0)
	ds_write_b128 v6, v[1:4]
	s_waitcnt lgkmcnt(0)
	s_waitcnt_vscnt null, 0x0
	s_barrier
	buffer_gl0_inv
	v_cmpx_gt_u32_e32 49, v0
	s_cbranch_execz .LBB57_847
; %bb.840:
	ds_read_b128 v[1:4], v6
	v_cmp_ne_u32_e32 vcc_lo, 1, v7
	s_cbranch_vccnz .LBB57_842
; %bb.841:
	s_clause 0x3
	buffer_load_dword v125, v5, s[0:3], 0 offen offset:8
	buffer_load_dword v126, v5, s[0:3], 0 offen offset:12
	buffer_load_dword v127, v5, s[0:3], 0 offen
	buffer_load_dword v128, v5, s[0:3], 0 offen offset:4
	s_waitcnt vmcnt(2) lgkmcnt(0)
	v_mul_f64 v[129:130], v[3:4], v[125:126]
	v_mul_f64 v[125:126], v[1:2], v[125:126]
	s_waitcnt vmcnt(0)
	v_fma_f64 v[1:2], v[1:2], v[127:128], -v[129:130]
	v_fma_f64 v[3:4], v[3:4], v[127:128], v[125:126]
.LBB57_842:
	s_mov_b32 s6, exec_lo
	v_cmpx_ne_u32_e32 48, v0
	s_cbranch_execz .LBB57_846
; %bb.843:
	v_add_nc_u32_e32 v8, 0x3b0, v161
	v_add3_u32 v125, 0, v161, 16
	v_mov_b32_e32 v126, v0
	s_mov_b32 s8, 0
	.p2align	6
.LBB57_844:                             ; =>This Inner Loop Header: Depth=1
	s_clause 0x3
	buffer_load_dword v131, v125, s[0:3], 0 offen offset:8
	buffer_load_dword v132, v125, s[0:3], 0 offen offset:12
	buffer_load_dword v133, v125, s[0:3], 0 offen
	buffer_load_dword v134, v125, s[0:3], 0 offen offset:4
	ds_read_b128 v[127:130], v8
	v_add_nc_u32_e32 v126, 1, v126
	v_add_nc_u32_e32 v8, 16, v8
	;; [unrolled: 1-line block ×3, first 2 shown]
	v_cmp_lt_u32_e32 vcc_lo, 47, v126
	s_or_b32 s8, vcc_lo, s8
	s_waitcnt vmcnt(2) lgkmcnt(0)
	v_mul_f64 v[135:136], v[129:130], v[131:132]
	v_mul_f64 v[131:132], v[127:128], v[131:132]
	s_waitcnt vmcnt(0)
	v_fma_f64 v[127:128], v[127:128], v[133:134], -v[135:136]
	v_fma_f64 v[129:130], v[129:130], v[133:134], v[131:132]
	v_add_f64 v[1:2], v[1:2], v[127:128]
	v_add_f64 v[3:4], v[3:4], v[129:130]
	s_andn2_b32 exec_lo, exec_lo, s8
	s_cbranch_execnz .LBB57_844
; %bb.845:
	s_or_b32 exec_lo, exec_lo, s8
.LBB57_846:
	s_or_b32 exec_lo, exec_lo, s6
	v_mov_b32_e32 v8, 0
	ds_read_b128 v[125:128], v8 offset:784
	s_waitcnt lgkmcnt(0)
	v_mul_f64 v[129:130], v[3:4], v[127:128]
	v_mul_f64 v[127:128], v[1:2], v[127:128]
	v_fma_f64 v[1:2], v[1:2], v[125:126], -v[129:130]
	v_fma_f64 v[3:4], v[3:4], v[125:126], v[127:128]
	buffer_store_dword v2, off, s[0:3], 0 offset:788
	buffer_store_dword v1, off, s[0:3], 0 offset:784
	;; [unrolled: 1-line block ×4, first 2 shown]
.LBB57_847:
	s_or_b32 exec_lo, exec_lo, s4
	v_mov_b32_e32 v4, s15
	s_mov_b32 s4, exec_lo
	s_clause 0x3
	buffer_load_dword v1, v4, s[0:3], 0 offen
	buffer_load_dword v2, v4, s[0:3], 0 offen offset:4
	buffer_load_dword v3, v4, s[0:3], 0 offen offset:8
	;; [unrolled: 1-line block ×3, first 2 shown]
	s_waitcnt vmcnt(0)
	ds_write_b128 v6, v[1:4]
	s_waitcnt lgkmcnt(0)
	s_waitcnt_vscnt null, 0x0
	s_barrier
	buffer_gl0_inv
	v_cmpx_gt_u32_e32 50, v0
	s_cbranch_execz .LBB57_855
; %bb.848:
	ds_read_b128 v[1:4], v6
	v_cmp_ne_u32_e32 vcc_lo, 1, v7
	s_cbranch_vccnz .LBB57_850
; %bb.849:
	s_clause 0x3
	buffer_load_dword v125, v5, s[0:3], 0 offen offset:8
	buffer_load_dword v126, v5, s[0:3], 0 offen offset:12
	buffer_load_dword v127, v5, s[0:3], 0 offen
	buffer_load_dword v128, v5, s[0:3], 0 offen offset:4
	s_waitcnt vmcnt(2) lgkmcnt(0)
	v_mul_f64 v[129:130], v[3:4], v[125:126]
	v_mul_f64 v[125:126], v[1:2], v[125:126]
	s_waitcnt vmcnt(0)
	v_fma_f64 v[1:2], v[1:2], v[127:128], -v[129:130]
	v_fma_f64 v[3:4], v[3:4], v[127:128], v[125:126]
.LBB57_850:
	s_mov_b32 s6, exec_lo
	v_cmpx_ne_u32_e32 49, v0
	s_cbranch_execz .LBB57_854
; %bb.851:
	v_add_nc_u32_e32 v8, 0x3b0, v161
	v_add3_u32 v125, 0, v161, 16
	v_mov_b32_e32 v126, v0
	s_mov_b32 s8, 0
	.p2align	6
.LBB57_852:                             ; =>This Inner Loop Header: Depth=1
	s_clause 0x3
	buffer_load_dword v131, v125, s[0:3], 0 offen offset:8
	buffer_load_dword v132, v125, s[0:3], 0 offen offset:12
	buffer_load_dword v133, v125, s[0:3], 0 offen
	buffer_load_dword v134, v125, s[0:3], 0 offen offset:4
	ds_read_b128 v[127:130], v8
	v_add_nc_u32_e32 v126, 1, v126
	v_add_nc_u32_e32 v8, 16, v8
	;; [unrolled: 1-line block ×3, first 2 shown]
	v_cmp_lt_u32_e32 vcc_lo, 48, v126
	s_or_b32 s8, vcc_lo, s8
	s_waitcnt vmcnt(2) lgkmcnt(0)
	v_mul_f64 v[135:136], v[129:130], v[131:132]
	v_mul_f64 v[131:132], v[127:128], v[131:132]
	s_waitcnt vmcnt(0)
	v_fma_f64 v[127:128], v[127:128], v[133:134], -v[135:136]
	v_fma_f64 v[129:130], v[129:130], v[133:134], v[131:132]
	v_add_f64 v[1:2], v[1:2], v[127:128]
	v_add_f64 v[3:4], v[3:4], v[129:130]
	s_andn2_b32 exec_lo, exec_lo, s8
	s_cbranch_execnz .LBB57_852
; %bb.853:
	s_or_b32 exec_lo, exec_lo, s8
.LBB57_854:
	s_or_b32 exec_lo, exec_lo, s6
	v_mov_b32_e32 v8, 0
	ds_read_b128 v[125:128], v8 offset:800
	s_waitcnt lgkmcnt(0)
	v_mul_f64 v[129:130], v[3:4], v[127:128]
	v_mul_f64 v[127:128], v[1:2], v[127:128]
	v_fma_f64 v[1:2], v[1:2], v[125:126], -v[129:130]
	v_fma_f64 v[3:4], v[3:4], v[125:126], v[127:128]
	buffer_store_dword v2, off, s[0:3], 0 offset:804
	buffer_store_dword v1, off, s[0:3], 0 offset:800
	;; [unrolled: 1-line block ×4, first 2 shown]
.LBB57_855:
	s_or_b32 exec_lo, exec_lo, s4
	v_mov_b32_e32 v4, s14
	s_mov_b32 s4, exec_lo
	s_clause 0x3
	buffer_load_dword v1, v4, s[0:3], 0 offen
	buffer_load_dword v2, v4, s[0:3], 0 offen offset:4
	buffer_load_dword v3, v4, s[0:3], 0 offen offset:8
	;; [unrolled: 1-line block ×3, first 2 shown]
	s_waitcnt vmcnt(0)
	ds_write_b128 v6, v[1:4]
	s_waitcnt lgkmcnt(0)
	s_waitcnt_vscnt null, 0x0
	s_barrier
	buffer_gl0_inv
	v_cmpx_gt_u32_e32 51, v0
	s_cbranch_execz .LBB57_863
; %bb.856:
	ds_read_b128 v[1:4], v6
	v_cmp_ne_u32_e32 vcc_lo, 1, v7
	s_cbranch_vccnz .LBB57_858
; %bb.857:
	s_clause 0x3
	buffer_load_dword v125, v5, s[0:3], 0 offen offset:8
	buffer_load_dword v126, v5, s[0:3], 0 offen offset:12
	buffer_load_dword v127, v5, s[0:3], 0 offen
	buffer_load_dword v128, v5, s[0:3], 0 offen offset:4
	s_waitcnt vmcnt(2) lgkmcnt(0)
	v_mul_f64 v[129:130], v[3:4], v[125:126]
	v_mul_f64 v[125:126], v[1:2], v[125:126]
	s_waitcnt vmcnt(0)
	v_fma_f64 v[1:2], v[1:2], v[127:128], -v[129:130]
	v_fma_f64 v[3:4], v[3:4], v[127:128], v[125:126]
.LBB57_858:
	s_mov_b32 s6, exec_lo
	v_cmpx_ne_u32_e32 50, v0
	s_cbranch_execz .LBB57_862
; %bb.859:
	v_add_nc_u32_e32 v8, 0x3b0, v161
	v_add3_u32 v125, 0, v161, 16
	v_mov_b32_e32 v126, v0
	s_mov_b32 s8, 0
	.p2align	6
.LBB57_860:                             ; =>This Inner Loop Header: Depth=1
	s_clause 0x3
	buffer_load_dword v131, v125, s[0:3], 0 offen offset:8
	buffer_load_dword v132, v125, s[0:3], 0 offen offset:12
	buffer_load_dword v133, v125, s[0:3], 0 offen
	buffer_load_dword v134, v125, s[0:3], 0 offen offset:4
	ds_read_b128 v[127:130], v8
	v_add_nc_u32_e32 v126, 1, v126
	v_add_nc_u32_e32 v8, 16, v8
	;; [unrolled: 1-line block ×3, first 2 shown]
	v_cmp_lt_u32_e32 vcc_lo, 49, v126
	s_or_b32 s8, vcc_lo, s8
	s_waitcnt vmcnt(2) lgkmcnt(0)
	v_mul_f64 v[135:136], v[129:130], v[131:132]
	v_mul_f64 v[131:132], v[127:128], v[131:132]
	s_waitcnt vmcnt(0)
	v_fma_f64 v[127:128], v[127:128], v[133:134], -v[135:136]
	v_fma_f64 v[129:130], v[129:130], v[133:134], v[131:132]
	v_add_f64 v[1:2], v[1:2], v[127:128]
	v_add_f64 v[3:4], v[3:4], v[129:130]
	s_andn2_b32 exec_lo, exec_lo, s8
	s_cbranch_execnz .LBB57_860
; %bb.861:
	s_or_b32 exec_lo, exec_lo, s8
.LBB57_862:
	s_or_b32 exec_lo, exec_lo, s6
	v_mov_b32_e32 v8, 0
	ds_read_b128 v[125:128], v8 offset:816
	s_waitcnt lgkmcnt(0)
	v_mul_f64 v[129:130], v[3:4], v[127:128]
	v_mul_f64 v[127:128], v[1:2], v[127:128]
	v_fma_f64 v[1:2], v[1:2], v[125:126], -v[129:130]
	v_fma_f64 v[3:4], v[3:4], v[125:126], v[127:128]
	buffer_store_dword v2, off, s[0:3], 0 offset:820
	buffer_store_dword v1, off, s[0:3], 0 offset:816
	;; [unrolled: 1-line block ×4, first 2 shown]
.LBB57_863:
	s_or_b32 exec_lo, exec_lo, s4
	v_mov_b32_e32 v4, s13
	s_mov_b32 s4, exec_lo
	s_clause 0x3
	buffer_load_dword v1, v4, s[0:3], 0 offen
	buffer_load_dword v2, v4, s[0:3], 0 offen offset:4
	buffer_load_dword v3, v4, s[0:3], 0 offen offset:8
	;; [unrolled: 1-line block ×3, first 2 shown]
	s_waitcnt vmcnt(0)
	ds_write_b128 v6, v[1:4]
	s_waitcnt lgkmcnt(0)
	s_waitcnt_vscnt null, 0x0
	s_barrier
	buffer_gl0_inv
	v_cmpx_gt_u32_e32 52, v0
	s_cbranch_execz .LBB57_871
; %bb.864:
	ds_read_b128 v[1:4], v6
	v_cmp_ne_u32_e32 vcc_lo, 1, v7
	s_cbranch_vccnz .LBB57_866
; %bb.865:
	s_clause 0x3
	buffer_load_dword v125, v5, s[0:3], 0 offen offset:8
	buffer_load_dword v126, v5, s[0:3], 0 offen offset:12
	buffer_load_dword v127, v5, s[0:3], 0 offen
	buffer_load_dword v128, v5, s[0:3], 0 offen offset:4
	s_waitcnt vmcnt(2) lgkmcnt(0)
	v_mul_f64 v[129:130], v[3:4], v[125:126]
	v_mul_f64 v[125:126], v[1:2], v[125:126]
	s_waitcnt vmcnt(0)
	v_fma_f64 v[1:2], v[1:2], v[127:128], -v[129:130]
	v_fma_f64 v[3:4], v[3:4], v[127:128], v[125:126]
.LBB57_866:
	s_mov_b32 s6, exec_lo
	v_cmpx_ne_u32_e32 51, v0
	s_cbranch_execz .LBB57_870
; %bb.867:
	v_add_nc_u32_e32 v8, 0x3b0, v161
	v_add3_u32 v125, 0, v161, 16
	v_mov_b32_e32 v126, v0
	s_mov_b32 s8, 0
	.p2align	6
.LBB57_868:                             ; =>This Inner Loop Header: Depth=1
	s_clause 0x3
	buffer_load_dword v131, v125, s[0:3], 0 offen offset:8
	buffer_load_dword v132, v125, s[0:3], 0 offen offset:12
	buffer_load_dword v133, v125, s[0:3], 0 offen
	buffer_load_dword v134, v125, s[0:3], 0 offen offset:4
	ds_read_b128 v[127:130], v8
	v_add_nc_u32_e32 v126, 1, v126
	v_add_nc_u32_e32 v8, 16, v8
	;; [unrolled: 1-line block ×3, first 2 shown]
	v_cmp_lt_u32_e32 vcc_lo, 50, v126
	s_or_b32 s8, vcc_lo, s8
	s_waitcnt vmcnt(2) lgkmcnt(0)
	v_mul_f64 v[135:136], v[129:130], v[131:132]
	v_mul_f64 v[131:132], v[127:128], v[131:132]
	s_waitcnt vmcnt(0)
	v_fma_f64 v[127:128], v[127:128], v[133:134], -v[135:136]
	v_fma_f64 v[129:130], v[129:130], v[133:134], v[131:132]
	v_add_f64 v[1:2], v[1:2], v[127:128]
	v_add_f64 v[3:4], v[3:4], v[129:130]
	s_andn2_b32 exec_lo, exec_lo, s8
	s_cbranch_execnz .LBB57_868
; %bb.869:
	s_or_b32 exec_lo, exec_lo, s8
.LBB57_870:
	s_or_b32 exec_lo, exec_lo, s6
	v_mov_b32_e32 v8, 0
	ds_read_b128 v[125:128], v8 offset:832
	s_waitcnt lgkmcnt(0)
	v_mul_f64 v[129:130], v[3:4], v[127:128]
	v_mul_f64 v[127:128], v[1:2], v[127:128]
	v_fma_f64 v[1:2], v[1:2], v[125:126], -v[129:130]
	v_fma_f64 v[3:4], v[3:4], v[125:126], v[127:128]
	buffer_store_dword v2, off, s[0:3], 0 offset:836
	buffer_store_dword v1, off, s[0:3], 0 offset:832
	;; [unrolled: 1-line block ×4, first 2 shown]
.LBB57_871:
	s_or_b32 exec_lo, exec_lo, s4
	v_mov_b32_e32 v4, s12
	s_mov_b32 s4, exec_lo
	s_clause 0x3
	buffer_load_dword v1, v4, s[0:3], 0 offen
	buffer_load_dword v2, v4, s[0:3], 0 offen offset:4
	buffer_load_dword v3, v4, s[0:3], 0 offen offset:8
	;; [unrolled: 1-line block ×3, first 2 shown]
	s_waitcnt vmcnt(0)
	ds_write_b128 v6, v[1:4]
	s_waitcnt lgkmcnt(0)
	s_waitcnt_vscnt null, 0x0
	s_barrier
	buffer_gl0_inv
	v_cmpx_gt_u32_e32 53, v0
	s_cbranch_execz .LBB57_879
; %bb.872:
	ds_read_b128 v[1:4], v6
	v_cmp_ne_u32_e32 vcc_lo, 1, v7
	s_cbranch_vccnz .LBB57_874
; %bb.873:
	s_clause 0x3
	buffer_load_dword v125, v5, s[0:3], 0 offen offset:8
	buffer_load_dword v126, v5, s[0:3], 0 offen offset:12
	buffer_load_dword v127, v5, s[0:3], 0 offen
	buffer_load_dword v128, v5, s[0:3], 0 offen offset:4
	s_waitcnt vmcnt(2) lgkmcnt(0)
	v_mul_f64 v[129:130], v[3:4], v[125:126]
	v_mul_f64 v[125:126], v[1:2], v[125:126]
	s_waitcnt vmcnt(0)
	v_fma_f64 v[1:2], v[1:2], v[127:128], -v[129:130]
	v_fma_f64 v[3:4], v[3:4], v[127:128], v[125:126]
.LBB57_874:
	s_mov_b32 s6, exec_lo
	v_cmpx_ne_u32_e32 52, v0
	s_cbranch_execz .LBB57_878
; %bb.875:
	v_add_nc_u32_e32 v8, 0x3b0, v161
	v_add3_u32 v125, 0, v161, 16
	v_mov_b32_e32 v126, v0
	s_mov_b32 s8, 0
	.p2align	6
.LBB57_876:                             ; =>This Inner Loop Header: Depth=1
	s_clause 0x3
	buffer_load_dword v131, v125, s[0:3], 0 offen offset:8
	buffer_load_dword v132, v125, s[0:3], 0 offen offset:12
	buffer_load_dword v133, v125, s[0:3], 0 offen
	buffer_load_dword v134, v125, s[0:3], 0 offen offset:4
	ds_read_b128 v[127:130], v8
	v_add_nc_u32_e32 v126, 1, v126
	v_add_nc_u32_e32 v8, 16, v8
	v_add_nc_u32_e32 v125, 16, v125
	v_cmp_lt_u32_e32 vcc_lo, 51, v126
	s_or_b32 s8, vcc_lo, s8
	s_waitcnt vmcnt(2) lgkmcnt(0)
	v_mul_f64 v[135:136], v[129:130], v[131:132]
	v_mul_f64 v[131:132], v[127:128], v[131:132]
	s_waitcnt vmcnt(0)
	v_fma_f64 v[127:128], v[127:128], v[133:134], -v[135:136]
	v_fma_f64 v[129:130], v[129:130], v[133:134], v[131:132]
	v_add_f64 v[1:2], v[1:2], v[127:128]
	v_add_f64 v[3:4], v[3:4], v[129:130]
	s_andn2_b32 exec_lo, exec_lo, s8
	s_cbranch_execnz .LBB57_876
; %bb.877:
	s_or_b32 exec_lo, exec_lo, s8
.LBB57_878:
	s_or_b32 exec_lo, exec_lo, s6
	v_mov_b32_e32 v8, 0
	ds_read_b128 v[125:128], v8 offset:848
	s_waitcnt lgkmcnt(0)
	v_mul_f64 v[129:130], v[3:4], v[127:128]
	v_mul_f64 v[127:128], v[1:2], v[127:128]
	v_fma_f64 v[1:2], v[1:2], v[125:126], -v[129:130]
	v_fma_f64 v[3:4], v[3:4], v[125:126], v[127:128]
	buffer_store_dword v2, off, s[0:3], 0 offset:852
	buffer_store_dword v1, off, s[0:3], 0 offset:848
	;; [unrolled: 1-line block ×4, first 2 shown]
.LBB57_879:
	s_or_b32 exec_lo, exec_lo, s4
	v_mov_b32_e32 v4, s11
	s_mov_b32 s4, exec_lo
	s_clause 0x3
	buffer_load_dword v1, v4, s[0:3], 0 offen
	buffer_load_dword v2, v4, s[0:3], 0 offen offset:4
	buffer_load_dword v3, v4, s[0:3], 0 offen offset:8
	;; [unrolled: 1-line block ×3, first 2 shown]
	s_waitcnt vmcnt(0)
	ds_write_b128 v6, v[1:4]
	s_waitcnt lgkmcnt(0)
	s_waitcnt_vscnt null, 0x0
	s_barrier
	buffer_gl0_inv
	v_cmpx_gt_u32_e32 54, v0
	s_cbranch_execz .LBB57_887
; %bb.880:
	ds_read_b128 v[1:4], v6
	v_cmp_ne_u32_e32 vcc_lo, 1, v7
	s_cbranch_vccnz .LBB57_882
; %bb.881:
	s_clause 0x3
	buffer_load_dword v125, v5, s[0:3], 0 offen offset:8
	buffer_load_dword v126, v5, s[0:3], 0 offen offset:12
	buffer_load_dword v127, v5, s[0:3], 0 offen
	buffer_load_dword v128, v5, s[0:3], 0 offen offset:4
	s_waitcnt vmcnt(2) lgkmcnt(0)
	v_mul_f64 v[129:130], v[3:4], v[125:126]
	v_mul_f64 v[125:126], v[1:2], v[125:126]
	s_waitcnt vmcnt(0)
	v_fma_f64 v[1:2], v[1:2], v[127:128], -v[129:130]
	v_fma_f64 v[3:4], v[3:4], v[127:128], v[125:126]
.LBB57_882:
	s_mov_b32 s6, exec_lo
	v_cmpx_ne_u32_e32 53, v0
	s_cbranch_execz .LBB57_886
; %bb.883:
	v_add_nc_u32_e32 v8, 0x3b0, v161
	v_add3_u32 v125, 0, v161, 16
	v_mov_b32_e32 v126, v0
	s_mov_b32 s8, 0
	.p2align	6
.LBB57_884:                             ; =>This Inner Loop Header: Depth=1
	s_clause 0x3
	buffer_load_dword v131, v125, s[0:3], 0 offen offset:8
	buffer_load_dword v132, v125, s[0:3], 0 offen offset:12
	buffer_load_dword v133, v125, s[0:3], 0 offen
	buffer_load_dword v134, v125, s[0:3], 0 offen offset:4
	ds_read_b128 v[127:130], v8
	v_add_nc_u32_e32 v126, 1, v126
	v_add_nc_u32_e32 v8, 16, v8
	;; [unrolled: 1-line block ×3, first 2 shown]
	v_cmp_lt_u32_e32 vcc_lo, 52, v126
	s_or_b32 s8, vcc_lo, s8
	s_waitcnt vmcnt(2) lgkmcnt(0)
	v_mul_f64 v[135:136], v[129:130], v[131:132]
	v_mul_f64 v[131:132], v[127:128], v[131:132]
	s_waitcnt vmcnt(0)
	v_fma_f64 v[127:128], v[127:128], v[133:134], -v[135:136]
	v_fma_f64 v[129:130], v[129:130], v[133:134], v[131:132]
	v_add_f64 v[1:2], v[1:2], v[127:128]
	v_add_f64 v[3:4], v[3:4], v[129:130]
	s_andn2_b32 exec_lo, exec_lo, s8
	s_cbranch_execnz .LBB57_884
; %bb.885:
	s_or_b32 exec_lo, exec_lo, s8
.LBB57_886:
	s_or_b32 exec_lo, exec_lo, s6
	v_mov_b32_e32 v8, 0
	ds_read_b128 v[125:128], v8 offset:864
	s_waitcnt lgkmcnt(0)
	v_mul_f64 v[129:130], v[3:4], v[127:128]
	v_mul_f64 v[127:128], v[1:2], v[127:128]
	v_fma_f64 v[1:2], v[1:2], v[125:126], -v[129:130]
	v_fma_f64 v[3:4], v[3:4], v[125:126], v[127:128]
	buffer_store_dword v2, off, s[0:3], 0 offset:868
	buffer_store_dword v1, off, s[0:3], 0 offset:864
	;; [unrolled: 1-line block ×4, first 2 shown]
.LBB57_887:
	s_or_b32 exec_lo, exec_lo, s4
	v_mov_b32_e32 v4, s10
	s_mov_b32 s4, exec_lo
	s_clause 0x3
	buffer_load_dword v1, v4, s[0:3], 0 offen
	buffer_load_dword v2, v4, s[0:3], 0 offen offset:4
	buffer_load_dword v3, v4, s[0:3], 0 offen offset:8
	buffer_load_dword v4, v4, s[0:3], 0 offen offset:12
	s_waitcnt vmcnt(0)
	ds_write_b128 v6, v[1:4]
	s_waitcnt lgkmcnt(0)
	s_waitcnt_vscnt null, 0x0
	s_barrier
	buffer_gl0_inv
	v_cmpx_gt_u32_e32 55, v0
	s_cbranch_execz .LBB57_895
; %bb.888:
	ds_read_b128 v[1:4], v6
	v_cmp_ne_u32_e32 vcc_lo, 1, v7
	s_cbranch_vccnz .LBB57_890
; %bb.889:
	s_clause 0x3
	buffer_load_dword v125, v5, s[0:3], 0 offen offset:8
	buffer_load_dword v126, v5, s[0:3], 0 offen offset:12
	buffer_load_dword v127, v5, s[0:3], 0 offen
	buffer_load_dword v128, v5, s[0:3], 0 offen offset:4
	s_waitcnt vmcnt(2) lgkmcnt(0)
	v_mul_f64 v[129:130], v[3:4], v[125:126]
	v_mul_f64 v[125:126], v[1:2], v[125:126]
	s_waitcnt vmcnt(0)
	v_fma_f64 v[1:2], v[1:2], v[127:128], -v[129:130]
	v_fma_f64 v[3:4], v[3:4], v[127:128], v[125:126]
.LBB57_890:
	s_mov_b32 s6, exec_lo
	v_cmpx_ne_u32_e32 54, v0
	s_cbranch_execz .LBB57_894
; %bb.891:
	v_add_nc_u32_e32 v8, 0x3b0, v161
	v_add3_u32 v125, 0, v161, 16
	v_mov_b32_e32 v126, v0
	s_mov_b32 s8, 0
	.p2align	6
.LBB57_892:                             ; =>This Inner Loop Header: Depth=1
	s_clause 0x3
	buffer_load_dword v131, v125, s[0:3], 0 offen offset:8
	buffer_load_dword v132, v125, s[0:3], 0 offen offset:12
	buffer_load_dword v133, v125, s[0:3], 0 offen
	buffer_load_dword v134, v125, s[0:3], 0 offen offset:4
	ds_read_b128 v[127:130], v8
	v_add_nc_u32_e32 v126, 1, v126
	v_add_nc_u32_e32 v8, 16, v8
	;; [unrolled: 1-line block ×3, first 2 shown]
	v_cmp_lt_u32_e32 vcc_lo, 53, v126
	s_or_b32 s8, vcc_lo, s8
	s_waitcnt vmcnt(2) lgkmcnt(0)
	v_mul_f64 v[135:136], v[129:130], v[131:132]
	v_mul_f64 v[131:132], v[127:128], v[131:132]
	s_waitcnt vmcnt(0)
	v_fma_f64 v[127:128], v[127:128], v[133:134], -v[135:136]
	v_fma_f64 v[129:130], v[129:130], v[133:134], v[131:132]
	v_add_f64 v[1:2], v[1:2], v[127:128]
	v_add_f64 v[3:4], v[3:4], v[129:130]
	s_andn2_b32 exec_lo, exec_lo, s8
	s_cbranch_execnz .LBB57_892
; %bb.893:
	s_or_b32 exec_lo, exec_lo, s8
.LBB57_894:
	s_or_b32 exec_lo, exec_lo, s6
	v_mov_b32_e32 v8, 0
	ds_read_b128 v[125:128], v8 offset:880
	s_waitcnt lgkmcnt(0)
	v_mul_f64 v[129:130], v[3:4], v[127:128]
	v_mul_f64 v[127:128], v[1:2], v[127:128]
	v_fma_f64 v[1:2], v[1:2], v[125:126], -v[129:130]
	v_fma_f64 v[3:4], v[3:4], v[125:126], v[127:128]
	buffer_store_dword v2, off, s[0:3], 0 offset:884
	buffer_store_dword v1, off, s[0:3], 0 offset:880
	;; [unrolled: 1-line block ×4, first 2 shown]
.LBB57_895:
	s_or_b32 exec_lo, exec_lo, s4
	v_mov_b32_e32 v4, s9
	v_cmp_gt_u32_e64 s4, 56, v0
	s_clause 0x3
	buffer_load_dword v1, v4, s[0:3], 0 offen
	buffer_load_dword v2, v4, s[0:3], 0 offen offset:4
	buffer_load_dword v3, v4, s[0:3], 0 offen offset:8
	buffer_load_dword v4, v4, s[0:3], 0 offen offset:12
	s_waitcnt vmcnt(0)
	ds_write_b128 v6, v[1:4]
	s_waitcnt lgkmcnt(0)
	s_waitcnt_vscnt null, 0x0
	s_barrier
	buffer_gl0_inv
	s_and_saveexec_b32 s6, s4
	s_cbranch_execz .LBB57_903
; %bb.896:
	ds_read_b128 v[1:4], v6
	v_cmp_ne_u32_e32 vcc_lo, 1, v7
	s_cbranch_vccnz .LBB57_898
; %bb.897:
	s_clause 0x3
	buffer_load_dword v125, v5, s[0:3], 0 offen offset:8
	buffer_load_dword v126, v5, s[0:3], 0 offen offset:12
	buffer_load_dword v127, v5, s[0:3], 0 offen
	buffer_load_dword v128, v5, s[0:3], 0 offen offset:4
	s_waitcnt vmcnt(2) lgkmcnt(0)
	v_mul_f64 v[129:130], v[3:4], v[125:126]
	v_mul_f64 v[125:126], v[1:2], v[125:126]
	s_waitcnt vmcnt(0)
	v_fma_f64 v[1:2], v[1:2], v[127:128], -v[129:130]
	v_fma_f64 v[3:4], v[3:4], v[127:128], v[125:126]
.LBB57_898:
	s_mov_b32 s8, exec_lo
	v_cmpx_ne_u32_e32 55, v0
	s_cbranch_execz .LBB57_902
; %bb.899:
	v_add_nc_u32_e32 v8, 0x3b0, v161
	v_add3_u32 v125, 0, v161, 16
	v_mov_b32_e32 v126, v0
	s_mov_b32 s66, 0
	.p2align	6
.LBB57_900:                             ; =>This Inner Loop Header: Depth=1
	s_clause 0x3
	buffer_load_dword v131, v125, s[0:3], 0 offen offset:8
	buffer_load_dword v132, v125, s[0:3], 0 offen offset:12
	buffer_load_dword v133, v125, s[0:3], 0 offen
	buffer_load_dword v134, v125, s[0:3], 0 offen offset:4
	ds_read_b128 v[127:130], v8
	v_add_nc_u32_e32 v126, 1, v126
	v_add_nc_u32_e32 v8, 16, v8
	;; [unrolled: 1-line block ×3, first 2 shown]
	v_cmp_lt_u32_e32 vcc_lo, 54, v126
	s_or_b32 s66, vcc_lo, s66
	s_waitcnt vmcnt(2) lgkmcnt(0)
	v_mul_f64 v[135:136], v[129:130], v[131:132]
	v_mul_f64 v[131:132], v[127:128], v[131:132]
	s_waitcnt vmcnt(0)
	v_fma_f64 v[127:128], v[127:128], v[133:134], -v[135:136]
	v_fma_f64 v[129:130], v[129:130], v[133:134], v[131:132]
	v_add_f64 v[1:2], v[1:2], v[127:128]
	v_add_f64 v[3:4], v[3:4], v[129:130]
	s_andn2_b32 exec_lo, exec_lo, s66
	s_cbranch_execnz .LBB57_900
; %bb.901:
	s_or_b32 exec_lo, exec_lo, s66
.LBB57_902:
	s_or_b32 exec_lo, exec_lo, s8
	v_mov_b32_e32 v8, 0
	ds_read_b128 v[125:128], v8 offset:896
	s_waitcnt lgkmcnt(0)
	v_mul_f64 v[129:130], v[3:4], v[127:128]
	v_mul_f64 v[127:128], v[1:2], v[127:128]
	v_fma_f64 v[1:2], v[1:2], v[125:126], -v[129:130]
	v_fma_f64 v[3:4], v[3:4], v[125:126], v[127:128]
	buffer_store_dword v2, off, s[0:3], 0 offset:900
	buffer_store_dword v1, off, s[0:3], 0 offset:896
	;; [unrolled: 1-line block ×4, first 2 shown]
.LBB57_903:
	s_or_b32 exec_lo, exec_lo, s6
	v_mov_b32_e32 v4, s7
	s_mov_b32 s6, exec_lo
                                        ; implicit-def: $sgpr67
	s_clause 0x3
	buffer_load_dword v1, v4, s[0:3], 0 offen
	buffer_load_dword v2, v4, s[0:3], 0 offen offset:4
	buffer_load_dword v3, v4, s[0:3], 0 offen offset:8
	buffer_load_dword v4, v4, s[0:3], 0 offen offset:12
	s_waitcnt vmcnt(0)
	ds_write_b128 v6, v[1:4]
	s_waitcnt lgkmcnt(0)
	s_waitcnt_vscnt null, 0x0
	s_barrier
	buffer_gl0_inv
                                        ; implicit-def: $vgpr1_vgpr2
	v_cmpx_ne_u32_e32 57, v0
	s_cbranch_execz .LBB57_911
; %bb.904:
	ds_read_b128 v[1:4], v6
	v_cmp_ne_u32_e32 vcc_lo, 1, v7
	s_cbranch_vccnz .LBB57_906
; %bb.905:
	s_clause 0x3
	buffer_load_dword v6, v5, s[0:3], 0 offen offset:8
	buffer_load_dword v7, v5, s[0:3], 0 offen offset:12
	buffer_load_dword v125, v5, s[0:3], 0 offen
	buffer_load_dword v126, v5, s[0:3], 0 offen offset:4
	s_waitcnt vmcnt(2) lgkmcnt(0)
	v_mul_f64 v[127:128], v[3:4], v[6:7]
	v_mul_f64 v[5:6], v[1:2], v[6:7]
	s_waitcnt vmcnt(0)
	v_fma_f64 v[1:2], v[1:2], v[125:126], -v[127:128]
	v_fma_f64 v[3:4], v[3:4], v[125:126], v[5:6]
.LBB57_906:
	s_and_saveexec_b32 s8, s4
	s_cbranch_execz .LBB57_910
; %bb.907:
	v_add_nc_u32_e32 v5, 0x3b0, v161
	v_add3_u32 v6, 0, v161, 16
	s_mov_b32 s4, 0
	.p2align	6
.LBB57_908:                             ; =>This Inner Loop Header: Depth=1
	s_clause 0x3
	buffer_load_dword v7, v6, s[0:3], 0 offen offset:8
	buffer_load_dword v8, v6, s[0:3], 0 offen offset:12
	buffer_load_dword v129, v6, s[0:3], 0 offen
	buffer_load_dword v130, v6, s[0:3], 0 offen offset:4
	ds_read_b128 v[125:128], v5
	v_add_nc_u32_e32 v0, 1, v0
	v_add_nc_u32_e32 v5, 16, v5
	;; [unrolled: 1-line block ×3, first 2 shown]
	v_cmp_lt_u32_e32 vcc_lo, 55, v0
	s_or_b32 s4, vcc_lo, s4
	s_waitcnt vmcnt(2) lgkmcnt(0)
	v_mul_f64 v[131:132], v[127:128], v[7:8]
	v_mul_f64 v[7:8], v[125:126], v[7:8]
	s_waitcnt vmcnt(0)
	v_fma_f64 v[125:126], v[125:126], v[129:130], -v[131:132]
	v_fma_f64 v[7:8], v[127:128], v[129:130], v[7:8]
	v_add_f64 v[1:2], v[1:2], v[125:126]
	v_add_f64 v[3:4], v[3:4], v[7:8]
	s_andn2_b32 exec_lo, exec_lo, s4
	s_cbranch_execnz .LBB57_908
; %bb.909:
	s_or_b32 exec_lo, exec_lo, s4
.LBB57_910:
	s_or_b32 exec_lo, exec_lo, s8
	v_mov_b32_e32 v0, 0
	s_movk_i32 s67, 0x398
	s_or_b32 s5, s5, exec_lo
	ds_read_b128 v[5:8], v0 offset:912
	s_waitcnt lgkmcnt(0)
	v_mul_f64 v[125:126], v[3:4], v[7:8]
	v_mul_f64 v[7:8], v[1:2], v[7:8]
	v_fma_f64 v[125:126], v[1:2], v[5:6], -v[125:126]
	v_fma_f64 v[1:2], v[3:4], v[5:6], v[7:8]
	buffer_store_dword v126, off, s[0:3], 0 offset:916
	buffer_store_dword v125, off, s[0:3], 0 offset:912
.LBB57_911:
	s_or_b32 exec_lo, exec_lo, s6
.LBB57_912:
	s_and_saveexec_b32 s4, s5
	s_cbranch_execz .LBB57_914
; %bb.913:
	v_mov_b32_e32 v0, s67
	buffer_store_dword v2, v0, s[0:3], 0 offen offset:4
	buffer_store_dword v1, v0, s[0:3], 0 offen
.LBB57_914:
	s_or_b32 exec_lo, exec_lo, s4
	v_mov_b32_e32 v3, s65
	v_mov_b32_e32 v128, s62
	;; [unrolled: 1-line block ×5, first 2 shown]
	s_clause 0x17
	buffer_load_dword v0, v3, s[0:3], 0 offen
	buffer_load_dword v1, v3, s[0:3], 0 offen offset:4
	buffer_load_dword v2, v3, s[0:3], 0 offen offset:8
	buffer_load_dword v3, v3, s[0:3], 0 offen offset:12
	buffer_load_dword v4, v7, s[0:3], 0 offen
	buffer_load_dword v5, v7, s[0:3], 0 offen offset:4
	buffer_load_dword v6, v7, s[0:3], 0 offen offset:8
	buffer_load_dword v7, v7, s[0:3], 0 offen offset:12
	;; [unrolled: 4-line block ×5, first 2 shown]
	buffer_load_dword v137, off, s[0:3], 0
	buffer_load_dword v138, off, s[0:3], 0 offset:4
	buffer_load_dword v139, off, s[0:3], 0 offset:8
	;; [unrolled: 1-line block ×3, first 2 shown]
	v_mov_b32_e32 v8, s60
	v_mov_b32_e32 v154, s15
	;; [unrolled: 1-line block ×8, first 2 shown]
	s_waitcnt vmcnt(0)
	global_store_dwordx4 v[77:78], v[137:140], off
	s_clause 0x3
	buffer_load_dword v137, v8, s[0:3], 0 offen
	buffer_load_dword v138, v8, s[0:3], 0 offen offset:4
	buffer_load_dword v139, v8, s[0:3], 0 offen offset:8
	;; [unrolled: 1-line block ×3, first 2 shown]
	v_mov_b32_e32 v8, s59
	global_store_dwordx4 v[87:88], v[133:136], off
	v_mov_b32_e32 v77, s54
	s_clause 0x3
	buffer_load_dword v133, v8, s[0:3], 0 offen
	buffer_load_dword v134, v8, s[0:3], 0 offen offset:4
	buffer_load_dword v135, v8, s[0:3], 0 offen offset:8
	;; [unrolled: 1-line block ×3, first 2 shown]
	v_mov_b32_e32 v8, s58
	v_mov_b32_e32 v78, s28
	s_clause 0x3
	buffer_load_dword v141, v8, s[0:3], 0 offen
	buffer_load_dword v142, v8, s[0:3], 0 offen offset:4
	buffer_load_dword v143, v8, s[0:3], 0 offen offset:8
	;; [unrolled: 1-line block ×3, first 2 shown]
	global_store_dwordx4 v[99:100], v[0:3], off
	v_mov_b32_e32 v3, s57
	s_clause 0x3
	buffer_load_dword v0, v3, s[0:3], 0 offen
	buffer_load_dword v1, v3, s[0:3], 0 offen offset:4
	buffer_load_dword v2, v3, s[0:3], 0 offen offset:8
	;; [unrolled: 1-line block ×3, first 2 shown]
	v_mov_b32_e32 v8, s56
	global_store_dwordx4 v[123:124], v[4:7], off
	s_clause 0x3
	buffer_load_dword v4, v8, s[0:3], 0 offen
	buffer_load_dword v5, v8, s[0:3], 0 offen offset:4
	buffer_load_dword v6, v8, s[0:3], 0 offen offset:8
	;; [unrolled: 1-line block ×3, first 2 shown]
	v_mov_b32_e32 v8, s55
	global_store_dwordx4 v[119:120], v[125:128], off
	s_clause 0x7
	buffer_load_dword v123, v8, s[0:3], 0 offen
	buffer_load_dword v124, v8, s[0:3], 0 offen offset:4
	buffer_load_dword v125, v8, s[0:3], 0 offen offset:8
	;; [unrolled: 1-line block ×3, first 2 shown]
	buffer_load_dword v145, v77, s[0:3], 0 offen
	buffer_load_dword v146, v77, s[0:3], 0 offen offset:4
	buffer_load_dword v147, v77, s[0:3], 0 offen offset:8
	;; [unrolled: 1-line block ×3, first 2 shown]
	v_mov_b32_e32 v8, s53
	global_store_dwordx4 v[121:122], v[129:132], off
	s_clause 0x3
	buffer_load_dword v119, v8, s[0:3], 0 offen
	buffer_load_dword v120, v8, s[0:3], 0 offen offset:4
	buffer_load_dword v121, v8, s[0:3], 0 offen offset:8
	;; [unrolled: 1-line block ×3, first 2 shown]
	v_mov_b32_e32 v8, s52
	s_clause 0x3
	buffer_load_dword v127, v8, s[0:3], 0 offen
	buffer_load_dword v128, v8, s[0:3], 0 offen offset:4
	buffer_load_dword v129, v8, s[0:3], 0 offen offset:8
	;; [unrolled: 1-line block ×3, first 2 shown]
	v_mov_b32_e32 v8, s51
	v_mov_b32_e32 v77, s45
	s_waitcnt vmcnt(32)
	global_store_dwordx4 v[117:118], v[137:140], off
	s_clause 0x3
	buffer_load_dword v137, v8, s[0:3], 0 offen
	buffer_load_dword v138, v8, s[0:3], 0 offen offset:4
	buffer_load_dword v139, v8, s[0:3], 0 offen offset:8
	;; [unrolled: 1-line block ×3, first 2 shown]
	v_mov_b32_e32 v8, s50
	s_waitcnt vmcnt(32)
	global_store_dwordx4 v[115:116], v[133:136], off
	s_clause 0x3
	buffer_load_dword v115, v8, s[0:3], 0 offen
	buffer_load_dword v116, v8, s[0:3], 0 offen offset:4
	buffer_load_dword v117, v8, s[0:3], 0 offen offset:8
	;; [unrolled: 1-line block ×3, first 2 shown]
	v_mov_b32_e32 v8, s49
	s_clause 0x3
	buffer_load_dword v131, v8, s[0:3], 0 offen
	buffer_load_dword v132, v8, s[0:3], 0 offen offset:4
	buffer_load_dword v133, v8, s[0:3], 0 offen offset:8
	buffer_load_dword v134, v8, s[0:3], 0 offen offset:12
	v_mov_b32_e32 v8, s48
	s_waitcnt vmcnt(36)
	global_store_dwordx4 v[113:114], v[141:144], off
	s_clause 0x3
	buffer_load_dword v141, v8, s[0:3], 0 offen
	buffer_load_dword v142, v8, s[0:3], 0 offen offset:4
	buffer_load_dword v143, v8, s[0:3], 0 offen offset:8
	buffer_load_dword v144, v8, s[0:3], 0 offen offset:12
	v_mov_b32_e32 v8, s47
	s_waitcnt vmcnt(36)
	global_store_dwordx4 v[111:112], v[0:3], off
	;; [unrolled: 8-line block ×3, first 2 shown]
	s_clause 0x3
	buffer_load_dword v4, v8, s[0:3], 0 offen
	buffer_load_dword v5, v8, s[0:3], 0 offen offset:4
	buffer_load_dword v6, v8, s[0:3], 0 offen offset:8
	;; [unrolled: 1-line block ×3, first 2 shown]
	v_mov_b32_e32 v8, s44
	s_clause 0x3
	buffer_load_dword v109, v77, s[0:3], 0 offen
	buffer_load_dword v110, v77, s[0:3], 0 offen offset:4
	buffer_load_dword v111, v77, s[0:3], 0 offen offset:8
	;; [unrolled: 1-line block ×3, first 2 shown]
	v_mov_b32_e32 v77, s43
	s_waitcnt vmcnt(40)
	global_store_dwordx4 v[107:108], v[123:126], off
	s_clause 0x3
	buffer_load_dword v123, v8, s[0:3], 0 offen
	buffer_load_dword v124, v8, s[0:3], 0 offen offset:4
	buffer_load_dword v125, v8, s[0:3], 0 offen offset:8
	buffer_load_dword v126, v8, s[0:3], 0 offen offset:12
	v_mov_b32_e32 v8, s42
	s_waitcnt vmcnt(40)
	global_store_dwordx4 v[105:106], v[145:148], off
	s_clause 0x7
	buffer_load_dword v105, v77, s[0:3], 0 offen
	buffer_load_dword v106, v77, s[0:3], 0 offen offset:4
	buffer_load_dword v107, v77, s[0:3], 0 offen offset:8
	;; [unrolled: 1-line block ×3, first 2 shown]
	buffer_load_dword v145, v8, s[0:3], 0 offen
	buffer_load_dword v146, v8, s[0:3], 0 offen offset:4
	buffer_load_dword v147, v8, s[0:3], 0 offen offset:8
	;; [unrolled: 1-line block ×3, first 2 shown]
	v_mov_b32_e32 v8, s41
	v_mov_b32_e32 v77, s40
	s_waitcnt vmcnt(44)
	global_store_dwordx4 v[103:104], v[119:122], off
	s_clause 0x7
	buffer_load_dword v119, v8, s[0:3], 0 offen
	buffer_load_dword v120, v8, s[0:3], 0 offen offset:4
	buffer_load_dword v121, v8, s[0:3], 0 offen offset:8
	buffer_load_dword v122, v8, s[0:3], 0 offen offset:12
	buffer_load_dword v149, v77, s[0:3], 0 offen
	buffer_load_dword v150, v77, s[0:3], 0 offen offset:4
	buffer_load_dword v151, v77, s[0:3], 0 offen offset:8
	;; [unrolled: 1-line block ×3, first 2 shown]
	v_mov_b32_e32 v8, s39
	s_waitcnt vmcnt(48)
	global_store_dwordx4 v[101:102], v[127:130], off
	s_clause 0x3
	buffer_load_dword v99, v8, s[0:3], 0 offen
	buffer_load_dword v100, v8, s[0:3], 0 offen offset:4
	buffer_load_dword v101, v8, s[0:3], 0 offen offset:8
	;; [unrolled: 1-line block ×3, first 2 shown]
	v_mov_b32_e32 v8, s38
	v_mov_b32_e32 v77, s37
	s_waitcnt vmcnt(48)
	global_store_dwordx4 v[95:96], v[137:140], off
	s_clause 0x7
	buffer_load_dword v127, v8, s[0:3], 0 offen
	buffer_load_dword v128, v8, s[0:3], 0 offen offset:4
	buffer_load_dword v129, v8, s[0:3], 0 offen offset:8
	;; [unrolled: 1-line block ×3, first 2 shown]
	buffer_load_dword v135, v77, s[0:3], 0 offen
	buffer_load_dword v136, v77, s[0:3], 0 offen offset:4
	buffer_load_dword v137, v77, s[0:3], 0 offen offset:8
	;; [unrolled: 1-line block ×3, first 2 shown]
	v_mov_b32_e32 v8, s36
	v_mov_b32_e32 v77, s34
	;; [unrolled: 1-line block ×4, first 2 shown]
	s_waitcnt vmcnt(52)
	global_store_dwordx4 v[97:98], v[115:118], off
	s_clause 0x3
	buffer_load_dword v95, v8, s[0:3], 0 offen
	buffer_load_dword v96, v8, s[0:3], 0 offen offset:4
	buffer_load_dword v97, v8, s[0:3], 0 offen offset:8
	buffer_load_dword v98, v8, s[0:3], 0 offen offset:12
	v_mov_b32_e32 v8, s35
	v_mov_b32_e32 v117, s27
	s_waitcnt vmcnt(52)
	global_store_dwordx4 v[93:94], v[131:134], off
	s_clause 0x7
	buffer_load_dword v113, v8, s[0:3], 0 offen
	buffer_load_dword v114, v8, s[0:3], 0 offen offset:4
	buffer_load_dword v115, v8, s[0:3], 0 offen offset:8
	;; [unrolled: 1-line block ×3, first 2 shown]
	buffer_load_dword v131, v77, s[0:3], 0 offen
	buffer_load_dword v132, v77, s[0:3], 0 offen offset:4
	buffer_load_dword v133, v77, s[0:3], 0 offen offset:8
	;; [unrolled: 1-line block ×3, first 2 shown]
	v_mov_b32_e32 v8, s33
	v_mov_b32_e32 v77, s29
	s_waitcnt vmcnt(56)
	global_store_dwordx4 v[91:92], v[141:144], off
	s_clause 0x3
	buffer_load_dword v91, v8, s[0:3], 0 offen
	buffer_load_dword v92, v8, s[0:3], 0 offen offset:4
	buffer_load_dword v93, v8, s[0:3], 0 offen offset:8
	;; [unrolled: 1-line block ×3, first 2 shown]
	v_mov_b32_e32 v8, s31
	v_mov_b32_e32 v143, s21
	;; [unrolled: 1-line block ×3, first 2 shown]
	s_waitcnt vmcnt(56)
	global_store_dwordx4 v[89:90], v[0:3], off
	s_clause 0x3
	buffer_load_dword v0, v8, s[0:3], 0 offen
	buffer_load_dword v1, v8, s[0:3], 0 offen offset:4
	buffer_load_dword v2, v8, s[0:3], 0 offen offset:8
	;; [unrolled: 1-line block ×3, first 2 shown]
	v_mov_b32_e32 v8, s30
	s_waitcnt vmcnt(56)
	global_store_dwordx4 v[81:82], v[4:7], off
	v_mov_b32_e32 v82, s25
	s_waitcnt vmcnt(52)
	global_store_dwordx4 v[65:66], v[109:112], off
	v_mov_b32_e32 v81, s26
	v_mov_b32_e32 v66, s19
	;; [unrolled: 1-line block ×3, first 2 shown]
	s_waitcnt vmcnt(48)
	global_store_dwordx4 v[51:52], v[123:126], off
	s_waitcnt vmcnt(44)
	global_store_dwordx4 v[35:36], v[105:108], off
	s_clause 0x3
	buffer_load_dword v4, v8, s[0:3], 0 offen
	buffer_load_dword v5, v8, s[0:3], 0 offen offset:4
	buffer_load_dword v6, v8, s[0:3], 0 offen offset:8
	;; [unrolled: 1-line block ×3, first 2 shown]
	s_waitcnt vmcnt(44)
	global_store_dwordx4 v[11:12], v[145:148], off
	s_clause 0x7
	buffer_load_dword v87, v77, s[0:3], 0 offen
	buffer_load_dword v88, v77, s[0:3], 0 offen offset:4
	buffer_load_dword v89, v77, s[0:3], 0 offen offset:8
	;; [unrolled: 1-line block ×3, first 2 shown]
	buffer_load_dword v103, v78, s[0:3], 0 offen
	buffer_load_dword v104, v78, s[0:3], 0 offen offset:4
	buffer_load_dword v105, v78, s[0:3], 0 offen offset:8
	;; [unrolled: 1-line block ×3, first 2 shown]
	s_waitcnt vmcnt(48)
	global_store_dwordx4 v[29:30], v[119:122], off
	s_clause 0x7
	buffer_load_dword v107, v117, s[0:3], 0 offen
	buffer_load_dword v108, v117, s[0:3], 0 offen offset:4
	buffer_load_dword v109, v117, s[0:3], 0 offen offset:8
	;; [unrolled: 1-line block ×3, first 2 shown]
	buffer_load_dword v117, v81, s[0:3], 0 offen
	buffer_load_dword v118, v81, s[0:3], 0 offen offset:4
	buffer_load_dword v119, v81, s[0:3], 0 offen offset:8
	buffer_load_dword v120, v81, s[0:3], 0 offen offset:12
	v_mov_b32_e32 v65, s20
	v_mov_b32_e32 v52, s13
	s_waitcnt vmcnt(52)
	global_store_dwordx4 v[13:14], v[149:152], off
	s_clause 0x7
	buffer_load_dword v11, v82, s[0:3], 0 offen
	buffer_load_dword v12, v82, s[0:3], 0 offen offset:4
	buffer_load_dword v13, v82, s[0:3], 0 offen offset:8
	;; [unrolled: 1-line block ×3, first 2 shown]
	buffer_load_dword v121, v139, s[0:3], 0 offen
	buffer_load_dword v122, v139, s[0:3], 0 offen offset:4
	buffer_load_dword v123, v139, s[0:3], 0 offen offset:8
	;; [unrolled: 1-line block ×3, first 2 shown]
	v_mov_b32_e32 v111, s18
	v_mov_b32_e32 v51, s14
	s_waitcnt vmcnt(56)
	global_store_dwordx4 v[15:16], v[99:102], off
	s_clause 0x7
	buffer_load_dword v99, v140, s[0:3], 0 offen
	buffer_load_dword v100, v140, s[0:3], 0 offen offset:4
	buffer_load_dword v101, v140, s[0:3], 0 offen offset:8
	buffer_load_dword v102, v140, s[0:3], 0 offen offset:12
	buffer_load_dword v139, v142, s[0:3], 0 offen
	buffer_load_dword v140, v142, s[0:3], 0 offen offset:4
	buffer_load_dword v141, v142, s[0:3], 0 offen offset:8
	buffer_load_dword v142, v142, s[0:3], 0 offen offset:12
	s_waitcnt vmcnt(60)
	global_store_dwordx4 v[17:18], v[127:130], off
	s_clause 0x7
	buffer_load_dword v15, v143, s[0:3], 0 offen
	buffer_load_dword v16, v143, s[0:3], 0 offen offset:4
	buffer_load_dword v17, v143, s[0:3], 0 offen offset:8
	buffer_load_dword v18, v143, s[0:3], 0 offen offset:12
	buffer_load_dword v125, v65, s[0:3], 0 offen
	buffer_load_dword v126, v65, s[0:3], 0 offen offset:4
	buffer_load_dword v127, v65, s[0:3], 0 offen offset:8
	buffer_load_dword v128, v65, s[0:3], 0 offen offset:12
	;; [unrolled: 11-line block ×4, first 2 shown]
	global_store_dwordx4 v[21:22], v[113:116], off
	s_clause 0x7
	buffer_load_dword v19, v154, s[0:3], 0 offen
	buffer_load_dword v20, v154, s[0:3], 0 offen offset:4
	buffer_load_dword v21, v154, s[0:3], 0 offen offset:8
	;; [unrolled: 1-line block ×3, first 2 shown]
	buffer_load_dword v111, v51, s[0:3], 0 offen
	buffer_load_dword v112, v51, s[0:3], 0 offen offset:4
	buffer_load_dword v113, v51, s[0:3], 0 offen offset:8
	;; [unrolled: 1-line block ×3, first 2 shown]
	s_waitcnt vmcnt(62)
	global_store_dwordx4 v[23:24], v[131:134], off
	s_clause 0x7
	buffer_load_dword v129, v52, s[0:3], 0 offen
	buffer_load_dword v130, v52, s[0:3], 0 offen offset:4
	buffer_load_dword v131, v52, s[0:3], 0 offen offset:8
	buffer_load_dword v132, v52, s[0:3], 0 offen offset:12
	buffer_load_dword v147, v155, s[0:3], 0 offen
	buffer_load_dword v148, v155, s[0:3], 0 offen offset:4
	buffer_load_dword v149, v155, s[0:3], 0 offen offset:8
	buffer_load_dword v150, v155, s[0:3], 0 offen offset:12
	global_store_dwordx4 v[33:34], v[91:94], off
	s_clause 0x7
	buffer_load_dword v33, v156, s[0:3], 0 offen
	buffer_load_dword v34, v156, s[0:3], 0 offen offset:4
	buffer_load_dword v35, v156, s[0:3], 0 offen offset:8
	buffer_load_dword v36, v156, s[0:3], 0 offen offset:12
	buffer_load_dword v91, v157, s[0:3], 0 offen
	buffer_load_dword v92, v157, s[0:3], 0 offen offset:4
	buffer_load_dword v93, v157, s[0:3], 0 offen offset:8
	buffer_load_dword v94, v157, s[0:3], 0 offen offset:12
	;; [unrolled: 10-line block ×3, first 2 shown]
	global_store_dwordx4 v[27:28], v[4:7], off
	s_waitcnt vmcnt(62)
	global_store_dwordx4 v[37:38], v[87:90], off
	global_store_dwordx4 v[39:40], v[103:106], off
	;; [unrolled: 1-line block ×6, first 2 shown]
	s_waitcnt vmcnt(60)
	global_store_dwordx4 v[49:50], v[99:102], off
	s_waitcnt vmcnt(56)
	global_store_dwordx4 v[53:54], v[139:142], off
	;; [unrolled: 2-line block ×16, first 2 shown]
.LBB57_915:
	s_endpgm
	.section	.rodata,"a",@progbits
	.p2align	6, 0x0
	.amdhsa_kernel _ZN9rocsolver6v33100L18trti2_kernel_smallILi58E19rocblas_complex_numIdEPS3_EEv13rocblas_fill_17rocblas_diagonal_T1_iil
		.amdhsa_group_segment_fixed_size 1856
		.amdhsa_private_segment_fixed_size 944
		.amdhsa_kernarg_size 32
		.amdhsa_user_sgpr_count 6
		.amdhsa_user_sgpr_private_segment_buffer 1
		.amdhsa_user_sgpr_dispatch_ptr 0
		.amdhsa_user_sgpr_queue_ptr 0
		.amdhsa_user_sgpr_kernarg_segment_ptr 1
		.amdhsa_user_sgpr_dispatch_id 0
		.amdhsa_user_sgpr_flat_scratch_init 0
		.amdhsa_user_sgpr_private_segment_size 0
		.amdhsa_wavefront_size32 1
		.amdhsa_uses_dynamic_stack 0
		.amdhsa_system_sgpr_private_segment_wavefront_offset 1
		.amdhsa_system_sgpr_workgroup_id_x 1
		.amdhsa_system_sgpr_workgroup_id_y 0
		.amdhsa_system_sgpr_workgroup_id_z 0
		.amdhsa_system_sgpr_workgroup_info 0
		.amdhsa_system_vgpr_workitem_id 0
		.amdhsa_next_free_vgpr 162
		.amdhsa_next_free_sgpr 92
		.amdhsa_reserve_vcc 1
		.amdhsa_reserve_flat_scratch 0
		.amdhsa_float_round_mode_32 0
		.amdhsa_float_round_mode_16_64 0
		.amdhsa_float_denorm_mode_32 3
		.amdhsa_float_denorm_mode_16_64 3
		.amdhsa_dx10_clamp 1
		.amdhsa_ieee_mode 1
		.amdhsa_fp16_overflow 0
		.amdhsa_workgroup_processor_mode 1
		.amdhsa_memory_ordered 1
		.amdhsa_forward_progress 1
		.amdhsa_shared_vgpr_count 0
		.amdhsa_exception_fp_ieee_invalid_op 0
		.amdhsa_exception_fp_denorm_src 0
		.amdhsa_exception_fp_ieee_div_zero 0
		.amdhsa_exception_fp_ieee_overflow 0
		.amdhsa_exception_fp_ieee_underflow 0
		.amdhsa_exception_fp_ieee_inexact 0
		.amdhsa_exception_int_div_zero 0
	.end_amdhsa_kernel
	.section	.text._ZN9rocsolver6v33100L18trti2_kernel_smallILi58E19rocblas_complex_numIdEPS3_EEv13rocblas_fill_17rocblas_diagonal_T1_iil,"axG",@progbits,_ZN9rocsolver6v33100L18trti2_kernel_smallILi58E19rocblas_complex_numIdEPS3_EEv13rocblas_fill_17rocblas_diagonal_T1_iil,comdat
.Lfunc_end57:
	.size	_ZN9rocsolver6v33100L18trti2_kernel_smallILi58E19rocblas_complex_numIdEPS3_EEv13rocblas_fill_17rocblas_diagonal_T1_iil, .Lfunc_end57-_ZN9rocsolver6v33100L18trti2_kernel_smallILi58E19rocblas_complex_numIdEPS3_EEv13rocblas_fill_17rocblas_diagonal_T1_iil
                                        ; -- End function
	.set _ZN9rocsolver6v33100L18trti2_kernel_smallILi58E19rocblas_complex_numIdEPS3_EEv13rocblas_fill_17rocblas_diagonal_T1_iil.num_vgpr, 162
	.set _ZN9rocsolver6v33100L18trti2_kernel_smallILi58E19rocblas_complex_numIdEPS3_EEv13rocblas_fill_17rocblas_diagonal_T1_iil.num_agpr, 0
	.set _ZN9rocsolver6v33100L18trti2_kernel_smallILi58E19rocblas_complex_numIdEPS3_EEv13rocblas_fill_17rocblas_diagonal_T1_iil.numbered_sgpr, 92
	.set _ZN9rocsolver6v33100L18trti2_kernel_smallILi58E19rocblas_complex_numIdEPS3_EEv13rocblas_fill_17rocblas_diagonal_T1_iil.num_named_barrier, 0
	.set _ZN9rocsolver6v33100L18trti2_kernel_smallILi58E19rocblas_complex_numIdEPS3_EEv13rocblas_fill_17rocblas_diagonal_T1_iil.private_seg_size, 944
	.set _ZN9rocsolver6v33100L18trti2_kernel_smallILi58E19rocblas_complex_numIdEPS3_EEv13rocblas_fill_17rocblas_diagonal_T1_iil.uses_vcc, 1
	.set _ZN9rocsolver6v33100L18trti2_kernel_smallILi58E19rocblas_complex_numIdEPS3_EEv13rocblas_fill_17rocblas_diagonal_T1_iil.uses_flat_scratch, 0
	.set _ZN9rocsolver6v33100L18trti2_kernel_smallILi58E19rocblas_complex_numIdEPS3_EEv13rocblas_fill_17rocblas_diagonal_T1_iil.has_dyn_sized_stack, 0
	.set _ZN9rocsolver6v33100L18trti2_kernel_smallILi58E19rocblas_complex_numIdEPS3_EEv13rocblas_fill_17rocblas_diagonal_T1_iil.has_recursion, 0
	.set _ZN9rocsolver6v33100L18trti2_kernel_smallILi58E19rocblas_complex_numIdEPS3_EEv13rocblas_fill_17rocblas_diagonal_T1_iil.has_indirect_call, 0
	.section	.AMDGPU.csdata,"",@progbits
; Kernel info:
; codeLenInByte = 59056
; TotalNumSgprs: 94
; NumVgprs: 162
; ScratchSize: 944
; MemoryBound: 0
; FloatMode: 240
; IeeeMode: 1
; LDSByteSize: 1856 bytes/workgroup (compile time only)
; SGPRBlocks: 0
; VGPRBlocks: 20
; NumSGPRsForWavesPerEU: 94
; NumVGPRsForWavesPerEU: 162
; Occupancy: 5
; WaveLimiterHint : 0
; COMPUTE_PGM_RSRC2:SCRATCH_EN: 1
; COMPUTE_PGM_RSRC2:USER_SGPR: 6
; COMPUTE_PGM_RSRC2:TRAP_HANDLER: 0
; COMPUTE_PGM_RSRC2:TGID_X_EN: 1
; COMPUTE_PGM_RSRC2:TGID_Y_EN: 0
; COMPUTE_PGM_RSRC2:TGID_Z_EN: 0
; COMPUTE_PGM_RSRC2:TIDIG_COMP_CNT: 0
	.section	.text._ZN9rocsolver6v33100L18trti2_kernel_smallILi59E19rocblas_complex_numIdEPS3_EEv13rocblas_fill_17rocblas_diagonal_T1_iil,"axG",@progbits,_ZN9rocsolver6v33100L18trti2_kernel_smallILi59E19rocblas_complex_numIdEPS3_EEv13rocblas_fill_17rocblas_diagonal_T1_iil,comdat
	.globl	_ZN9rocsolver6v33100L18trti2_kernel_smallILi59E19rocblas_complex_numIdEPS3_EEv13rocblas_fill_17rocblas_diagonal_T1_iil ; -- Begin function _ZN9rocsolver6v33100L18trti2_kernel_smallILi59E19rocblas_complex_numIdEPS3_EEv13rocblas_fill_17rocblas_diagonal_T1_iil
	.p2align	8
	.type	_ZN9rocsolver6v33100L18trti2_kernel_smallILi59E19rocblas_complex_numIdEPS3_EEv13rocblas_fill_17rocblas_diagonal_T1_iil,@function
_ZN9rocsolver6v33100L18trti2_kernel_smallILi59E19rocblas_complex_numIdEPS3_EEv13rocblas_fill_17rocblas_diagonal_T1_iil: ; @_ZN9rocsolver6v33100L18trti2_kernel_smallILi59E19rocblas_complex_numIdEPS3_EEv13rocblas_fill_17rocblas_diagonal_T1_iil
; %bb.0:
	s_add_u32 s0, s0, s7
	s_addc_u32 s1, s1, 0
	s_mov_b32 s7, exec_lo
	v_cmpx_gt_u32_e32 59, v0
	s_cbranch_execz .LBB58_931
; %bb.1:
	s_load_dwordx8 s[8:15], s[4:5], 0x0
	s_ashr_i32 s4, s6, 31
	v_lshlrev_b32_e32 v133, 4, v0
	s_movk_i32 s17, 0xf0
	s_movk_i32 s18, 0x100
	;; [unrolled: 1-line block ×17, first 2 shown]
	s_waitcnt lgkmcnt(0)
	s_mul_hi_u32 s5, s14, s6
	s_mul_i32 s16, s14, s4
	s_mul_i32 s15, s15, s6
	s_add_i32 s5, s5, s16
	s_mul_i32 s4, s14, s6
	s_add_i32 s5, s5, s15
	s_ashr_i32 s7, s12, 31
	s_lshl_b64 s[4:5], s[4:5], 4
	s_mov_b32 s6, s12
	s_add_u32 s10, s10, s4
	s_addc_u32 s11, s11, s5
	s_lshl_b64 s[4:5], s[6:7], 4
	s_mov_b32 s14, s13
	s_add_u32 s4, s10, s4
	s_addc_u32 s5, s11, s5
	v_add_co_u32 v41, s6, s4, v133
	s_ashr_i32 s15, s13, 31
	v_add_co_ci_u32_e64 v42, null, s5, 0, s6
	s_lshl_b64 s[6:7], s[14:15], 4
	v_add3_u32 v9, s13, s13, v0
	v_add_co_u32 v43, vcc_lo, v41, s6
	v_add_co_ci_u32_e64 v44, null, s7, v42, vcc_lo
	global_load_dwordx4 v[1:4], v133, s[4:5]
	v_add_nc_u32_e32 v11, s13, v9
	v_ashrrev_i32_e32 v10, 31, v9
	global_load_dwordx4 v[5:8], v[43:44], off
	s_cmpk_lg_i32 s9, 0x84
	s_movk_i32 s6, 0x60
	v_add_nc_u32_e32 v13, s13, v11
	v_ashrrev_i32_e32 v12, 31, v11
	v_lshlrev_b64 v[9:10], 4, v[9:10]
	s_movk_i32 s7, 0x70
	s_movk_i32 s10, 0x80
	v_add_nc_u32_e32 v15, s13, v13
	v_ashrrev_i32_e32 v14, 31, v13
	v_lshlrev_b64 v[11:12], 4, v[11:12]
	v_add_co_u32 v131, vcc_lo, s4, v9
	v_ashrrev_i32_e32 v16, 31, v15
	v_lshlrev_b64 v[13:14], 4, v[13:14]
	v_add_nc_u32_e32 v17, s13, v15
	v_add_co_ci_u32_e64 v132, null, s5, v10, vcc_lo
	v_add_co_u32 v121, vcc_lo, s4, v11
	v_lshlrev_b64 v[15:16], 4, v[15:16]
	v_add_co_ci_u32_e64 v122, null, s5, v12, vcc_lo
	v_add_co_u32 v119, vcc_lo, s4, v13
	v_ashrrev_i32_e32 v18, 31, v17
	v_add_co_ci_u32_e64 v120, null, s5, v14, vcc_lo
	global_load_dwordx4 v[9:12], v[131:132], off
	v_add_co_u32 v113, vcc_lo, s4, v15
	v_add_nc_u32_e32 v21, s13, v17
	v_lshlrev_b64 v[23:24], 4, v[17:18]
	v_add_co_ci_u32_e64 v114, null, s5, v16, vcc_lo
	s_clause 0x1
	global_load_dwordx4 v[13:16], v[121:122], off
	global_load_dwordx4 v[17:20], v[119:120], off
	v_add_nc_u32_e32 v25, s13, v21
	v_ashrrev_i32_e32 v22, 31, v21
	v_add_co_u32 v115, vcc_lo, s4, v23
	v_add_co_ci_u32_e64 v116, null, s5, v24, vcc_lo
	v_add_nc_u32_e32 v29, s13, v25
	v_ashrrev_i32_e32 v26, 31, v25
	v_lshlrev_b64 v[21:22], 4, v[21:22]
	s_movk_i32 s11, 0x90
	s_movk_i32 s12, 0xa0
	v_ashrrev_i32_e32 v30, 31, v29
	v_add_nc_u32_e32 v33, s13, v29
	v_lshlrev_b64 v[31:32], 4, v[25:26]
	v_add_co_u32 v111, vcc_lo, s4, v21
	v_lshlrev_b64 v[29:30], 4, v[29:30]
	v_ashrrev_i32_e32 v34, 31, v33
	v_add_co_ci_u32_e64 v112, null, s5, v22, vcc_lo
	v_add_nc_u32_e32 v37, s13, v33
	v_add_co_u32 v109, vcc_lo, s4, v31
	v_add_co_ci_u32_e64 v110, null, s5, v32, vcc_lo
	v_lshlrev_b64 v[39:40], 4, v[33:34]
	v_add_co_u32 v105, vcc_lo, s4, v29
	s_clause 0x1
	global_load_dwordx4 v[21:24], v[113:114], off
	global_load_dwordx4 v[25:28], v[115:116], off
	v_ashrrev_i32_e32 v38, 31, v37
	v_add_co_ci_u32_e64 v106, null, s5, v30, vcc_lo
	s_clause 0x1
	global_load_dwordx4 v[29:32], v[111:112], off
	global_load_dwordx4 v[33:36], v[109:110], off
	v_add_co_u32 v103, vcc_lo, s4, v39
	v_add_nc_u32_e32 v45, s13, v37
	v_lshlrev_b64 v[47:48], 4, v[37:38]
	v_add_co_ci_u32_e64 v104, null, s5, v40, vcc_lo
	global_load_dwordx4 v[37:40], v[105:106], off
	v_ashrrev_i32_e32 v46, 31, v45
	v_add_nc_u32_e32 v49, s13, v45
	v_add_co_u32 v101, vcc_lo, s4, v47
	v_add_co_ci_u32_e64 v102, null, s5, v48, vcc_lo
	v_lshlrev_b64 v[45:46], 4, v[45:46]
	global_load_dwordx4 v[134:137], v[103:104], off
	v_add_nc_u32_e32 v51, s13, v49
	v_ashrrev_i32_e32 v50, 31, v49
	s_movk_i32 s14, 0xc0
	s_movk_i32 s15, 0xd0
	v_add_co_u32 v95, vcc_lo, s4, v45
	v_add_co_ci_u32_e64 v96, null, s5, v46, vcc_lo
	v_ashrrev_i32_e32 v52, 31, v51
	v_lshlrev_b64 v[47:48], 4, v[49:50]
	v_add_nc_u32_e32 v49, s13, v51
	s_movk_i32 s16, 0xe0
	s_movk_i32 s84, 0x200
	v_lshlrev_b64 v[45:46], 4, v[51:52]
	s_movk_i32 s85, 0x210
	v_add_co_u32 v93, vcc_lo, s4, v47
	v_add_co_ci_u32_e64 v94, null, s5, v48, vcc_lo
	v_add_co_u32 v89, vcc_lo, s4, v45
	v_add_co_ci_u32_e64 v90, null, s5, v46, vcc_lo
	v_ashrrev_i32_e32 v50, 31, v49
	v_add_nc_u32_e32 v51, s13, v49
	s_movk_i32 s86, 0x220
	s_movk_i32 s87, 0x230
	;; [unrolled: 1-line block ×3, first 2 shown]
	v_lshlrev_b64 v[47:48], 4, v[49:50]
	v_ashrrev_i32_e32 v52, 31, v51
	v_add_nc_u32_e32 v49, s13, v51
	s_movk_i32 s89, 0x250
	s_movk_i32 s26, 0x270
	;; [unrolled: 1-line block ×3, first 2 shown]
	v_lshlrev_b64 v[45:46], 4, v[51:52]
	v_ashrrev_i32_e32 v50, 31, v49
	v_add_nc_u32_e32 v51, s13, v49
	v_add_co_u32 v85, vcc_lo, s4, v47
	v_add_co_ci_u32_e64 v86, null, s5, v48, vcc_lo
	v_lshlrev_b64 v[47:48], 4, v[49:50]
	v_ashrrev_i32_e32 v52, 31, v51
	v_add_nc_u32_e32 v49, s13, v51
	v_add_co_u32 v79, vcc_lo, s4, v45
	v_add_co_ci_u32_e64 v80, null, s5, v46, vcc_lo
	v_lshlrev_b64 v[45:46], 4, v[51:52]
	v_add_nc_u32_e32 v51, s13, v49
	v_ashrrev_i32_e32 v50, 31, v49
	v_add_co_u32 v77, vcc_lo, s4, v47
	v_add_co_ci_u32_e64 v78, null, s5, v48, vcc_lo
	v_ashrrev_i32_e32 v52, 31, v51
	v_lshlrev_b64 v[47:48], 4, v[49:50]
	v_add_co_u32 v69, vcc_lo, s4, v45
	v_add_co_ci_u32_e64 v70, null, s5, v46, vcc_lo
	v_lshlrev_b64 v[45:46], 4, v[51:52]
	v_add_co_u32 v67, vcc_lo, s4, v47
	v_add_co_ci_u32_e64 v68, null, s5, v48, vcc_lo
	v_add_nc_u32_e32 v49, s13, v51
	v_add_co_u32 v61, vcc_lo, s4, v45
	v_add_co_ci_u32_e64 v62, null, s5, v46, vcc_lo
	v_ashrrev_i32_e32 v50, 31, v49
	v_add_nc_u32_e32 v51, s13, v49
	s_movk_i32 s68, 0x290
	s_movk_i32 s69, 0x2a0
	;; [unrolled: 1-line block ×3, first 2 shown]
	v_lshlrev_b64 v[47:48], 4, v[49:50]
	v_add_nc_u32_e32 v49, s13, v51
	v_ashrrev_i32_e32 v52, 31, v51
	s_movk_i32 s71, 0x2c0
	s_movk_i32 s72, 0x2d0
	;; [unrolled: 1-line block ×3, first 2 shown]
	v_ashrrev_i32_e32 v50, 31, v49
	v_lshlrev_b64 v[45:46], 4, v[51:52]
	v_add_co_u32 v75, vcc_lo, s4, v47
	v_add_co_ci_u32_e64 v76, null, s5, v48, vcc_lo
	v_lshlrev_b64 v[47:48], 4, v[49:50]
	v_add_co_u32 v63, vcc_lo, s4, v45
	v_add_co_ci_u32_e64 v64, null, s5, v46, vcc_lo
	v_add_nc_u32_e32 v51, s13, v49
	v_add_co_u32 v53, vcc_lo, s4, v47
	v_add_co_ci_u32_e64 v54, null, s5, v48, vcc_lo
	v_add_nc_u32_e32 v49, s13, v51
	v_ashrrev_i32_e32 v52, 31, v51
	s_movk_i32 s74, 0x2f0
	s_movk_i32 s75, 0x300
	;; [unrolled: 1-line block ×3, first 2 shown]
	v_ashrrev_i32_e32 v50, 31, v49
	v_lshlrev_b64 v[45:46], 4, v[51:52]
	v_add_nc_u32_e32 v51, s13, v49
	s_movk_i32 s77, 0x320
	s_movk_i32 s78, 0x330
	v_lshlrev_b64 v[47:48], 4, v[49:50]
	s_movk_i32 s79, 0x340
	v_add_co_u32 v45, vcc_lo, s4, v45
	v_add_co_ci_u32_e64 v46, null, s5, v46, vcc_lo
	v_add_co_u32 v47, vcc_lo, s4, v47
	v_add_co_ci_u32_e64 v48, null, s5, v48, vcc_lo
	v_add_nc_u32_e32 v49, s13, v51
	v_ashrrev_i32_e32 v52, 31, v51
	s_movk_i32 s80, 0x350
	s_movk_i32 s81, 0x360
	;; [unrolled: 1-line block ×3, first 2 shown]
	v_add_nc_u32_e32 v55, s13, v49
	v_ashrrev_i32_e32 v50, 31, v49
	v_lshlrev_b64 v[51:52], 4, v[51:52]
	s_movk_i32 s83, 0x380
	s_movk_i32 s90, 0x390
	v_add_nc_u32_e32 v59, s13, v55
	v_lshlrev_b64 v[57:58], 4, v[49:50]
	v_ashrrev_i32_e32 v56, 31, v55
	v_add_co_u32 v49, vcc_lo, s4, v51
	v_ashrrev_i32_e32 v60, 31, v59
	v_add_nc_u32_e32 v65, s13, v59
	v_add_co_ci_u32_e64 v50, null, s5, v52, vcc_lo
	v_add_co_u32 v51, vcc_lo, s4, v57
	v_add_co_ci_u32_e64 v52, null, s5, v58, vcc_lo
	v_lshlrev_b64 v[57:58], 4, v[59:60]
	v_add_nc_u32_e32 v59, s13, v65
	v_ashrrev_i32_e32 v66, 31, v65
	v_lshlrev_b64 v[55:56], 4, v[55:56]
	s_cselect_b32 s66, -1, 0
	s_cmpk_eq_i32 s9, 0x84
	v_ashrrev_i32_e32 v60, 31, v59
	v_lshlrev_b64 v[65:66], 4, v[65:66]
	v_add_nc_u32_e32 v71, s13, v59
	v_add_co_u32 v55, vcc_lo, s4, v55
	v_add_co_ci_u32_e64 v56, null, s5, v56, vcc_lo
	v_add_co_u32 v57, vcc_lo, s4, v57
	v_lshlrev_b64 v[73:74], 4, v[59:60]
	v_add_co_ci_u32_e64 v58, null, s5, v58, vcc_lo
	v_add_co_u32 v59, vcc_lo, s4, v65
	v_add_co_ci_u32_e64 v60, null, s5, v66, vcc_lo
	v_add_co_u32 v65, vcc_lo, s4, v73
	v_add_co_ci_u32_e64 v66, null, s5, v74, vcc_lo
	v_add_nc_u32_e32 v81, s13, v71
	v_ashrrev_i32_e32 v72, 31, v71
	s_movk_i32 s91, 0x3a0
	s_waitcnt vmcnt(10)
	buffer_store_dword v4, off, s[0:3], 0 offset:12
	buffer_store_dword v3, off, s[0:3], 0 offset:8
	;; [unrolled: 1-line block ×3, first 2 shown]
	buffer_store_dword v1, off, s[0:3], 0
	global_load_dwordx4 v[1:4], v[101:102], off
	s_waitcnt vmcnt(10)
	buffer_store_dword v8, off, s[0:3], 0 offset:28
	buffer_store_dword v7, off, s[0:3], 0 offset:24
	buffer_store_dword v6, off, s[0:3], 0 offset:20
	buffer_store_dword v5, off, s[0:3], 0 offset:16
	global_load_dwordx4 v[5:8], v[95:96], off
	s_waitcnt vmcnt(10)
	buffer_store_dword v12, off, s[0:3], 0 offset:44
	buffer_store_dword v11, off, s[0:3], 0 offset:40
	buffer_store_dword v10, off, s[0:3], 0 offset:36
	buffer_store_dword v9, off, s[0:3], 0 offset:32
	;; [unrolled: 6-line block ×10, first 2 shown]
	global_load_dwordx4 v[134:137], v[75:76], off
	v_add_nc_u32_e32 v83, s13, v81
	v_ashrrev_i32_e32 v82, 31, v81
	v_lshlrev_b64 v[71:72], 4, v[71:72]
	s_waitcnt vmcnt(10)
	buffer_store_dword v1, off, s[0:3], 0 offset:176
	buffer_store_dword v2, off, s[0:3], 0 offset:180
	buffer_store_dword v3, off, s[0:3], 0 offset:184
	buffer_store_dword v4, off, s[0:3], 0 offset:188
	global_load_dwordx4 v[1:4], v[63:64], off
	s_waitcnt vmcnt(10)
	buffer_store_dword v8, off, s[0:3], 0 offset:204
	buffer_store_dword v7, off, s[0:3], 0 offset:200
	buffer_store_dword v6, off, s[0:3], 0 offset:196
	buffer_store_dword v5, off, s[0:3], 0 offset:192
	global_load_dwordx4 v[5:8], v[53:54], off
	;; [unrolled: 6-line block ×10, first 2 shown]
	v_ashrrev_i32_e32 v84, 31, v83
	v_lshlrev_b64 v[73:74], 4, v[81:82]
	v_add_nc_u32_e32 v81, s13, v83
	v_add_co_u32 v71, vcc_lo, s4, v71
	v_add_co_ci_u32_e64 v72, null, s5, v72, vcc_lo
	v_lshlrev_b64 v[83:84], 4, v[83:84]
	v_ashrrev_i32_e32 v82, 31, v81
	v_add_co_u32 v73, vcc_lo, s4, v73
	v_add_co_ci_u32_e64 v74, null, s5, v74, vcc_lo
	s_waitcnt vmcnt(10)
	buffer_store_dword v137, off, s[0:3], 0 offset:348
	buffer_store_dword v136, off, s[0:3], 0 offset:344
	;; [unrolled: 1-line block ×4, first 2 shown]
	global_load_dwordx4 v[134:137], v[71:72], off
	v_add_nc_u32_e32 v87, s13, v81
	v_lshlrev_b64 v[91:92], 4, v[81:82]
	v_add_co_u32 v81, vcc_lo, s4, v83
	v_add_co_ci_u32_e64 v82, null, s5, v84, vcc_lo
	v_ashrrev_i32_e32 v88, 31, v87
	v_add_nc_u32_e32 v97, s13, v87
	v_add_co_u32 v83, vcc_lo, s4, v91
	v_add_co_ci_u32_e64 v84, null, s5, v92, vcc_lo
	v_lshlrev_b64 v[87:88], 4, v[87:88]
	v_ashrrev_i32_e32 v98, 31, v97
	v_add_nc_u32_e32 v99, s13, v97
	s_waitcnt vmcnt(10)
	buffer_store_dword v4, off, s[0:3], 0 offset:364
	buffer_store_dword v3, off, s[0:3], 0 offset:360
	;; [unrolled: 1-line block ×4, first 2 shown]
	global_load_dwordx4 v[1:4], v[73:74], off
	s_waitcnt vmcnt(10)
	buffer_store_dword v8, off, s[0:3], 0 offset:380
	buffer_store_dword v7, off, s[0:3], 0 offset:376
	;; [unrolled: 1-line block ×4, first 2 shown]
	global_load_dwordx4 v[5:8], v[81:82], off
	v_add_co_u32 v87, vcc_lo, s4, v87
	v_add_co_ci_u32_e64 v88, null, s5, v88, vcc_lo
	s_waitcnt vmcnt(10)
	buffer_store_dword v12, off, s[0:3], 0 offset:396
	buffer_store_dword v11, off, s[0:3], 0 offset:392
	;; [unrolled: 1-line block ×4, first 2 shown]
	global_load_dwordx4 v[9:12], v[83:84], off
	s_waitcnt vmcnt(10)
	buffer_store_dword v16, off, s[0:3], 0 offset:412
	buffer_store_dword v15, off, s[0:3], 0 offset:408
	buffer_store_dword v14, off, s[0:3], 0 offset:404
	buffer_store_dword v13, off, s[0:3], 0 offset:400
	global_load_dwordx4 v[13:16], v[87:88], off
	v_lshlrev_b64 v[91:92], 4, v[97:98]
	v_add_nc_u32_e32 v97, s13, v99
	v_ashrrev_i32_e32 v100, 31, v99
	s_waitcnt vmcnt(10)
	buffer_store_dword v20, off, s[0:3], 0 offset:428
	buffer_store_dword v19, off, s[0:3], 0 offset:424
	;; [unrolled: 1-line block ×4, first 2 shown]
	s_waitcnt vmcnt(9)
	buffer_store_dword v24, off, s[0:3], 0 offset:444
	buffer_store_dword v23, off, s[0:3], 0 offset:440
	;; [unrolled: 1-line block ×4, first 2 shown]
	v_add_nc_u32_e32 v107, s13, v97
	v_ashrrev_i32_e32 v98, 31, v97
	v_lshlrev_b64 v[99:100], 4, v[99:100]
	v_add_co_u32 v91, vcc_lo, s4, v91
	v_add_nc_u32_e32 v123, s13, v107
	v_lshlrev_b64 v[117:118], 4, v[97:98]
	v_ashrrev_i32_e32 v108, 31, v107
	v_add_co_ci_u32_e64 v92, null, s5, v92, vcc_lo
	v_add_nc_u32_e32 v125, s13, v123
	v_ashrrev_i32_e32 v124, 31, v123
	v_add_co_u32 v97, vcc_lo, s4, v99
	v_add_co_ci_u32_e64 v98, null, s5, v100, vcc_lo
	v_add_co_u32 v99, vcc_lo, s4, v117
	v_ashrrev_i32_e32 v126, 31, v125
	v_lshlrev_b64 v[107:108], 4, v[107:108]
	v_add_co_ci_u32_e64 v100, null, s5, v118, vcc_lo
	v_lshlrev_b64 v[117:118], 4, v[123:124]
	v_add_nc_u32_e32 v123, s13, v125
	v_lshlrev_b64 v[125:126], 4, v[125:126]
	v_add_co_u32 v107, vcc_lo, s4, v107
	v_add_co_ci_u32_e64 v108, null, s5, v108, vcc_lo
	v_ashrrev_i32_e32 v124, 31, v123
	v_add_co_u32 v117, vcc_lo, s4, v117
	v_add_nc_u32_e32 v127, s13, v123
	v_add_co_ci_u32_e64 v118, null, s5, v118, vcc_lo
	v_lshlrev_b64 v[129:130], 4, v[123:124]
	v_add_co_u32 v123, vcc_lo, s4, v125
	v_add_co_ci_u32_e64 v124, null, s5, v126, vcc_lo
	s_clause 0x1
	global_load_dwordx4 v[17:20], v[91:92], off
	global_load_dwordx4 v[21:24], v[97:98], off
	s_waitcnt vmcnt(10)
	buffer_store_dword v28, off, s[0:3], 0 offset:460
	buffer_store_dword v27, off, s[0:3], 0 offset:456
	;; [unrolled: 1-line block ×4, first 2 shown]
	s_waitcnt vmcnt(9)
	buffer_store_dword v32, off, s[0:3], 0 offset:476
	buffer_store_dword v31, off, s[0:3], 0 offset:472
	;; [unrolled: 1-line block ×4, first 2 shown]
	s_clause 0x1
	global_load_dwordx4 v[25:28], v[99:100], off
	global_load_dwordx4 v[29:32], v[107:108], off
	s_waitcnt vmcnt(10)
	buffer_store_dword v36, off, s[0:3], 0 offset:492
	buffer_store_dword v35, off, s[0:3], 0 offset:488
	;; [unrolled: 1-line block ×4, first 2 shown]
	s_waitcnt vmcnt(9)
	buffer_store_dword v40, off, s[0:3], 0 offset:508
	buffer_store_dword v39, off, s[0:3], 0 offset:504
	;; [unrolled: 1-line block ×4, first 2 shown]
	s_clause 0x1
	global_load_dwordx4 v[33:36], v[117:118], off
	global_load_dwordx4 v[37:40], v[123:124], off
	v_add_nc_u32_e32 v142, s13, v127
	v_ashrrev_i32_e32 v128, 31, v127
	v_add_co_u32 v125, vcc_lo, s4, v129
	v_add_co_ci_u32_e64 v126, null, s5, v130, vcc_lo
	v_ashrrev_i32_e32 v143, 31, v142
	v_lshlrev_b64 v[127:128], 4, v[127:128]
	s_waitcnt vmcnt(10)
	buffer_store_dword v137, off, s[0:3], 0 offset:524
	buffer_store_dword v136, off, s[0:3], 0 offset:520
	buffer_store_dword v135, off, s[0:3], 0 offset:516
	buffer_store_dword v134, off, s[0:3], 0 offset:512
	global_load_dwordx4 v[134:137], v[125:126], off
	s_waitcnt vmcnt(10)
	buffer_store_dword v4, off, s[0:3], 0 offset:540
	buffer_store_dword v3, off, s[0:3], 0 offset:536
	;; [unrolled: 1-line block ×4, first 2 shown]
	v_lshlrev_b64 v[129:130], 4, v[142:143]
	v_add_co_u32 v127, vcc_lo, s4, v127
	v_add_co_ci_u32_e64 v128, null, s5, v128, vcc_lo
	v_add_co_u32 v129, vcc_lo, s4, v129
	v_add_co_ci_u32_e64 v130, null, s5, v130, vcc_lo
	global_load_dwordx4 v[1:4], v[127:128], off
	s_waitcnt vmcnt(10)
	buffer_store_dword v8, off, s[0:3], 0 offset:556
	buffer_store_dword v7, off, s[0:3], 0 offset:552
	;; [unrolled: 1-line block ×4, first 2 shown]
	v_add_nc_u32_e32 v7, s13, v142
	global_load_dwordx4 v[138:141], v[129:130], off
	s_waitcnt vmcnt(10)
	buffer_store_dword v12, off, s[0:3], 0 offset:572
	buffer_store_dword v11, off, s[0:3], 0 offset:568
	;; [unrolled: 1-line block ×4, first 2 shown]
	v_ashrrev_i32_e32 v8, 31, v7
	s_waitcnt vmcnt(9)
	buffer_store_dword v16, off, s[0:3], 0 offset:588
	buffer_store_dword v15, off, s[0:3], 0 offset:584
	;; [unrolled: 1-line block ×4, first 2 shown]
	v_lshlrev_b64 v[5:6], 4, v[7:8]
	v_add_nc_u32_e32 v7, s13, v7
	v_add_co_u32 v5, vcc_lo, s4, v5
	v_add_co_ci_u32_e64 v6, null, s5, v6, vcc_lo
	v_add_nc_u32_e32 v9, s13, v7
	v_ashrrev_i32_e32 v8, 31, v7
	global_load_dwordx4 v[142:145], v[5:6], off
	s_waitcnt vmcnt(9)
	buffer_store_dword v20, off, s[0:3], 0 offset:604
	buffer_store_dword v19, off, s[0:3], 0 offset:600
	buffer_store_dword v18, off, s[0:3], 0 offset:596
	buffer_store_dword v17, off, s[0:3], 0 offset:592
	s_waitcnt vmcnt(8)
	buffer_store_dword v24, off, s[0:3], 0 offset:620
	buffer_store_dword v23, off, s[0:3], 0 offset:616
	buffer_store_dword v22, off, s[0:3], 0 offset:612
	buffer_store_dword v21, off, s[0:3], 0 offset:608
	;; [unrolled: 5-line block ×8, first 2 shown]
	s_waitcnt vmcnt(1)
	buffer_store_dword v141, off, s[0:3], 0 offset:732
	buffer_store_dword v140, off, s[0:3], 0 offset:728
	;; [unrolled: 1-line block ×3, first 2 shown]
	v_add_nc_u32_e32 v3, s13, v9
	v_ashrrev_i32_e32 v10, 31, v9
	v_lshlrev_b64 v[7:8], 4, v[7:8]
	v_add_nc_u32_e32 v11, s13, v3
	v_lshlrev_b64 v[1:2], 4, v[9:10]
	v_ashrrev_i32_e32 v4, 31, v3
	v_add_co_u32 v7, vcc_lo, s4, v7
	v_add_nc_u32_e32 v13, s13, v11
	v_add_co_ci_u32_e64 v8, null, s5, v8, vcc_lo
	v_add_co_u32 v9, vcc_lo, s4, v1
	v_ashrrev_i32_e32 v12, 31, v11
	v_lshlrev_b64 v[15:16], 4, v[3:4]
	v_add_co_ci_u32_e64 v10, null, s5, v2, vcc_lo
	v_add_nc_u32_e32 v19, s13, v13
	v_lshlrev_b64 v[17:18], 4, v[11:12]
	s_clause 0x1
	global_load_dwordx4 v[1:4], v[7:8], off
	global_load_dwordx4 v[21:24], v[9:10], off
	v_ashrrev_i32_e32 v14, 31, v13
	v_add_co_u32 v11, vcc_lo, s4, v15
	v_ashrrev_i32_e32 v20, 31, v19
	v_add_co_ci_u32_e64 v12, null, s5, v16, vcc_lo
	v_lshlrev_b64 v[15:16], 4, v[13:14]
	v_add_co_u32 v13, vcc_lo, s4, v17
	v_add_co_ci_u32_e64 v14, null, s5, v18, vcc_lo
	v_lshlrev_b64 v[17:18], 4, v[19:20]
	global_load_dwordx4 v[25:28], v[11:12], off
	v_add_co_u32 v15, vcc_lo, s4, v15
	global_load_dwordx4 v[29:32], v[13:14], off
	v_add_co_ci_u32_e64 v16, null, s5, v16, vcc_lo
	v_add_co_u32 v17, vcc_lo, s4, v17
	v_add_co_ci_u32_e64 v18, null, s5, v18, vcc_lo
	v_add_nc_u32_e32 v139, s13, v19
	global_load_dwordx4 v[33:36], v[15:16], off
	buffer_store_dword v138, off, s[0:3], 0 offset:720
	global_load_dwordx4 v[37:40], v[17:18], off
	s_waitcnt vmcnt(6)
	buffer_store_dword v145, off, s[0:3], 0 offset:748
	buffer_store_dword v144, off, s[0:3], 0 offset:744
	;; [unrolled: 1-line block ×4, first 2 shown]
	v_ashrrev_i32_e32 v140, 31, v139
	v_lshlrev_b64 v[19:20], 4, v[139:140]
	v_add_co_u32 v19, vcc_lo, s4, v19
	v_add_co_ci_u32_e64 v20, null, s5, v20, vcc_lo
	global_load_dwordx4 v[134:137], v[19:20], off
	s_waitcnt vmcnt(6)
	buffer_store_dword v4, off, s[0:3], 0 offset:764
	buffer_store_dword v3, off, s[0:3], 0 offset:760
	buffer_store_dword v2, off, s[0:3], 0 offset:756
	buffer_store_dword v1, off, s[0:3], 0 offset:752
	s_waitcnt vmcnt(5)
	buffer_store_dword v24, off, s[0:3], 0 offset:780
	buffer_store_dword v23, off, s[0:3], 0 offset:776
	buffer_store_dword v22, off, s[0:3], 0 offset:772
	buffer_store_dword v21, off, s[0:3], 0 offset:768
	s_waitcnt vmcnt(4)
	buffer_store_dword v28, off, s[0:3], 0 offset:796
	buffer_store_dword v27, off, s[0:3], 0 offset:792
	buffer_store_dword v26, off, s[0:3], 0 offset:788
	buffer_store_dword v25, off, s[0:3], 0 offset:784
	s_waitcnt vmcnt(3)
	buffer_store_dword v32, off, s[0:3], 0 offset:812
	v_add_nc_u32_e32 v1, s13, v139
	buffer_store_dword v31, off, s[0:3], 0 offset:808
	buffer_store_dword v30, off, s[0:3], 0 offset:804
	;; [unrolled: 1-line block ×3, first 2 shown]
	s_waitcnt vmcnt(2)
	buffer_store_dword v36, off, s[0:3], 0 offset:828
	v_add_nc_u32_e32 v3, s13, v1
	v_ashrrev_i32_e32 v2, 31, v1
	buffer_store_dword v35, off, s[0:3], 0 offset:824
	buffer_store_dword v34, off, s[0:3], 0 offset:820
	;; [unrolled: 1-line block ×3, first 2 shown]
	s_waitcnt vmcnt(1)
	buffer_store_dword v40, off, s[0:3], 0 offset:844
	buffer_store_dword v39, off, s[0:3], 0 offset:840
	v_add_nc_u32_e32 v23, s13, v3
	v_ashrrev_i32_e32 v4, 31, v3
	v_lshlrev_b64 v[1:2], 4, v[1:2]
	buffer_store_dword v38, off, s[0:3], 0 offset:836
	buffer_store_dword v37, off, s[0:3], 0 offset:832
	v_ashrrev_i32_e32 v24, 31, v23
	v_add_nc_u32_e32 v29, s13, v23
	v_lshlrev_b64 v[25:26], 4, v[3:4]
	v_add_co_u32 v21, vcc_lo, s4, v1
	v_lshlrev_b64 v[27:28], 4, v[23:24]
	v_add_nc_u32_e32 v39, s13, v29
	v_ashrrev_i32_e32 v30, 31, v29
	v_add_co_ci_u32_e64 v22, null, s5, v2, vcc_lo
	v_add_co_u32 v23, vcc_lo, s4, v25
	v_ashrrev_i32_e32 v40, 31, v39
	v_add_co_ci_u32_e64 v24, null, s5, v26, vcc_lo
	v_add_co_u32 v25, vcc_lo, s4, v27
	v_add_co_ci_u32_e64 v26, null, s5, v28, vcc_lo
	v_lshlrev_b64 v[27:28], 4, v[29:30]
	v_lshlrev_b64 v[39:40], 4, v[39:40]
	global_load_dwordx4 v[1:4], v[21:22], off
	s_movk_i32 s13, 0xb0
	v_add_co_u32 v29, vcc_lo, s4, v27
	v_add_co_ci_u32_e64 v30, null, s5, v28, vcc_lo
	v_add_co_u32 v27, vcc_lo, s4, v39
	v_add_co_ci_u32_e64 v28, null, s5, v40, vcc_lo
	s_waitcnt vmcnt(1)
	buffer_store_dword v137, off, s[0:3], 0 offset:860
	s_clause 0x2
	global_load_dwordx4 v[31:34], v[23:24], off
	global_load_dwordx4 v[35:38], v[25:26], off
	;; [unrolled: 1-line block ×3, first 2 shown]
	buffer_store_dword v136, off, s[0:3], 0 offset:856
	buffer_store_dword v135, off, s[0:3], 0 offset:852
	;; [unrolled: 1-line block ×3, first 2 shown]
	global_load_dwordx4 v[141:144], v[27:28], off
	s_movk_i32 s5, 0x50
	s_movk_i32 s4, 0x260
	s_waitcnt vmcnt(4)
	buffer_store_dword v4, off, s[0:3], 0 offset:876
	buffer_store_dword v3, off, s[0:3], 0 offset:872
	buffer_store_dword v2, off, s[0:3], 0 offset:868
	buffer_store_dword v1, off, s[0:3], 0 offset:864
	s_waitcnt vmcnt(3)
	buffer_store_dword v34, off, s[0:3], 0 offset:892
	buffer_store_dword v33, off, s[0:3], 0 offset:888
	buffer_store_dword v32, off, s[0:3], 0 offset:884
	buffer_store_dword v31, off, s[0:3], 0 offset:880
	;; [unrolled: 5-line block ×5, first 2 shown]
	s_cbranch_scc1 .LBB58_7
; %bb.2:
	v_lshl_add_u32 v37, v0, 4, 0
                                        ; implicit-def: $vgpr33_vgpr34
                                        ; implicit-def: $vgpr3_vgpr4
	s_clause 0x3
	buffer_load_dword v31, v37, s[0:3], 0 offen
	buffer_load_dword v32, v37, s[0:3], 0 offen offset:4
	buffer_load_dword v35, v37, s[0:3], 0 offen offset:8
	;; [unrolled: 1-line block ×3, first 2 shown]
	s_waitcnt vmcnt(0)
	v_cmp_ngt_f64_e64 s9, |v[31:32]|, |v[35:36]|
	s_and_saveexec_b32 s36, s9
	s_xor_b32 s9, exec_lo, s36
	s_cbranch_execz .LBB58_4
; %bb.3:
	v_div_scale_f64 v[1:2], null, v[35:36], v[35:36], v[31:32]
	v_div_scale_f64 v[38:39], vcc_lo, v[31:32], v[35:36], v[31:32]
	v_rcp_f64_e32 v[3:4], v[1:2]
	v_fma_f64 v[33:34], -v[1:2], v[3:4], 1.0
	v_fma_f64 v[3:4], v[3:4], v[33:34], v[3:4]
	v_fma_f64 v[33:34], -v[1:2], v[3:4], 1.0
	v_fma_f64 v[3:4], v[3:4], v[33:34], v[3:4]
	v_mul_f64 v[33:34], v[38:39], v[3:4]
	v_fma_f64 v[1:2], -v[1:2], v[33:34], v[38:39]
	v_div_fmas_f64 v[1:2], v[1:2], v[3:4], v[33:34]
	v_div_fixup_f64 v[1:2], v[1:2], v[35:36], v[31:32]
	v_fma_f64 v[3:4], v[31:32], v[1:2], v[35:36]
	v_div_scale_f64 v[31:32], null, v[3:4], v[3:4], 1.0
	v_div_scale_f64 v[38:39], vcc_lo, 1.0, v[3:4], 1.0
	v_rcp_f64_e32 v[33:34], v[31:32]
	v_fma_f64 v[35:36], -v[31:32], v[33:34], 1.0
	v_fma_f64 v[33:34], v[33:34], v[35:36], v[33:34]
	v_fma_f64 v[35:36], -v[31:32], v[33:34], 1.0
	v_fma_f64 v[33:34], v[33:34], v[35:36], v[33:34]
	v_mul_f64 v[35:36], v[38:39], v[33:34]
	v_fma_f64 v[31:32], -v[31:32], v[35:36], v[38:39]
	v_div_fmas_f64 v[31:32], v[31:32], v[33:34], v[35:36]
                                        ; implicit-def: $vgpr35_vgpr36
	v_div_fixup_f64 v[3:4], v[31:32], v[3:4], 1.0
                                        ; implicit-def: $vgpr31_vgpr32
	v_mul_f64 v[33:34], v[1:2], v[3:4]
	v_xor_b32_e32 v4, 0x80000000, v4
	v_xor_b32_e32 v2, 0x80000000, v34
	v_mov_b32_e32 v1, v33
.LBB58_4:
	s_andn2_saveexec_b32 s9, s9
	s_cbranch_execz .LBB58_6
; %bb.5:
	v_div_scale_f64 v[1:2], null, v[31:32], v[31:32], v[35:36]
	v_div_scale_f64 v[38:39], vcc_lo, v[35:36], v[31:32], v[35:36]
	v_rcp_f64_e32 v[3:4], v[1:2]
	v_fma_f64 v[33:34], -v[1:2], v[3:4], 1.0
	v_fma_f64 v[3:4], v[3:4], v[33:34], v[3:4]
	v_fma_f64 v[33:34], -v[1:2], v[3:4], 1.0
	v_fma_f64 v[3:4], v[3:4], v[33:34], v[3:4]
	v_mul_f64 v[33:34], v[38:39], v[3:4]
	v_fma_f64 v[1:2], -v[1:2], v[33:34], v[38:39]
	v_div_fmas_f64 v[1:2], v[1:2], v[3:4], v[33:34]
	v_div_fixup_f64 v[1:2], v[1:2], v[31:32], v[35:36]
	v_fma_f64 v[3:4], v[35:36], v[1:2], v[31:32]
	v_div_scale_f64 v[31:32], null, v[3:4], v[3:4], 1.0
	v_rcp_f64_e32 v[33:34], v[31:32]
	v_fma_f64 v[35:36], -v[31:32], v[33:34], 1.0
	v_fma_f64 v[33:34], v[33:34], v[35:36], v[33:34]
	v_fma_f64 v[35:36], -v[31:32], v[33:34], 1.0
	v_fma_f64 v[33:34], v[33:34], v[35:36], v[33:34]
	v_div_scale_f64 v[35:36], vcc_lo, 1.0, v[3:4], 1.0
	v_mul_f64 v[38:39], v[35:36], v[33:34]
	v_fma_f64 v[31:32], -v[31:32], v[38:39], v[35:36]
	v_div_fmas_f64 v[31:32], v[31:32], v[33:34], v[38:39]
	v_div_fixup_f64 v[33:34], v[31:32], v[3:4], 1.0
	v_mul_f64 v[3:4], v[1:2], -v[33:34]
	v_xor_b32_e32 v2, 0x80000000, v34
	v_mov_b32_e32 v1, v33
.LBB58_6:
	s_or_b32 exec_lo, exec_lo, s9
	buffer_store_dword v4, v37, s[0:3], 0 offen offset:12
	v_xor_b32_e32 v4, 0x80000000, v4
	buffer_store_dword v34, v37, s[0:3], 0 offen offset:4
	buffer_store_dword v33, v37, s[0:3], 0 offen
	buffer_store_dword v3, v37, s[0:3], 0 offen offset:8
	s_branch .LBB58_8
.LBB58_7:
	v_mov_b32_e32 v1, 0
	v_mov_b32_e32 v3, 0
	v_mov_b32_e32 v2, 0xbff00000
	v_mov_b32_e32 v4, 0
.LBB58_8:
	v_add_nc_u32_e32 v32, 0x3b0, v133
	v_mov_b32_e32 v31, v133
	s_mov_b32 s65, 16
	s_mov_b32 s64, 32
	;; [unrolled: 1-line block ×56, first 2 shown]
	s_cmpk_eq_i32 s8, 0x79
	ds_write_b128 v133, v[1:4]
	s_cbranch_scc1 .LBB58_468
; %bb.9:
	v_mov_b32_e32 v4, s7
	v_cmp_eq_u32_e64 s4, 58, v0
	s_clause 0x3
	buffer_load_dword v1, v4, s[0:3], 0 offen
	buffer_load_dword v2, v4, s[0:3], 0 offen offset:4
	buffer_load_dword v3, v4, s[0:3], 0 offen offset:8
	;; [unrolled: 1-line block ×3, first 2 shown]
	s_waitcnt vmcnt(0)
	ds_write_b128 v32, v[1:4]
	s_waitcnt lgkmcnt(0)
	s_waitcnt_vscnt null, 0x0
	s_barrier
	buffer_gl0_inv
	s_and_saveexec_b32 s5, s4
	s_cbranch_execz .LBB58_13
; %bb.10:
	ds_read_b128 v[1:4], v32
	s_andn2_b32 vcc_lo, exec_lo, s66
	s_cbranch_vccnz .LBB58_12
; %bb.11:
	s_clause 0x3
	buffer_load_dword v33, v31, s[0:3], 0 offen offset:8
	buffer_load_dword v34, v31, s[0:3], 0 offen offset:12
	buffer_load_dword v35, v31, s[0:3], 0 offen
	buffer_load_dword v36, v31, s[0:3], 0 offen offset:4
	s_waitcnt vmcnt(2) lgkmcnt(0)
	v_mul_f64 v[37:38], v[3:4], v[33:34]
	v_mul_f64 v[33:34], v[1:2], v[33:34]
	s_waitcnt vmcnt(0)
	v_fma_f64 v[1:2], v[1:2], v[35:36], -v[37:38]
	v_fma_f64 v[3:4], v[3:4], v[35:36], v[33:34]
.LBB58_12:
	v_mov_b32_e32 v33, 0
	ds_read_b128 v[33:36], v33 offset:912
	s_waitcnt lgkmcnt(0)
	v_mul_f64 v[37:38], v[3:4], v[35:36]
	v_mul_f64 v[35:36], v[1:2], v[35:36]
	v_fma_f64 v[1:2], v[1:2], v[33:34], -v[37:38]
	v_fma_f64 v[3:4], v[3:4], v[33:34], v[35:36]
	buffer_store_dword v2, off, s[0:3], 0 offset:916
	buffer_store_dword v1, off, s[0:3], 0 offset:912
	;; [unrolled: 1-line block ×4, first 2 shown]
.LBB58_13:
	s_or_b32 exec_lo, exec_lo, s5
	v_mov_b32_e32 v4, s9
	v_cmp_lt_u32_e64 s5, 56, v0
	s_clause 0x3
	buffer_load_dword v1, v4, s[0:3], 0 offen
	buffer_load_dword v2, v4, s[0:3], 0 offen offset:4
	buffer_load_dword v3, v4, s[0:3], 0 offen offset:8
	;; [unrolled: 1-line block ×3, first 2 shown]
	s_waitcnt vmcnt(0)
	ds_write_b128 v32, v[1:4]
	s_waitcnt lgkmcnt(0)
	s_waitcnt_vscnt null, 0x0
	s_barrier
	buffer_gl0_inv
	s_and_saveexec_b32 s8, s5
	s_cbranch_execz .LBB58_19
; %bb.14:
	ds_read_b128 v[1:4], v32
	s_andn2_b32 vcc_lo, exec_lo, s66
	s_cbranch_vccnz .LBB58_16
; %bb.15:
	s_clause 0x3
	buffer_load_dword v33, v31, s[0:3], 0 offen offset:8
	buffer_load_dword v34, v31, s[0:3], 0 offen offset:12
	buffer_load_dword v35, v31, s[0:3], 0 offen
	buffer_load_dword v36, v31, s[0:3], 0 offen offset:4
	s_waitcnt vmcnt(2) lgkmcnt(0)
	v_mul_f64 v[37:38], v[3:4], v[33:34]
	v_mul_f64 v[33:34], v[1:2], v[33:34]
	s_waitcnt vmcnt(0)
	v_fma_f64 v[1:2], v[1:2], v[35:36], -v[37:38]
	v_fma_f64 v[3:4], v[3:4], v[35:36], v[33:34]
.LBB58_16:
	s_and_saveexec_b32 s67, s4
	s_cbranch_execz .LBB58_18
; %bb.17:
	s_clause 0x3
	buffer_load_dword v37, off, s[0:3], 0 offset:920
	buffer_load_dword v38, off, s[0:3], 0 offset:924
	;; [unrolled: 1-line block ×4, first 2 shown]
	v_mov_b32_e32 v33, 0
	ds_read_b128 v[33:36], v33 offset:1856
	s_waitcnt vmcnt(2) lgkmcnt(0)
	v_mul_f64 v[134:135], v[33:34], v[37:38]
	v_mul_f64 v[37:38], v[35:36], v[37:38]
	s_waitcnt vmcnt(0)
	v_fma_f64 v[35:36], v[35:36], v[39:40], v[134:135]
	v_fma_f64 v[33:34], v[33:34], v[39:40], -v[37:38]
	v_add_f64 v[3:4], v[3:4], v[35:36]
	v_add_f64 v[1:2], v[1:2], v[33:34]
.LBB58_18:
	s_or_b32 exec_lo, exec_lo, s67
	v_mov_b32_e32 v33, 0
	ds_read_b128 v[33:36], v33 offset:896
	s_waitcnt lgkmcnt(0)
	v_mul_f64 v[37:38], v[3:4], v[35:36]
	v_mul_f64 v[35:36], v[1:2], v[35:36]
	v_fma_f64 v[1:2], v[1:2], v[33:34], -v[37:38]
	v_fma_f64 v[3:4], v[3:4], v[33:34], v[35:36]
	buffer_store_dword v2, off, s[0:3], 0 offset:900
	buffer_store_dword v1, off, s[0:3], 0 offset:896
	;; [unrolled: 1-line block ×4, first 2 shown]
.LBB58_19:
	s_or_b32 exec_lo, exec_lo, s8
	v_mov_b32_e32 v4, s10
	v_cmp_lt_u32_e64 s4, 55, v0
	s_clause 0x3
	buffer_load_dword v1, v4, s[0:3], 0 offen
	buffer_load_dword v2, v4, s[0:3], 0 offen offset:4
	buffer_load_dword v3, v4, s[0:3], 0 offen offset:8
	;; [unrolled: 1-line block ×3, first 2 shown]
	s_waitcnt vmcnt(0)
	ds_write_b128 v32, v[1:4]
	s_waitcnt lgkmcnt(0)
	s_waitcnt_vscnt null, 0x0
	s_barrier
	buffer_gl0_inv
	s_and_saveexec_b32 s8, s4
	s_cbranch_execz .LBB58_27
; %bb.20:
	ds_read_b128 v[1:4], v32
	s_andn2_b32 vcc_lo, exec_lo, s66
	s_cbranch_vccnz .LBB58_22
; %bb.21:
	s_clause 0x3
	buffer_load_dword v33, v31, s[0:3], 0 offen offset:8
	buffer_load_dword v34, v31, s[0:3], 0 offen offset:12
	buffer_load_dword v35, v31, s[0:3], 0 offen
	buffer_load_dword v36, v31, s[0:3], 0 offen offset:4
	s_waitcnt vmcnt(2) lgkmcnt(0)
	v_mul_f64 v[37:38], v[3:4], v[33:34]
	v_mul_f64 v[33:34], v[1:2], v[33:34]
	s_waitcnt vmcnt(0)
	v_fma_f64 v[1:2], v[1:2], v[35:36], -v[37:38]
	v_fma_f64 v[3:4], v[3:4], v[35:36], v[33:34]
.LBB58_22:
	s_and_saveexec_b32 s67, s5
	s_cbranch_execz .LBB58_26
; %bb.23:
	v_subrev_nc_u32_e32 v33, 56, v0
	s_movk_i32 s68, 0x730
	s_mov_b32 s5, 0
	s_mov_b32 s69, s9
	.p2align	6
.LBB58_24:                              ; =>This Inner Loop Header: Depth=1
	v_mov_b32_e32 v34, s69
	v_add_nc_u32_e32 v33, -1, v33
	s_add_i32 s69, s69, 16
	s_clause 0x3
	buffer_load_dword v38, v34, s[0:3], 0 offen offset:8
	buffer_load_dword v39, v34, s[0:3], 0 offen offset:12
	buffer_load_dword v134, v34, s[0:3], 0 offen
	buffer_load_dword v135, v34, s[0:3], 0 offen offset:4
	v_mov_b32_e32 v34, s68
	v_cmp_eq_u32_e32 vcc_lo, 0, v33
	s_add_i32 s68, s68, 16
	ds_read_b128 v[34:37], v34
	s_or_b32 s5, vcc_lo, s5
	s_waitcnt vmcnt(2) lgkmcnt(0)
	v_mul_f64 v[136:137], v[36:37], v[38:39]
	v_mul_f64 v[38:39], v[34:35], v[38:39]
	s_waitcnt vmcnt(0)
	v_fma_f64 v[34:35], v[34:35], v[134:135], -v[136:137]
	v_fma_f64 v[36:37], v[36:37], v[134:135], v[38:39]
	v_add_f64 v[1:2], v[1:2], v[34:35]
	v_add_f64 v[3:4], v[3:4], v[36:37]
	s_andn2_b32 exec_lo, exec_lo, s5
	s_cbranch_execnz .LBB58_24
; %bb.25:
	s_or_b32 exec_lo, exec_lo, s5
.LBB58_26:
	s_or_b32 exec_lo, exec_lo, s67
	v_mov_b32_e32 v33, 0
	ds_read_b128 v[33:36], v33 offset:880
	s_waitcnt lgkmcnt(0)
	v_mul_f64 v[37:38], v[3:4], v[35:36]
	v_mul_f64 v[35:36], v[1:2], v[35:36]
	v_fma_f64 v[1:2], v[1:2], v[33:34], -v[37:38]
	v_fma_f64 v[3:4], v[3:4], v[33:34], v[35:36]
	buffer_store_dword v2, off, s[0:3], 0 offset:884
	buffer_store_dword v1, off, s[0:3], 0 offset:880
	buffer_store_dword v4, off, s[0:3], 0 offset:892
	buffer_store_dword v3, off, s[0:3], 0 offset:888
.LBB58_27:
	s_or_b32 exec_lo, exec_lo, s8
	v_mov_b32_e32 v4, s11
	v_cmp_lt_u32_e64 s5, 54, v0
	s_clause 0x3
	buffer_load_dword v1, v4, s[0:3], 0 offen
	buffer_load_dword v2, v4, s[0:3], 0 offen offset:4
	buffer_load_dword v3, v4, s[0:3], 0 offen offset:8
	;; [unrolled: 1-line block ×3, first 2 shown]
	s_waitcnt vmcnt(0)
	ds_write_b128 v32, v[1:4]
	s_waitcnt lgkmcnt(0)
	s_waitcnt_vscnt null, 0x0
	s_barrier
	buffer_gl0_inv
	s_and_saveexec_b32 s8, s5
	s_cbranch_execz .LBB58_35
; %bb.28:
	ds_read_b128 v[1:4], v32
	s_andn2_b32 vcc_lo, exec_lo, s66
	s_cbranch_vccnz .LBB58_30
; %bb.29:
	s_clause 0x3
	buffer_load_dword v33, v31, s[0:3], 0 offen offset:8
	buffer_load_dword v34, v31, s[0:3], 0 offen offset:12
	buffer_load_dword v35, v31, s[0:3], 0 offen
	buffer_load_dword v36, v31, s[0:3], 0 offen offset:4
	s_waitcnt vmcnt(2) lgkmcnt(0)
	v_mul_f64 v[37:38], v[3:4], v[33:34]
	v_mul_f64 v[33:34], v[1:2], v[33:34]
	s_waitcnt vmcnt(0)
	v_fma_f64 v[1:2], v[1:2], v[35:36], -v[37:38]
	v_fma_f64 v[3:4], v[3:4], v[35:36], v[33:34]
.LBB58_30:
	s_and_saveexec_b32 s67, s4
	s_cbranch_execz .LBB58_34
; %bb.31:
	v_subrev_nc_u32_e32 v33, 55, v0
	s_movk_i32 s68, 0x720
	s_mov_b32 s4, 0
	s_mov_b32 s69, s10
	.p2align	6
.LBB58_32:                              ; =>This Inner Loop Header: Depth=1
	v_mov_b32_e32 v34, s69
	v_add_nc_u32_e32 v33, -1, v33
	s_add_i32 s69, s69, 16
	s_clause 0x3
	buffer_load_dword v38, v34, s[0:3], 0 offen offset:8
	buffer_load_dword v39, v34, s[0:3], 0 offen offset:12
	buffer_load_dword v134, v34, s[0:3], 0 offen
	buffer_load_dword v135, v34, s[0:3], 0 offen offset:4
	v_mov_b32_e32 v34, s68
	v_cmp_eq_u32_e32 vcc_lo, 0, v33
	s_add_i32 s68, s68, 16
	ds_read_b128 v[34:37], v34
	s_or_b32 s4, vcc_lo, s4
	s_waitcnt vmcnt(2) lgkmcnt(0)
	v_mul_f64 v[136:137], v[36:37], v[38:39]
	v_mul_f64 v[38:39], v[34:35], v[38:39]
	s_waitcnt vmcnt(0)
	v_fma_f64 v[34:35], v[34:35], v[134:135], -v[136:137]
	v_fma_f64 v[36:37], v[36:37], v[134:135], v[38:39]
	v_add_f64 v[1:2], v[1:2], v[34:35]
	v_add_f64 v[3:4], v[3:4], v[36:37]
	s_andn2_b32 exec_lo, exec_lo, s4
	s_cbranch_execnz .LBB58_32
; %bb.33:
	s_or_b32 exec_lo, exec_lo, s4
.LBB58_34:
	s_or_b32 exec_lo, exec_lo, s67
	v_mov_b32_e32 v33, 0
	ds_read_b128 v[33:36], v33 offset:864
	s_waitcnt lgkmcnt(0)
	v_mul_f64 v[37:38], v[3:4], v[35:36]
	v_mul_f64 v[35:36], v[1:2], v[35:36]
	v_fma_f64 v[1:2], v[1:2], v[33:34], -v[37:38]
	v_fma_f64 v[3:4], v[3:4], v[33:34], v[35:36]
	buffer_store_dword v2, off, s[0:3], 0 offset:868
	buffer_store_dword v1, off, s[0:3], 0 offset:864
	;; [unrolled: 1-line block ×4, first 2 shown]
.LBB58_35:
	s_or_b32 exec_lo, exec_lo, s8
	v_mov_b32_e32 v4, s12
	v_cmp_lt_u32_e64 s4, 53, v0
	s_clause 0x3
	buffer_load_dword v1, v4, s[0:3], 0 offen
	buffer_load_dword v2, v4, s[0:3], 0 offen offset:4
	buffer_load_dword v3, v4, s[0:3], 0 offen offset:8
	;; [unrolled: 1-line block ×3, first 2 shown]
	s_waitcnt vmcnt(0)
	ds_write_b128 v32, v[1:4]
	s_waitcnt lgkmcnt(0)
	s_waitcnt_vscnt null, 0x0
	s_barrier
	buffer_gl0_inv
	s_and_saveexec_b32 s8, s4
	s_cbranch_execz .LBB58_43
; %bb.36:
	ds_read_b128 v[1:4], v32
	s_andn2_b32 vcc_lo, exec_lo, s66
	s_cbranch_vccnz .LBB58_38
; %bb.37:
	s_clause 0x3
	buffer_load_dword v33, v31, s[0:3], 0 offen offset:8
	buffer_load_dword v34, v31, s[0:3], 0 offen offset:12
	buffer_load_dword v35, v31, s[0:3], 0 offen
	buffer_load_dword v36, v31, s[0:3], 0 offen offset:4
	s_waitcnt vmcnt(2) lgkmcnt(0)
	v_mul_f64 v[37:38], v[3:4], v[33:34]
	v_mul_f64 v[33:34], v[1:2], v[33:34]
	s_waitcnt vmcnt(0)
	v_fma_f64 v[1:2], v[1:2], v[35:36], -v[37:38]
	v_fma_f64 v[3:4], v[3:4], v[35:36], v[33:34]
.LBB58_38:
	s_and_saveexec_b32 s67, s5
	s_cbranch_execz .LBB58_42
; %bb.39:
	v_subrev_nc_u32_e32 v33, 54, v0
	s_movk_i32 s68, 0x710
	s_mov_b32 s5, 0
	s_mov_b32 s69, s11
	.p2align	6
.LBB58_40:                              ; =>This Inner Loop Header: Depth=1
	v_mov_b32_e32 v34, s69
	v_add_nc_u32_e32 v33, -1, v33
	s_add_i32 s69, s69, 16
	s_clause 0x3
	buffer_load_dword v38, v34, s[0:3], 0 offen offset:8
	buffer_load_dword v39, v34, s[0:3], 0 offen offset:12
	buffer_load_dword v134, v34, s[0:3], 0 offen
	buffer_load_dword v135, v34, s[0:3], 0 offen offset:4
	v_mov_b32_e32 v34, s68
	v_cmp_eq_u32_e32 vcc_lo, 0, v33
	s_add_i32 s68, s68, 16
	ds_read_b128 v[34:37], v34
	s_or_b32 s5, vcc_lo, s5
	s_waitcnt vmcnt(2) lgkmcnt(0)
	v_mul_f64 v[136:137], v[36:37], v[38:39]
	v_mul_f64 v[38:39], v[34:35], v[38:39]
	s_waitcnt vmcnt(0)
	v_fma_f64 v[34:35], v[34:35], v[134:135], -v[136:137]
	v_fma_f64 v[36:37], v[36:37], v[134:135], v[38:39]
	v_add_f64 v[1:2], v[1:2], v[34:35]
	v_add_f64 v[3:4], v[3:4], v[36:37]
	s_andn2_b32 exec_lo, exec_lo, s5
	s_cbranch_execnz .LBB58_40
; %bb.41:
	s_or_b32 exec_lo, exec_lo, s5
.LBB58_42:
	s_or_b32 exec_lo, exec_lo, s67
	v_mov_b32_e32 v33, 0
	ds_read_b128 v[33:36], v33 offset:848
	s_waitcnt lgkmcnt(0)
	v_mul_f64 v[37:38], v[3:4], v[35:36]
	v_mul_f64 v[35:36], v[1:2], v[35:36]
	v_fma_f64 v[1:2], v[1:2], v[33:34], -v[37:38]
	v_fma_f64 v[3:4], v[3:4], v[33:34], v[35:36]
	buffer_store_dword v2, off, s[0:3], 0 offset:852
	buffer_store_dword v1, off, s[0:3], 0 offset:848
	;; [unrolled: 1-line block ×4, first 2 shown]
.LBB58_43:
	s_or_b32 exec_lo, exec_lo, s8
	v_mov_b32_e32 v4, s13
	v_cmp_lt_u32_e64 s5, 52, v0
	s_clause 0x3
	buffer_load_dword v1, v4, s[0:3], 0 offen
	buffer_load_dword v2, v4, s[0:3], 0 offen offset:4
	buffer_load_dword v3, v4, s[0:3], 0 offen offset:8
	;; [unrolled: 1-line block ×3, first 2 shown]
	s_waitcnt vmcnt(0)
	ds_write_b128 v32, v[1:4]
	s_waitcnt lgkmcnt(0)
	s_waitcnt_vscnt null, 0x0
	s_barrier
	buffer_gl0_inv
	s_and_saveexec_b32 s8, s5
	s_cbranch_execz .LBB58_51
; %bb.44:
	ds_read_b128 v[1:4], v32
	s_andn2_b32 vcc_lo, exec_lo, s66
	s_cbranch_vccnz .LBB58_46
; %bb.45:
	s_clause 0x3
	buffer_load_dword v33, v31, s[0:3], 0 offen offset:8
	buffer_load_dword v34, v31, s[0:3], 0 offen offset:12
	buffer_load_dword v35, v31, s[0:3], 0 offen
	buffer_load_dword v36, v31, s[0:3], 0 offen offset:4
	s_waitcnt vmcnt(2) lgkmcnt(0)
	v_mul_f64 v[37:38], v[3:4], v[33:34]
	v_mul_f64 v[33:34], v[1:2], v[33:34]
	s_waitcnt vmcnt(0)
	v_fma_f64 v[1:2], v[1:2], v[35:36], -v[37:38]
	v_fma_f64 v[3:4], v[3:4], v[35:36], v[33:34]
.LBB58_46:
	s_and_saveexec_b32 s67, s4
	s_cbranch_execz .LBB58_50
; %bb.47:
	v_subrev_nc_u32_e32 v33, 53, v0
	s_movk_i32 s68, 0x700
	s_mov_b32 s4, 0
	s_mov_b32 s69, s12
	.p2align	6
.LBB58_48:                              ; =>This Inner Loop Header: Depth=1
	v_mov_b32_e32 v34, s69
	v_add_nc_u32_e32 v33, -1, v33
	s_add_i32 s69, s69, 16
	s_clause 0x3
	buffer_load_dword v38, v34, s[0:3], 0 offen offset:8
	buffer_load_dword v39, v34, s[0:3], 0 offen offset:12
	buffer_load_dword v134, v34, s[0:3], 0 offen
	buffer_load_dword v135, v34, s[0:3], 0 offen offset:4
	v_mov_b32_e32 v34, s68
	v_cmp_eq_u32_e32 vcc_lo, 0, v33
	s_add_i32 s68, s68, 16
	ds_read_b128 v[34:37], v34
	s_or_b32 s4, vcc_lo, s4
	s_waitcnt vmcnt(2) lgkmcnt(0)
	v_mul_f64 v[136:137], v[36:37], v[38:39]
	v_mul_f64 v[38:39], v[34:35], v[38:39]
	s_waitcnt vmcnt(0)
	v_fma_f64 v[34:35], v[34:35], v[134:135], -v[136:137]
	v_fma_f64 v[36:37], v[36:37], v[134:135], v[38:39]
	v_add_f64 v[1:2], v[1:2], v[34:35]
	v_add_f64 v[3:4], v[3:4], v[36:37]
	s_andn2_b32 exec_lo, exec_lo, s4
	s_cbranch_execnz .LBB58_48
; %bb.49:
	s_or_b32 exec_lo, exec_lo, s4
.LBB58_50:
	s_or_b32 exec_lo, exec_lo, s67
	v_mov_b32_e32 v33, 0
	ds_read_b128 v[33:36], v33 offset:832
	s_waitcnt lgkmcnt(0)
	v_mul_f64 v[37:38], v[3:4], v[35:36]
	v_mul_f64 v[35:36], v[1:2], v[35:36]
	v_fma_f64 v[1:2], v[1:2], v[33:34], -v[37:38]
	v_fma_f64 v[3:4], v[3:4], v[33:34], v[35:36]
	buffer_store_dword v2, off, s[0:3], 0 offset:836
	buffer_store_dword v1, off, s[0:3], 0 offset:832
	;; [unrolled: 1-line block ×4, first 2 shown]
.LBB58_51:
	s_or_b32 exec_lo, exec_lo, s8
	v_mov_b32_e32 v4, s14
	v_cmp_lt_u32_e64 s4, 51, v0
	s_clause 0x3
	buffer_load_dword v1, v4, s[0:3], 0 offen
	buffer_load_dword v2, v4, s[0:3], 0 offen offset:4
	buffer_load_dword v3, v4, s[0:3], 0 offen offset:8
	;; [unrolled: 1-line block ×3, first 2 shown]
	s_waitcnt vmcnt(0)
	ds_write_b128 v32, v[1:4]
	s_waitcnt lgkmcnt(0)
	s_waitcnt_vscnt null, 0x0
	s_barrier
	buffer_gl0_inv
	s_and_saveexec_b32 s8, s4
	s_cbranch_execz .LBB58_59
; %bb.52:
	ds_read_b128 v[1:4], v32
	s_andn2_b32 vcc_lo, exec_lo, s66
	s_cbranch_vccnz .LBB58_54
; %bb.53:
	s_clause 0x3
	buffer_load_dword v33, v31, s[0:3], 0 offen offset:8
	buffer_load_dword v34, v31, s[0:3], 0 offen offset:12
	buffer_load_dword v35, v31, s[0:3], 0 offen
	buffer_load_dword v36, v31, s[0:3], 0 offen offset:4
	s_waitcnt vmcnt(2) lgkmcnt(0)
	v_mul_f64 v[37:38], v[3:4], v[33:34]
	v_mul_f64 v[33:34], v[1:2], v[33:34]
	s_waitcnt vmcnt(0)
	v_fma_f64 v[1:2], v[1:2], v[35:36], -v[37:38]
	v_fma_f64 v[3:4], v[3:4], v[35:36], v[33:34]
.LBB58_54:
	s_and_saveexec_b32 s67, s5
	s_cbranch_execz .LBB58_58
; %bb.55:
	v_subrev_nc_u32_e32 v33, 52, v0
	s_movk_i32 s68, 0x6f0
	s_mov_b32 s5, 0
	s_mov_b32 s69, s13
	.p2align	6
.LBB58_56:                              ; =>This Inner Loop Header: Depth=1
	v_mov_b32_e32 v34, s69
	v_add_nc_u32_e32 v33, -1, v33
	s_add_i32 s69, s69, 16
	s_clause 0x3
	buffer_load_dword v38, v34, s[0:3], 0 offen offset:8
	buffer_load_dword v39, v34, s[0:3], 0 offen offset:12
	buffer_load_dword v134, v34, s[0:3], 0 offen
	buffer_load_dword v135, v34, s[0:3], 0 offen offset:4
	v_mov_b32_e32 v34, s68
	v_cmp_eq_u32_e32 vcc_lo, 0, v33
	s_add_i32 s68, s68, 16
	ds_read_b128 v[34:37], v34
	s_or_b32 s5, vcc_lo, s5
	s_waitcnt vmcnt(2) lgkmcnt(0)
	v_mul_f64 v[136:137], v[36:37], v[38:39]
	v_mul_f64 v[38:39], v[34:35], v[38:39]
	s_waitcnt vmcnt(0)
	v_fma_f64 v[34:35], v[34:35], v[134:135], -v[136:137]
	v_fma_f64 v[36:37], v[36:37], v[134:135], v[38:39]
	v_add_f64 v[1:2], v[1:2], v[34:35]
	v_add_f64 v[3:4], v[3:4], v[36:37]
	s_andn2_b32 exec_lo, exec_lo, s5
	s_cbranch_execnz .LBB58_56
; %bb.57:
	s_or_b32 exec_lo, exec_lo, s5
.LBB58_58:
	s_or_b32 exec_lo, exec_lo, s67
	v_mov_b32_e32 v33, 0
	ds_read_b128 v[33:36], v33 offset:816
	s_waitcnt lgkmcnt(0)
	v_mul_f64 v[37:38], v[3:4], v[35:36]
	v_mul_f64 v[35:36], v[1:2], v[35:36]
	v_fma_f64 v[1:2], v[1:2], v[33:34], -v[37:38]
	v_fma_f64 v[3:4], v[3:4], v[33:34], v[35:36]
	buffer_store_dword v2, off, s[0:3], 0 offset:820
	buffer_store_dword v1, off, s[0:3], 0 offset:816
	;; [unrolled: 1-line block ×4, first 2 shown]
.LBB58_59:
	s_or_b32 exec_lo, exec_lo, s8
	v_mov_b32_e32 v4, s15
	v_cmp_lt_u32_e64 s5, 50, v0
	s_clause 0x3
	buffer_load_dword v1, v4, s[0:3], 0 offen
	buffer_load_dword v2, v4, s[0:3], 0 offen offset:4
	buffer_load_dword v3, v4, s[0:3], 0 offen offset:8
	;; [unrolled: 1-line block ×3, first 2 shown]
	s_waitcnt vmcnt(0)
	ds_write_b128 v32, v[1:4]
	s_waitcnt lgkmcnt(0)
	s_waitcnt_vscnt null, 0x0
	s_barrier
	buffer_gl0_inv
	s_and_saveexec_b32 s8, s5
	s_cbranch_execz .LBB58_67
; %bb.60:
	ds_read_b128 v[1:4], v32
	s_andn2_b32 vcc_lo, exec_lo, s66
	s_cbranch_vccnz .LBB58_62
; %bb.61:
	s_clause 0x3
	buffer_load_dword v33, v31, s[0:3], 0 offen offset:8
	buffer_load_dword v34, v31, s[0:3], 0 offen offset:12
	buffer_load_dword v35, v31, s[0:3], 0 offen
	buffer_load_dword v36, v31, s[0:3], 0 offen offset:4
	s_waitcnt vmcnt(2) lgkmcnt(0)
	v_mul_f64 v[37:38], v[3:4], v[33:34]
	v_mul_f64 v[33:34], v[1:2], v[33:34]
	s_waitcnt vmcnt(0)
	v_fma_f64 v[1:2], v[1:2], v[35:36], -v[37:38]
	v_fma_f64 v[3:4], v[3:4], v[35:36], v[33:34]
.LBB58_62:
	s_and_saveexec_b32 s67, s4
	s_cbranch_execz .LBB58_66
; %bb.63:
	v_subrev_nc_u32_e32 v33, 51, v0
	s_movk_i32 s68, 0x6e0
	s_mov_b32 s4, 0
	s_mov_b32 s69, s14
	.p2align	6
.LBB58_64:                              ; =>This Inner Loop Header: Depth=1
	v_mov_b32_e32 v34, s69
	v_add_nc_u32_e32 v33, -1, v33
	s_add_i32 s69, s69, 16
	s_clause 0x3
	buffer_load_dword v38, v34, s[0:3], 0 offen offset:8
	buffer_load_dword v39, v34, s[0:3], 0 offen offset:12
	buffer_load_dword v134, v34, s[0:3], 0 offen
	buffer_load_dword v135, v34, s[0:3], 0 offen offset:4
	v_mov_b32_e32 v34, s68
	v_cmp_eq_u32_e32 vcc_lo, 0, v33
	s_add_i32 s68, s68, 16
	ds_read_b128 v[34:37], v34
	s_or_b32 s4, vcc_lo, s4
	s_waitcnt vmcnt(2) lgkmcnt(0)
	v_mul_f64 v[136:137], v[36:37], v[38:39]
	v_mul_f64 v[38:39], v[34:35], v[38:39]
	s_waitcnt vmcnt(0)
	v_fma_f64 v[34:35], v[34:35], v[134:135], -v[136:137]
	v_fma_f64 v[36:37], v[36:37], v[134:135], v[38:39]
	v_add_f64 v[1:2], v[1:2], v[34:35]
	v_add_f64 v[3:4], v[3:4], v[36:37]
	s_andn2_b32 exec_lo, exec_lo, s4
	s_cbranch_execnz .LBB58_64
; %bb.65:
	s_or_b32 exec_lo, exec_lo, s4
.LBB58_66:
	s_or_b32 exec_lo, exec_lo, s67
	v_mov_b32_e32 v33, 0
	ds_read_b128 v[33:36], v33 offset:800
	s_waitcnt lgkmcnt(0)
	v_mul_f64 v[37:38], v[3:4], v[35:36]
	v_mul_f64 v[35:36], v[1:2], v[35:36]
	v_fma_f64 v[1:2], v[1:2], v[33:34], -v[37:38]
	v_fma_f64 v[3:4], v[3:4], v[33:34], v[35:36]
	buffer_store_dword v2, off, s[0:3], 0 offset:804
	buffer_store_dword v1, off, s[0:3], 0 offset:800
	;; [unrolled: 1-line block ×4, first 2 shown]
.LBB58_67:
	s_or_b32 exec_lo, exec_lo, s8
	v_mov_b32_e32 v4, s16
	v_cmp_lt_u32_e64 s4, 49, v0
	s_clause 0x3
	buffer_load_dword v1, v4, s[0:3], 0 offen
	buffer_load_dword v2, v4, s[0:3], 0 offen offset:4
	buffer_load_dword v3, v4, s[0:3], 0 offen offset:8
	;; [unrolled: 1-line block ×3, first 2 shown]
	s_waitcnt vmcnt(0)
	ds_write_b128 v32, v[1:4]
	s_waitcnt lgkmcnt(0)
	s_waitcnt_vscnt null, 0x0
	s_barrier
	buffer_gl0_inv
	s_and_saveexec_b32 s8, s4
	s_cbranch_execz .LBB58_75
; %bb.68:
	ds_read_b128 v[1:4], v32
	s_andn2_b32 vcc_lo, exec_lo, s66
	s_cbranch_vccnz .LBB58_70
; %bb.69:
	s_clause 0x3
	buffer_load_dword v33, v31, s[0:3], 0 offen offset:8
	buffer_load_dword v34, v31, s[0:3], 0 offen offset:12
	buffer_load_dword v35, v31, s[0:3], 0 offen
	buffer_load_dword v36, v31, s[0:3], 0 offen offset:4
	s_waitcnt vmcnt(2) lgkmcnt(0)
	v_mul_f64 v[37:38], v[3:4], v[33:34]
	v_mul_f64 v[33:34], v[1:2], v[33:34]
	s_waitcnt vmcnt(0)
	v_fma_f64 v[1:2], v[1:2], v[35:36], -v[37:38]
	v_fma_f64 v[3:4], v[3:4], v[35:36], v[33:34]
.LBB58_70:
	s_and_saveexec_b32 s67, s5
	s_cbranch_execz .LBB58_74
; %bb.71:
	v_subrev_nc_u32_e32 v33, 50, v0
	s_movk_i32 s68, 0x6d0
	s_mov_b32 s5, 0
	s_mov_b32 s69, s15
	.p2align	6
.LBB58_72:                              ; =>This Inner Loop Header: Depth=1
	v_mov_b32_e32 v34, s69
	v_add_nc_u32_e32 v33, -1, v33
	s_add_i32 s69, s69, 16
	s_clause 0x3
	buffer_load_dword v38, v34, s[0:3], 0 offen offset:8
	buffer_load_dword v39, v34, s[0:3], 0 offen offset:12
	buffer_load_dword v134, v34, s[0:3], 0 offen
	buffer_load_dword v135, v34, s[0:3], 0 offen offset:4
	v_mov_b32_e32 v34, s68
	v_cmp_eq_u32_e32 vcc_lo, 0, v33
	s_add_i32 s68, s68, 16
	ds_read_b128 v[34:37], v34
	s_or_b32 s5, vcc_lo, s5
	s_waitcnt vmcnt(2) lgkmcnt(0)
	v_mul_f64 v[136:137], v[36:37], v[38:39]
	v_mul_f64 v[38:39], v[34:35], v[38:39]
	s_waitcnt vmcnt(0)
	v_fma_f64 v[34:35], v[34:35], v[134:135], -v[136:137]
	v_fma_f64 v[36:37], v[36:37], v[134:135], v[38:39]
	v_add_f64 v[1:2], v[1:2], v[34:35]
	v_add_f64 v[3:4], v[3:4], v[36:37]
	s_andn2_b32 exec_lo, exec_lo, s5
	s_cbranch_execnz .LBB58_72
; %bb.73:
	s_or_b32 exec_lo, exec_lo, s5
.LBB58_74:
	s_or_b32 exec_lo, exec_lo, s67
	v_mov_b32_e32 v33, 0
	ds_read_b128 v[33:36], v33 offset:784
	s_waitcnt lgkmcnt(0)
	v_mul_f64 v[37:38], v[3:4], v[35:36]
	v_mul_f64 v[35:36], v[1:2], v[35:36]
	v_fma_f64 v[1:2], v[1:2], v[33:34], -v[37:38]
	v_fma_f64 v[3:4], v[3:4], v[33:34], v[35:36]
	buffer_store_dword v2, off, s[0:3], 0 offset:788
	buffer_store_dword v1, off, s[0:3], 0 offset:784
	buffer_store_dword v4, off, s[0:3], 0 offset:796
	buffer_store_dword v3, off, s[0:3], 0 offset:792
.LBB58_75:
	s_or_b32 exec_lo, exec_lo, s8
	v_mov_b32_e32 v4, s17
	v_cmp_lt_u32_e64 s5, 48, v0
	s_clause 0x3
	buffer_load_dword v1, v4, s[0:3], 0 offen
	buffer_load_dword v2, v4, s[0:3], 0 offen offset:4
	buffer_load_dword v3, v4, s[0:3], 0 offen offset:8
	;; [unrolled: 1-line block ×3, first 2 shown]
	s_waitcnt vmcnt(0)
	ds_write_b128 v32, v[1:4]
	s_waitcnt lgkmcnt(0)
	s_waitcnt_vscnt null, 0x0
	s_barrier
	buffer_gl0_inv
	s_and_saveexec_b32 s8, s5
	s_cbranch_execz .LBB58_83
; %bb.76:
	ds_read_b128 v[1:4], v32
	s_andn2_b32 vcc_lo, exec_lo, s66
	s_cbranch_vccnz .LBB58_78
; %bb.77:
	s_clause 0x3
	buffer_load_dword v33, v31, s[0:3], 0 offen offset:8
	buffer_load_dword v34, v31, s[0:3], 0 offen offset:12
	buffer_load_dword v35, v31, s[0:3], 0 offen
	buffer_load_dword v36, v31, s[0:3], 0 offen offset:4
	s_waitcnt vmcnt(2) lgkmcnt(0)
	v_mul_f64 v[37:38], v[3:4], v[33:34]
	v_mul_f64 v[33:34], v[1:2], v[33:34]
	s_waitcnt vmcnt(0)
	v_fma_f64 v[1:2], v[1:2], v[35:36], -v[37:38]
	v_fma_f64 v[3:4], v[3:4], v[35:36], v[33:34]
.LBB58_78:
	s_and_saveexec_b32 s67, s4
	s_cbranch_execz .LBB58_82
; %bb.79:
	v_subrev_nc_u32_e32 v33, 49, v0
	s_movk_i32 s68, 0x6c0
	s_mov_b32 s4, 0
	s_mov_b32 s69, s16
	.p2align	6
.LBB58_80:                              ; =>This Inner Loop Header: Depth=1
	v_mov_b32_e32 v34, s69
	v_add_nc_u32_e32 v33, -1, v33
	s_add_i32 s69, s69, 16
	s_clause 0x3
	buffer_load_dword v38, v34, s[0:3], 0 offen offset:8
	buffer_load_dword v39, v34, s[0:3], 0 offen offset:12
	buffer_load_dword v134, v34, s[0:3], 0 offen
	buffer_load_dword v135, v34, s[0:3], 0 offen offset:4
	v_mov_b32_e32 v34, s68
	v_cmp_eq_u32_e32 vcc_lo, 0, v33
	s_add_i32 s68, s68, 16
	ds_read_b128 v[34:37], v34
	s_or_b32 s4, vcc_lo, s4
	s_waitcnt vmcnt(2) lgkmcnt(0)
	v_mul_f64 v[136:137], v[36:37], v[38:39]
	v_mul_f64 v[38:39], v[34:35], v[38:39]
	s_waitcnt vmcnt(0)
	v_fma_f64 v[34:35], v[34:35], v[134:135], -v[136:137]
	v_fma_f64 v[36:37], v[36:37], v[134:135], v[38:39]
	v_add_f64 v[1:2], v[1:2], v[34:35]
	v_add_f64 v[3:4], v[3:4], v[36:37]
	s_andn2_b32 exec_lo, exec_lo, s4
	s_cbranch_execnz .LBB58_80
; %bb.81:
	s_or_b32 exec_lo, exec_lo, s4
.LBB58_82:
	s_or_b32 exec_lo, exec_lo, s67
	v_mov_b32_e32 v33, 0
	ds_read_b128 v[33:36], v33 offset:768
	s_waitcnt lgkmcnt(0)
	v_mul_f64 v[37:38], v[3:4], v[35:36]
	v_mul_f64 v[35:36], v[1:2], v[35:36]
	v_fma_f64 v[1:2], v[1:2], v[33:34], -v[37:38]
	v_fma_f64 v[3:4], v[3:4], v[33:34], v[35:36]
	buffer_store_dword v2, off, s[0:3], 0 offset:772
	buffer_store_dword v1, off, s[0:3], 0 offset:768
	;; [unrolled: 1-line block ×4, first 2 shown]
.LBB58_83:
	s_or_b32 exec_lo, exec_lo, s8
	v_mov_b32_e32 v4, s18
	v_cmp_lt_u32_e64 s4, 47, v0
	s_clause 0x3
	buffer_load_dword v1, v4, s[0:3], 0 offen
	buffer_load_dword v2, v4, s[0:3], 0 offen offset:4
	buffer_load_dword v3, v4, s[0:3], 0 offen offset:8
	;; [unrolled: 1-line block ×3, first 2 shown]
	s_waitcnt vmcnt(0)
	ds_write_b128 v32, v[1:4]
	s_waitcnt lgkmcnt(0)
	s_waitcnt_vscnt null, 0x0
	s_barrier
	buffer_gl0_inv
	s_and_saveexec_b32 s8, s4
	s_cbranch_execz .LBB58_91
; %bb.84:
	ds_read_b128 v[1:4], v32
	s_andn2_b32 vcc_lo, exec_lo, s66
	s_cbranch_vccnz .LBB58_86
; %bb.85:
	s_clause 0x3
	buffer_load_dword v33, v31, s[0:3], 0 offen offset:8
	buffer_load_dword v34, v31, s[0:3], 0 offen offset:12
	buffer_load_dword v35, v31, s[0:3], 0 offen
	buffer_load_dword v36, v31, s[0:3], 0 offen offset:4
	s_waitcnt vmcnt(2) lgkmcnt(0)
	v_mul_f64 v[37:38], v[3:4], v[33:34]
	v_mul_f64 v[33:34], v[1:2], v[33:34]
	s_waitcnt vmcnt(0)
	v_fma_f64 v[1:2], v[1:2], v[35:36], -v[37:38]
	v_fma_f64 v[3:4], v[3:4], v[35:36], v[33:34]
.LBB58_86:
	s_and_saveexec_b32 s67, s5
	s_cbranch_execz .LBB58_90
; %bb.87:
	v_subrev_nc_u32_e32 v33, 48, v0
	s_movk_i32 s68, 0x6b0
	s_mov_b32 s5, 0
	s_mov_b32 s69, s17
	.p2align	6
.LBB58_88:                              ; =>This Inner Loop Header: Depth=1
	v_mov_b32_e32 v34, s69
	v_add_nc_u32_e32 v33, -1, v33
	s_add_i32 s69, s69, 16
	s_clause 0x3
	buffer_load_dword v38, v34, s[0:3], 0 offen offset:8
	buffer_load_dword v39, v34, s[0:3], 0 offen offset:12
	buffer_load_dword v134, v34, s[0:3], 0 offen
	buffer_load_dword v135, v34, s[0:3], 0 offen offset:4
	v_mov_b32_e32 v34, s68
	v_cmp_eq_u32_e32 vcc_lo, 0, v33
	s_add_i32 s68, s68, 16
	ds_read_b128 v[34:37], v34
	s_or_b32 s5, vcc_lo, s5
	s_waitcnt vmcnt(2) lgkmcnt(0)
	v_mul_f64 v[136:137], v[36:37], v[38:39]
	v_mul_f64 v[38:39], v[34:35], v[38:39]
	s_waitcnt vmcnt(0)
	v_fma_f64 v[34:35], v[34:35], v[134:135], -v[136:137]
	v_fma_f64 v[36:37], v[36:37], v[134:135], v[38:39]
	v_add_f64 v[1:2], v[1:2], v[34:35]
	v_add_f64 v[3:4], v[3:4], v[36:37]
	s_andn2_b32 exec_lo, exec_lo, s5
	s_cbranch_execnz .LBB58_88
; %bb.89:
	s_or_b32 exec_lo, exec_lo, s5
.LBB58_90:
	s_or_b32 exec_lo, exec_lo, s67
	v_mov_b32_e32 v33, 0
	ds_read_b128 v[33:36], v33 offset:752
	s_waitcnt lgkmcnt(0)
	v_mul_f64 v[37:38], v[3:4], v[35:36]
	v_mul_f64 v[35:36], v[1:2], v[35:36]
	v_fma_f64 v[1:2], v[1:2], v[33:34], -v[37:38]
	v_fma_f64 v[3:4], v[3:4], v[33:34], v[35:36]
	buffer_store_dword v2, off, s[0:3], 0 offset:756
	buffer_store_dword v1, off, s[0:3], 0 offset:752
	;; [unrolled: 1-line block ×4, first 2 shown]
.LBB58_91:
	s_or_b32 exec_lo, exec_lo, s8
	v_mov_b32_e32 v4, s19
	v_cmp_lt_u32_e64 s5, 46, v0
	s_clause 0x3
	buffer_load_dword v1, v4, s[0:3], 0 offen
	buffer_load_dword v2, v4, s[0:3], 0 offen offset:4
	buffer_load_dword v3, v4, s[0:3], 0 offen offset:8
	;; [unrolled: 1-line block ×3, first 2 shown]
	s_waitcnt vmcnt(0)
	ds_write_b128 v32, v[1:4]
	s_waitcnt lgkmcnt(0)
	s_waitcnt_vscnt null, 0x0
	s_barrier
	buffer_gl0_inv
	s_and_saveexec_b32 s8, s5
	s_cbranch_execz .LBB58_99
; %bb.92:
	ds_read_b128 v[1:4], v32
	s_andn2_b32 vcc_lo, exec_lo, s66
	s_cbranch_vccnz .LBB58_94
; %bb.93:
	s_clause 0x3
	buffer_load_dword v33, v31, s[0:3], 0 offen offset:8
	buffer_load_dword v34, v31, s[0:3], 0 offen offset:12
	buffer_load_dword v35, v31, s[0:3], 0 offen
	buffer_load_dword v36, v31, s[0:3], 0 offen offset:4
	s_waitcnt vmcnt(2) lgkmcnt(0)
	v_mul_f64 v[37:38], v[3:4], v[33:34]
	v_mul_f64 v[33:34], v[1:2], v[33:34]
	s_waitcnt vmcnt(0)
	v_fma_f64 v[1:2], v[1:2], v[35:36], -v[37:38]
	v_fma_f64 v[3:4], v[3:4], v[35:36], v[33:34]
.LBB58_94:
	s_and_saveexec_b32 s67, s4
	s_cbranch_execz .LBB58_98
; %bb.95:
	v_subrev_nc_u32_e32 v33, 47, v0
	s_movk_i32 s68, 0x6a0
	s_mov_b32 s4, 0
	s_mov_b32 s69, s18
	.p2align	6
.LBB58_96:                              ; =>This Inner Loop Header: Depth=1
	v_mov_b32_e32 v34, s69
	v_add_nc_u32_e32 v33, -1, v33
	s_add_i32 s69, s69, 16
	s_clause 0x3
	buffer_load_dword v38, v34, s[0:3], 0 offen offset:8
	buffer_load_dword v39, v34, s[0:3], 0 offen offset:12
	buffer_load_dword v134, v34, s[0:3], 0 offen
	buffer_load_dword v135, v34, s[0:3], 0 offen offset:4
	v_mov_b32_e32 v34, s68
	v_cmp_eq_u32_e32 vcc_lo, 0, v33
	s_add_i32 s68, s68, 16
	ds_read_b128 v[34:37], v34
	s_or_b32 s4, vcc_lo, s4
	s_waitcnt vmcnt(2) lgkmcnt(0)
	v_mul_f64 v[136:137], v[36:37], v[38:39]
	v_mul_f64 v[38:39], v[34:35], v[38:39]
	s_waitcnt vmcnt(0)
	v_fma_f64 v[34:35], v[34:35], v[134:135], -v[136:137]
	v_fma_f64 v[36:37], v[36:37], v[134:135], v[38:39]
	v_add_f64 v[1:2], v[1:2], v[34:35]
	v_add_f64 v[3:4], v[3:4], v[36:37]
	s_andn2_b32 exec_lo, exec_lo, s4
	s_cbranch_execnz .LBB58_96
; %bb.97:
	s_or_b32 exec_lo, exec_lo, s4
.LBB58_98:
	s_or_b32 exec_lo, exec_lo, s67
	v_mov_b32_e32 v33, 0
	ds_read_b128 v[33:36], v33 offset:736
	s_waitcnt lgkmcnt(0)
	v_mul_f64 v[37:38], v[3:4], v[35:36]
	v_mul_f64 v[35:36], v[1:2], v[35:36]
	v_fma_f64 v[1:2], v[1:2], v[33:34], -v[37:38]
	v_fma_f64 v[3:4], v[3:4], v[33:34], v[35:36]
	buffer_store_dword v2, off, s[0:3], 0 offset:740
	buffer_store_dword v1, off, s[0:3], 0 offset:736
	;; [unrolled: 1-line block ×4, first 2 shown]
.LBB58_99:
	s_or_b32 exec_lo, exec_lo, s8
	v_mov_b32_e32 v4, s20
	v_cmp_lt_u32_e64 s4, 45, v0
	s_clause 0x3
	buffer_load_dword v1, v4, s[0:3], 0 offen
	buffer_load_dword v2, v4, s[0:3], 0 offen offset:4
	buffer_load_dword v3, v4, s[0:3], 0 offen offset:8
	;; [unrolled: 1-line block ×3, first 2 shown]
	s_waitcnt vmcnt(0)
	ds_write_b128 v32, v[1:4]
	s_waitcnt lgkmcnt(0)
	s_waitcnt_vscnt null, 0x0
	s_barrier
	buffer_gl0_inv
	s_and_saveexec_b32 s8, s4
	s_cbranch_execz .LBB58_107
; %bb.100:
	ds_read_b128 v[1:4], v32
	s_andn2_b32 vcc_lo, exec_lo, s66
	s_cbranch_vccnz .LBB58_102
; %bb.101:
	s_clause 0x3
	buffer_load_dword v33, v31, s[0:3], 0 offen offset:8
	buffer_load_dword v34, v31, s[0:3], 0 offen offset:12
	buffer_load_dword v35, v31, s[0:3], 0 offen
	buffer_load_dword v36, v31, s[0:3], 0 offen offset:4
	s_waitcnt vmcnt(2) lgkmcnt(0)
	v_mul_f64 v[37:38], v[3:4], v[33:34]
	v_mul_f64 v[33:34], v[1:2], v[33:34]
	s_waitcnt vmcnt(0)
	v_fma_f64 v[1:2], v[1:2], v[35:36], -v[37:38]
	v_fma_f64 v[3:4], v[3:4], v[35:36], v[33:34]
.LBB58_102:
	s_and_saveexec_b32 s67, s5
	s_cbranch_execz .LBB58_106
; %bb.103:
	v_subrev_nc_u32_e32 v33, 46, v0
	s_movk_i32 s68, 0x690
	s_mov_b32 s5, 0
	s_mov_b32 s69, s19
	.p2align	6
.LBB58_104:                             ; =>This Inner Loop Header: Depth=1
	v_mov_b32_e32 v34, s69
	v_add_nc_u32_e32 v33, -1, v33
	s_add_i32 s69, s69, 16
	s_clause 0x3
	buffer_load_dword v38, v34, s[0:3], 0 offen offset:8
	buffer_load_dword v39, v34, s[0:3], 0 offen offset:12
	buffer_load_dword v134, v34, s[0:3], 0 offen
	buffer_load_dword v135, v34, s[0:3], 0 offen offset:4
	v_mov_b32_e32 v34, s68
	v_cmp_eq_u32_e32 vcc_lo, 0, v33
	s_add_i32 s68, s68, 16
	ds_read_b128 v[34:37], v34
	s_or_b32 s5, vcc_lo, s5
	s_waitcnt vmcnt(2) lgkmcnt(0)
	v_mul_f64 v[136:137], v[36:37], v[38:39]
	v_mul_f64 v[38:39], v[34:35], v[38:39]
	s_waitcnt vmcnt(0)
	v_fma_f64 v[34:35], v[34:35], v[134:135], -v[136:137]
	v_fma_f64 v[36:37], v[36:37], v[134:135], v[38:39]
	v_add_f64 v[1:2], v[1:2], v[34:35]
	v_add_f64 v[3:4], v[3:4], v[36:37]
	s_andn2_b32 exec_lo, exec_lo, s5
	s_cbranch_execnz .LBB58_104
; %bb.105:
	s_or_b32 exec_lo, exec_lo, s5
.LBB58_106:
	s_or_b32 exec_lo, exec_lo, s67
	v_mov_b32_e32 v33, 0
	ds_read_b128 v[33:36], v33 offset:720
	s_waitcnt lgkmcnt(0)
	v_mul_f64 v[37:38], v[3:4], v[35:36]
	v_mul_f64 v[35:36], v[1:2], v[35:36]
	v_fma_f64 v[1:2], v[1:2], v[33:34], -v[37:38]
	v_fma_f64 v[3:4], v[3:4], v[33:34], v[35:36]
	buffer_store_dword v2, off, s[0:3], 0 offset:724
	buffer_store_dword v1, off, s[0:3], 0 offset:720
	;; [unrolled: 1-line block ×4, first 2 shown]
.LBB58_107:
	s_or_b32 exec_lo, exec_lo, s8
	v_mov_b32_e32 v4, s21
	v_cmp_lt_u32_e64 s5, 44, v0
	s_clause 0x3
	buffer_load_dword v1, v4, s[0:3], 0 offen
	buffer_load_dword v2, v4, s[0:3], 0 offen offset:4
	buffer_load_dword v3, v4, s[0:3], 0 offen offset:8
	;; [unrolled: 1-line block ×3, first 2 shown]
	s_waitcnt vmcnt(0)
	ds_write_b128 v32, v[1:4]
	s_waitcnt lgkmcnt(0)
	s_waitcnt_vscnt null, 0x0
	s_barrier
	buffer_gl0_inv
	s_and_saveexec_b32 s8, s5
	s_cbranch_execz .LBB58_115
; %bb.108:
	ds_read_b128 v[1:4], v32
	s_andn2_b32 vcc_lo, exec_lo, s66
	s_cbranch_vccnz .LBB58_110
; %bb.109:
	s_clause 0x3
	buffer_load_dword v33, v31, s[0:3], 0 offen offset:8
	buffer_load_dword v34, v31, s[0:3], 0 offen offset:12
	buffer_load_dword v35, v31, s[0:3], 0 offen
	buffer_load_dword v36, v31, s[0:3], 0 offen offset:4
	s_waitcnt vmcnt(2) lgkmcnt(0)
	v_mul_f64 v[37:38], v[3:4], v[33:34]
	v_mul_f64 v[33:34], v[1:2], v[33:34]
	s_waitcnt vmcnt(0)
	v_fma_f64 v[1:2], v[1:2], v[35:36], -v[37:38]
	v_fma_f64 v[3:4], v[3:4], v[35:36], v[33:34]
.LBB58_110:
	s_and_saveexec_b32 s67, s4
	s_cbranch_execz .LBB58_114
; %bb.111:
	v_subrev_nc_u32_e32 v33, 45, v0
	s_movk_i32 s68, 0x680
	s_mov_b32 s4, 0
	s_mov_b32 s69, s20
	.p2align	6
.LBB58_112:                             ; =>This Inner Loop Header: Depth=1
	v_mov_b32_e32 v34, s69
	v_add_nc_u32_e32 v33, -1, v33
	s_add_i32 s69, s69, 16
	s_clause 0x3
	buffer_load_dword v38, v34, s[0:3], 0 offen offset:8
	buffer_load_dword v39, v34, s[0:3], 0 offen offset:12
	buffer_load_dword v134, v34, s[0:3], 0 offen
	buffer_load_dword v135, v34, s[0:3], 0 offen offset:4
	v_mov_b32_e32 v34, s68
	v_cmp_eq_u32_e32 vcc_lo, 0, v33
	s_add_i32 s68, s68, 16
	ds_read_b128 v[34:37], v34
	s_or_b32 s4, vcc_lo, s4
	s_waitcnt vmcnt(2) lgkmcnt(0)
	v_mul_f64 v[136:137], v[36:37], v[38:39]
	v_mul_f64 v[38:39], v[34:35], v[38:39]
	s_waitcnt vmcnt(0)
	v_fma_f64 v[34:35], v[34:35], v[134:135], -v[136:137]
	v_fma_f64 v[36:37], v[36:37], v[134:135], v[38:39]
	v_add_f64 v[1:2], v[1:2], v[34:35]
	v_add_f64 v[3:4], v[3:4], v[36:37]
	s_andn2_b32 exec_lo, exec_lo, s4
	s_cbranch_execnz .LBB58_112
; %bb.113:
	s_or_b32 exec_lo, exec_lo, s4
.LBB58_114:
	s_or_b32 exec_lo, exec_lo, s67
	v_mov_b32_e32 v33, 0
	ds_read_b128 v[33:36], v33 offset:704
	s_waitcnt lgkmcnt(0)
	v_mul_f64 v[37:38], v[3:4], v[35:36]
	v_mul_f64 v[35:36], v[1:2], v[35:36]
	v_fma_f64 v[1:2], v[1:2], v[33:34], -v[37:38]
	v_fma_f64 v[3:4], v[3:4], v[33:34], v[35:36]
	buffer_store_dword v2, off, s[0:3], 0 offset:708
	buffer_store_dword v1, off, s[0:3], 0 offset:704
	;; [unrolled: 1-line block ×4, first 2 shown]
.LBB58_115:
	s_or_b32 exec_lo, exec_lo, s8
	v_mov_b32_e32 v4, s22
	v_cmp_lt_u32_e64 s4, 43, v0
	s_clause 0x3
	buffer_load_dword v1, v4, s[0:3], 0 offen
	buffer_load_dword v2, v4, s[0:3], 0 offen offset:4
	buffer_load_dword v3, v4, s[0:3], 0 offen offset:8
	;; [unrolled: 1-line block ×3, first 2 shown]
	s_waitcnt vmcnt(0)
	ds_write_b128 v32, v[1:4]
	s_waitcnt lgkmcnt(0)
	s_waitcnt_vscnt null, 0x0
	s_barrier
	buffer_gl0_inv
	s_and_saveexec_b32 s8, s4
	s_cbranch_execz .LBB58_123
; %bb.116:
	ds_read_b128 v[1:4], v32
	s_andn2_b32 vcc_lo, exec_lo, s66
	s_cbranch_vccnz .LBB58_118
; %bb.117:
	s_clause 0x3
	buffer_load_dword v33, v31, s[0:3], 0 offen offset:8
	buffer_load_dword v34, v31, s[0:3], 0 offen offset:12
	buffer_load_dword v35, v31, s[0:3], 0 offen
	buffer_load_dword v36, v31, s[0:3], 0 offen offset:4
	s_waitcnt vmcnt(2) lgkmcnt(0)
	v_mul_f64 v[37:38], v[3:4], v[33:34]
	v_mul_f64 v[33:34], v[1:2], v[33:34]
	s_waitcnt vmcnt(0)
	v_fma_f64 v[1:2], v[1:2], v[35:36], -v[37:38]
	v_fma_f64 v[3:4], v[3:4], v[35:36], v[33:34]
.LBB58_118:
	s_and_saveexec_b32 s67, s5
	s_cbranch_execz .LBB58_122
; %bb.119:
	v_subrev_nc_u32_e32 v33, 44, v0
	s_movk_i32 s68, 0x670
	s_mov_b32 s5, 0
	s_mov_b32 s69, s21
	.p2align	6
.LBB58_120:                             ; =>This Inner Loop Header: Depth=1
	v_mov_b32_e32 v34, s69
	v_add_nc_u32_e32 v33, -1, v33
	s_add_i32 s69, s69, 16
	s_clause 0x3
	buffer_load_dword v38, v34, s[0:3], 0 offen offset:8
	buffer_load_dword v39, v34, s[0:3], 0 offen offset:12
	buffer_load_dword v134, v34, s[0:3], 0 offen
	buffer_load_dword v135, v34, s[0:3], 0 offen offset:4
	v_mov_b32_e32 v34, s68
	v_cmp_eq_u32_e32 vcc_lo, 0, v33
	s_add_i32 s68, s68, 16
	ds_read_b128 v[34:37], v34
	s_or_b32 s5, vcc_lo, s5
	s_waitcnt vmcnt(2) lgkmcnt(0)
	v_mul_f64 v[136:137], v[36:37], v[38:39]
	v_mul_f64 v[38:39], v[34:35], v[38:39]
	s_waitcnt vmcnt(0)
	v_fma_f64 v[34:35], v[34:35], v[134:135], -v[136:137]
	v_fma_f64 v[36:37], v[36:37], v[134:135], v[38:39]
	v_add_f64 v[1:2], v[1:2], v[34:35]
	v_add_f64 v[3:4], v[3:4], v[36:37]
	s_andn2_b32 exec_lo, exec_lo, s5
	s_cbranch_execnz .LBB58_120
; %bb.121:
	s_or_b32 exec_lo, exec_lo, s5
.LBB58_122:
	s_or_b32 exec_lo, exec_lo, s67
	v_mov_b32_e32 v33, 0
	ds_read_b128 v[33:36], v33 offset:688
	s_waitcnt lgkmcnt(0)
	v_mul_f64 v[37:38], v[3:4], v[35:36]
	v_mul_f64 v[35:36], v[1:2], v[35:36]
	v_fma_f64 v[1:2], v[1:2], v[33:34], -v[37:38]
	v_fma_f64 v[3:4], v[3:4], v[33:34], v[35:36]
	buffer_store_dword v2, off, s[0:3], 0 offset:692
	buffer_store_dword v1, off, s[0:3], 0 offset:688
	buffer_store_dword v4, off, s[0:3], 0 offset:700
	buffer_store_dword v3, off, s[0:3], 0 offset:696
.LBB58_123:
	s_or_b32 exec_lo, exec_lo, s8
	v_mov_b32_e32 v4, s23
	v_cmp_lt_u32_e64 s5, 42, v0
	s_clause 0x3
	buffer_load_dword v1, v4, s[0:3], 0 offen
	buffer_load_dword v2, v4, s[0:3], 0 offen offset:4
	buffer_load_dword v3, v4, s[0:3], 0 offen offset:8
	;; [unrolled: 1-line block ×3, first 2 shown]
	s_waitcnt vmcnt(0)
	ds_write_b128 v32, v[1:4]
	s_waitcnt lgkmcnt(0)
	s_waitcnt_vscnt null, 0x0
	s_barrier
	buffer_gl0_inv
	s_and_saveexec_b32 s8, s5
	s_cbranch_execz .LBB58_131
; %bb.124:
	ds_read_b128 v[1:4], v32
	s_andn2_b32 vcc_lo, exec_lo, s66
	s_cbranch_vccnz .LBB58_126
; %bb.125:
	s_clause 0x3
	buffer_load_dword v33, v31, s[0:3], 0 offen offset:8
	buffer_load_dword v34, v31, s[0:3], 0 offen offset:12
	buffer_load_dword v35, v31, s[0:3], 0 offen
	buffer_load_dword v36, v31, s[0:3], 0 offen offset:4
	s_waitcnt vmcnt(2) lgkmcnt(0)
	v_mul_f64 v[37:38], v[3:4], v[33:34]
	v_mul_f64 v[33:34], v[1:2], v[33:34]
	s_waitcnt vmcnt(0)
	v_fma_f64 v[1:2], v[1:2], v[35:36], -v[37:38]
	v_fma_f64 v[3:4], v[3:4], v[35:36], v[33:34]
.LBB58_126:
	s_and_saveexec_b32 s67, s4
	s_cbranch_execz .LBB58_130
; %bb.127:
	v_subrev_nc_u32_e32 v33, 43, v0
	s_movk_i32 s68, 0x660
	s_mov_b32 s4, 0
	s_mov_b32 s69, s22
	.p2align	6
.LBB58_128:                             ; =>This Inner Loop Header: Depth=1
	v_mov_b32_e32 v34, s69
	v_add_nc_u32_e32 v33, -1, v33
	s_add_i32 s69, s69, 16
	s_clause 0x3
	buffer_load_dword v38, v34, s[0:3], 0 offen offset:8
	buffer_load_dword v39, v34, s[0:3], 0 offen offset:12
	buffer_load_dword v134, v34, s[0:3], 0 offen
	buffer_load_dword v135, v34, s[0:3], 0 offen offset:4
	v_mov_b32_e32 v34, s68
	v_cmp_eq_u32_e32 vcc_lo, 0, v33
	s_add_i32 s68, s68, 16
	ds_read_b128 v[34:37], v34
	s_or_b32 s4, vcc_lo, s4
	s_waitcnt vmcnt(2) lgkmcnt(0)
	v_mul_f64 v[136:137], v[36:37], v[38:39]
	v_mul_f64 v[38:39], v[34:35], v[38:39]
	s_waitcnt vmcnt(0)
	v_fma_f64 v[34:35], v[34:35], v[134:135], -v[136:137]
	v_fma_f64 v[36:37], v[36:37], v[134:135], v[38:39]
	v_add_f64 v[1:2], v[1:2], v[34:35]
	v_add_f64 v[3:4], v[3:4], v[36:37]
	s_andn2_b32 exec_lo, exec_lo, s4
	s_cbranch_execnz .LBB58_128
; %bb.129:
	s_or_b32 exec_lo, exec_lo, s4
.LBB58_130:
	s_or_b32 exec_lo, exec_lo, s67
	v_mov_b32_e32 v33, 0
	ds_read_b128 v[33:36], v33 offset:672
	s_waitcnt lgkmcnt(0)
	v_mul_f64 v[37:38], v[3:4], v[35:36]
	v_mul_f64 v[35:36], v[1:2], v[35:36]
	v_fma_f64 v[1:2], v[1:2], v[33:34], -v[37:38]
	v_fma_f64 v[3:4], v[3:4], v[33:34], v[35:36]
	buffer_store_dword v2, off, s[0:3], 0 offset:676
	buffer_store_dword v1, off, s[0:3], 0 offset:672
	;; [unrolled: 1-line block ×4, first 2 shown]
.LBB58_131:
	s_or_b32 exec_lo, exec_lo, s8
	v_mov_b32_e32 v4, s24
	v_cmp_lt_u32_e64 s4, 41, v0
	s_clause 0x3
	buffer_load_dword v1, v4, s[0:3], 0 offen
	buffer_load_dword v2, v4, s[0:3], 0 offen offset:4
	buffer_load_dword v3, v4, s[0:3], 0 offen offset:8
	;; [unrolled: 1-line block ×3, first 2 shown]
	s_waitcnt vmcnt(0)
	ds_write_b128 v32, v[1:4]
	s_waitcnt lgkmcnt(0)
	s_waitcnt_vscnt null, 0x0
	s_barrier
	buffer_gl0_inv
	s_and_saveexec_b32 s8, s4
	s_cbranch_execz .LBB58_139
; %bb.132:
	ds_read_b128 v[1:4], v32
	s_andn2_b32 vcc_lo, exec_lo, s66
	s_cbranch_vccnz .LBB58_134
; %bb.133:
	s_clause 0x3
	buffer_load_dword v33, v31, s[0:3], 0 offen offset:8
	buffer_load_dword v34, v31, s[0:3], 0 offen offset:12
	buffer_load_dword v35, v31, s[0:3], 0 offen
	buffer_load_dword v36, v31, s[0:3], 0 offen offset:4
	s_waitcnt vmcnt(2) lgkmcnt(0)
	v_mul_f64 v[37:38], v[3:4], v[33:34]
	v_mul_f64 v[33:34], v[1:2], v[33:34]
	s_waitcnt vmcnt(0)
	v_fma_f64 v[1:2], v[1:2], v[35:36], -v[37:38]
	v_fma_f64 v[3:4], v[3:4], v[35:36], v[33:34]
.LBB58_134:
	s_and_saveexec_b32 s67, s5
	s_cbranch_execz .LBB58_138
; %bb.135:
	v_subrev_nc_u32_e32 v33, 42, v0
	s_movk_i32 s68, 0x650
	s_mov_b32 s5, 0
	s_mov_b32 s69, s23
	.p2align	6
.LBB58_136:                             ; =>This Inner Loop Header: Depth=1
	v_mov_b32_e32 v34, s69
	v_add_nc_u32_e32 v33, -1, v33
	s_add_i32 s69, s69, 16
	s_clause 0x3
	buffer_load_dword v38, v34, s[0:3], 0 offen offset:8
	buffer_load_dword v39, v34, s[0:3], 0 offen offset:12
	buffer_load_dword v134, v34, s[0:3], 0 offen
	buffer_load_dword v135, v34, s[0:3], 0 offen offset:4
	v_mov_b32_e32 v34, s68
	v_cmp_eq_u32_e32 vcc_lo, 0, v33
	s_add_i32 s68, s68, 16
	ds_read_b128 v[34:37], v34
	s_or_b32 s5, vcc_lo, s5
	s_waitcnt vmcnt(2) lgkmcnt(0)
	v_mul_f64 v[136:137], v[36:37], v[38:39]
	v_mul_f64 v[38:39], v[34:35], v[38:39]
	s_waitcnt vmcnt(0)
	v_fma_f64 v[34:35], v[34:35], v[134:135], -v[136:137]
	v_fma_f64 v[36:37], v[36:37], v[134:135], v[38:39]
	v_add_f64 v[1:2], v[1:2], v[34:35]
	v_add_f64 v[3:4], v[3:4], v[36:37]
	s_andn2_b32 exec_lo, exec_lo, s5
	s_cbranch_execnz .LBB58_136
; %bb.137:
	s_or_b32 exec_lo, exec_lo, s5
.LBB58_138:
	s_or_b32 exec_lo, exec_lo, s67
	v_mov_b32_e32 v33, 0
	ds_read_b128 v[33:36], v33 offset:656
	s_waitcnt lgkmcnt(0)
	v_mul_f64 v[37:38], v[3:4], v[35:36]
	v_mul_f64 v[35:36], v[1:2], v[35:36]
	v_fma_f64 v[1:2], v[1:2], v[33:34], -v[37:38]
	v_fma_f64 v[3:4], v[3:4], v[33:34], v[35:36]
	buffer_store_dword v2, off, s[0:3], 0 offset:660
	buffer_store_dword v1, off, s[0:3], 0 offset:656
	;; [unrolled: 1-line block ×4, first 2 shown]
.LBB58_139:
	s_or_b32 exec_lo, exec_lo, s8
	v_mov_b32_e32 v4, s25
	v_cmp_lt_u32_e64 s5, 40, v0
	s_clause 0x3
	buffer_load_dword v1, v4, s[0:3], 0 offen
	buffer_load_dword v2, v4, s[0:3], 0 offen offset:4
	buffer_load_dword v3, v4, s[0:3], 0 offen offset:8
	;; [unrolled: 1-line block ×3, first 2 shown]
	s_waitcnt vmcnt(0)
	ds_write_b128 v32, v[1:4]
	s_waitcnt lgkmcnt(0)
	s_waitcnt_vscnt null, 0x0
	s_barrier
	buffer_gl0_inv
	s_and_saveexec_b32 s8, s5
	s_cbranch_execz .LBB58_147
; %bb.140:
	ds_read_b128 v[1:4], v32
	s_andn2_b32 vcc_lo, exec_lo, s66
	s_cbranch_vccnz .LBB58_142
; %bb.141:
	s_clause 0x3
	buffer_load_dword v33, v31, s[0:3], 0 offen offset:8
	buffer_load_dword v34, v31, s[0:3], 0 offen offset:12
	buffer_load_dword v35, v31, s[0:3], 0 offen
	buffer_load_dword v36, v31, s[0:3], 0 offen offset:4
	s_waitcnt vmcnt(2) lgkmcnt(0)
	v_mul_f64 v[37:38], v[3:4], v[33:34]
	v_mul_f64 v[33:34], v[1:2], v[33:34]
	s_waitcnt vmcnt(0)
	v_fma_f64 v[1:2], v[1:2], v[35:36], -v[37:38]
	v_fma_f64 v[3:4], v[3:4], v[35:36], v[33:34]
.LBB58_142:
	s_and_saveexec_b32 s67, s4
	s_cbranch_execz .LBB58_146
; %bb.143:
	v_subrev_nc_u32_e32 v33, 41, v0
	s_movk_i32 s68, 0x640
	s_mov_b32 s4, 0
	s_mov_b32 s69, s24
	.p2align	6
.LBB58_144:                             ; =>This Inner Loop Header: Depth=1
	v_mov_b32_e32 v34, s69
	v_add_nc_u32_e32 v33, -1, v33
	s_add_i32 s69, s69, 16
	s_clause 0x3
	buffer_load_dword v38, v34, s[0:3], 0 offen offset:8
	buffer_load_dword v39, v34, s[0:3], 0 offen offset:12
	buffer_load_dword v134, v34, s[0:3], 0 offen
	buffer_load_dword v135, v34, s[0:3], 0 offen offset:4
	v_mov_b32_e32 v34, s68
	v_cmp_eq_u32_e32 vcc_lo, 0, v33
	s_add_i32 s68, s68, 16
	ds_read_b128 v[34:37], v34
	s_or_b32 s4, vcc_lo, s4
	s_waitcnt vmcnt(2) lgkmcnt(0)
	v_mul_f64 v[136:137], v[36:37], v[38:39]
	v_mul_f64 v[38:39], v[34:35], v[38:39]
	s_waitcnt vmcnt(0)
	v_fma_f64 v[34:35], v[34:35], v[134:135], -v[136:137]
	v_fma_f64 v[36:37], v[36:37], v[134:135], v[38:39]
	v_add_f64 v[1:2], v[1:2], v[34:35]
	v_add_f64 v[3:4], v[3:4], v[36:37]
	s_andn2_b32 exec_lo, exec_lo, s4
	s_cbranch_execnz .LBB58_144
; %bb.145:
	s_or_b32 exec_lo, exec_lo, s4
.LBB58_146:
	s_or_b32 exec_lo, exec_lo, s67
	v_mov_b32_e32 v33, 0
	ds_read_b128 v[33:36], v33 offset:640
	s_waitcnt lgkmcnt(0)
	v_mul_f64 v[37:38], v[3:4], v[35:36]
	v_mul_f64 v[35:36], v[1:2], v[35:36]
	v_fma_f64 v[1:2], v[1:2], v[33:34], -v[37:38]
	v_fma_f64 v[3:4], v[3:4], v[33:34], v[35:36]
	buffer_store_dword v2, off, s[0:3], 0 offset:644
	buffer_store_dword v1, off, s[0:3], 0 offset:640
	;; [unrolled: 1-line block ×4, first 2 shown]
.LBB58_147:
	s_or_b32 exec_lo, exec_lo, s8
	v_mov_b32_e32 v4, s26
	v_cmp_lt_u32_e64 s4, 39, v0
	s_clause 0x3
	buffer_load_dword v1, v4, s[0:3], 0 offen
	buffer_load_dword v2, v4, s[0:3], 0 offen offset:4
	buffer_load_dword v3, v4, s[0:3], 0 offen offset:8
	;; [unrolled: 1-line block ×3, first 2 shown]
	s_waitcnt vmcnt(0)
	ds_write_b128 v32, v[1:4]
	s_waitcnt lgkmcnt(0)
	s_waitcnt_vscnt null, 0x0
	s_barrier
	buffer_gl0_inv
	s_and_saveexec_b32 s8, s4
	s_cbranch_execz .LBB58_155
; %bb.148:
	ds_read_b128 v[1:4], v32
	s_andn2_b32 vcc_lo, exec_lo, s66
	s_cbranch_vccnz .LBB58_150
; %bb.149:
	s_clause 0x3
	buffer_load_dword v33, v31, s[0:3], 0 offen offset:8
	buffer_load_dword v34, v31, s[0:3], 0 offen offset:12
	buffer_load_dword v35, v31, s[0:3], 0 offen
	buffer_load_dword v36, v31, s[0:3], 0 offen offset:4
	s_waitcnt vmcnt(2) lgkmcnt(0)
	v_mul_f64 v[37:38], v[3:4], v[33:34]
	v_mul_f64 v[33:34], v[1:2], v[33:34]
	s_waitcnt vmcnt(0)
	v_fma_f64 v[1:2], v[1:2], v[35:36], -v[37:38]
	v_fma_f64 v[3:4], v[3:4], v[35:36], v[33:34]
.LBB58_150:
	s_and_saveexec_b32 s67, s5
	s_cbranch_execz .LBB58_154
; %bb.151:
	v_subrev_nc_u32_e32 v33, 40, v0
	s_movk_i32 s68, 0x630
	s_mov_b32 s5, 0
	s_mov_b32 s69, s25
	.p2align	6
.LBB58_152:                             ; =>This Inner Loop Header: Depth=1
	v_mov_b32_e32 v34, s69
	v_add_nc_u32_e32 v33, -1, v33
	s_add_i32 s69, s69, 16
	s_clause 0x3
	buffer_load_dword v38, v34, s[0:3], 0 offen offset:8
	buffer_load_dword v39, v34, s[0:3], 0 offen offset:12
	buffer_load_dword v134, v34, s[0:3], 0 offen
	buffer_load_dword v135, v34, s[0:3], 0 offen offset:4
	v_mov_b32_e32 v34, s68
	v_cmp_eq_u32_e32 vcc_lo, 0, v33
	s_add_i32 s68, s68, 16
	ds_read_b128 v[34:37], v34
	s_or_b32 s5, vcc_lo, s5
	s_waitcnt vmcnt(2) lgkmcnt(0)
	v_mul_f64 v[136:137], v[36:37], v[38:39]
	v_mul_f64 v[38:39], v[34:35], v[38:39]
	s_waitcnt vmcnt(0)
	v_fma_f64 v[34:35], v[34:35], v[134:135], -v[136:137]
	v_fma_f64 v[36:37], v[36:37], v[134:135], v[38:39]
	v_add_f64 v[1:2], v[1:2], v[34:35]
	v_add_f64 v[3:4], v[3:4], v[36:37]
	s_andn2_b32 exec_lo, exec_lo, s5
	s_cbranch_execnz .LBB58_152
; %bb.153:
	s_or_b32 exec_lo, exec_lo, s5
.LBB58_154:
	s_or_b32 exec_lo, exec_lo, s67
	v_mov_b32_e32 v33, 0
	ds_read_b128 v[33:36], v33 offset:624
	s_waitcnt lgkmcnt(0)
	v_mul_f64 v[37:38], v[3:4], v[35:36]
	v_mul_f64 v[35:36], v[1:2], v[35:36]
	v_fma_f64 v[1:2], v[1:2], v[33:34], -v[37:38]
	v_fma_f64 v[3:4], v[3:4], v[33:34], v[35:36]
	buffer_store_dword v2, off, s[0:3], 0 offset:628
	buffer_store_dword v1, off, s[0:3], 0 offset:624
	;; [unrolled: 1-line block ×4, first 2 shown]
.LBB58_155:
	s_or_b32 exec_lo, exec_lo, s8
	v_mov_b32_e32 v4, s27
	v_cmp_lt_u32_e64 s5, 38, v0
	s_clause 0x3
	buffer_load_dword v1, v4, s[0:3], 0 offen
	buffer_load_dword v2, v4, s[0:3], 0 offen offset:4
	buffer_load_dword v3, v4, s[0:3], 0 offen offset:8
	;; [unrolled: 1-line block ×3, first 2 shown]
	s_waitcnt vmcnt(0)
	ds_write_b128 v32, v[1:4]
	s_waitcnt lgkmcnt(0)
	s_waitcnt_vscnt null, 0x0
	s_barrier
	buffer_gl0_inv
	s_and_saveexec_b32 s8, s5
	s_cbranch_execz .LBB58_163
; %bb.156:
	ds_read_b128 v[1:4], v32
	s_andn2_b32 vcc_lo, exec_lo, s66
	s_cbranch_vccnz .LBB58_158
; %bb.157:
	s_clause 0x3
	buffer_load_dword v33, v31, s[0:3], 0 offen offset:8
	buffer_load_dword v34, v31, s[0:3], 0 offen offset:12
	buffer_load_dword v35, v31, s[0:3], 0 offen
	buffer_load_dword v36, v31, s[0:3], 0 offen offset:4
	s_waitcnt vmcnt(2) lgkmcnt(0)
	v_mul_f64 v[37:38], v[3:4], v[33:34]
	v_mul_f64 v[33:34], v[1:2], v[33:34]
	s_waitcnt vmcnt(0)
	v_fma_f64 v[1:2], v[1:2], v[35:36], -v[37:38]
	v_fma_f64 v[3:4], v[3:4], v[35:36], v[33:34]
.LBB58_158:
	s_and_saveexec_b32 s67, s4
	s_cbranch_execz .LBB58_162
; %bb.159:
	v_subrev_nc_u32_e32 v33, 39, v0
	s_movk_i32 s68, 0x620
	s_mov_b32 s4, 0
	s_mov_b32 s69, s26
	.p2align	6
.LBB58_160:                             ; =>This Inner Loop Header: Depth=1
	v_mov_b32_e32 v34, s69
	v_add_nc_u32_e32 v33, -1, v33
	s_add_i32 s69, s69, 16
	s_clause 0x3
	buffer_load_dword v38, v34, s[0:3], 0 offen offset:8
	buffer_load_dword v39, v34, s[0:3], 0 offen offset:12
	buffer_load_dword v134, v34, s[0:3], 0 offen
	buffer_load_dword v135, v34, s[0:3], 0 offen offset:4
	v_mov_b32_e32 v34, s68
	v_cmp_eq_u32_e32 vcc_lo, 0, v33
	s_add_i32 s68, s68, 16
	ds_read_b128 v[34:37], v34
	s_or_b32 s4, vcc_lo, s4
	s_waitcnt vmcnt(2) lgkmcnt(0)
	v_mul_f64 v[136:137], v[36:37], v[38:39]
	v_mul_f64 v[38:39], v[34:35], v[38:39]
	s_waitcnt vmcnt(0)
	v_fma_f64 v[34:35], v[34:35], v[134:135], -v[136:137]
	v_fma_f64 v[36:37], v[36:37], v[134:135], v[38:39]
	v_add_f64 v[1:2], v[1:2], v[34:35]
	v_add_f64 v[3:4], v[3:4], v[36:37]
	s_andn2_b32 exec_lo, exec_lo, s4
	s_cbranch_execnz .LBB58_160
; %bb.161:
	s_or_b32 exec_lo, exec_lo, s4
.LBB58_162:
	s_or_b32 exec_lo, exec_lo, s67
	v_mov_b32_e32 v33, 0
	ds_read_b128 v[33:36], v33 offset:608
	s_waitcnt lgkmcnt(0)
	v_mul_f64 v[37:38], v[3:4], v[35:36]
	v_mul_f64 v[35:36], v[1:2], v[35:36]
	v_fma_f64 v[1:2], v[1:2], v[33:34], -v[37:38]
	v_fma_f64 v[3:4], v[3:4], v[33:34], v[35:36]
	buffer_store_dword v2, off, s[0:3], 0 offset:612
	buffer_store_dword v1, off, s[0:3], 0 offset:608
	;; [unrolled: 1-line block ×4, first 2 shown]
.LBB58_163:
	s_or_b32 exec_lo, exec_lo, s8
	v_mov_b32_e32 v4, s28
	v_cmp_lt_u32_e64 s4, 37, v0
	s_clause 0x3
	buffer_load_dword v1, v4, s[0:3], 0 offen
	buffer_load_dword v2, v4, s[0:3], 0 offen offset:4
	buffer_load_dword v3, v4, s[0:3], 0 offen offset:8
	;; [unrolled: 1-line block ×3, first 2 shown]
	s_waitcnt vmcnt(0)
	ds_write_b128 v32, v[1:4]
	s_waitcnt lgkmcnt(0)
	s_waitcnt_vscnt null, 0x0
	s_barrier
	buffer_gl0_inv
	s_and_saveexec_b32 s8, s4
	s_cbranch_execz .LBB58_171
; %bb.164:
	ds_read_b128 v[1:4], v32
	s_andn2_b32 vcc_lo, exec_lo, s66
	s_cbranch_vccnz .LBB58_166
; %bb.165:
	s_clause 0x3
	buffer_load_dword v33, v31, s[0:3], 0 offen offset:8
	buffer_load_dword v34, v31, s[0:3], 0 offen offset:12
	buffer_load_dword v35, v31, s[0:3], 0 offen
	buffer_load_dword v36, v31, s[0:3], 0 offen offset:4
	s_waitcnt vmcnt(2) lgkmcnt(0)
	v_mul_f64 v[37:38], v[3:4], v[33:34]
	v_mul_f64 v[33:34], v[1:2], v[33:34]
	s_waitcnt vmcnt(0)
	v_fma_f64 v[1:2], v[1:2], v[35:36], -v[37:38]
	v_fma_f64 v[3:4], v[3:4], v[35:36], v[33:34]
.LBB58_166:
	s_and_saveexec_b32 s67, s5
	s_cbranch_execz .LBB58_170
; %bb.167:
	v_subrev_nc_u32_e32 v33, 38, v0
	s_movk_i32 s68, 0x610
	s_mov_b32 s5, 0
	s_mov_b32 s69, s27
	.p2align	6
.LBB58_168:                             ; =>This Inner Loop Header: Depth=1
	v_mov_b32_e32 v34, s69
	v_add_nc_u32_e32 v33, -1, v33
	s_add_i32 s69, s69, 16
	s_clause 0x3
	buffer_load_dword v38, v34, s[0:3], 0 offen offset:8
	buffer_load_dword v39, v34, s[0:3], 0 offen offset:12
	buffer_load_dword v134, v34, s[0:3], 0 offen
	buffer_load_dword v135, v34, s[0:3], 0 offen offset:4
	v_mov_b32_e32 v34, s68
	v_cmp_eq_u32_e32 vcc_lo, 0, v33
	s_add_i32 s68, s68, 16
	ds_read_b128 v[34:37], v34
	s_or_b32 s5, vcc_lo, s5
	s_waitcnt vmcnt(2) lgkmcnt(0)
	v_mul_f64 v[136:137], v[36:37], v[38:39]
	v_mul_f64 v[38:39], v[34:35], v[38:39]
	s_waitcnt vmcnt(0)
	v_fma_f64 v[34:35], v[34:35], v[134:135], -v[136:137]
	v_fma_f64 v[36:37], v[36:37], v[134:135], v[38:39]
	v_add_f64 v[1:2], v[1:2], v[34:35]
	v_add_f64 v[3:4], v[3:4], v[36:37]
	s_andn2_b32 exec_lo, exec_lo, s5
	s_cbranch_execnz .LBB58_168
; %bb.169:
	s_or_b32 exec_lo, exec_lo, s5
.LBB58_170:
	s_or_b32 exec_lo, exec_lo, s67
	v_mov_b32_e32 v33, 0
	ds_read_b128 v[33:36], v33 offset:592
	s_waitcnt lgkmcnt(0)
	v_mul_f64 v[37:38], v[3:4], v[35:36]
	v_mul_f64 v[35:36], v[1:2], v[35:36]
	v_fma_f64 v[1:2], v[1:2], v[33:34], -v[37:38]
	v_fma_f64 v[3:4], v[3:4], v[33:34], v[35:36]
	buffer_store_dword v2, off, s[0:3], 0 offset:596
	buffer_store_dword v1, off, s[0:3], 0 offset:592
	;; [unrolled: 1-line block ×4, first 2 shown]
.LBB58_171:
	s_or_b32 exec_lo, exec_lo, s8
	v_mov_b32_e32 v4, s29
	v_cmp_lt_u32_e64 s5, 36, v0
	s_clause 0x3
	buffer_load_dword v1, v4, s[0:3], 0 offen
	buffer_load_dword v2, v4, s[0:3], 0 offen offset:4
	buffer_load_dword v3, v4, s[0:3], 0 offen offset:8
	;; [unrolled: 1-line block ×3, first 2 shown]
	s_waitcnt vmcnt(0)
	ds_write_b128 v32, v[1:4]
	s_waitcnt lgkmcnt(0)
	s_waitcnt_vscnt null, 0x0
	s_barrier
	buffer_gl0_inv
	s_and_saveexec_b32 s8, s5
	s_cbranch_execz .LBB58_179
; %bb.172:
	ds_read_b128 v[1:4], v32
	s_andn2_b32 vcc_lo, exec_lo, s66
	s_cbranch_vccnz .LBB58_174
; %bb.173:
	s_clause 0x3
	buffer_load_dword v33, v31, s[0:3], 0 offen offset:8
	buffer_load_dword v34, v31, s[0:3], 0 offen offset:12
	buffer_load_dword v35, v31, s[0:3], 0 offen
	buffer_load_dword v36, v31, s[0:3], 0 offen offset:4
	s_waitcnt vmcnt(2) lgkmcnt(0)
	v_mul_f64 v[37:38], v[3:4], v[33:34]
	v_mul_f64 v[33:34], v[1:2], v[33:34]
	s_waitcnt vmcnt(0)
	v_fma_f64 v[1:2], v[1:2], v[35:36], -v[37:38]
	v_fma_f64 v[3:4], v[3:4], v[35:36], v[33:34]
.LBB58_174:
	s_and_saveexec_b32 s67, s4
	s_cbranch_execz .LBB58_178
; %bb.175:
	v_subrev_nc_u32_e32 v33, 37, v0
	s_movk_i32 s68, 0x600
	s_mov_b32 s4, 0
	s_mov_b32 s69, s28
	.p2align	6
.LBB58_176:                             ; =>This Inner Loop Header: Depth=1
	v_mov_b32_e32 v34, s69
	v_add_nc_u32_e32 v33, -1, v33
	s_add_i32 s69, s69, 16
	s_clause 0x3
	buffer_load_dword v38, v34, s[0:3], 0 offen offset:8
	buffer_load_dword v39, v34, s[0:3], 0 offen offset:12
	buffer_load_dword v134, v34, s[0:3], 0 offen
	buffer_load_dword v135, v34, s[0:3], 0 offen offset:4
	v_mov_b32_e32 v34, s68
	v_cmp_eq_u32_e32 vcc_lo, 0, v33
	s_add_i32 s68, s68, 16
	ds_read_b128 v[34:37], v34
	s_or_b32 s4, vcc_lo, s4
	s_waitcnt vmcnt(2) lgkmcnt(0)
	v_mul_f64 v[136:137], v[36:37], v[38:39]
	v_mul_f64 v[38:39], v[34:35], v[38:39]
	s_waitcnt vmcnt(0)
	v_fma_f64 v[34:35], v[34:35], v[134:135], -v[136:137]
	v_fma_f64 v[36:37], v[36:37], v[134:135], v[38:39]
	v_add_f64 v[1:2], v[1:2], v[34:35]
	v_add_f64 v[3:4], v[3:4], v[36:37]
	s_andn2_b32 exec_lo, exec_lo, s4
	s_cbranch_execnz .LBB58_176
; %bb.177:
	s_or_b32 exec_lo, exec_lo, s4
.LBB58_178:
	s_or_b32 exec_lo, exec_lo, s67
	v_mov_b32_e32 v33, 0
	ds_read_b128 v[33:36], v33 offset:576
	s_waitcnt lgkmcnt(0)
	v_mul_f64 v[37:38], v[3:4], v[35:36]
	v_mul_f64 v[35:36], v[1:2], v[35:36]
	v_fma_f64 v[1:2], v[1:2], v[33:34], -v[37:38]
	v_fma_f64 v[3:4], v[3:4], v[33:34], v[35:36]
	buffer_store_dword v2, off, s[0:3], 0 offset:580
	buffer_store_dword v1, off, s[0:3], 0 offset:576
	;; [unrolled: 1-line block ×4, first 2 shown]
.LBB58_179:
	s_or_b32 exec_lo, exec_lo, s8
	v_mov_b32_e32 v4, s30
	v_cmp_lt_u32_e64 s4, 35, v0
	s_clause 0x3
	buffer_load_dword v1, v4, s[0:3], 0 offen
	buffer_load_dword v2, v4, s[0:3], 0 offen offset:4
	buffer_load_dword v3, v4, s[0:3], 0 offen offset:8
	;; [unrolled: 1-line block ×3, first 2 shown]
	s_waitcnt vmcnt(0)
	ds_write_b128 v32, v[1:4]
	s_waitcnt lgkmcnt(0)
	s_waitcnt_vscnt null, 0x0
	s_barrier
	buffer_gl0_inv
	s_and_saveexec_b32 s8, s4
	s_cbranch_execz .LBB58_187
; %bb.180:
	ds_read_b128 v[1:4], v32
	s_andn2_b32 vcc_lo, exec_lo, s66
	s_cbranch_vccnz .LBB58_182
; %bb.181:
	s_clause 0x3
	buffer_load_dword v33, v31, s[0:3], 0 offen offset:8
	buffer_load_dword v34, v31, s[0:3], 0 offen offset:12
	buffer_load_dword v35, v31, s[0:3], 0 offen
	buffer_load_dword v36, v31, s[0:3], 0 offen offset:4
	s_waitcnt vmcnt(2) lgkmcnt(0)
	v_mul_f64 v[37:38], v[3:4], v[33:34]
	v_mul_f64 v[33:34], v[1:2], v[33:34]
	s_waitcnt vmcnt(0)
	v_fma_f64 v[1:2], v[1:2], v[35:36], -v[37:38]
	v_fma_f64 v[3:4], v[3:4], v[35:36], v[33:34]
.LBB58_182:
	s_and_saveexec_b32 s67, s5
	s_cbranch_execz .LBB58_186
; %bb.183:
	v_subrev_nc_u32_e32 v33, 36, v0
	s_movk_i32 s68, 0x5f0
	s_mov_b32 s5, 0
	s_mov_b32 s69, s29
	.p2align	6
.LBB58_184:                             ; =>This Inner Loop Header: Depth=1
	v_mov_b32_e32 v34, s69
	v_add_nc_u32_e32 v33, -1, v33
	s_add_i32 s69, s69, 16
	s_clause 0x3
	buffer_load_dword v38, v34, s[0:3], 0 offen offset:8
	buffer_load_dword v39, v34, s[0:3], 0 offen offset:12
	buffer_load_dword v134, v34, s[0:3], 0 offen
	buffer_load_dword v135, v34, s[0:3], 0 offen offset:4
	v_mov_b32_e32 v34, s68
	v_cmp_eq_u32_e32 vcc_lo, 0, v33
	s_add_i32 s68, s68, 16
	ds_read_b128 v[34:37], v34
	s_or_b32 s5, vcc_lo, s5
	s_waitcnt vmcnt(2) lgkmcnt(0)
	v_mul_f64 v[136:137], v[36:37], v[38:39]
	v_mul_f64 v[38:39], v[34:35], v[38:39]
	s_waitcnt vmcnt(0)
	v_fma_f64 v[34:35], v[34:35], v[134:135], -v[136:137]
	v_fma_f64 v[36:37], v[36:37], v[134:135], v[38:39]
	v_add_f64 v[1:2], v[1:2], v[34:35]
	v_add_f64 v[3:4], v[3:4], v[36:37]
	s_andn2_b32 exec_lo, exec_lo, s5
	s_cbranch_execnz .LBB58_184
; %bb.185:
	s_or_b32 exec_lo, exec_lo, s5
.LBB58_186:
	s_or_b32 exec_lo, exec_lo, s67
	v_mov_b32_e32 v33, 0
	ds_read_b128 v[33:36], v33 offset:560
	s_waitcnt lgkmcnt(0)
	v_mul_f64 v[37:38], v[3:4], v[35:36]
	v_mul_f64 v[35:36], v[1:2], v[35:36]
	v_fma_f64 v[1:2], v[1:2], v[33:34], -v[37:38]
	v_fma_f64 v[3:4], v[3:4], v[33:34], v[35:36]
	buffer_store_dword v2, off, s[0:3], 0 offset:564
	buffer_store_dword v1, off, s[0:3], 0 offset:560
	;; [unrolled: 1-line block ×4, first 2 shown]
.LBB58_187:
	s_or_b32 exec_lo, exec_lo, s8
	v_mov_b32_e32 v4, s31
	v_cmp_lt_u32_e64 s5, 34, v0
	s_clause 0x3
	buffer_load_dword v1, v4, s[0:3], 0 offen
	buffer_load_dword v2, v4, s[0:3], 0 offen offset:4
	buffer_load_dword v3, v4, s[0:3], 0 offen offset:8
	;; [unrolled: 1-line block ×3, first 2 shown]
	s_waitcnt vmcnt(0)
	ds_write_b128 v32, v[1:4]
	s_waitcnt lgkmcnt(0)
	s_waitcnt_vscnt null, 0x0
	s_barrier
	buffer_gl0_inv
	s_and_saveexec_b32 s8, s5
	s_cbranch_execz .LBB58_195
; %bb.188:
	ds_read_b128 v[1:4], v32
	s_andn2_b32 vcc_lo, exec_lo, s66
	s_cbranch_vccnz .LBB58_190
; %bb.189:
	s_clause 0x3
	buffer_load_dword v33, v31, s[0:3], 0 offen offset:8
	buffer_load_dword v34, v31, s[0:3], 0 offen offset:12
	buffer_load_dword v35, v31, s[0:3], 0 offen
	buffer_load_dword v36, v31, s[0:3], 0 offen offset:4
	s_waitcnt vmcnt(2) lgkmcnt(0)
	v_mul_f64 v[37:38], v[3:4], v[33:34]
	v_mul_f64 v[33:34], v[1:2], v[33:34]
	s_waitcnt vmcnt(0)
	v_fma_f64 v[1:2], v[1:2], v[35:36], -v[37:38]
	v_fma_f64 v[3:4], v[3:4], v[35:36], v[33:34]
.LBB58_190:
	s_and_saveexec_b32 s67, s4
	s_cbranch_execz .LBB58_194
; %bb.191:
	v_subrev_nc_u32_e32 v33, 35, v0
	s_movk_i32 s68, 0x5e0
	s_mov_b32 s4, 0
	s_mov_b32 s69, s30
	.p2align	6
.LBB58_192:                             ; =>This Inner Loop Header: Depth=1
	v_mov_b32_e32 v34, s69
	v_add_nc_u32_e32 v33, -1, v33
	s_add_i32 s69, s69, 16
	s_clause 0x3
	buffer_load_dword v38, v34, s[0:3], 0 offen offset:8
	buffer_load_dword v39, v34, s[0:3], 0 offen offset:12
	buffer_load_dword v134, v34, s[0:3], 0 offen
	buffer_load_dword v135, v34, s[0:3], 0 offen offset:4
	v_mov_b32_e32 v34, s68
	v_cmp_eq_u32_e32 vcc_lo, 0, v33
	s_add_i32 s68, s68, 16
	ds_read_b128 v[34:37], v34
	s_or_b32 s4, vcc_lo, s4
	s_waitcnt vmcnt(2) lgkmcnt(0)
	v_mul_f64 v[136:137], v[36:37], v[38:39]
	v_mul_f64 v[38:39], v[34:35], v[38:39]
	s_waitcnt vmcnt(0)
	v_fma_f64 v[34:35], v[34:35], v[134:135], -v[136:137]
	v_fma_f64 v[36:37], v[36:37], v[134:135], v[38:39]
	v_add_f64 v[1:2], v[1:2], v[34:35]
	v_add_f64 v[3:4], v[3:4], v[36:37]
	s_andn2_b32 exec_lo, exec_lo, s4
	s_cbranch_execnz .LBB58_192
; %bb.193:
	s_or_b32 exec_lo, exec_lo, s4
.LBB58_194:
	s_or_b32 exec_lo, exec_lo, s67
	v_mov_b32_e32 v33, 0
	ds_read_b128 v[33:36], v33 offset:544
	s_waitcnt lgkmcnt(0)
	v_mul_f64 v[37:38], v[3:4], v[35:36]
	v_mul_f64 v[35:36], v[1:2], v[35:36]
	v_fma_f64 v[1:2], v[1:2], v[33:34], -v[37:38]
	v_fma_f64 v[3:4], v[3:4], v[33:34], v[35:36]
	buffer_store_dword v2, off, s[0:3], 0 offset:548
	buffer_store_dword v1, off, s[0:3], 0 offset:544
	;; [unrolled: 1-line block ×4, first 2 shown]
.LBB58_195:
	s_or_b32 exec_lo, exec_lo, s8
	v_mov_b32_e32 v4, s33
	v_cmp_lt_u32_e64 s4, 33, v0
	s_clause 0x3
	buffer_load_dword v1, v4, s[0:3], 0 offen
	buffer_load_dword v2, v4, s[0:3], 0 offen offset:4
	buffer_load_dword v3, v4, s[0:3], 0 offen offset:8
	;; [unrolled: 1-line block ×3, first 2 shown]
	s_waitcnt vmcnt(0)
	ds_write_b128 v32, v[1:4]
	s_waitcnt lgkmcnt(0)
	s_waitcnt_vscnt null, 0x0
	s_barrier
	buffer_gl0_inv
	s_and_saveexec_b32 s8, s4
	s_cbranch_execz .LBB58_203
; %bb.196:
	ds_read_b128 v[1:4], v32
	s_andn2_b32 vcc_lo, exec_lo, s66
	s_cbranch_vccnz .LBB58_198
; %bb.197:
	s_clause 0x3
	buffer_load_dword v33, v31, s[0:3], 0 offen offset:8
	buffer_load_dword v34, v31, s[0:3], 0 offen offset:12
	buffer_load_dword v35, v31, s[0:3], 0 offen
	buffer_load_dword v36, v31, s[0:3], 0 offen offset:4
	s_waitcnt vmcnt(2) lgkmcnt(0)
	v_mul_f64 v[37:38], v[3:4], v[33:34]
	v_mul_f64 v[33:34], v[1:2], v[33:34]
	s_waitcnt vmcnt(0)
	v_fma_f64 v[1:2], v[1:2], v[35:36], -v[37:38]
	v_fma_f64 v[3:4], v[3:4], v[35:36], v[33:34]
.LBB58_198:
	s_and_saveexec_b32 s67, s5
	s_cbranch_execz .LBB58_202
; %bb.199:
	v_subrev_nc_u32_e32 v33, 34, v0
	s_movk_i32 s68, 0x5d0
	s_mov_b32 s5, 0
	s_mov_b32 s69, s31
	.p2align	6
.LBB58_200:                             ; =>This Inner Loop Header: Depth=1
	v_mov_b32_e32 v34, s69
	v_add_nc_u32_e32 v33, -1, v33
	s_add_i32 s69, s69, 16
	s_clause 0x3
	buffer_load_dword v38, v34, s[0:3], 0 offen offset:8
	buffer_load_dword v39, v34, s[0:3], 0 offen offset:12
	buffer_load_dword v134, v34, s[0:3], 0 offen
	buffer_load_dword v135, v34, s[0:3], 0 offen offset:4
	v_mov_b32_e32 v34, s68
	v_cmp_eq_u32_e32 vcc_lo, 0, v33
	s_add_i32 s68, s68, 16
	ds_read_b128 v[34:37], v34
	s_or_b32 s5, vcc_lo, s5
	s_waitcnt vmcnt(2) lgkmcnt(0)
	v_mul_f64 v[136:137], v[36:37], v[38:39]
	v_mul_f64 v[38:39], v[34:35], v[38:39]
	s_waitcnt vmcnt(0)
	v_fma_f64 v[34:35], v[34:35], v[134:135], -v[136:137]
	v_fma_f64 v[36:37], v[36:37], v[134:135], v[38:39]
	v_add_f64 v[1:2], v[1:2], v[34:35]
	v_add_f64 v[3:4], v[3:4], v[36:37]
	s_andn2_b32 exec_lo, exec_lo, s5
	s_cbranch_execnz .LBB58_200
; %bb.201:
	s_or_b32 exec_lo, exec_lo, s5
.LBB58_202:
	s_or_b32 exec_lo, exec_lo, s67
	v_mov_b32_e32 v33, 0
	ds_read_b128 v[33:36], v33 offset:528
	s_waitcnt lgkmcnt(0)
	v_mul_f64 v[37:38], v[3:4], v[35:36]
	v_mul_f64 v[35:36], v[1:2], v[35:36]
	v_fma_f64 v[1:2], v[1:2], v[33:34], -v[37:38]
	v_fma_f64 v[3:4], v[3:4], v[33:34], v[35:36]
	buffer_store_dword v2, off, s[0:3], 0 offset:532
	buffer_store_dword v1, off, s[0:3], 0 offset:528
	buffer_store_dword v4, off, s[0:3], 0 offset:540
	buffer_store_dword v3, off, s[0:3], 0 offset:536
.LBB58_203:
	s_or_b32 exec_lo, exec_lo, s8
	v_mov_b32_e32 v4, s34
	v_cmp_lt_u32_e64 s5, 32, v0
	s_clause 0x3
	buffer_load_dword v1, v4, s[0:3], 0 offen
	buffer_load_dword v2, v4, s[0:3], 0 offen offset:4
	buffer_load_dword v3, v4, s[0:3], 0 offen offset:8
	;; [unrolled: 1-line block ×3, first 2 shown]
	s_waitcnt vmcnt(0)
	ds_write_b128 v32, v[1:4]
	s_waitcnt lgkmcnt(0)
	s_waitcnt_vscnt null, 0x0
	s_barrier
	buffer_gl0_inv
	s_and_saveexec_b32 s8, s5
	s_cbranch_execz .LBB58_211
; %bb.204:
	ds_read_b128 v[1:4], v32
	s_andn2_b32 vcc_lo, exec_lo, s66
	s_cbranch_vccnz .LBB58_206
; %bb.205:
	s_clause 0x3
	buffer_load_dword v33, v31, s[0:3], 0 offen offset:8
	buffer_load_dword v34, v31, s[0:3], 0 offen offset:12
	buffer_load_dword v35, v31, s[0:3], 0 offen
	buffer_load_dword v36, v31, s[0:3], 0 offen offset:4
	s_waitcnt vmcnt(2) lgkmcnt(0)
	v_mul_f64 v[37:38], v[3:4], v[33:34]
	v_mul_f64 v[33:34], v[1:2], v[33:34]
	s_waitcnt vmcnt(0)
	v_fma_f64 v[1:2], v[1:2], v[35:36], -v[37:38]
	v_fma_f64 v[3:4], v[3:4], v[35:36], v[33:34]
.LBB58_206:
	s_and_saveexec_b32 s67, s4
	s_cbranch_execz .LBB58_210
; %bb.207:
	v_subrev_nc_u32_e32 v33, 33, v0
	s_movk_i32 s68, 0x5c0
	s_mov_b32 s4, 0
	s_mov_b32 s69, s33
	.p2align	6
.LBB58_208:                             ; =>This Inner Loop Header: Depth=1
	v_mov_b32_e32 v34, s69
	v_add_nc_u32_e32 v33, -1, v33
	s_add_i32 s69, s69, 16
	s_clause 0x3
	buffer_load_dword v38, v34, s[0:3], 0 offen offset:8
	buffer_load_dword v39, v34, s[0:3], 0 offen offset:12
	buffer_load_dword v134, v34, s[0:3], 0 offen
	buffer_load_dword v135, v34, s[0:3], 0 offen offset:4
	v_mov_b32_e32 v34, s68
	v_cmp_eq_u32_e32 vcc_lo, 0, v33
	s_add_i32 s68, s68, 16
	ds_read_b128 v[34:37], v34
	s_or_b32 s4, vcc_lo, s4
	s_waitcnt vmcnt(2) lgkmcnt(0)
	v_mul_f64 v[136:137], v[36:37], v[38:39]
	v_mul_f64 v[38:39], v[34:35], v[38:39]
	s_waitcnt vmcnt(0)
	v_fma_f64 v[34:35], v[34:35], v[134:135], -v[136:137]
	v_fma_f64 v[36:37], v[36:37], v[134:135], v[38:39]
	v_add_f64 v[1:2], v[1:2], v[34:35]
	v_add_f64 v[3:4], v[3:4], v[36:37]
	s_andn2_b32 exec_lo, exec_lo, s4
	s_cbranch_execnz .LBB58_208
; %bb.209:
	s_or_b32 exec_lo, exec_lo, s4
.LBB58_210:
	s_or_b32 exec_lo, exec_lo, s67
	v_mov_b32_e32 v33, 0
	ds_read_b128 v[33:36], v33 offset:512
	s_waitcnt lgkmcnt(0)
	v_mul_f64 v[37:38], v[3:4], v[35:36]
	v_mul_f64 v[35:36], v[1:2], v[35:36]
	v_fma_f64 v[1:2], v[1:2], v[33:34], -v[37:38]
	v_fma_f64 v[3:4], v[3:4], v[33:34], v[35:36]
	buffer_store_dword v2, off, s[0:3], 0 offset:516
	buffer_store_dword v1, off, s[0:3], 0 offset:512
	;; [unrolled: 1-line block ×4, first 2 shown]
.LBB58_211:
	s_or_b32 exec_lo, exec_lo, s8
	v_mov_b32_e32 v4, s35
	v_cmp_lt_u32_e64 s4, 31, v0
	s_clause 0x3
	buffer_load_dword v1, v4, s[0:3], 0 offen
	buffer_load_dword v2, v4, s[0:3], 0 offen offset:4
	buffer_load_dword v3, v4, s[0:3], 0 offen offset:8
	buffer_load_dword v4, v4, s[0:3], 0 offen offset:12
	s_waitcnt vmcnt(0)
	ds_write_b128 v32, v[1:4]
	s_waitcnt lgkmcnt(0)
	s_waitcnt_vscnt null, 0x0
	s_barrier
	buffer_gl0_inv
	s_and_saveexec_b32 s8, s4
	s_cbranch_execz .LBB58_219
; %bb.212:
	ds_read_b128 v[1:4], v32
	s_andn2_b32 vcc_lo, exec_lo, s66
	s_cbranch_vccnz .LBB58_214
; %bb.213:
	s_clause 0x3
	buffer_load_dword v33, v31, s[0:3], 0 offen offset:8
	buffer_load_dword v34, v31, s[0:3], 0 offen offset:12
	buffer_load_dword v35, v31, s[0:3], 0 offen
	buffer_load_dword v36, v31, s[0:3], 0 offen offset:4
	s_waitcnt vmcnt(2) lgkmcnt(0)
	v_mul_f64 v[37:38], v[3:4], v[33:34]
	v_mul_f64 v[33:34], v[1:2], v[33:34]
	s_waitcnt vmcnt(0)
	v_fma_f64 v[1:2], v[1:2], v[35:36], -v[37:38]
	v_fma_f64 v[3:4], v[3:4], v[35:36], v[33:34]
.LBB58_214:
	s_and_saveexec_b32 s67, s5
	s_cbranch_execz .LBB58_218
; %bb.215:
	v_subrev_nc_u32_e32 v33, 32, v0
	s_movk_i32 s68, 0x5b0
	s_mov_b32 s5, 0
	s_mov_b32 s69, s34
	.p2align	6
.LBB58_216:                             ; =>This Inner Loop Header: Depth=1
	v_mov_b32_e32 v34, s69
	v_add_nc_u32_e32 v33, -1, v33
	s_add_i32 s69, s69, 16
	s_clause 0x3
	buffer_load_dword v38, v34, s[0:3], 0 offen offset:8
	buffer_load_dword v39, v34, s[0:3], 0 offen offset:12
	buffer_load_dword v134, v34, s[0:3], 0 offen
	buffer_load_dword v135, v34, s[0:3], 0 offen offset:4
	v_mov_b32_e32 v34, s68
	v_cmp_eq_u32_e32 vcc_lo, 0, v33
	s_add_i32 s68, s68, 16
	ds_read_b128 v[34:37], v34
	s_or_b32 s5, vcc_lo, s5
	s_waitcnt vmcnt(2) lgkmcnt(0)
	v_mul_f64 v[136:137], v[36:37], v[38:39]
	v_mul_f64 v[38:39], v[34:35], v[38:39]
	s_waitcnt vmcnt(0)
	v_fma_f64 v[34:35], v[34:35], v[134:135], -v[136:137]
	v_fma_f64 v[36:37], v[36:37], v[134:135], v[38:39]
	v_add_f64 v[1:2], v[1:2], v[34:35]
	v_add_f64 v[3:4], v[3:4], v[36:37]
	s_andn2_b32 exec_lo, exec_lo, s5
	s_cbranch_execnz .LBB58_216
; %bb.217:
	s_or_b32 exec_lo, exec_lo, s5
.LBB58_218:
	s_or_b32 exec_lo, exec_lo, s67
	v_mov_b32_e32 v33, 0
	ds_read_b128 v[33:36], v33 offset:496
	s_waitcnt lgkmcnt(0)
	v_mul_f64 v[37:38], v[3:4], v[35:36]
	v_mul_f64 v[35:36], v[1:2], v[35:36]
	v_fma_f64 v[1:2], v[1:2], v[33:34], -v[37:38]
	v_fma_f64 v[3:4], v[3:4], v[33:34], v[35:36]
	buffer_store_dword v2, off, s[0:3], 0 offset:500
	buffer_store_dword v1, off, s[0:3], 0 offset:496
	;; [unrolled: 1-line block ×4, first 2 shown]
.LBB58_219:
	s_or_b32 exec_lo, exec_lo, s8
	v_mov_b32_e32 v4, s36
	v_cmp_lt_u32_e64 s5, 30, v0
	s_clause 0x3
	buffer_load_dword v1, v4, s[0:3], 0 offen
	buffer_load_dword v2, v4, s[0:3], 0 offen offset:4
	buffer_load_dword v3, v4, s[0:3], 0 offen offset:8
	;; [unrolled: 1-line block ×3, first 2 shown]
	s_waitcnt vmcnt(0)
	ds_write_b128 v32, v[1:4]
	s_waitcnt lgkmcnt(0)
	s_waitcnt_vscnt null, 0x0
	s_barrier
	buffer_gl0_inv
	s_and_saveexec_b32 s8, s5
	s_cbranch_execz .LBB58_227
; %bb.220:
	ds_read_b128 v[1:4], v32
	s_andn2_b32 vcc_lo, exec_lo, s66
	s_cbranch_vccnz .LBB58_222
; %bb.221:
	s_clause 0x3
	buffer_load_dword v33, v31, s[0:3], 0 offen offset:8
	buffer_load_dword v34, v31, s[0:3], 0 offen offset:12
	buffer_load_dword v35, v31, s[0:3], 0 offen
	buffer_load_dword v36, v31, s[0:3], 0 offen offset:4
	s_waitcnt vmcnt(2) lgkmcnt(0)
	v_mul_f64 v[37:38], v[3:4], v[33:34]
	v_mul_f64 v[33:34], v[1:2], v[33:34]
	s_waitcnt vmcnt(0)
	v_fma_f64 v[1:2], v[1:2], v[35:36], -v[37:38]
	v_fma_f64 v[3:4], v[3:4], v[35:36], v[33:34]
.LBB58_222:
	s_and_saveexec_b32 s67, s4
	s_cbranch_execz .LBB58_226
; %bb.223:
	v_subrev_nc_u32_e32 v33, 31, v0
	s_movk_i32 s68, 0x5a0
	s_mov_b32 s4, 0
	s_mov_b32 s69, s35
	.p2align	6
.LBB58_224:                             ; =>This Inner Loop Header: Depth=1
	v_mov_b32_e32 v34, s69
	v_add_nc_u32_e32 v33, -1, v33
	s_add_i32 s69, s69, 16
	s_clause 0x3
	buffer_load_dword v38, v34, s[0:3], 0 offen offset:8
	buffer_load_dword v39, v34, s[0:3], 0 offen offset:12
	buffer_load_dword v134, v34, s[0:3], 0 offen
	buffer_load_dword v135, v34, s[0:3], 0 offen offset:4
	v_mov_b32_e32 v34, s68
	v_cmp_eq_u32_e32 vcc_lo, 0, v33
	s_add_i32 s68, s68, 16
	ds_read_b128 v[34:37], v34
	s_or_b32 s4, vcc_lo, s4
	s_waitcnt vmcnt(2) lgkmcnt(0)
	v_mul_f64 v[136:137], v[36:37], v[38:39]
	v_mul_f64 v[38:39], v[34:35], v[38:39]
	s_waitcnt vmcnt(0)
	v_fma_f64 v[34:35], v[34:35], v[134:135], -v[136:137]
	v_fma_f64 v[36:37], v[36:37], v[134:135], v[38:39]
	v_add_f64 v[1:2], v[1:2], v[34:35]
	v_add_f64 v[3:4], v[3:4], v[36:37]
	s_andn2_b32 exec_lo, exec_lo, s4
	s_cbranch_execnz .LBB58_224
; %bb.225:
	s_or_b32 exec_lo, exec_lo, s4
.LBB58_226:
	s_or_b32 exec_lo, exec_lo, s67
	v_mov_b32_e32 v33, 0
	ds_read_b128 v[33:36], v33 offset:480
	s_waitcnt lgkmcnt(0)
	v_mul_f64 v[37:38], v[3:4], v[35:36]
	v_mul_f64 v[35:36], v[1:2], v[35:36]
	v_fma_f64 v[1:2], v[1:2], v[33:34], -v[37:38]
	v_fma_f64 v[3:4], v[3:4], v[33:34], v[35:36]
	buffer_store_dword v2, off, s[0:3], 0 offset:484
	buffer_store_dword v1, off, s[0:3], 0 offset:480
	;; [unrolled: 1-line block ×4, first 2 shown]
.LBB58_227:
	s_or_b32 exec_lo, exec_lo, s8
	v_mov_b32_e32 v4, s37
	v_cmp_lt_u32_e64 s4, 29, v0
	s_clause 0x3
	buffer_load_dword v1, v4, s[0:3], 0 offen
	buffer_load_dword v2, v4, s[0:3], 0 offen offset:4
	buffer_load_dword v3, v4, s[0:3], 0 offen offset:8
	;; [unrolled: 1-line block ×3, first 2 shown]
	s_waitcnt vmcnt(0)
	ds_write_b128 v32, v[1:4]
	s_waitcnt lgkmcnt(0)
	s_waitcnt_vscnt null, 0x0
	s_barrier
	buffer_gl0_inv
	s_and_saveexec_b32 s8, s4
	s_cbranch_execz .LBB58_235
; %bb.228:
	ds_read_b128 v[1:4], v32
	s_andn2_b32 vcc_lo, exec_lo, s66
	s_cbranch_vccnz .LBB58_230
; %bb.229:
	s_clause 0x3
	buffer_load_dword v33, v31, s[0:3], 0 offen offset:8
	buffer_load_dword v34, v31, s[0:3], 0 offen offset:12
	buffer_load_dword v35, v31, s[0:3], 0 offen
	buffer_load_dword v36, v31, s[0:3], 0 offen offset:4
	s_waitcnt vmcnt(2) lgkmcnt(0)
	v_mul_f64 v[37:38], v[3:4], v[33:34]
	v_mul_f64 v[33:34], v[1:2], v[33:34]
	s_waitcnt vmcnt(0)
	v_fma_f64 v[1:2], v[1:2], v[35:36], -v[37:38]
	v_fma_f64 v[3:4], v[3:4], v[35:36], v[33:34]
.LBB58_230:
	s_and_saveexec_b32 s67, s5
	s_cbranch_execz .LBB58_234
; %bb.231:
	v_subrev_nc_u32_e32 v33, 30, v0
	s_movk_i32 s68, 0x590
	s_mov_b32 s5, 0
	s_mov_b32 s69, s36
	.p2align	6
.LBB58_232:                             ; =>This Inner Loop Header: Depth=1
	v_mov_b32_e32 v34, s69
	v_add_nc_u32_e32 v33, -1, v33
	s_add_i32 s69, s69, 16
	s_clause 0x3
	buffer_load_dword v38, v34, s[0:3], 0 offen offset:8
	buffer_load_dword v39, v34, s[0:3], 0 offen offset:12
	buffer_load_dword v134, v34, s[0:3], 0 offen
	buffer_load_dword v135, v34, s[0:3], 0 offen offset:4
	v_mov_b32_e32 v34, s68
	v_cmp_eq_u32_e32 vcc_lo, 0, v33
	s_add_i32 s68, s68, 16
	ds_read_b128 v[34:37], v34
	s_or_b32 s5, vcc_lo, s5
	s_waitcnt vmcnt(2) lgkmcnt(0)
	v_mul_f64 v[136:137], v[36:37], v[38:39]
	v_mul_f64 v[38:39], v[34:35], v[38:39]
	s_waitcnt vmcnt(0)
	v_fma_f64 v[34:35], v[34:35], v[134:135], -v[136:137]
	v_fma_f64 v[36:37], v[36:37], v[134:135], v[38:39]
	v_add_f64 v[1:2], v[1:2], v[34:35]
	v_add_f64 v[3:4], v[3:4], v[36:37]
	s_andn2_b32 exec_lo, exec_lo, s5
	s_cbranch_execnz .LBB58_232
; %bb.233:
	s_or_b32 exec_lo, exec_lo, s5
.LBB58_234:
	s_or_b32 exec_lo, exec_lo, s67
	v_mov_b32_e32 v33, 0
	ds_read_b128 v[33:36], v33 offset:464
	s_waitcnt lgkmcnt(0)
	v_mul_f64 v[37:38], v[3:4], v[35:36]
	v_mul_f64 v[35:36], v[1:2], v[35:36]
	v_fma_f64 v[1:2], v[1:2], v[33:34], -v[37:38]
	v_fma_f64 v[3:4], v[3:4], v[33:34], v[35:36]
	buffer_store_dword v2, off, s[0:3], 0 offset:468
	buffer_store_dword v1, off, s[0:3], 0 offset:464
	buffer_store_dword v4, off, s[0:3], 0 offset:476
	buffer_store_dword v3, off, s[0:3], 0 offset:472
.LBB58_235:
	s_or_b32 exec_lo, exec_lo, s8
	v_mov_b32_e32 v4, s38
	v_cmp_lt_u32_e64 s5, 28, v0
	s_clause 0x3
	buffer_load_dword v1, v4, s[0:3], 0 offen
	buffer_load_dword v2, v4, s[0:3], 0 offen offset:4
	buffer_load_dword v3, v4, s[0:3], 0 offen offset:8
	;; [unrolled: 1-line block ×3, first 2 shown]
	s_waitcnt vmcnt(0)
	ds_write_b128 v32, v[1:4]
	s_waitcnt lgkmcnt(0)
	s_waitcnt_vscnt null, 0x0
	s_barrier
	buffer_gl0_inv
	s_and_saveexec_b32 s8, s5
	s_cbranch_execz .LBB58_243
; %bb.236:
	ds_read_b128 v[1:4], v32
	s_andn2_b32 vcc_lo, exec_lo, s66
	s_cbranch_vccnz .LBB58_238
; %bb.237:
	s_clause 0x3
	buffer_load_dword v33, v31, s[0:3], 0 offen offset:8
	buffer_load_dword v34, v31, s[0:3], 0 offen offset:12
	buffer_load_dword v35, v31, s[0:3], 0 offen
	buffer_load_dword v36, v31, s[0:3], 0 offen offset:4
	s_waitcnt vmcnt(2) lgkmcnt(0)
	v_mul_f64 v[37:38], v[3:4], v[33:34]
	v_mul_f64 v[33:34], v[1:2], v[33:34]
	s_waitcnt vmcnt(0)
	v_fma_f64 v[1:2], v[1:2], v[35:36], -v[37:38]
	v_fma_f64 v[3:4], v[3:4], v[35:36], v[33:34]
.LBB58_238:
	s_and_saveexec_b32 s67, s4
	s_cbranch_execz .LBB58_242
; %bb.239:
	v_subrev_nc_u32_e32 v33, 29, v0
	s_movk_i32 s68, 0x580
	s_mov_b32 s4, 0
	s_mov_b32 s69, s37
	.p2align	6
.LBB58_240:                             ; =>This Inner Loop Header: Depth=1
	v_mov_b32_e32 v34, s69
	v_add_nc_u32_e32 v33, -1, v33
	s_add_i32 s69, s69, 16
	s_clause 0x3
	buffer_load_dword v38, v34, s[0:3], 0 offen offset:8
	buffer_load_dword v39, v34, s[0:3], 0 offen offset:12
	buffer_load_dword v134, v34, s[0:3], 0 offen
	buffer_load_dword v135, v34, s[0:3], 0 offen offset:4
	v_mov_b32_e32 v34, s68
	v_cmp_eq_u32_e32 vcc_lo, 0, v33
	s_add_i32 s68, s68, 16
	ds_read_b128 v[34:37], v34
	s_or_b32 s4, vcc_lo, s4
	s_waitcnt vmcnt(2) lgkmcnt(0)
	v_mul_f64 v[136:137], v[36:37], v[38:39]
	v_mul_f64 v[38:39], v[34:35], v[38:39]
	s_waitcnt vmcnt(0)
	v_fma_f64 v[34:35], v[34:35], v[134:135], -v[136:137]
	v_fma_f64 v[36:37], v[36:37], v[134:135], v[38:39]
	v_add_f64 v[1:2], v[1:2], v[34:35]
	v_add_f64 v[3:4], v[3:4], v[36:37]
	s_andn2_b32 exec_lo, exec_lo, s4
	s_cbranch_execnz .LBB58_240
; %bb.241:
	s_or_b32 exec_lo, exec_lo, s4
.LBB58_242:
	s_or_b32 exec_lo, exec_lo, s67
	v_mov_b32_e32 v33, 0
	ds_read_b128 v[33:36], v33 offset:448
	s_waitcnt lgkmcnt(0)
	v_mul_f64 v[37:38], v[3:4], v[35:36]
	v_mul_f64 v[35:36], v[1:2], v[35:36]
	v_fma_f64 v[1:2], v[1:2], v[33:34], -v[37:38]
	v_fma_f64 v[3:4], v[3:4], v[33:34], v[35:36]
	buffer_store_dword v2, off, s[0:3], 0 offset:452
	buffer_store_dword v1, off, s[0:3], 0 offset:448
	;; [unrolled: 1-line block ×4, first 2 shown]
.LBB58_243:
	s_or_b32 exec_lo, exec_lo, s8
	v_mov_b32_e32 v4, s39
	v_cmp_lt_u32_e64 s4, 27, v0
	s_clause 0x3
	buffer_load_dword v1, v4, s[0:3], 0 offen
	buffer_load_dword v2, v4, s[0:3], 0 offen offset:4
	buffer_load_dword v3, v4, s[0:3], 0 offen offset:8
	;; [unrolled: 1-line block ×3, first 2 shown]
	s_waitcnt vmcnt(0)
	ds_write_b128 v32, v[1:4]
	s_waitcnt lgkmcnt(0)
	s_waitcnt_vscnt null, 0x0
	s_barrier
	buffer_gl0_inv
	s_and_saveexec_b32 s8, s4
	s_cbranch_execz .LBB58_251
; %bb.244:
	ds_read_b128 v[1:4], v32
	s_andn2_b32 vcc_lo, exec_lo, s66
	s_cbranch_vccnz .LBB58_246
; %bb.245:
	s_clause 0x3
	buffer_load_dword v33, v31, s[0:3], 0 offen offset:8
	buffer_load_dword v34, v31, s[0:3], 0 offen offset:12
	buffer_load_dword v35, v31, s[0:3], 0 offen
	buffer_load_dword v36, v31, s[0:3], 0 offen offset:4
	s_waitcnt vmcnt(2) lgkmcnt(0)
	v_mul_f64 v[37:38], v[3:4], v[33:34]
	v_mul_f64 v[33:34], v[1:2], v[33:34]
	s_waitcnt vmcnt(0)
	v_fma_f64 v[1:2], v[1:2], v[35:36], -v[37:38]
	v_fma_f64 v[3:4], v[3:4], v[35:36], v[33:34]
.LBB58_246:
	s_and_saveexec_b32 s67, s5
	s_cbranch_execz .LBB58_250
; %bb.247:
	v_subrev_nc_u32_e32 v33, 28, v0
	s_movk_i32 s68, 0x570
	s_mov_b32 s5, 0
	s_mov_b32 s69, s38
	.p2align	6
.LBB58_248:                             ; =>This Inner Loop Header: Depth=1
	v_mov_b32_e32 v34, s69
	v_add_nc_u32_e32 v33, -1, v33
	s_add_i32 s69, s69, 16
	s_clause 0x3
	buffer_load_dword v38, v34, s[0:3], 0 offen offset:8
	buffer_load_dword v39, v34, s[0:3], 0 offen offset:12
	buffer_load_dword v134, v34, s[0:3], 0 offen
	buffer_load_dword v135, v34, s[0:3], 0 offen offset:4
	v_mov_b32_e32 v34, s68
	v_cmp_eq_u32_e32 vcc_lo, 0, v33
	s_add_i32 s68, s68, 16
	ds_read_b128 v[34:37], v34
	s_or_b32 s5, vcc_lo, s5
	s_waitcnt vmcnt(2) lgkmcnt(0)
	v_mul_f64 v[136:137], v[36:37], v[38:39]
	v_mul_f64 v[38:39], v[34:35], v[38:39]
	s_waitcnt vmcnt(0)
	v_fma_f64 v[34:35], v[34:35], v[134:135], -v[136:137]
	v_fma_f64 v[36:37], v[36:37], v[134:135], v[38:39]
	v_add_f64 v[1:2], v[1:2], v[34:35]
	v_add_f64 v[3:4], v[3:4], v[36:37]
	s_andn2_b32 exec_lo, exec_lo, s5
	s_cbranch_execnz .LBB58_248
; %bb.249:
	s_or_b32 exec_lo, exec_lo, s5
.LBB58_250:
	s_or_b32 exec_lo, exec_lo, s67
	v_mov_b32_e32 v33, 0
	ds_read_b128 v[33:36], v33 offset:432
	s_waitcnt lgkmcnt(0)
	v_mul_f64 v[37:38], v[3:4], v[35:36]
	v_mul_f64 v[35:36], v[1:2], v[35:36]
	v_fma_f64 v[1:2], v[1:2], v[33:34], -v[37:38]
	v_fma_f64 v[3:4], v[3:4], v[33:34], v[35:36]
	buffer_store_dword v2, off, s[0:3], 0 offset:436
	buffer_store_dword v1, off, s[0:3], 0 offset:432
	;; [unrolled: 1-line block ×4, first 2 shown]
.LBB58_251:
	s_or_b32 exec_lo, exec_lo, s8
	v_mov_b32_e32 v4, s40
	v_cmp_lt_u32_e64 s5, 26, v0
	s_clause 0x3
	buffer_load_dword v1, v4, s[0:3], 0 offen
	buffer_load_dword v2, v4, s[0:3], 0 offen offset:4
	buffer_load_dword v3, v4, s[0:3], 0 offen offset:8
	;; [unrolled: 1-line block ×3, first 2 shown]
	s_waitcnt vmcnt(0)
	ds_write_b128 v32, v[1:4]
	s_waitcnt lgkmcnt(0)
	s_waitcnt_vscnt null, 0x0
	s_barrier
	buffer_gl0_inv
	s_and_saveexec_b32 s8, s5
	s_cbranch_execz .LBB58_259
; %bb.252:
	ds_read_b128 v[1:4], v32
	s_andn2_b32 vcc_lo, exec_lo, s66
	s_cbranch_vccnz .LBB58_254
; %bb.253:
	s_clause 0x3
	buffer_load_dword v33, v31, s[0:3], 0 offen offset:8
	buffer_load_dword v34, v31, s[0:3], 0 offen offset:12
	buffer_load_dword v35, v31, s[0:3], 0 offen
	buffer_load_dword v36, v31, s[0:3], 0 offen offset:4
	s_waitcnt vmcnt(2) lgkmcnt(0)
	v_mul_f64 v[37:38], v[3:4], v[33:34]
	v_mul_f64 v[33:34], v[1:2], v[33:34]
	s_waitcnt vmcnt(0)
	v_fma_f64 v[1:2], v[1:2], v[35:36], -v[37:38]
	v_fma_f64 v[3:4], v[3:4], v[35:36], v[33:34]
.LBB58_254:
	s_and_saveexec_b32 s67, s4
	s_cbranch_execz .LBB58_258
; %bb.255:
	v_subrev_nc_u32_e32 v33, 27, v0
	s_movk_i32 s68, 0x560
	s_mov_b32 s4, 0
	s_mov_b32 s69, s39
	.p2align	6
.LBB58_256:                             ; =>This Inner Loop Header: Depth=1
	v_mov_b32_e32 v34, s69
	v_add_nc_u32_e32 v33, -1, v33
	s_add_i32 s69, s69, 16
	s_clause 0x3
	buffer_load_dword v38, v34, s[0:3], 0 offen offset:8
	buffer_load_dword v39, v34, s[0:3], 0 offen offset:12
	buffer_load_dword v134, v34, s[0:3], 0 offen
	buffer_load_dword v135, v34, s[0:3], 0 offen offset:4
	v_mov_b32_e32 v34, s68
	v_cmp_eq_u32_e32 vcc_lo, 0, v33
	s_add_i32 s68, s68, 16
	ds_read_b128 v[34:37], v34
	s_or_b32 s4, vcc_lo, s4
	s_waitcnt vmcnt(2) lgkmcnt(0)
	v_mul_f64 v[136:137], v[36:37], v[38:39]
	v_mul_f64 v[38:39], v[34:35], v[38:39]
	s_waitcnt vmcnt(0)
	v_fma_f64 v[34:35], v[34:35], v[134:135], -v[136:137]
	v_fma_f64 v[36:37], v[36:37], v[134:135], v[38:39]
	v_add_f64 v[1:2], v[1:2], v[34:35]
	v_add_f64 v[3:4], v[3:4], v[36:37]
	s_andn2_b32 exec_lo, exec_lo, s4
	s_cbranch_execnz .LBB58_256
; %bb.257:
	s_or_b32 exec_lo, exec_lo, s4
.LBB58_258:
	s_or_b32 exec_lo, exec_lo, s67
	v_mov_b32_e32 v33, 0
	ds_read_b128 v[33:36], v33 offset:416
	s_waitcnt lgkmcnt(0)
	v_mul_f64 v[37:38], v[3:4], v[35:36]
	v_mul_f64 v[35:36], v[1:2], v[35:36]
	v_fma_f64 v[1:2], v[1:2], v[33:34], -v[37:38]
	v_fma_f64 v[3:4], v[3:4], v[33:34], v[35:36]
	buffer_store_dword v2, off, s[0:3], 0 offset:420
	buffer_store_dword v1, off, s[0:3], 0 offset:416
	;; [unrolled: 1-line block ×4, first 2 shown]
.LBB58_259:
	s_or_b32 exec_lo, exec_lo, s8
	v_mov_b32_e32 v4, s41
	v_cmp_lt_u32_e64 s4, 25, v0
	s_clause 0x3
	buffer_load_dword v1, v4, s[0:3], 0 offen
	buffer_load_dword v2, v4, s[0:3], 0 offen offset:4
	buffer_load_dword v3, v4, s[0:3], 0 offen offset:8
	;; [unrolled: 1-line block ×3, first 2 shown]
	s_waitcnt vmcnt(0)
	ds_write_b128 v32, v[1:4]
	s_waitcnt lgkmcnt(0)
	s_waitcnt_vscnt null, 0x0
	s_barrier
	buffer_gl0_inv
	s_and_saveexec_b32 s8, s4
	s_cbranch_execz .LBB58_267
; %bb.260:
	ds_read_b128 v[1:4], v32
	s_andn2_b32 vcc_lo, exec_lo, s66
	s_cbranch_vccnz .LBB58_262
; %bb.261:
	s_clause 0x3
	buffer_load_dword v33, v31, s[0:3], 0 offen offset:8
	buffer_load_dword v34, v31, s[0:3], 0 offen offset:12
	buffer_load_dword v35, v31, s[0:3], 0 offen
	buffer_load_dword v36, v31, s[0:3], 0 offen offset:4
	s_waitcnt vmcnt(2) lgkmcnt(0)
	v_mul_f64 v[37:38], v[3:4], v[33:34]
	v_mul_f64 v[33:34], v[1:2], v[33:34]
	s_waitcnt vmcnt(0)
	v_fma_f64 v[1:2], v[1:2], v[35:36], -v[37:38]
	v_fma_f64 v[3:4], v[3:4], v[35:36], v[33:34]
.LBB58_262:
	s_and_saveexec_b32 s67, s5
	s_cbranch_execz .LBB58_266
; %bb.263:
	v_subrev_nc_u32_e32 v33, 26, v0
	s_movk_i32 s68, 0x550
	s_mov_b32 s5, 0
	s_mov_b32 s69, s40
	.p2align	6
.LBB58_264:                             ; =>This Inner Loop Header: Depth=1
	v_mov_b32_e32 v34, s69
	v_add_nc_u32_e32 v33, -1, v33
	s_add_i32 s69, s69, 16
	s_clause 0x3
	buffer_load_dword v38, v34, s[0:3], 0 offen offset:8
	buffer_load_dword v39, v34, s[0:3], 0 offen offset:12
	buffer_load_dword v134, v34, s[0:3], 0 offen
	buffer_load_dword v135, v34, s[0:3], 0 offen offset:4
	v_mov_b32_e32 v34, s68
	v_cmp_eq_u32_e32 vcc_lo, 0, v33
	s_add_i32 s68, s68, 16
	ds_read_b128 v[34:37], v34
	s_or_b32 s5, vcc_lo, s5
	s_waitcnt vmcnt(2) lgkmcnt(0)
	v_mul_f64 v[136:137], v[36:37], v[38:39]
	v_mul_f64 v[38:39], v[34:35], v[38:39]
	s_waitcnt vmcnt(0)
	v_fma_f64 v[34:35], v[34:35], v[134:135], -v[136:137]
	v_fma_f64 v[36:37], v[36:37], v[134:135], v[38:39]
	v_add_f64 v[1:2], v[1:2], v[34:35]
	v_add_f64 v[3:4], v[3:4], v[36:37]
	s_andn2_b32 exec_lo, exec_lo, s5
	s_cbranch_execnz .LBB58_264
; %bb.265:
	s_or_b32 exec_lo, exec_lo, s5
.LBB58_266:
	s_or_b32 exec_lo, exec_lo, s67
	v_mov_b32_e32 v33, 0
	ds_read_b128 v[33:36], v33 offset:400
	s_waitcnt lgkmcnt(0)
	v_mul_f64 v[37:38], v[3:4], v[35:36]
	v_mul_f64 v[35:36], v[1:2], v[35:36]
	v_fma_f64 v[1:2], v[1:2], v[33:34], -v[37:38]
	v_fma_f64 v[3:4], v[3:4], v[33:34], v[35:36]
	buffer_store_dword v2, off, s[0:3], 0 offset:404
	buffer_store_dword v1, off, s[0:3], 0 offset:400
	;; [unrolled: 1-line block ×4, first 2 shown]
.LBB58_267:
	s_or_b32 exec_lo, exec_lo, s8
	v_mov_b32_e32 v4, s42
	v_cmp_lt_u32_e64 s5, 24, v0
	s_clause 0x3
	buffer_load_dword v1, v4, s[0:3], 0 offen
	buffer_load_dword v2, v4, s[0:3], 0 offen offset:4
	buffer_load_dword v3, v4, s[0:3], 0 offen offset:8
	;; [unrolled: 1-line block ×3, first 2 shown]
	s_waitcnt vmcnt(0)
	ds_write_b128 v32, v[1:4]
	s_waitcnt lgkmcnt(0)
	s_waitcnt_vscnt null, 0x0
	s_barrier
	buffer_gl0_inv
	s_and_saveexec_b32 s8, s5
	s_cbranch_execz .LBB58_275
; %bb.268:
	ds_read_b128 v[1:4], v32
	s_andn2_b32 vcc_lo, exec_lo, s66
	s_cbranch_vccnz .LBB58_270
; %bb.269:
	s_clause 0x3
	buffer_load_dword v33, v31, s[0:3], 0 offen offset:8
	buffer_load_dword v34, v31, s[0:3], 0 offen offset:12
	buffer_load_dword v35, v31, s[0:3], 0 offen
	buffer_load_dword v36, v31, s[0:3], 0 offen offset:4
	s_waitcnt vmcnt(2) lgkmcnt(0)
	v_mul_f64 v[37:38], v[3:4], v[33:34]
	v_mul_f64 v[33:34], v[1:2], v[33:34]
	s_waitcnt vmcnt(0)
	v_fma_f64 v[1:2], v[1:2], v[35:36], -v[37:38]
	v_fma_f64 v[3:4], v[3:4], v[35:36], v[33:34]
.LBB58_270:
	s_and_saveexec_b32 s67, s4
	s_cbranch_execz .LBB58_274
; %bb.271:
	v_subrev_nc_u32_e32 v33, 25, v0
	s_movk_i32 s68, 0x540
	s_mov_b32 s4, 0
	s_mov_b32 s69, s41
	.p2align	6
.LBB58_272:                             ; =>This Inner Loop Header: Depth=1
	v_mov_b32_e32 v34, s69
	v_add_nc_u32_e32 v33, -1, v33
	s_add_i32 s69, s69, 16
	s_clause 0x3
	buffer_load_dword v38, v34, s[0:3], 0 offen offset:8
	buffer_load_dword v39, v34, s[0:3], 0 offen offset:12
	buffer_load_dword v134, v34, s[0:3], 0 offen
	buffer_load_dword v135, v34, s[0:3], 0 offen offset:4
	v_mov_b32_e32 v34, s68
	v_cmp_eq_u32_e32 vcc_lo, 0, v33
	s_add_i32 s68, s68, 16
	ds_read_b128 v[34:37], v34
	s_or_b32 s4, vcc_lo, s4
	s_waitcnt vmcnt(2) lgkmcnt(0)
	v_mul_f64 v[136:137], v[36:37], v[38:39]
	v_mul_f64 v[38:39], v[34:35], v[38:39]
	s_waitcnt vmcnt(0)
	v_fma_f64 v[34:35], v[34:35], v[134:135], -v[136:137]
	v_fma_f64 v[36:37], v[36:37], v[134:135], v[38:39]
	v_add_f64 v[1:2], v[1:2], v[34:35]
	v_add_f64 v[3:4], v[3:4], v[36:37]
	s_andn2_b32 exec_lo, exec_lo, s4
	s_cbranch_execnz .LBB58_272
; %bb.273:
	s_or_b32 exec_lo, exec_lo, s4
.LBB58_274:
	s_or_b32 exec_lo, exec_lo, s67
	v_mov_b32_e32 v33, 0
	ds_read_b128 v[33:36], v33 offset:384
	s_waitcnt lgkmcnt(0)
	v_mul_f64 v[37:38], v[3:4], v[35:36]
	v_mul_f64 v[35:36], v[1:2], v[35:36]
	v_fma_f64 v[1:2], v[1:2], v[33:34], -v[37:38]
	v_fma_f64 v[3:4], v[3:4], v[33:34], v[35:36]
	buffer_store_dword v2, off, s[0:3], 0 offset:388
	buffer_store_dword v1, off, s[0:3], 0 offset:384
	;; [unrolled: 1-line block ×4, first 2 shown]
.LBB58_275:
	s_or_b32 exec_lo, exec_lo, s8
	v_mov_b32_e32 v4, s43
	v_cmp_lt_u32_e64 s4, 23, v0
	s_clause 0x3
	buffer_load_dword v1, v4, s[0:3], 0 offen
	buffer_load_dword v2, v4, s[0:3], 0 offen offset:4
	buffer_load_dword v3, v4, s[0:3], 0 offen offset:8
	;; [unrolled: 1-line block ×3, first 2 shown]
	s_waitcnt vmcnt(0)
	ds_write_b128 v32, v[1:4]
	s_waitcnt lgkmcnt(0)
	s_waitcnt_vscnt null, 0x0
	s_barrier
	buffer_gl0_inv
	s_and_saveexec_b32 s8, s4
	s_cbranch_execz .LBB58_283
; %bb.276:
	ds_read_b128 v[1:4], v32
	s_andn2_b32 vcc_lo, exec_lo, s66
	s_cbranch_vccnz .LBB58_278
; %bb.277:
	s_clause 0x3
	buffer_load_dword v33, v31, s[0:3], 0 offen offset:8
	buffer_load_dword v34, v31, s[0:3], 0 offen offset:12
	buffer_load_dword v35, v31, s[0:3], 0 offen
	buffer_load_dword v36, v31, s[0:3], 0 offen offset:4
	s_waitcnt vmcnt(2) lgkmcnt(0)
	v_mul_f64 v[37:38], v[3:4], v[33:34]
	v_mul_f64 v[33:34], v[1:2], v[33:34]
	s_waitcnt vmcnt(0)
	v_fma_f64 v[1:2], v[1:2], v[35:36], -v[37:38]
	v_fma_f64 v[3:4], v[3:4], v[35:36], v[33:34]
.LBB58_278:
	s_and_saveexec_b32 s67, s5
	s_cbranch_execz .LBB58_282
; %bb.279:
	v_subrev_nc_u32_e32 v33, 24, v0
	s_movk_i32 s68, 0x530
	s_mov_b32 s5, 0
	s_mov_b32 s69, s42
	.p2align	6
.LBB58_280:                             ; =>This Inner Loop Header: Depth=1
	v_mov_b32_e32 v34, s69
	v_add_nc_u32_e32 v33, -1, v33
	s_add_i32 s69, s69, 16
	s_clause 0x3
	buffer_load_dword v38, v34, s[0:3], 0 offen offset:8
	buffer_load_dword v39, v34, s[0:3], 0 offen offset:12
	buffer_load_dword v134, v34, s[0:3], 0 offen
	buffer_load_dword v135, v34, s[0:3], 0 offen offset:4
	v_mov_b32_e32 v34, s68
	v_cmp_eq_u32_e32 vcc_lo, 0, v33
	s_add_i32 s68, s68, 16
	ds_read_b128 v[34:37], v34
	s_or_b32 s5, vcc_lo, s5
	s_waitcnt vmcnt(2) lgkmcnt(0)
	v_mul_f64 v[136:137], v[36:37], v[38:39]
	v_mul_f64 v[38:39], v[34:35], v[38:39]
	s_waitcnt vmcnt(0)
	v_fma_f64 v[34:35], v[34:35], v[134:135], -v[136:137]
	v_fma_f64 v[36:37], v[36:37], v[134:135], v[38:39]
	v_add_f64 v[1:2], v[1:2], v[34:35]
	v_add_f64 v[3:4], v[3:4], v[36:37]
	s_andn2_b32 exec_lo, exec_lo, s5
	s_cbranch_execnz .LBB58_280
; %bb.281:
	s_or_b32 exec_lo, exec_lo, s5
.LBB58_282:
	s_or_b32 exec_lo, exec_lo, s67
	v_mov_b32_e32 v33, 0
	ds_read_b128 v[33:36], v33 offset:368
	s_waitcnt lgkmcnt(0)
	v_mul_f64 v[37:38], v[3:4], v[35:36]
	v_mul_f64 v[35:36], v[1:2], v[35:36]
	v_fma_f64 v[1:2], v[1:2], v[33:34], -v[37:38]
	v_fma_f64 v[3:4], v[3:4], v[33:34], v[35:36]
	buffer_store_dword v2, off, s[0:3], 0 offset:372
	buffer_store_dword v1, off, s[0:3], 0 offset:368
	;; [unrolled: 1-line block ×4, first 2 shown]
.LBB58_283:
	s_or_b32 exec_lo, exec_lo, s8
	v_mov_b32_e32 v4, s44
	v_cmp_lt_u32_e64 s5, 22, v0
	s_clause 0x3
	buffer_load_dword v1, v4, s[0:3], 0 offen
	buffer_load_dword v2, v4, s[0:3], 0 offen offset:4
	buffer_load_dword v3, v4, s[0:3], 0 offen offset:8
	;; [unrolled: 1-line block ×3, first 2 shown]
	s_waitcnt vmcnt(0)
	ds_write_b128 v32, v[1:4]
	s_waitcnt lgkmcnt(0)
	s_waitcnt_vscnt null, 0x0
	s_barrier
	buffer_gl0_inv
	s_and_saveexec_b32 s8, s5
	s_cbranch_execz .LBB58_291
; %bb.284:
	ds_read_b128 v[1:4], v32
	s_andn2_b32 vcc_lo, exec_lo, s66
	s_cbranch_vccnz .LBB58_286
; %bb.285:
	s_clause 0x3
	buffer_load_dword v33, v31, s[0:3], 0 offen offset:8
	buffer_load_dword v34, v31, s[0:3], 0 offen offset:12
	buffer_load_dword v35, v31, s[0:3], 0 offen
	buffer_load_dword v36, v31, s[0:3], 0 offen offset:4
	s_waitcnt vmcnt(2) lgkmcnt(0)
	v_mul_f64 v[37:38], v[3:4], v[33:34]
	v_mul_f64 v[33:34], v[1:2], v[33:34]
	s_waitcnt vmcnt(0)
	v_fma_f64 v[1:2], v[1:2], v[35:36], -v[37:38]
	v_fma_f64 v[3:4], v[3:4], v[35:36], v[33:34]
.LBB58_286:
	s_and_saveexec_b32 s67, s4
	s_cbranch_execz .LBB58_290
; %bb.287:
	v_subrev_nc_u32_e32 v33, 23, v0
	s_movk_i32 s68, 0x520
	s_mov_b32 s4, 0
	s_mov_b32 s69, s43
	.p2align	6
.LBB58_288:                             ; =>This Inner Loop Header: Depth=1
	v_mov_b32_e32 v34, s69
	v_add_nc_u32_e32 v33, -1, v33
	s_add_i32 s69, s69, 16
	s_clause 0x3
	buffer_load_dword v38, v34, s[0:3], 0 offen offset:8
	buffer_load_dword v39, v34, s[0:3], 0 offen offset:12
	buffer_load_dword v134, v34, s[0:3], 0 offen
	buffer_load_dword v135, v34, s[0:3], 0 offen offset:4
	v_mov_b32_e32 v34, s68
	v_cmp_eq_u32_e32 vcc_lo, 0, v33
	s_add_i32 s68, s68, 16
	ds_read_b128 v[34:37], v34
	s_or_b32 s4, vcc_lo, s4
	s_waitcnt vmcnt(2) lgkmcnt(0)
	v_mul_f64 v[136:137], v[36:37], v[38:39]
	v_mul_f64 v[38:39], v[34:35], v[38:39]
	s_waitcnt vmcnt(0)
	v_fma_f64 v[34:35], v[34:35], v[134:135], -v[136:137]
	v_fma_f64 v[36:37], v[36:37], v[134:135], v[38:39]
	v_add_f64 v[1:2], v[1:2], v[34:35]
	v_add_f64 v[3:4], v[3:4], v[36:37]
	s_andn2_b32 exec_lo, exec_lo, s4
	s_cbranch_execnz .LBB58_288
; %bb.289:
	s_or_b32 exec_lo, exec_lo, s4
.LBB58_290:
	s_or_b32 exec_lo, exec_lo, s67
	v_mov_b32_e32 v33, 0
	ds_read_b128 v[33:36], v33 offset:352
	s_waitcnt lgkmcnt(0)
	v_mul_f64 v[37:38], v[3:4], v[35:36]
	v_mul_f64 v[35:36], v[1:2], v[35:36]
	v_fma_f64 v[1:2], v[1:2], v[33:34], -v[37:38]
	v_fma_f64 v[3:4], v[3:4], v[33:34], v[35:36]
	buffer_store_dword v2, off, s[0:3], 0 offset:356
	buffer_store_dword v1, off, s[0:3], 0 offset:352
	;; [unrolled: 1-line block ×4, first 2 shown]
.LBB58_291:
	s_or_b32 exec_lo, exec_lo, s8
	v_mov_b32_e32 v4, s45
	v_cmp_lt_u32_e64 s4, 21, v0
	s_clause 0x3
	buffer_load_dword v1, v4, s[0:3], 0 offen
	buffer_load_dword v2, v4, s[0:3], 0 offen offset:4
	buffer_load_dword v3, v4, s[0:3], 0 offen offset:8
	;; [unrolled: 1-line block ×3, first 2 shown]
	s_waitcnt vmcnt(0)
	ds_write_b128 v32, v[1:4]
	s_waitcnt lgkmcnt(0)
	s_waitcnt_vscnt null, 0x0
	s_barrier
	buffer_gl0_inv
	s_and_saveexec_b32 s8, s4
	s_cbranch_execz .LBB58_299
; %bb.292:
	ds_read_b128 v[1:4], v32
	s_andn2_b32 vcc_lo, exec_lo, s66
	s_cbranch_vccnz .LBB58_294
; %bb.293:
	s_clause 0x3
	buffer_load_dword v33, v31, s[0:3], 0 offen offset:8
	buffer_load_dword v34, v31, s[0:3], 0 offen offset:12
	buffer_load_dword v35, v31, s[0:3], 0 offen
	buffer_load_dword v36, v31, s[0:3], 0 offen offset:4
	s_waitcnt vmcnt(2) lgkmcnt(0)
	v_mul_f64 v[37:38], v[3:4], v[33:34]
	v_mul_f64 v[33:34], v[1:2], v[33:34]
	s_waitcnt vmcnt(0)
	v_fma_f64 v[1:2], v[1:2], v[35:36], -v[37:38]
	v_fma_f64 v[3:4], v[3:4], v[35:36], v[33:34]
.LBB58_294:
	s_and_saveexec_b32 s67, s5
	s_cbranch_execz .LBB58_298
; %bb.295:
	v_subrev_nc_u32_e32 v33, 22, v0
	s_movk_i32 s68, 0x510
	s_mov_b32 s5, 0
	s_mov_b32 s69, s44
	.p2align	6
.LBB58_296:                             ; =>This Inner Loop Header: Depth=1
	v_mov_b32_e32 v34, s69
	v_add_nc_u32_e32 v33, -1, v33
	s_add_i32 s69, s69, 16
	s_clause 0x3
	buffer_load_dword v38, v34, s[0:3], 0 offen offset:8
	buffer_load_dword v39, v34, s[0:3], 0 offen offset:12
	buffer_load_dword v134, v34, s[0:3], 0 offen
	buffer_load_dword v135, v34, s[0:3], 0 offen offset:4
	v_mov_b32_e32 v34, s68
	v_cmp_eq_u32_e32 vcc_lo, 0, v33
	s_add_i32 s68, s68, 16
	ds_read_b128 v[34:37], v34
	s_or_b32 s5, vcc_lo, s5
	s_waitcnt vmcnt(2) lgkmcnt(0)
	v_mul_f64 v[136:137], v[36:37], v[38:39]
	v_mul_f64 v[38:39], v[34:35], v[38:39]
	s_waitcnt vmcnt(0)
	v_fma_f64 v[34:35], v[34:35], v[134:135], -v[136:137]
	v_fma_f64 v[36:37], v[36:37], v[134:135], v[38:39]
	v_add_f64 v[1:2], v[1:2], v[34:35]
	v_add_f64 v[3:4], v[3:4], v[36:37]
	s_andn2_b32 exec_lo, exec_lo, s5
	s_cbranch_execnz .LBB58_296
; %bb.297:
	s_or_b32 exec_lo, exec_lo, s5
.LBB58_298:
	s_or_b32 exec_lo, exec_lo, s67
	v_mov_b32_e32 v33, 0
	ds_read_b128 v[33:36], v33 offset:336
	s_waitcnt lgkmcnt(0)
	v_mul_f64 v[37:38], v[3:4], v[35:36]
	v_mul_f64 v[35:36], v[1:2], v[35:36]
	v_fma_f64 v[1:2], v[1:2], v[33:34], -v[37:38]
	v_fma_f64 v[3:4], v[3:4], v[33:34], v[35:36]
	buffer_store_dword v2, off, s[0:3], 0 offset:340
	buffer_store_dword v1, off, s[0:3], 0 offset:336
	;; [unrolled: 1-line block ×4, first 2 shown]
.LBB58_299:
	s_or_b32 exec_lo, exec_lo, s8
	v_mov_b32_e32 v4, s46
	v_cmp_lt_u32_e64 s5, 20, v0
	s_clause 0x3
	buffer_load_dword v1, v4, s[0:3], 0 offen
	buffer_load_dword v2, v4, s[0:3], 0 offen offset:4
	buffer_load_dword v3, v4, s[0:3], 0 offen offset:8
	;; [unrolled: 1-line block ×3, first 2 shown]
	s_waitcnt vmcnt(0)
	ds_write_b128 v32, v[1:4]
	s_waitcnt lgkmcnt(0)
	s_waitcnt_vscnt null, 0x0
	s_barrier
	buffer_gl0_inv
	s_and_saveexec_b32 s8, s5
	s_cbranch_execz .LBB58_307
; %bb.300:
	ds_read_b128 v[1:4], v32
	s_andn2_b32 vcc_lo, exec_lo, s66
	s_cbranch_vccnz .LBB58_302
; %bb.301:
	s_clause 0x3
	buffer_load_dword v33, v31, s[0:3], 0 offen offset:8
	buffer_load_dword v34, v31, s[0:3], 0 offen offset:12
	buffer_load_dword v35, v31, s[0:3], 0 offen
	buffer_load_dword v36, v31, s[0:3], 0 offen offset:4
	s_waitcnt vmcnt(2) lgkmcnt(0)
	v_mul_f64 v[37:38], v[3:4], v[33:34]
	v_mul_f64 v[33:34], v[1:2], v[33:34]
	s_waitcnt vmcnt(0)
	v_fma_f64 v[1:2], v[1:2], v[35:36], -v[37:38]
	v_fma_f64 v[3:4], v[3:4], v[35:36], v[33:34]
.LBB58_302:
	s_and_saveexec_b32 s67, s4
	s_cbranch_execz .LBB58_306
; %bb.303:
	v_subrev_nc_u32_e32 v33, 21, v0
	s_movk_i32 s68, 0x500
	s_mov_b32 s4, 0
	s_mov_b32 s69, s45
	.p2align	6
.LBB58_304:                             ; =>This Inner Loop Header: Depth=1
	v_mov_b32_e32 v34, s69
	v_add_nc_u32_e32 v33, -1, v33
	s_add_i32 s69, s69, 16
	s_clause 0x3
	buffer_load_dword v38, v34, s[0:3], 0 offen offset:8
	buffer_load_dword v39, v34, s[0:3], 0 offen offset:12
	buffer_load_dword v134, v34, s[0:3], 0 offen
	buffer_load_dword v135, v34, s[0:3], 0 offen offset:4
	v_mov_b32_e32 v34, s68
	v_cmp_eq_u32_e32 vcc_lo, 0, v33
	s_add_i32 s68, s68, 16
	ds_read_b128 v[34:37], v34
	s_or_b32 s4, vcc_lo, s4
	s_waitcnt vmcnt(2) lgkmcnt(0)
	v_mul_f64 v[136:137], v[36:37], v[38:39]
	v_mul_f64 v[38:39], v[34:35], v[38:39]
	s_waitcnt vmcnt(0)
	v_fma_f64 v[34:35], v[34:35], v[134:135], -v[136:137]
	v_fma_f64 v[36:37], v[36:37], v[134:135], v[38:39]
	v_add_f64 v[1:2], v[1:2], v[34:35]
	v_add_f64 v[3:4], v[3:4], v[36:37]
	s_andn2_b32 exec_lo, exec_lo, s4
	s_cbranch_execnz .LBB58_304
; %bb.305:
	s_or_b32 exec_lo, exec_lo, s4
.LBB58_306:
	s_or_b32 exec_lo, exec_lo, s67
	v_mov_b32_e32 v33, 0
	ds_read_b128 v[33:36], v33 offset:320
	s_waitcnt lgkmcnt(0)
	v_mul_f64 v[37:38], v[3:4], v[35:36]
	v_mul_f64 v[35:36], v[1:2], v[35:36]
	v_fma_f64 v[1:2], v[1:2], v[33:34], -v[37:38]
	v_fma_f64 v[3:4], v[3:4], v[33:34], v[35:36]
	buffer_store_dword v2, off, s[0:3], 0 offset:324
	buffer_store_dword v1, off, s[0:3], 0 offset:320
	buffer_store_dword v4, off, s[0:3], 0 offset:332
	buffer_store_dword v3, off, s[0:3], 0 offset:328
.LBB58_307:
	s_or_b32 exec_lo, exec_lo, s8
	v_mov_b32_e32 v4, s47
	v_cmp_lt_u32_e64 s4, 19, v0
	s_clause 0x3
	buffer_load_dword v1, v4, s[0:3], 0 offen
	buffer_load_dword v2, v4, s[0:3], 0 offen offset:4
	buffer_load_dword v3, v4, s[0:3], 0 offen offset:8
	;; [unrolled: 1-line block ×3, first 2 shown]
	s_waitcnt vmcnt(0)
	ds_write_b128 v32, v[1:4]
	s_waitcnt lgkmcnt(0)
	s_waitcnt_vscnt null, 0x0
	s_barrier
	buffer_gl0_inv
	s_and_saveexec_b32 s8, s4
	s_cbranch_execz .LBB58_315
; %bb.308:
	ds_read_b128 v[1:4], v32
	s_andn2_b32 vcc_lo, exec_lo, s66
	s_cbranch_vccnz .LBB58_310
; %bb.309:
	s_clause 0x3
	buffer_load_dword v33, v31, s[0:3], 0 offen offset:8
	buffer_load_dword v34, v31, s[0:3], 0 offen offset:12
	buffer_load_dword v35, v31, s[0:3], 0 offen
	buffer_load_dword v36, v31, s[0:3], 0 offen offset:4
	s_waitcnt vmcnt(2) lgkmcnt(0)
	v_mul_f64 v[37:38], v[3:4], v[33:34]
	v_mul_f64 v[33:34], v[1:2], v[33:34]
	s_waitcnt vmcnt(0)
	v_fma_f64 v[1:2], v[1:2], v[35:36], -v[37:38]
	v_fma_f64 v[3:4], v[3:4], v[35:36], v[33:34]
.LBB58_310:
	s_and_saveexec_b32 s67, s5
	s_cbranch_execz .LBB58_314
; %bb.311:
	v_subrev_nc_u32_e32 v33, 20, v0
	s_movk_i32 s68, 0x4f0
	s_mov_b32 s5, 0
	s_mov_b32 s69, s46
	.p2align	6
.LBB58_312:                             ; =>This Inner Loop Header: Depth=1
	v_mov_b32_e32 v34, s69
	v_add_nc_u32_e32 v33, -1, v33
	s_add_i32 s69, s69, 16
	s_clause 0x3
	buffer_load_dword v38, v34, s[0:3], 0 offen offset:8
	buffer_load_dword v39, v34, s[0:3], 0 offen offset:12
	buffer_load_dword v134, v34, s[0:3], 0 offen
	buffer_load_dword v135, v34, s[0:3], 0 offen offset:4
	v_mov_b32_e32 v34, s68
	v_cmp_eq_u32_e32 vcc_lo, 0, v33
	s_add_i32 s68, s68, 16
	ds_read_b128 v[34:37], v34
	s_or_b32 s5, vcc_lo, s5
	s_waitcnt vmcnt(2) lgkmcnt(0)
	v_mul_f64 v[136:137], v[36:37], v[38:39]
	v_mul_f64 v[38:39], v[34:35], v[38:39]
	s_waitcnt vmcnt(0)
	v_fma_f64 v[34:35], v[34:35], v[134:135], -v[136:137]
	v_fma_f64 v[36:37], v[36:37], v[134:135], v[38:39]
	v_add_f64 v[1:2], v[1:2], v[34:35]
	v_add_f64 v[3:4], v[3:4], v[36:37]
	s_andn2_b32 exec_lo, exec_lo, s5
	s_cbranch_execnz .LBB58_312
; %bb.313:
	s_or_b32 exec_lo, exec_lo, s5
.LBB58_314:
	s_or_b32 exec_lo, exec_lo, s67
	v_mov_b32_e32 v33, 0
	ds_read_b128 v[33:36], v33 offset:304
	s_waitcnt lgkmcnt(0)
	v_mul_f64 v[37:38], v[3:4], v[35:36]
	v_mul_f64 v[35:36], v[1:2], v[35:36]
	v_fma_f64 v[1:2], v[1:2], v[33:34], -v[37:38]
	v_fma_f64 v[3:4], v[3:4], v[33:34], v[35:36]
	buffer_store_dword v2, off, s[0:3], 0 offset:308
	buffer_store_dword v1, off, s[0:3], 0 offset:304
	buffer_store_dword v4, off, s[0:3], 0 offset:316
	buffer_store_dword v3, off, s[0:3], 0 offset:312
.LBB58_315:
	s_or_b32 exec_lo, exec_lo, s8
	v_mov_b32_e32 v4, s48
	v_cmp_lt_u32_e64 s5, 18, v0
	s_clause 0x3
	buffer_load_dword v1, v4, s[0:3], 0 offen
	buffer_load_dword v2, v4, s[0:3], 0 offen offset:4
	buffer_load_dword v3, v4, s[0:3], 0 offen offset:8
	;; [unrolled: 1-line block ×3, first 2 shown]
	s_waitcnt vmcnt(0)
	ds_write_b128 v32, v[1:4]
	s_waitcnt lgkmcnt(0)
	s_waitcnt_vscnt null, 0x0
	s_barrier
	buffer_gl0_inv
	s_and_saveexec_b32 s8, s5
	s_cbranch_execz .LBB58_323
; %bb.316:
	ds_read_b128 v[1:4], v32
	s_andn2_b32 vcc_lo, exec_lo, s66
	s_cbranch_vccnz .LBB58_318
; %bb.317:
	s_clause 0x3
	buffer_load_dword v33, v31, s[0:3], 0 offen offset:8
	buffer_load_dword v34, v31, s[0:3], 0 offen offset:12
	buffer_load_dword v35, v31, s[0:3], 0 offen
	buffer_load_dword v36, v31, s[0:3], 0 offen offset:4
	s_waitcnt vmcnt(2) lgkmcnt(0)
	v_mul_f64 v[37:38], v[3:4], v[33:34]
	v_mul_f64 v[33:34], v[1:2], v[33:34]
	s_waitcnt vmcnt(0)
	v_fma_f64 v[1:2], v[1:2], v[35:36], -v[37:38]
	v_fma_f64 v[3:4], v[3:4], v[35:36], v[33:34]
.LBB58_318:
	s_and_saveexec_b32 s67, s4
	s_cbranch_execz .LBB58_322
; %bb.319:
	v_subrev_nc_u32_e32 v33, 19, v0
	s_movk_i32 s68, 0x4e0
	s_mov_b32 s4, 0
	s_mov_b32 s69, s47
	.p2align	6
.LBB58_320:                             ; =>This Inner Loop Header: Depth=1
	v_mov_b32_e32 v34, s69
	v_add_nc_u32_e32 v33, -1, v33
	s_add_i32 s69, s69, 16
	s_clause 0x3
	buffer_load_dword v38, v34, s[0:3], 0 offen offset:8
	buffer_load_dword v39, v34, s[0:3], 0 offen offset:12
	buffer_load_dword v134, v34, s[0:3], 0 offen
	buffer_load_dword v135, v34, s[0:3], 0 offen offset:4
	v_mov_b32_e32 v34, s68
	v_cmp_eq_u32_e32 vcc_lo, 0, v33
	s_add_i32 s68, s68, 16
	ds_read_b128 v[34:37], v34
	s_or_b32 s4, vcc_lo, s4
	s_waitcnt vmcnt(2) lgkmcnt(0)
	v_mul_f64 v[136:137], v[36:37], v[38:39]
	v_mul_f64 v[38:39], v[34:35], v[38:39]
	s_waitcnt vmcnt(0)
	v_fma_f64 v[34:35], v[34:35], v[134:135], -v[136:137]
	v_fma_f64 v[36:37], v[36:37], v[134:135], v[38:39]
	v_add_f64 v[1:2], v[1:2], v[34:35]
	v_add_f64 v[3:4], v[3:4], v[36:37]
	s_andn2_b32 exec_lo, exec_lo, s4
	s_cbranch_execnz .LBB58_320
; %bb.321:
	s_or_b32 exec_lo, exec_lo, s4
.LBB58_322:
	s_or_b32 exec_lo, exec_lo, s67
	v_mov_b32_e32 v33, 0
	ds_read_b128 v[33:36], v33 offset:288
	s_waitcnt lgkmcnt(0)
	v_mul_f64 v[37:38], v[3:4], v[35:36]
	v_mul_f64 v[35:36], v[1:2], v[35:36]
	v_fma_f64 v[1:2], v[1:2], v[33:34], -v[37:38]
	v_fma_f64 v[3:4], v[3:4], v[33:34], v[35:36]
	buffer_store_dword v2, off, s[0:3], 0 offset:292
	buffer_store_dword v1, off, s[0:3], 0 offset:288
	;; [unrolled: 1-line block ×4, first 2 shown]
.LBB58_323:
	s_or_b32 exec_lo, exec_lo, s8
	v_mov_b32_e32 v4, s49
	v_cmp_lt_u32_e64 s4, 17, v0
	s_clause 0x3
	buffer_load_dword v1, v4, s[0:3], 0 offen
	buffer_load_dword v2, v4, s[0:3], 0 offen offset:4
	buffer_load_dword v3, v4, s[0:3], 0 offen offset:8
	;; [unrolled: 1-line block ×3, first 2 shown]
	s_waitcnt vmcnt(0)
	ds_write_b128 v32, v[1:4]
	s_waitcnt lgkmcnt(0)
	s_waitcnt_vscnt null, 0x0
	s_barrier
	buffer_gl0_inv
	s_and_saveexec_b32 s8, s4
	s_cbranch_execz .LBB58_331
; %bb.324:
	ds_read_b128 v[1:4], v32
	s_andn2_b32 vcc_lo, exec_lo, s66
	s_cbranch_vccnz .LBB58_326
; %bb.325:
	s_clause 0x3
	buffer_load_dword v33, v31, s[0:3], 0 offen offset:8
	buffer_load_dword v34, v31, s[0:3], 0 offen offset:12
	buffer_load_dword v35, v31, s[0:3], 0 offen
	buffer_load_dword v36, v31, s[0:3], 0 offen offset:4
	s_waitcnt vmcnt(2) lgkmcnt(0)
	v_mul_f64 v[37:38], v[3:4], v[33:34]
	v_mul_f64 v[33:34], v[1:2], v[33:34]
	s_waitcnt vmcnt(0)
	v_fma_f64 v[1:2], v[1:2], v[35:36], -v[37:38]
	v_fma_f64 v[3:4], v[3:4], v[35:36], v[33:34]
.LBB58_326:
	s_and_saveexec_b32 s67, s5
	s_cbranch_execz .LBB58_330
; %bb.327:
	v_subrev_nc_u32_e32 v33, 18, v0
	s_movk_i32 s68, 0x4d0
	s_mov_b32 s5, 0
	s_mov_b32 s69, s48
	.p2align	6
.LBB58_328:                             ; =>This Inner Loop Header: Depth=1
	v_mov_b32_e32 v34, s69
	v_add_nc_u32_e32 v33, -1, v33
	s_add_i32 s69, s69, 16
	s_clause 0x3
	buffer_load_dword v38, v34, s[0:3], 0 offen offset:8
	buffer_load_dword v39, v34, s[0:3], 0 offen offset:12
	buffer_load_dword v134, v34, s[0:3], 0 offen
	buffer_load_dword v135, v34, s[0:3], 0 offen offset:4
	v_mov_b32_e32 v34, s68
	v_cmp_eq_u32_e32 vcc_lo, 0, v33
	s_add_i32 s68, s68, 16
	ds_read_b128 v[34:37], v34
	s_or_b32 s5, vcc_lo, s5
	s_waitcnt vmcnt(2) lgkmcnt(0)
	v_mul_f64 v[136:137], v[36:37], v[38:39]
	v_mul_f64 v[38:39], v[34:35], v[38:39]
	s_waitcnt vmcnt(0)
	v_fma_f64 v[34:35], v[34:35], v[134:135], -v[136:137]
	v_fma_f64 v[36:37], v[36:37], v[134:135], v[38:39]
	v_add_f64 v[1:2], v[1:2], v[34:35]
	v_add_f64 v[3:4], v[3:4], v[36:37]
	s_andn2_b32 exec_lo, exec_lo, s5
	s_cbranch_execnz .LBB58_328
; %bb.329:
	s_or_b32 exec_lo, exec_lo, s5
.LBB58_330:
	s_or_b32 exec_lo, exec_lo, s67
	v_mov_b32_e32 v33, 0
	ds_read_b128 v[33:36], v33 offset:272
	s_waitcnt lgkmcnt(0)
	v_mul_f64 v[37:38], v[3:4], v[35:36]
	v_mul_f64 v[35:36], v[1:2], v[35:36]
	v_fma_f64 v[1:2], v[1:2], v[33:34], -v[37:38]
	v_fma_f64 v[3:4], v[3:4], v[33:34], v[35:36]
	buffer_store_dword v2, off, s[0:3], 0 offset:276
	buffer_store_dword v1, off, s[0:3], 0 offset:272
	;; [unrolled: 1-line block ×4, first 2 shown]
.LBB58_331:
	s_or_b32 exec_lo, exec_lo, s8
	v_mov_b32_e32 v4, s50
	v_cmp_lt_u32_e64 s5, 16, v0
	s_clause 0x3
	buffer_load_dword v1, v4, s[0:3], 0 offen
	buffer_load_dword v2, v4, s[0:3], 0 offen offset:4
	buffer_load_dword v3, v4, s[0:3], 0 offen offset:8
	;; [unrolled: 1-line block ×3, first 2 shown]
	s_waitcnt vmcnt(0)
	ds_write_b128 v32, v[1:4]
	s_waitcnt lgkmcnt(0)
	s_waitcnt_vscnt null, 0x0
	s_barrier
	buffer_gl0_inv
	s_and_saveexec_b32 s8, s5
	s_cbranch_execz .LBB58_339
; %bb.332:
	ds_read_b128 v[1:4], v32
	s_andn2_b32 vcc_lo, exec_lo, s66
	s_cbranch_vccnz .LBB58_334
; %bb.333:
	s_clause 0x3
	buffer_load_dword v33, v31, s[0:3], 0 offen offset:8
	buffer_load_dword v34, v31, s[0:3], 0 offen offset:12
	buffer_load_dword v35, v31, s[0:3], 0 offen
	buffer_load_dword v36, v31, s[0:3], 0 offen offset:4
	s_waitcnt vmcnt(2) lgkmcnt(0)
	v_mul_f64 v[37:38], v[3:4], v[33:34]
	v_mul_f64 v[33:34], v[1:2], v[33:34]
	s_waitcnt vmcnt(0)
	v_fma_f64 v[1:2], v[1:2], v[35:36], -v[37:38]
	v_fma_f64 v[3:4], v[3:4], v[35:36], v[33:34]
.LBB58_334:
	s_and_saveexec_b32 s67, s4
	s_cbranch_execz .LBB58_338
; %bb.335:
	v_subrev_nc_u32_e32 v33, 17, v0
	s_movk_i32 s68, 0x4c0
	s_mov_b32 s4, 0
	s_mov_b32 s69, s49
	.p2align	6
.LBB58_336:                             ; =>This Inner Loop Header: Depth=1
	v_mov_b32_e32 v34, s69
	v_add_nc_u32_e32 v33, -1, v33
	s_add_i32 s69, s69, 16
	s_clause 0x3
	buffer_load_dword v38, v34, s[0:3], 0 offen offset:8
	buffer_load_dword v39, v34, s[0:3], 0 offen offset:12
	buffer_load_dword v134, v34, s[0:3], 0 offen
	buffer_load_dword v135, v34, s[0:3], 0 offen offset:4
	v_mov_b32_e32 v34, s68
	v_cmp_eq_u32_e32 vcc_lo, 0, v33
	s_add_i32 s68, s68, 16
	ds_read_b128 v[34:37], v34
	s_or_b32 s4, vcc_lo, s4
	s_waitcnt vmcnt(2) lgkmcnt(0)
	v_mul_f64 v[136:137], v[36:37], v[38:39]
	v_mul_f64 v[38:39], v[34:35], v[38:39]
	s_waitcnt vmcnt(0)
	v_fma_f64 v[34:35], v[34:35], v[134:135], -v[136:137]
	v_fma_f64 v[36:37], v[36:37], v[134:135], v[38:39]
	v_add_f64 v[1:2], v[1:2], v[34:35]
	v_add_f64 v[3:4], v[3:4], v[36:37]
	s_andn2_b32 exec_lo, exec_lo, s4
	s_cbranch_execnz .LBB58_336
; %bb.337:
	s_or_b32 exec_lo, exec_lo, s4
.LBB58_338:
	s_or_b32 exec_lo, exec_lo, s67
	v_mov_b32_e32 v33, 0
	ds_read_b128 v[33:36], v33 offset:256
	s_waitcnt lgkmcnt(0)
	v_mul_f64 v[37:38], v[3:4], v[35:36]
	v_mul_f64 v[35:36], v[1:2], v[35:36]
	v_fma_f64 v[1:2], v[1:2], v[33:34], -v[37:38]
	v_fma_f64 v[3:4], v[3:4], v[33:34], v[35:36]
	buffer_store_dword v2, off, s[0:3], 0 offset:260
	buffer_store_dword v1, off, s[0:3], 0 offset:256
	;; [unrolled: 1-line block ×4, first 2 shown]
.LBB58_339:
	s_or_b32 exec_lo, exec_lo, s8
	v_mov_b32_e32 v4, s51
	v_cmp_lt_u32_e64 s4, 15, v0
	s_clause 0x3
	buffer_load_dword v1, v4, s[0:3], 0 offen
	buffer_load_dword v2, v4, s[0:3], 0 offen offset:4
	buffer_load_dword v3, v4, s[0:3], 0 offen offset:8
	;; [unrolled: 1-line block ×3, first 2 shown]
	s_waitcnt vmcnt(0)
	ds_write_b128 v32, v[1:4]
	s_waitcnt lgkmcnt(0)
	s_waitcnt_vscnt null, 0x0
	s_barrier
	buffer_gl0_inv
	s_and_saveexec_b32 s8, s4
	s_cbranch_execz .LBB58_347
; %bb.340:
	ds_read_b128 v[1:4], v32
	s_andn2_b32 vcc_lo, exec_lo, s66
	s_cbranch_vccnz .LBB58_342
; %bb.341:
	s_clause 0x3
	buffer_load_dword v33, v31, s[0:3], 0 offen offset:8
	buffer_load_dword v34, v31, s[0:3], 0 offen offset:12
	buffer_load_dword v35, v31, s[0:3], 0 offen
	buffer_load_dword v36, v31, s[0:3], 0 offen offset:4
	s_waitcnt vmcnt(2) lgkmcnt(0)
	v_mul_f64 v[37:38], v[3:4], v[33:34]
	v_mul_f64 v[33:34], v[1:2], v[33:34]
	s_waitcnt vmcnt(0)
	v_fma_f64 v[1:2], v[1:2], v[35:36], -v[37:38]
	v_fma_f64 v[3:4], v[3:4], v[35:36], v[33:34]
.LBB58_342:
	s_and_saveexec_b32 s67, s5
	s_cbranch_execz .LBB58_346
; %bb.343:
	v_add_nc_u32_e32 v33, -16, v0
	s_movk_i32 s68, 0x4b0
	s_mov_b32 s5, 0
	s_mov_b32 s69, s50
	.p2align	6
.LBB58_344:                             ; =>This Inner Loop Header: Depth=1
	v_mov_b32_e32 v34, s69
	v_add_nc_u32_e32 v33, -1, v33
	s_add_i32 s69, s69, 16
	s_clause 0x3
	buffer_load_dword v38, v34, s[0:3], 0 offen offset:8
	buffer_load_dword v39, v34, s[0:3], 0 offen offset:12
	buffer_load_dword v134, v34, s[0:3], 0 offen
	buffer_load_dword v135, v34, s[0:3], 0 offen offset:4
	v_mov_b32_e32 v34, s68
	v_cmp_eq_u32_e32 vcc_lo, 0, v33
	s_add_i32 s68, s68, 16
	ds_read_b128 v[34:37], v34
	s_or_b32 s5, vcc_lo, s5
	s_waitcnt vmcnt(2) lgkmcnt(0)
	v_mul_f64 v[136:137], v[36:37], v[38:39]
	v_mul_f64 v[38:39], v[34:35], v[38:39]
	s_waitcnt vmcnt(0)
	v_fma_f64 v[34:35], v[34:35], v[134:135], -v[136:137]
	v_fma_f64 v[36:37], v[36:37], v[134:135], v[38:39]
	v_add_f64 v[1:2], v[1:2], v[34:35]
	v_add_f64 v[3:4], v[3:4], v[36:37]
	s_andn2_b32 exec_lo, exec_lo, s5
	s_cbranch_execnz .LBB58_344
; %bb.345:
	s_or_b32 exec_lo, exec_lo, s5
.LBB58_346:
	s_or_b32 exec_lo, exec_lo, s67
	v_mov_b32_e32 v33, 0
	ds_read_b128 v[33:36], v33 offset:240
	s_waitcnt lgkmcnt(0)
	v_mul_f64 v[37:38], v[3:4], v[35:36]
	v_mul_f64 v[35:36], v[1:2], v[35:36]
	v_fma_f64 v[1:2], v[1:2], v[33:34], -v[37:38]
	v_fma_f64 v[3:4], v[3:4], v[33:34], v[35:36]
	buffer_store_dword v2, off, s[0:3], 0 offset:244
	buffer_store_dword v1, off, s[0:3], 0 offset:240
	;; [unrolled: 1-line block ×4, first 2 shown]
.LBB58_347:
	s_or_b32 exec_lo, exec_lo, s8
	v_mov_b32_e32 v4, s52
	v_cmp_lt_u32_e64 s5, 14, v0
	s_clause 0x3
	buffer_load_dword v1, v4, s[0:3], 0 offen
	buffer_load_dword v2, v4, s[0:3], 0 offen offset:4
	buffer_load_dword v3, v4, s[0:3], 0 offen offset:8
	;; [unrolled: 1-line block ×3, first 2 shown]
	s_waitcnt vmcnt(0)
	ds_write_b128 v32, v[1:4]
	s_waitcnt lgkmcnt(0)
	s_waitcnt_vscnt null, 0x0
	s_barrier
	buffer_gl0_inv
	s_and_saveexec_b32 s8, s5
	s_cbranch_execz .LBB58_355
; %bb.348:
	ds_read_b128 v[1:4], v32
	s_andn2_b32 vcc_lo, exec_lo, s66
	s_cbranch_vccnz .LBB58_350
; %bb.349:
	s_clause 0x3
	buffer_load_dword v33, v31, s[0:3], 0 offen offset:8
	buffer_load_dword v34, v31, s[0:3], 0 offen offset:12
	buffer_load_dword v35, v31, s[0:3], 0 offen
	buffer_load_dword v36, v31, s[0:3], 0 offen offset:4
	s_waitcnt vmcnt(2) lgkmcnt(0)
	v_mul_f64 v[37:38], v[3:4], v[33:34]
	v_mul_f64 v[33:34], v[1:2], v[33:34]
	s_waitcnt vmcnt(0)
	v_fma_f64 v[1:2], v[1:2], v[35:36], -v[37:38]
	v_fma_f64 v[3:4], v[3:4], v[35:36], v[33:34]
.LBB58_350:
	s_and_saveexec_b32 s67, s4
	s_cbranch_execz .LBB58_354
; %bb.351:
	v_add_nc_u32_e32 v33, -15, v0
	s_movk_i32 s68, 0x4a0
	s_mov_b32 s4, 0
	s_mov_b32 s69, s51
	.p2align	6
.LBB58_352:                             ; =>This Inner Loop Header: Depth=1
	v_mov_b32_e32 v34, s69
	v_add_nc_u32_e32 v33, -1, v33
	s_add_i32 s69, s69, 16
	s_clause 0x3
	buffer_load_dword v38, v34, s[0:3], 0 offen offset:8
	buffer_load_dword v39, v34, s[0:3], 0 offen offset:12
	buffer_load_dword v134, v34, s[0:3], 0 offen
	buffer_load_dword v135, v34, s[0:3], 0 offen offset:4
	v_mov_b32_e32 v34, s68
	v_cmp_eq_u32_e32 vcc_lo, 0, v33
	s_add_i32 s68, s68, 16
	ds_read_b128 v[34:37], v34
	s_or_b32 s4, vcc_lo, s4
	s_waitcnt vmcnt(2) lgkmcnt(0)
	v_mul_f64 v[136:137], v[36:37], v[38:39]
	v_mul_f64 v[38:39], v[34:35], v[38:39]
	s_waitcnt vmcnt(0)
	v_fma_f64 v[34:35], v[34:35], v[134:135], -v[136:137]
	v_fma_f64 v[36:37], v[36:37], v[134:135], v[38:39]
	v_add_f64 v[1:2], v[1:2], v[34:35]
	v_add_f64 v[3:4], v[3:4], v[36:37]
	s_andn2_b32 exec_lo, exec_lo, s4
	s_cbranch_execnz .LBB58_352
; %bb.353:
	s_or_b32 exec_lo, exec_lo, s4
.LBB58_354:
	s_or_b32 exec_lo, exec_lo, s67
	v_mov_b32_e32 v33, 0
	ds_read_b128 v[33:36], v33 offset:224
	s_waitcnt lgkmcnt(0)
	v_mul_f64 v[37:38], v[3:4], v[35:36]
	v_mul_f64 v[35:36], v[1:2], v[35:36]
	v_fma_f64 v[1:2], v[1:2], v[33:34], -v[37:38]
	v_fma_f64 v[3:4], v[3:4], v[33:34], v[35:36]
	buffer_store_dword v2, off, s[0:3], 0 offset:228
	buffer_store_dword v1, off, s[0:3], 0 offset:224
	;; [unrolled: 1-line block ×4, first 2 shown]
.LBB58_355:
	s_or_b32 exec_lo, exec_lo, s8
	v_mov_b32_e32 v4, s53
	v_cmp_lt_u32_e64 s4, 13, v0
	s_clause 0x3
	buffer_load_dword v1, v4, s[0:3], 0 offen
	buffer_load_dword v2, v4, s[0:3], 0 offen offset:4
	buffer_load_dword v3, v4, s[0:3], 0 offen offset:8
	;; [unrolled: 1-line block ×3, first 2 shown]
	s_waitcnt vmcnt(0)
	ds_write_b128 v32, v[1:4]
	s_waitcnt lgkmcnt(0)
	s_waitcnt_vscnt null, 0x0
	s_barrier
	buffer_gl0_inv
	s_and_saveexec_b32 s8, s4
	s_cbranch_execz .LBB58_363
; %bb.356:
	ds_read_b128 v[1:4], v32
	s_andn2_b32 vcc_lo, exec_lo, s66
	s_cbranch_vccnz .LBB58_358
; %bb.357:
	s_clause 0x3
	buffer_load_dword v33, v31, s[0:3], 0 offen offset:8
	buffer_load_dword v34, v31, s[0:3], 0 offen offset:12
	buffer_load_dword v35, v31, s[0:3], 0 offen
	buffer_load_dword v36, v31, s[0:3], 0 offen offset:4
	s_waitcnt vmcnt(2) lgkmcnt(0)
	v_mul_f64 v[37:38], v[3:4], v[33:34]
	v_mul_f64 v[33:34], v[1:2], v[33:34]
	s_waitcnt vmcnt(0)
	v_fma_f64 v[1:2], v[1:2], v[35:36], -v[37:38]
	v_fma_f64 v[3:4], v[3:4], v[35:36], v[33:34]
.LBB58_358:
	s_and_saveexec_b32 s67, s5
	s_cbranch_execz .LBB58_362
; %bb.359:
	v_add_nc_u32_e32 v33, -14, v0
	s_movk_i32 s68, 0x490
	s_mov_b32 s5, 0
	s_mov_b32 s69, s52
	.p2align	6
.LBB58_360:                             ; =>This Inner Loop Header: Depth=1
	v_mov_b32_e32 v34, s69
	v_add_nc_u32_e32 v33, -1, v33
	s_add_i32 s69, s69, 16
	s_clause 0x3
	buffer_load_dword v38, v34, s[0:3], 0 offen offset:8
	buffer_load_dword v39, v34, s[0:3], 0 offen offset:12
	buffer_load_dword v134, v34, s[0:3], 0 offen
	buffer_load_dword v135, v34, s[0:3], 0 offen offset:4
	v_mov_b32_e32 v34, s68
	v_cmp_eq_u32_e32 vcc_lo, 0, v33
	s_add_i32 s68, s68, 16
	ds_read_b128 v[34:37], v34
	s_or_b32 s5, vcc_lo, s5
	s_waitcnt vmcnt(2) lgkmcnt(0)
	v_mul_f64 v[136:137], v[36:37], v[38:39]
	v_mul_f64 v[38:39], v[34:35], v[38:39]
	s_waitcnt vmcnt(0)
	v_fma_f64 v[34:35], v[34:35], v[134:135], -v[136:137]
	v_fma_f64 v[36:37], v[36:37], v[134:135], v[38:39]
	v_add_f64 v[1:2], v[1:2], v[34:35]
	v_add_f64 v[3:4], v[3:4], v[36:37]
	s_andn2_b32 exec_lo, exec_lo, s5
	s_cbranch_execnz .LBB58_360
; %bb.361:
	s_or_b32 exec_lo, exec_lo, s5
.LBB58_362:
	s_or_b32 exec_lo, exec_lo, s67
	v_mov_b32_e32 v33, 0
	ds_read_b128 v[33:36], v33 offset:208
	s_waitcnt lgkmcnt(0)
	v_mul_f64 v[37:38], v[3:4], v[35:36]
	v_mul_f64 v[35:36], v[1:2], v[35:36]
	v_fma_f64 v[1:2], v[1:2], v[33:34], -v[37:38]
	v_fma_f64 v[3:4], v[3:4], v[33:34], v[35:36]
	buffer_store_dword v2, off, s[0:3], 0 offset:212
	buffer_store_dword v1, off, s[0:3], 0 offset:208
	;; [unrolled: 1-line block ×4, first 2 shown]
.LBB58_363:
	s_or_b32 exec_lo, exec_lo, s8
	v_mov_b32_e32 v4, s54
	v_cmp_lt_u32_e64 s5, 12, v0
	s_clause 0x3
	buffer_load_dword v1, v4, s[0:3], 0 offen
	buffer_load_dword v2, v4, s[0:3], 0 offen offset:4
	buffer_load_dword v3, v4, s[0:3], 0 offen offset:8
	;; [unrolled: 1-line block ×3, first 2 shown]
	s_waitcnt vmcnt(0)
	ds_write_b128 v32, v[1:4]
	s_waitcnt lgkmcnt(0)
	s_waitcnt_vscnt null, 0x0
	s_barrier
	buffer_gl0_inv
	s_and_saveexec_b32 s8, s5
	s_cbranch_execz .LBB58_371
; %bb.364:
	ds_read_b128 v[1:4], v32
	s_andn2_b32 vcc_lo, exec_lo, s66
	s_cbranch_vccnz .LBB58_366
; %bb.365:
	s_clause 0x3
	buffer_load_dword v33, v31, s[0:3], 0 offen offset:8
	buffer_load_dword v34, v31, s[0:3], 0 offen offset:12
	buffer_load_dword v35, v31, s[0:3], 0 offen
	buffer_load_dword v36, v31, s[0:3], 0 offen offset:4
	s_waitcnt vmcnt(2) lgkmcnt(0)
	v_mul_f64 v[37:38], v[3:4], v[33:34]
	v_mul_f64 v[33:34], v[1:2], v[33:34]
	s_waitcnt vmcnt(0)
	v_fma_f64 v[1:2], v[1:2], v[35:36], -v[37:38]
	v_fma_f64 v[3:4], v[3:4], v[35:36], v[33:34]
.LBB58_366:
	s_and_saveexec_b32 s67, s4
	s_cbranch_execz .LBB58_370
; %bb.367:
	v_add_nc_u32_e32 v33, -13, v0
	s_movk_i32 s68, 0x480
	s_mov_b32 s4, 0
	s_mov_b32 s69, s53
	.p2align	6
.LBB58_368:                             ; =>This Inner Loop Header: Depth=1
	v_mov_b32_e32 v34, s69
	v_add_nc_u32_e32 v33, -1, v33
	s_add_i32 s69, s69, 16
	s_clause 0x3
	buffer_load_dword v38, v34, s[0:3], 0 offen offset:8
	buffer_load_dword v39, v34, s[0:3], 0 offen offset:12
	buffer_load_dword v134, v34, s[0:3], 0 offen
	buffer_load_dword v135, v34, s[0:3], 0 offen offset:4
	v_mov_b32_e32 v34, s68
	v_cmp_eq_u32_e32 vcc_lo, 0, v33
	s_add_i32 s68, s68, 16
	ds_read_b128 v[34:37], v34
	s_or_b32 s4, vcc_lo, s4
	s_waitcnt vmcnt(2) lgkmcnt(0)
	v_mul_f64 v[136:137], v[36:37], v[38:39]
	v_mul_f64 v[38:39], v[34:35], v[38:39]
	s_waitcnt vmcnt(0)
	v_fma_f64 v[34:35], v[34:35], v[134:135], -v[136:137]
	v_fma_f64 v[36:37], v[36:37], v[134:135], v[38:39]
	v_add_f64 v[1:2], v[1:2], v[34:35]
	v_add_f64 v[3:4], v[3:4], v[36:37]
	s_andn2_b32 exec_lo, exec_lo, s4
	s_cbranch_execnz .LBB58_368
; %bb.369:
	s_or_b32 exec_lo, exec_lo, s4
.LBB58_370:
	s_or_b32 exec_lo, exec_lo, s67
	v_mov_b32_e32 v33, 0
	ds_read_b128 v[33:36], v33 offset:192
	s_waitcnt lgkmcnt(0)
	v_mul_f64 v[37:38], v[3:4], v[35:36]
	v_mul_f64 v[35:36], v[1:2], v[35:36]
	v_fma_f64 v[1:2], v[1:2], v[33:34], -v[37:38]
	v_fma_f64 v[3:4], v[3:4], v[33:34], v[35:36]
	buffer_store_dword v2, off, s[0:3], 0 offset:196
	buffer_store_dword v1, off, s[0:3], 0 offset:192
	;; [unrolled: 1-line block ×4, first 2 shown]
.LBB58_371:
	s_or_b32 exec_lo, exec_lo, s8
	v_mov_b32_e32 v4, s55
	v_cmp_lt_u32_e64 s4, 11, v0
	s_clause 0x3
	buffer_load_dword v1, v4, s[0:3], 0 offen
	buffer_load_dword v2, v4, s[0:3], 0 offen offset:4
	buffer_load_dword v3, v4, s[0:3], 0 offen offset:8
	;; [unrolled: 1-line block ×3, first 2 shown]
	s_waitcnt vmcnt(0)
	ds_write_b128 v32, v[1:4]
	s_waitcnt lgkmcnt(0)
	s_waitcnt_vscnt null, 0x0
	s_barrier
	buffer_gl0_inv
	s_and_saveexec_b32 s8, s4
	s_cbranch_execz .LBB58_379
; %bb.372:
	ds_read_b128 v[1:4], v32
	s_andn2_b32 vcc_lo, exec_lo, s66
	s_cbranch_vccnz .LBB58_374
; %bb.373:
	s_clause 0x3
	buffer_load_dword v33, v31, s[0:3], 0 offen offset:8
	buffer_load_dword v34, v31, s[0:3], 0 offen offset:12
	buffer_load_dword v35, v31, s[0:3], 0 offen
	buffer_load_dword v36, v31, s[0:3], 0 offen offset:4
	s_waitcnt vmcnt(2) lgkmcnt(0)
	v_mul_f64 v[37:38], v[3:4], v[33:34]
	v_mul_f64 v[33:34], v[1:2], v[33:34]
	s_waitcnt vmcnt(0)
	v_fma_f64 v[1:2], v[1:2], v[35:36], -v[37:38]
	v_fma_f64 v[3:4], v[3:4], v[35:36], v[33:34]
.LBB58_374:
	s_and_saveexec_b32 s67, s5
	s_cbranch_execz .LBB58_378
; %bb.375:
	v_add_nc_u32_e32 v33, -12, v0
	s_movk_i32 s68, 0x470
	s_mov_b32 s5, 0
	s_mov_b32 s69, s54
	.p2align	6
.LBB58_376:                             ; =>This Inner Loop Header: Depth=1
	v_mov_b32_e32 v34, s69
	v_add_nc_u32_e32 v33, -1, v33
	s_add_i32 s69, s69, 16
	s_clause 0x3
	buffer_load_dword v38, v34, s[0:3], 0 offen offset:8
	buffer_load_dword v39, v34, s[0:3], 0 offen offset:12
	buffer_load_dword v134, v34, s[0:3], 0 offen
	buffer_load_dword v135, v34, s[0:3], 0 offen offset:4
	v_mov_b32_e32 v34, s68
	v_cmp_eq_u32_e32 vcc_lo, 0, v33
	s_add_i32 s68, s68, 16
	ds_read_b128 v[34:37], v34
	s_or_b32 s5, vcc_lo, s5
	s_waitcnt vmcnt(2) lgkmcnt(0)
	v_mul_f64 v[136:137], v[36:37], v[38:39]
	v_mul_f64 v[38:39], v[34:35], v[38:39]
	s_waitcnt vmcnt(0)
	v_fma_f64 v[34:35], v[34:35], v[134:135], -v[136:137]
	v_fma_f64 v[36:37], v[36:37], v[134:135], v[38:39]
	v_add_f64 v[1:2], v[1:2], v[34:35]
	v_add_f64 v[3:4], v[3:4], v[36:37]
	s_andn2_b32 exec_lo, exec_lo, s5
	s_cbranch_execnz .LBB58_376
; %bb.377:
	s_or_b32 exec_lo, exec_lo, s5
.LBB58_378:
	s_or_b32 exec_lo, exec_lo, s67
	v_mov_b32_e32 v33, 0
	ds_read_b128 v[33:36], v33 offset:176
	s_waitcnt lgkmcnt(0)
	v_mul_f64 v[37:38], v[3:4], v[35:36]
	v_mul_f64 v[35:36], v[1:2], v[35:36]
	v_fma_f64 v[1:2], v[1:2], v[33:34], -v[37:38]
	v_fma_f64 v[3:4], v[3:4], v[33:34], v[35:36]
	buffer_store_dword v2, off, s[0:3], 0 offset:180
	buffer_store_dword v1, off, s[0:3], 0 offset:176
	;; [unrolled: 1-line block ×4, first 2 shown]
.LBB58_379:
	s_or_b32 exec_lo, exec_lo, s8
	v_mov_b32_e32 v4, s56
	v_cmp_lt_u32_e64 s5, 10, v0
	s_clause 0x3
	buffer_load_dword v1, v4, s[0:3], 0 offen
	buffer_load_dword v2, v4, s[0:3], 0 offen offset:4
	buffer_load_dword v3, v4, s[0:3], 0 offen offset:8
	buffer_load_dword v4, v4, s[0:3], 0 offen offset:12
	s_waitcnt vmcnt(0)
	ds_write_b128 v32, v[1:4]
	s_waitcnt lgkmcnt(0)
	s_waitcnt_vscnt null, 0x0
	s_barrier
	buffer_gl0_inv
	s_and_saveexec_b32 s8, s5
	s_cbranch_execz .LBB58_387
; %bb.380:
	ds_read_b128 v[1:4], v32
	s_andn2_b32 vcc_lo, exec_lo, s66
	s_cbranch_vccnz .LBB58_382
; %bb.381:
	s_clause 0x3
	buffer_load_dword v33, v31, s[0:3], 0 offen offset:8
	buffer_load_dword v34, v31, s[0:3], 0 offen offset:12
	buffer_load_dword v35, v31, s[0:3], 0 offen
	buffer_load_dword v36, v31, s[0:3], 0 offen offset:4
	s_waitcnt vmcnt(2) lgkmcnt(0)
	v_mul_f64 v[37:38], v[3:4], v[33:34]
	v_mul_f64 v[33:34], v[1:2], v[33:34]
	s_waitcnt vmcnt(0)
	v_fma_f64 v[1:2], v[1:2], v[35:36], -v[37:38]
	v_fma_f64 v[3:4], v[3:4], v[35:36], v[33:34]
.LBB58_382:
	s_and_saveexec_b32 s67, s4
	s_cbranch_execz .LBB58_386
; %bb.383:
	v_add_nc_u32_e32 v33, -11, v0
	s_movk_i32 s68, 0x460
	s_mov_b32 s4, 0
	s_mov_b32 s69, s55
	.p2align	6
.LBB58_384:                             ; =>This Inner Loop Header: Depth=1
	v_mov_b32_e32 v34, s69
	v_add_nc_u32_e32 v33, -1, v33
	s_add_i32 s69, s69, 16
	s_clause 0x3
	buffer_load_dword v38, v34, s[0:3], 0 offen offset:8
	buffer_load_dword v39, v34, s[0:3], 0 offen offset:12
	buffer_load_dword v134, v34, s[0:3], 0 offen
	buffer_load_dword v135, v34, s[0:3], 0 offen offset:4
	v_mov_b32_e32 v34, s68
	v_cmp_eq_u32_e32 vcc_lo, 0, v33
	s_add_i32 s68, s68, 16
	ds_read_b128 v[34:37], v34
	s_or_b32 s4, vcc_lo, s4
	s_waitcnt vmcnt(2) lgkmcnt(0)
	v_mul_f64 v[136:137], v[36:37], v[38:39]
	v_mul_f64 v[38:39], v[34:35], v[38:39]
	s_waitcnt vmcnt(0)
	v_fma_f64 v[34:35], v[34:35], v[134:135], -v[136:137]
	v_fma_f64 v[36:37], v[36:37], v[134:135], v[38:39]
	v_add_f64 v[1:2], v[1:2], v[34:35]
	v_add_f64 v[3:4], v[3:4], v[36:37]
	s_andn2_b32 exec_lo, exec_lo, s4
	s_cbranch_execnz .LBB58_384
; %bb.385:
	s_or_b32 exec_lo, exec_lo, s4
.LBB58_386:
	s_or_b32 exec_lo, exec_lo, s67
	v_mov_b32_e32 v33, 0
	ds_read_b128 v[33:36], v33 offset:160
	s_waitcnt lgkmcnt(0)
	v_mul_f64 v[37:38], v[3:4], v[35:36]
	v_mul_f64 v[35:36], v[1:2], v[35:36]
	v_fma_f64 v[1:2], v[1:2], v[33:34], -v[37:38]
	v_fma_f64 v[3:4], v[3:4], v[33:34], v[35:36]
	buffer_store_dword v2, off, s[0:3], 0 offset:164
	buffer_store_dword v1, off, s[0:3], 0 offset:160
	;; [unrolled: 1-line block ×4, first 2 shown]
.LBB58_387:
	s_or_b32 exec_lo, exec_lo, s8
	v_mov_b32_e32 v4, s57
	v_cmp_lt_u32_e64 s4, 9, v0
	s_clause 0x3
	buffer_load_dword v1, v4, s[0:3], 0 offen
	buffer_load_dword v2, v4, s[0:3], 0 offen offset:4
	buffer_load_dword v3, v4, s[0:3], 0 offen offset:8
	;; [unrolled: 1-line block ×3, first 2 shown]
	s_waitcnt vmcnt(0)
	ds_write_b128 v32, v[1:4]
	s_waitcnt lgkmcnt(0)
	s_waitcnt_vscnt null, 0x0
	s_barrier
	buffer_gl0_inv
	s_and_saveexec_b32 s8, s4
	s_cbranch_execz .LBB58_395
; %bb.388:
	ds_read_b128 v[1:4], v32
	s_andn2_b32 vcc_lo, exec_lo, s66
	s_cbranch_vccnz .LBB58_390
; %bb.389:
	s_clause 0x3
	buffer_load_dword v33, v31, s[0:3], 0 offen offset:8
	buffer_load_dword v34, v31, s[0:3], 0 offen offset:12
	buffer_load_dword v35, v31, s[0:3], 0 offen
	buffer_load_dword v36, v31, s[0:3], 0 offen offset:4
	s_waitcnt vmcnt(2) lgkmcnt(0)
	v_mul_f64 v[37:38], v[3:4], v[33:34]
	v_mul_f64 v[33:34], v[1:2], v[33:34]
	s_waitcnt vmcnt(0)
	v_fma_f64 v[1:2], v[1:2], v[35:36], -v[37:38]
	v_fma_f64 v[3:4], v[3:4], v[35:36], v[33:34]
.LBB58_390:
	s_and_saveexec_b32 s67, s5
	s_cbranch_execz .LBB58_394
; %bb.391:
	v_add_nc_u32_e32 v33, -10, v0
	s_movk_i32 s68, 0x450
	s_mov_b32 s5, 0
	s_mov_b32 s69, s56
	.p2align	6
.LBB58_392:                             ; =>This Inner Loop Header: Depth=1
	v_mov_b32_e32 v34, s69
	v_add_nc_u32_e32 v33, -1, v33
	s_add_i32 s69, s69, 16
	s_clause 0x3
	buffer_load_dword v38, v34, s[0:3], 0 offen offset:8
	buffer_load_dword v39, v34, s[0:3], 0 offen offset:12
	buffer_load_dword v134, v34, s[0:3], 0 offen
	buffer_load_dword v135, v34, s[0:3], 0 offen offset:4
	v_mov_b32_e32 v34, s68
	v_cmp_eq_u32_e32 vcc_lo, 0, v33
	s_add_i32 s68, s68, 16
	ds_read_b128 v[34:37], v34
	s_or_b32 s5, vcc_lo, s5
	s_waitcnt vmcnt(2) lgkmcnt(0)
	v_mul_f64 v[136:137], v[36:37], v[38:39]
	v_mul_f64 v[38:39], v[34:35], v[38:39]
	s_waitcnt vmcnt(0)
	v_fma_f64 v[34:35], v[34:35], v[134:135], -v[136:137]
	v_fma_f64 v[36:37], v[36:37], v[134:135], v[38:39]
	v_add_f64 v[1:2], v[1:2], v[34:35]
	v_add_f64 v[3:4], v[3:4], v[36:37]
	s_andn2_b32 exec_lo, exec_lo, s5
	s_cbranch_execnz .LBB58_392
; %bb.393:
	s_or_b32 exec_lo, exec_lo, s5
.LBB58_394:
	s_or_b32 exec_lo, exec_lo, s67
	v_mov_b32_e32 v33, 0
	ds_read_b128 v[33:36], v33 offset:144
	s_waitcnt lgkmcnt(0)
	v_mul_f64 v[37:38], v[3:4], v[35:36]
	v_mul_f64 v[35:36], v[1:2], v[35:36]
	v_fma_f64 v[1:2], v[1:2], v[33:34], -v[37:38]
	v_fma_f64 v[3:4], v[3:4], v[33:34], v[35:36]
	buffer_store_dword v2, off, s[0:3], 0 offset:148
	buffer_store_dword v1, off, s[0:3], 0 offset:144
	;; [unrolled: 1-line block ×4, first 2 shown]
.LBB58_395:
	s_or_b32 exec_lo, exec_lo, s8
	v_mov_b32_e32 v4, s58
	v_cmp_lt_u32_e64 s5, 8, v0
	s_clause 0x3
	buffer_load_dword v1, v4, s[0:3], 0 offen
	buffer_load_dword v2, v4, s[0:3], 0 offen offset:4
	buffer_load_dword v3, v4, s[0:3], 0 offen offset:8
	;; [unrolled: 1-line block ×3, first 2 shown]
	s_waitcnt vmcnt(0)
	ds_write_b128 v32, v[1:4]
	s_waitcnt lgkmcnt(0)
	s_waitcnt_vscnt null, 0x0
	s_barrier
	buffer_gl0_inv
	s_and_saveexec_b32 s8, s5
	s_cbranch_execz .LBB58_403
; %bb.396:
	ds_read_b128 v[1:4], v32
	s_andn2_b32 vcc_lo, exec_lo, s66
	s_cbranch_vccnz .LBB58_398
; %bb.397:
	s_clause 0x3
	buffer_load_dword v33, v31, s[0:3], 0 offen offset:8
	buffer_load_dword v34, v31, s[0:3], 0 offen offset:12
	buffer_load_dword v35, v31, s[0:3], 0 offen
	buffer_load_dword v36, v31, s[0:3], 0 offen offset:4
	s_waitcnt vmcnt(2) lgkmcnt(0)
	v_mul_f64 v[37:38], v[3:4], v[33:34]
	v_mul_f64 v[33:34], v[1:2], v[33:34]
	s_waitcnt vmcnt(0)
	v_fma_f64 v[1:2], v[1:2], v[35:36], -v[37:38]
	v_fma_f64 v[3:4], v[3:4], v[35:36], v[33:34]
.LBB58_398:
	s_and_saveexec_b32 s67, s4
	s_cbranch_execz .LBB58_402
; %bb.399:
	v_add_nc_u32_e32 v33, -9, v0
	s_movk_i32 s68, 0x440
	s_mov_b32 s4, 0
	s_mov_b32 s69, s57
	.p2align	6
.LBB58_400:                             ; =>This Inner Loop Header: Depth=1
	v_mov_b32_e32 v34, s69
	v_add_nc_u32_e32 v33, -1, v33
	s_add_i32 s69, s69, 16
	s_clause 0x3
	buffer_load_dword v38, v34, s[0:3], 0 offen offset:8
	buffer_load_dword v39, v34, s[0:3], 0 offen offset:12
	buffer_load_dword v134, v34, s[0:3], 0 offen
	buffer_load_dword v135, v34, s[0:3], 0 offen offset:4
	v_mov_b32_e32 v34, s68
	v_cmp_eq_u32_e32 vcc_lo, 0, v33
	s_add_i32 s68, s68, 16
	ds_read_b128 v[34:37], v34
	s_or_b32 s4, vcc_lo, s4
	s_waitcnt vmcnt(2) lgkmcnt(0)
	v_mul_f64 v[136:137], v[36:37], v[38:39]
	v_mul_f64 v[38:39], v[34:35], v[38:39]
	s_waitcnt vmcnt(0)
	v_fma_f64 v[34:35], v[34:35], v[134:135], -v[136:137]
	v_fma_f64 v[36:37], v[36:37], v[134:135], v[38:39]
	v_add_f64 v[1:2], v[1:2], v[34:35]
	v_add_f64 v[3:4], v[3:4], v[36:37]
	s_andn2_b32 exec_lo, exec_lo, s4
	s_cbranch_execnz .LBB58_400
; %bb.401:
	s_or_b32 exec_lo, exec_lo, s4
.LBB58_402:
	s_or_b32 exec_lo, exec_lo, s67
	v_mov_b32_e32 v33, 0
	ds_read_b128 v[33:36], v33 offset:128
	s_waitcnt lgkmcnt(0)
	v_mul_f64 v[37:38], v[3:4], v[35:36]
	v_mul_f64 v[35:36], v[1:2], v[35:36]
	v_fma_f64 v[1:2], v[1:2], v[33:34], -v[37:38]
	v_fma_f64 v[3:4], v[3:4], v[33:34], v[35:36]
	buffer_store_dword v2, off, s[0:3], 0 offset:132
	buffer_store_dword v1, off, s[0:3], 0 offset:128
	;; [unrolled: 1-line block ×4, first 2 shown]
.LBB58_403:
	s_or_b32 exec_lo, exec_lo, s8
	v_mov_b32_e32 v4, s59
	v_cmp_lt_u32_e64 s4, 7, v0
	s_clause 0x3
	buffer_load_dword v1, v4, s[0:3], 0 offen
	buffer_load_dword v2, v4, s[0:3], 0 offen offset:4
	buffer_load_dword v3, v4, s[0:3], 0 offen offset:8
	;; [unrolled: 1-line block ×3, first 2 shown]
	s_waitcnt vmcnt(0)
	ds_write_b128 v32, v[1:4]
	s_waitcnt lgkmcnt(0)
	s_waitcnt_vscnt null, 0x0
	s_barrier
	buffer_gl0_inv
	s_and_saveexec_b32 s8, s4
	s_cbranch_execz .LBB58_411
; %bb.404:
	ds_read_b128 v[1:4], v32
	s_andn2_b32 vcc_lo, exec_lo, s66
	s_cbranch_vccnz .LBB58_406
; %bb.405:
	s_clause 0x3
	buffer_load_dword v33, v31, s[0:3], 0 offen offset:8
	buffer_load_dword v34, v31, s[0:3], 0 offen offset:12
	buffer_load_dword v35, v31, s[0:3], 0 offen
	buffer_load_dword v36, v31, s[0:3], 0 offen offset:4
	s_waitcnt vmcnt(2) lgkmcnt(0)
	v_mul_f64 v[37:38], v[3:4], v[33:34]
	v_mul_f64 v[33:34], v[1:2], v[33:34]
	s_waitcnt vmcnt(0)
	v_fma_f64 v[1:2], v[1:2], v[35:36], -v[37:38]
	v_fma_f64 v[3:4], v[3:4], v[35:36], v[33:34]
.LBB58_406:
	s_and_saveexec_b32 s67, s5
	s_cbranch_execz .LBB58_410
; %bb.407:
	v_add_nc_u32_e32 v33, -8, v0
	s_movk_i32 s68, 0x430
	s_mov_b32 s5, 0
	s_mov_b32 s69, s58
	.p2align	6
.LBB58_408:                             ; =>This Inner Loop Header: Depth=1
	v_mov_b32_e32 v34, s69
	v_add_nc_u32_e32 v33, -1, v33
	s_add_i32 s69, s69, 16
	s_clause 0x3
	buffer_load_dword v38, v34, s[0:3], 0 offen offset:8
	buffer_load_dword v39, v34, s[0:3], 0 offen offset:12
	buffer_load_dword v134, v34, s[0:3], 0 offen
	buffer_load_dword v135, v34, s[0:3], 0 offen offset:4
	v_mov_b32_e32 v34, s68
	v_cmp_eq_u32_e32 vcc_lo, 0, v33
	s_add_i32 s68, s68, 16
	ds_read_b128 v[34:37], v34
	s_or_b32 s5, vcc_lo, s5
	s_waitcnt vmcnt(2) lgkmcnt(0)
	v_mul_f64 v[136:137], v[36:37], v[38:39]
	v_mul_f64 v[38:39], v[34:35], v[38:39]
	s_waitcnt vmcnt(0)
	v_fma_f64 v[34:35], v[34:35], v[134:135], -v[136:137]
	v_fma_f64 v[36:37], v[36:37], v[134:135], v[38:39]
	v_add_f64 v[1:2], v[1:2], v[34:35]
	v_add_f64 v[3:4], v[3:4], v[36:37]
	s_andn2_b32 exec_lo, exec_lo, s5
	s_cbranch_execnz .LBB58_408
; %bb.409:
	s_or_b32 exec_lo, exec_lo, s5
.LBB58_410:
	s_or_b32 exec_lo, exec_lo, s67
	v_mov_b32_e32 v33, 0
	ds_read_b128 v[33:36], v33 offset:112
	s_waitcnt lgkmcnt(0)
	v_mul_f64 v[37:38], v[3:4], v[35:36]
	v_mul_f64 v[35:36], v[1:2], v[35:36]
	v_fma_f64 v[1:2], v[1:2], v[33:34], -v[37:38]
	v_fma_f64 v[3:4], v[3:4], v[33:34], v[35:36]
	buffer_store_dword v2, off, s[0:3], 0 offset:116
	buffer_store_dword v1, off, s[0:3], 0 offset:112
	;; [unrolled: 1-line block ×4, first 2 shown]
.LBB58_411:
	s_or_b32 exec_lo, exec_lo, s8
	v_mov_b32_e32 v4, s60
	v_cmp_lt_u32_e64 s5, 6, v0
	s_clause 0x3
	buffer_load_dword v1, v4, s[0:3], 0 offen
	buffer_load_dword v2, v4, s[0:3], 0 offen offset:4
	buffer_load_dword v3, v4, s[0:3], 0 offen offset:8
	;; [unrolled: 1-line block ×3, first 2 shown]
	s_waitcnt vmcnt(0)
	ds_write_b128 v32, v[1:4]
	s_waitcnt lgkmcnt(0)
	s_waitcnt_vscnt null, 0x0
	s_barrier
	buffer_gl0_inv
	s_and_saveexec_b32 s8, s5
	s_cbranch_execz .LBB58_419
; %bb.412:
	ds_read_b128 v[1:4], v32
	s_andn2_b32 vcc_lo, exec_lo, s66
	s_cbranch_vccnz .LBB58_414
; %bb.413:
	s_clause 0x3
	buffer_load_dword v33, v31, s[0:3], 0 offen offset:8
	buffer_load_dword v34, v31, s[0:3], 0 offen offset:12
	buffer_load_dword v35, v31, s[0:3], 0 offen
	buffer_load_dword v36, v31, s[0:3], 0 offen offset:4
	s_waitcnt vmcnt(2) lgkmcnt(0)
	v_mul_f64 v[37:38], v[3:4], v[33:34]
	v_mul_f64 v[33:34], v[1:2], v[33:34]
	s_waitcnt vmcnt(0)
	v_fma_f64 v[1:2], v[1:2], v[35:36], -v[37:38]
	v_fma_f64 v[3:4], v[3:4], v[35:36], v[33:34]
.LBB58_414:
	s_and_saveexec_b32 s67, s4
	s_cbranch_execz .LBB58_418
; %bb.415:
	v_add_nc_u32_e32 v33, -7, v0
	s_movk_i32 s68, 0x420
	s_mov_b32 s4, 0
	s_mov_b32 s69, s59
	.p2align	6
.LBB58_416:                             ; =>This Inner Loop Header: Depth=1
	v_mov_b32_e32 v34, s69
	v_add_nc_u32_e32 v33, -1, v33
	s_add_i32 s69, s69, 16
	s_clause 0x3
	buffer_load_dword v38, v34, s[0:3], 0 offen offset:8
	buffer_load_dword v39, v34, s[0:3], 0 offen offset:12
	buffer_load_dword v134, v34, s[0:3], 0 offen
	buffer_load_dword v135, v34, s[0:3], 0 offen offset:4
	v_mov_b32_e32 v34, s68
	v_cmp_eq_u32_e32 vcc_lo, 0, v33
	s_add_i32 s68, s68, 16
	ds_read_b128 v[34:37], v34
	s_or_b32 s4, vcc_lo, s4
	s_waitcnt vmcnt(2) lgkmcnt(0)
	v_mul_f64 v[136:137], v[36:37], v[38:39]
	v_mul_f64 v[38:39], v[34:35], v[38:39]
	s_waitcnt vmcnt(0)
	v_fma_f64 v[34:35], v[34:35], v[134:135], -v[136:137]
	v_fma_f64 v[36:37], v[36:37], v[134:135], v[38:39]
	v_add_f64 v[1:2], v[1:2], v[34:35]
	v_add_f64 v[3:4], v[3:4], v[36:37]
	s_andn2_b32 exec_lo, exec_lo, s4
	s_cbranch_execnz .LBB58_416
; %bb.417:
	s_or_b32 exec_lo, exec_lo, s4
.LBB58_418:
	s_or_b32 exec_lo, exec_lo, s67
	v_mov_b32_e32 v33, 0
	ds_read_b128 v[33:36], v33 offset:96
	s_waitcnt lgkmcnt(0)
	v_mul_f64 v[37:38], v[3:4], v[35:36]
	v_mul_f64 v[35:36], v[1:2], v[35:36]
	v_fma_f64 v[1:2], v[1:2], v[33:34], -v[37:38]
	v_fma_f64 v[3:4], v[3:4], v[33:34], v[35:36]
	buffer_store_dword v2, off, s[0:3], 0 offset:100
	buffer_store_dword v1, off, s[0:3], 0 offset:96
	;; [unrolled: 1-line block ×4, first 2 shown]
.LBB58_419:
	s_or_b32 exec_lo, exec_lo, s8
	v_mov_b32_e32 v4, s61
	v_cmp_lt_u32_e64 s4, 5, v0
	s_clause 0x3
	buffer_load_dword v1, v4, s[0:3], 0 offen
	buffer_load_dword v2, v4, s[0:3], 0 offen offset:4
	buffer_load_dword v3, v4, s[0:3], 0 offen offset:8
	;; [unrolled: 1-line block ×3, first 2 shown]
	s_waitcnt vmcnt(0)
	ds_write_b128 v32, v[1:4]
	s_waitcnt lgkmcnt(0)
	s_waitcnt_vscnt null, 0x0
	s_barrier
	buffer_gl0_inv
	s_and_saveexec_b32 s8, s4
	s_cbranch_execz .LBB58_427
; %bb.420:
	ds_read_b128 v[1:4], v32
	s_andn2_b32 vcc_lo, exec_lo, s66
	s_cbranch_vccnz .LBB58_422
; %bb.421:
	s_clause 0x3
	buffer_load_dword v33, v31, s[0:3], 0 offen offset:8
	buffer_load_dword v34, v31, s[0:3], 0 offen offset:12
	buffer_load_dword v35, v31, s[0:3], 0 offen
	buffer_load_dword v36, v31, s[0:3], 0 offen offset:4
	s_waitcnt vmcnt(2) lgkmcnt(0)
	v_mul_f64 v[37:38], v[3:4], v[33:34]
	v_mul_f64 v[33:34], v[1:2], v[33:34]
	s_waitcnt vmcnt(0)
	v_fma_f64 v[1:2], v[1:2], v[35:36], -v[37:38]
	v_fma_f64 v[3:4], v[3:4], v[35:36], v[33:34]
.LBB58_422:
	s_and_saveexec_b32 s67, s5
	s_cbranch_execz .LBB58_426
; %bb.423:
	v_add_nc_u32_e32 v33, -6, v0
	s_movk_i32 s68, 0x410
	s_mov_b32 s5, 0
	s_mov_b32 s69, s60
	.p2align	6
.LBB58_424:                             ; =>This Inner Loop Header: Depth=1
	v_mov_b32_e32 v34, s69
	v_add_nc_u32_e32 v33, -1, v33
	s_add_i32 s69, s69, 16
	s_clause 0x3
	buffer_load_dword v38, v34, s[0:3], 0 offen offset:8
	buffer_load_dword v39, v34, s[0:3], 0 offen offset:12
	buffer_load_dword v134, v34, s[0:3], 0 offen
	buffer_load_dword v135, v34, s[0:3], 0 offen offset:4
	v_mov_b32_e32 v34, s68
	v_cmp_eq_u32_e32 vcc_lo, 0, v33
	s_add_i32 s68, s68, 16
	ds_read_b128 v[34:37], v34
	s_or_b32 s5, vcc_lo, s5
	s_waitcnt vmcnt(2) lgkmcnt(0)
	v_mul_f64 v[136:137], v[36:37], v[38:39]
	v_mul_f64 v[38:39], v[34:35], v[38:39]
	s_waitcnt vmcnt(0)
	v_fma_f64 v[34:35], v[34:35], v[134:135], -v[136:137]
	v_fma_f64 v[36:37], v[36:37], v[134:135], v[38:39]
	v_add_f64 v[1:2], v[1:2], v[34:35]
	v_add_f64 v[3:4], v[3:4], v[36:37]
	s_andn2_b32 exec_lo, exec_lo, s5
	s_cbranch_execnz .LBB58_424
; %bb.425:
	s_or_b32 exec_lo, exec_lo, s5
.LBB58_426:
	s_or_b32 exec_lo, exec_lo, s67
	v_mov_b32_e32 v33, 0
	ds_read_b128 v[33:36], v33 offset:80
	s_waitcnt lgkmcnt(0)
	v_mul_f64 v[37:38], v[3:4], v[35:36]
	v_mul_f64 v[35:36], v[1:2], v[35:36]
	v_fma_f64 v[1:2], v[1:2], v[33:34], -v[37:38]
	v_fma_f64 v[3:4], v[3:4], v[33:34], v[35:36]
	buffer_store_dword v2, off, s[0:3], 0 offset:84
	buffer_store_dword v1, off, s[0:3], 0 offset:80
	;; [unrolled: 1-line block ×4, first 2 shown]
.LBB58_427:
	s_or_b32 exec_lo, exec_lo, s8
	v_mov_b32_e32 v4, s62
	v_cmp_lt_u32_e64 s5, 4, v0
	s_clause 0x3
	buffer_load_dword v1, v4, s[0:3], 0 offen
	buffer_load_dword v2, v4, s[0:3], 0 offen offset:4
	buffer_load_dword v3, v4, s[0:3], 0 offen offset:8
	buffer_load_dword v4, v4, s[0:3], 0 offen offset:12
	s_waitcnt vmcnt(0)
	ds_write_b128 v32, v[1:4]
	s_waitcnt lgkmcnt(0)
	s_waitcnt_vscnt null, 0x0
	s_barrier
	buffer_gl0_inv
	s_and_saveexec_b32 s8, s5
	s_cbranch_execz .LBB58_435
; %bb.428:
	ds_read_b128 v[1:4], v32
	s_andn2_b32 vcc_lo, exec_lo, s66
	s_cbranch_vccnz .LBB58_430
; %bb.429:
	s_clause 0x3
	buffer_load_dword v33, v31, s[0:3], 0 offen offset:8
	buffer_load_dword v34, v31, s[0:3], 0 offen offset:12
	buffer_load_dword v35, v31, s[0:3], 0 offen
	buffer_load_dword v36, v31, s[0:3], 0 offen offset:4
	s_waitcnt vmcnt(2) lgkmcnt(0)
	v_mul_f64 v[37:38], v[3:4], v[33:34]
	v_mul_f64 v[33:34], v[1:2], v[33:34]
	s_waitcnt vmcnt(0)
	v_fma_f64 v[1:2], v[1:2], v[35:36], -v[37:38]
	v_fma_f64 v[3:4], v[3:4], v[35:36], v[33:34]
.LBB58_430:
	s_and_saveexec_b32 s67, s4
	s_cbranch_execz .LBB58_434
; %bb.431:
	v_add_nc_u32_e32 v33, -5, v0
	s_movk_i32 s68, 0x400
	s_mov_b32 s4, 0
	s_mov_b32 s69, s61
	.p2align	6
.LBB58_432:                             ; =>This Inner Loop Header: Depth=1
	v_mov_b32_e32 v34, s69
	v_add_nc_u32_e32 v33, -1, v33
	s_add_i32 s69, s69, 16
	s_clause 0x3
	buffer_load_dword v38, v34, s[0:3], 0 offen offset:8
	buffer_load_dword v39, v34, s[0:3], 0 offen offset:12
	buffer_load_dword v134, v34, s[0:3], 0 offen
	buffer_load_dword v135, v34, s[0:3], 0 offen offset:4
	v_mov_b32_e32 v34, s68
	v_cmp_eq_u32_e32 vcc_lo, 0, v33
	s_add_i32 s68, s68, 16
	ds_read_b128 v[34:37], v34
	s_or_b32 s4, vcc_lo, s4
	s_waitcnt vmcnt(2) lgkmcnt(0)
	v_mul_f64 v[136:137], v[36:37], v[38:39]
	v_mul_f64 v[38:39], v[34:35], v[38:39]
	s_waitcnt vmcnt(0)
	v_fma_f64 v[34:35], v[34:35], v[134:135], -v[136:137]
	v_fma_f64 v[36:37], v[36:37], v[134:135], v[38:39]
	v_add_f64 v[1:2], v[1:2], v[34:35]
	v_add_f64 v[3:4], v[3:4], v[36:37]
	s_andn2_b32 exec_lo, exec_lo, s4
	s_cbranch_execnz .LBB58_432
; %bb.433:
	s_or_b32 exec_lo, exec_lo, s4
.LBB58_434:
	s_or_b32 exec_lo, exec_lo, s67
	v_mov_b32_e32 v33, 0
	ds_read_b128 v[33:36], v33 offset:64
	s_waitcnt lgkmcnt(0)
	v_mul_f64 v[37:38], v[3:4], v[35:36]
	v_mul_f64 v[35:36], v[1:2], v[35:36]
	v_fma_f64 v[1:2], v[1:2], v[33:34], -v[37:38]
	v_fma_f64 v[3:4], v[3:4], v[33:34], v[35:36]
	buffer_store_dword v2, off, s[0:3], 0 offset:68
	buffer_store_dword v1, off, s[0:3], 0 offset:64
	;; [unrolled: 1-line block ×4, first 2 shown]
.LBB58_435:
	s_or_b32 exec_lo, exec_lo, s8
	v_mov_b32_e32 v4, s63
	v_cmp_lt_u32_e64 s4, 3, v0
	s_clause 0x3
	buffer_load_dword v1, v4, s[0:3], 0 offen
	buffer_load_dword v2, v4, s[0:3], 0 offen offset:4
	buffer_load_dword v3, v4, s[0:3], 0 offen offset:8
	;; [unrolled: 1-line block ×3, first 2 shown]
	s_waitcnt vmcnt(0)
	ds_write_b128 v32, v[1:4]
	s_waitcnt lgkmcnt(0)
	s_waitcnt_vscnt null, 0x0
	s_barrier
	buffer_gl0_inv
	s_and_saveexec_b32 s8, s4
	s_cbranch_execz .LBB58_443
; %bb.436:
	ds_read_b128 v[1:4], v32
	s_andn2_b32 vcc_lo, exec_lo, s66
	s_cbranch_vccnz .LBB58_438
; %bb.437:
	s_clause 0x3
	buffer_load_dword v33, v31, s[0:3], 0 offen offset:8
	buffer_load_dword v34, v31, s[0:3], 0 offen offset:12
	buffer_load_dword v35, v31, s[0:3], 0 offen
	buffer_load_dword v36, v31, s[0:3], 0 offen offset:4
	s_waitcnt vmcnt(2) lgkmcnt(0)
	v_mul_f64 v[37:38], v[3:4], v[33:34]
	v_mul_f64 v[33:34], v[1:2], v[33:34]
	s_waitcnt vmcnt(0)
	v_fma_f64 v[1:2], v[1:2], v[35:36], -v[37:38]
	v_fma_f64 v[3:4], v[3:4], v[35:36], v[33:34]
.LBB58_438:
	s_and_saveexec_b32 s67, s5
	s_cbranch_execz .LBB58_442
; %bb.439:
	v_add_nc_u32_e32 v33, -4, v0
	s_movk_i32 s68, 0x3f0
	s_mov_b32 s5, 0
	s_mov_b32 s69, s62
	.p2align	6
.LBB58_440:                             ; =>This Inner Loop Header: Depth=1
	v_mov_b32_e32 v34, s69
	v_add_nc_u32_e32 v33, -1, v33
	s_add_i32 s69, s69, 16
	s_clause 0x3
	buffer_load_dword v38, v34, s[0:3], 0 offen offset:8
	buffer_load_dword v39, v34, s[0:3], 0 offen offset:12
	buffer_load_dword v134, v34, s[0:3], 0 offen
	buffer_load_dword v135, v34, s[0:3], 0 offen offset:4
	v_mov_b32_e32 v34, s68
	v_cmp_eq_u32_e32 vcc_lo, 0, v33
	s_add_i32 s68, s68, 16
	ds_read_b128 v[34:37], v34
	s_or_b32 s5, vcc_lo, s5
	s_waitcnt vmcnt(2) lgkmcnt(0)
	v_mul_f64 v[136:137], v[36:37], v[38:39]
	v_mul_f64 v[38:39], v[34:35], v[38:39]
	s_waitcnt vmcnt(0)
	v_fma_f64 v[34:35], v[34:35], v[134:135], -v[136:137]
	v_fma_f64 v[36:37], v[36:37], v[134:135], v[38:39]
	v_add_f64 v[1:2], v[1:2], v[34:35]
	v_add_f64 v[3:4], v[3:4], v[36:37]
	s_andn2_b32 exec_lo, exec_lo, s5
	s_cbranch_execnz .LBB58_440
; %bb.441:
	s_or_b32 exec_lo, exec_lo, s5
.LBB58_442:
	s_or_b32 exec_lo, exec_lo, s67
	v_mov_b32_e32 v33, 0
	ds_read_b128 v[33:36], v33 offset:48
	s_waitcnt lgkmcnt(0)
	v_mul_f64 v[37:38], v[3:4], v[35:36]
	v_mul_f64 v[35:36], v[1:2], v[35:36]
	v_fma_f64 v[1:2], v[1:2], v[33:34], -v[37:38]
	v_fma_f64 v[3:4], v[3:4], v[33:34], v[35:36]
	buffer_store_dword v2, off, s[0:3], 0 offset:52
	buffer_store_dword v1, off, s[0:3], 0 offset:48
	;; [unrolled: 1-line block ×4, first 2 shown]
.LBB58_443:
	s_or_b32 exec_lo, exec_lo, s8
	v_mov_b32_e32 v4, s64
	v_cmp_lt_u32_e64 s5, 2, v0
	s_clause 0x3
	buffer_load_dword v1, v4, s[0:3], 0 offen
	buffer_load_dword v2, v4, s[0:3], 0 offen offset:4
	buffer_load_dword v3, v4, s[0:3], 0 offen offset:8
	;; [unrolled: 1-line block ×3, first 2 shown]
	s_waitcnt vmcnt(0)
	ds_write_b128 v32, v[1:4]
	s_waitcnt lgkmcnt(0)
	s_waitcnt_vscnt null, 0x0
	s_barrier
	buffer_gl0_inv
	s_and_saveexec_b32 s8, s5
	s_cbranch_execz .LBB58_451
; %bb.444:
	ds_read_b128 v[1:4], v32
	s_andn2_b32 vcc_lo, exec_lo, s66
	s_cbranch_vccnz .LBB58_446
; %bb.445:
	s_clause 0x3
	buffer_load_dword v33, v31, s[0:3], 0 offen offset:8
	buffer_load_dword v34, v31, s[0:3], 0 offen offset:12
	buffer_load_dword v35, v31, s[0:3], 0 offen
	buffer_load_dword v36, v31, s[0:3], 0 offen offset:4
	s_waitcnt vmcnt(2) lgkmcnt(0)
	v_mul_f64 v[37:38], v[3:4], v[33:34]
	v_mul_f64 v[33:34], v[1:2], v[33:34]
	s_waitcnt vmcnt(0)
	v_fma_f64 v[1:2], v[1:2], v[35:36], -v[37:38]
	v_fma_f64 v[3:4], v[3:4], v[35:36], v[33:34]
.LBB58_446:
	s_and_saveexec_b32 s67, s4
	s_cbranch_execz .LBB58_450
; %bb.447:
	v_add_nc_u32_e32 v33, -3, v0
	s_movk_i32 s68, 0x3e0
	s_mov_b32 s4, 0
	s_mov_b32 s69, s63
	.p2align	6
.LBB58_448:                             ; =>This Inner Loop Header: Depth=1
	v_mov_b32_e32 v34, s69
	v_add_nc_u32_e32 v33, -1, v33
	s_add_i32 s69, s69, 16
	s_clause 0x3
	buffer_load_dword v38, v34, s[0:3], 0 offen offset:8
	buffer_load_dword v39, v34, s[0:3], 0 offen offset:12
	buffer_load_dword v134, v34, s[0:3], 0 offen
	buffer_load_dword v135, v34, s[0:3], 0 offen offset:4
	v_mov_b32_e32 v34, s68
	v_cmp_eq_u32_e32 vcc_lo, 0, v33
	s_add_i32 s68, s68, 16
	ds_read_b128 v[34:37], v34
	s_or_b32 s4, vcc_lo, s4
	s_waitcnt vmcnt(2) lgkmcnt(0)
	v_mul_f64 v[136:137], v[36:37], v[38:39]
	v_mul_f64 v[38:39], v[34:35], v[38:39]
	s_waitcnt vmcnt(0)
	v_fma_f64 v[34:35], v[34:35], v[134:135], -v[136:137]
	v_fma_f64 v[36:37], v[36:37], v[134:135], v[38:39]
	v_add_f64 v[1:2], v[1:2], v[34:35]
	v_add_f64 v[3:4], v[3:4], v[36:37]
	s_andn2_b32 exec_lo, exec_lo, s4
	s_cbranch_execnz .LBB58_448
; %bb.449:
	s_or_b32 exec_lo, exec_lo, s4
.LBB58_450:
	s_or_b32 exec_lo, exec_lo, s67
	v_mov_b32_e32 v33, 0
	ds_read_b128 v[33:36], v33 offset:32
	s_waitcnt lgkmcnt(0)
	v_mul_f64 v[37:38], v[3:4], v[35:36]
	v_mul_f64 v[35:36], v[1:2], v[35:36]
	v_fma_f64 v[1:2], v[1:2], v[33:34], -v[37:38]
	v_fma_f64 v[3:4], v[3:4], v[33:34], v[35:36]
	buffer_store_dword v2, off, s[0:3], 0 offset:36
	buffer_store_dword v1, off, s[0:3], 0 offset:32
	;; [unrolled: 1-line block ×4, first 2 shown]
.LBB58_451:
	s_or_b32 exec_lo, exec_lo, s8
	v_mov_b32_e32 v4, s65
	v_cmp_lt_u32_e64 s4, 1, v0
	s_clause 0x3
	buffer_load_dword v1, v4, s[0:3], 0 offen
	buffer_load_dword v2, v4, s[0:3], 0 offen offset:4
	buffer_load_dword v3, v4, s[0:3], 0 offen offset:8
	;; [unrolled: 1-line block ×3, first 2 shown]
	s_waitcnt vmcnt(0)
	ds_write_b128 v32, v[1:4]
	s_waitcnt lgkmcnt(0)
	s_waitcnt_vscnt null, 0x0
	s_barrier
	buffer_gl0_inv
	s_and_saveexec_b32 s8, s4
	s_cbranch_execz .LBB58_459
; %bb.452:
	ds_read_b128 v[1:4], v32
	s_andn2_b32 vcc_lo, exec_lo, s66
	s_cbranch_vccnz .LBB58_454
; %bb.453:
	s_clause 0x3
	buffer_load_dword v33, v31, s[0:3], 0 offen offset:8
	buffer_load_dword v34, v31, s[0:3], 0 offen offset:12
	buffer_load_dword v35, v31, s[0:3], 0 offen
	buffer_load_dword v36, v31, s[0:3], 0 offen offset:4
	s_waitcnt vmcnt(2) lgkmcnt(0)
	v_mul_f64 v[37:38], v[3:4], v[33:34]
	v_mul_f64 v[33:34], v[1:2], v[33:34]
	s_waitcnt vmcnt(0)
	v_fma_f64 v[1:2], v[1:2], v[35:36], -v[37:38]
	v_fma_f64 v[3:4], v[3:4], v[35:36], v[33:34]
.LBB58_454:
	s_and_saveexec_b32 s67, s5
	s_cbranch_execz .LBB58_458
; %bb.455:
	v_add_nc_u32_e32 v33, -2, v0
	s_movk_i32 s68, 0x3d0
	s_mov_b32 s5, 0
	s_mov_b32 s69, s64
	.p2align	6
.LBB58_456:                             ; =>This Inner Loop Header: Depth=1
	v_mov_b32_e32 v34, s69
	v_add_nc_u32_e32 v33, -1, v33
	s_add_i32 s69, s69, 16
	s_clause 0x3
	buffer_load_dword v38, v34, s[0:3], 0 offen offset:8
	buffer_load_dword v39, v34, s[0:3], 0 offen offset:12
	buffer_load_dword v134, v34, s[0:3], 0 offen
	buffer_load_dword v135, v34, s[0:3], 0 offen offset:4
	v_mov_b32_e32 v34, s68
	v_cmp_eq_u32_e32 vcc_lo, 0, v33
	s_add_i32 s68, s68, 16
	ds_read_b128 v[34:37], v34
	s_or_b32 s5, vcc_lo, s5
	s_waitcnt vmcnt(2) lgkmcnt(0)
	v_mul_f64 v[136:137], v[36:37], v[38:39]
	v_mul_f64 v[38:39], v[34:35], v[38:39]
	s_waitcnt vmcnt(0)
	v_fma_f64 v[34:35], v[34:35], v[134:135], -v[136:137]
	v_fma_f64 v[36:37], v[36:37], v[134:135], v[38:39]
	v_add_f64 v[1:2], v[1:2], v[34:35]
	v_add_f64 v[3:4], v[3:4], v[36:37]
	s_andn2_b32 exec_lo, exec_lo, s5
	s_cbranch_execnz .LBB58_456
; %bb.457:
	s_or_b32 exec_lo, exec_lo, s5
.LBB58_458:
	s_or_b32 exec_lo, exec_lo, s67
	v_mov_b32_e32 v33, 0
	ds_read_b128 v[33:36], v33 offset:16
	s_waitcnt lgkmcnt(0)
	v_mul_f64 v[37:38], v[3:4], v[35:36]
	v_mul_f64 v[35:36], v[1:2], v[35:36]
	v_fma_f64 v[1:2], v[1:2], v[33:34], -v[37:38]
	v_fma_f64 v[3:4], v[3:4], v[33:34], v[35:36]
	buffer_store_dword v2, off, s[0:3], 0 offset:20
	buffer_store_dword v1, off, s[0:3], 0 offset:16
	;; [unrolled: 1-line block ×4, first 2 shown]
.LBB58_459:
	s_or_b32 exec_lo, exec_lo, s8
	s_clause 0x3
	buffer_load_dword v1, off, s[0:3], 0
	buffer_load_dword v2, off, s[0:3], 0 offset:4
	buffer_load_dword v3, off, s[0:3], 0 offset:8
	;; [unrolled: 1-line block ×3, first 2 shown]
	s_mov_b32 s8, 0
	s_mov_b32 s5, 0
	s_mov_b32 s67, exec_lo
                                        ; implicit-def: $sgpr68
	s_waitcnt vmcnt(0)
	ds_write_b128 v32, v[1:4]
	s_waitcnt lgkmcnt(0)
	s_waitcnt_vscnt null, 0x0
	s_barrier
	buffer_gl0_inv
                                        ; implicit-def: $vgpr1_vgpr2
	v_cmpx_ne_u32_e32 0, v0
	s_cbranch_execz .LBB58_467
; %bb.460:
	ds_read_b128 v[1:4], v32
	s_andn2_b32 vcc_lo, exec_lo, s66
	s_cbranch_vccnz .LBB58_462
; %bb.461:
	s_clause 0x3
	buffer_load_dword v33, v31, s[0:3], 0 offen offset:8
	buffer_load_dword v34, v31, s[0:3], 0 offen offset:12
	buffer_load_dword v35, v31, s[0:3], 0 offen
	buffer_load_dword v36, v31, s[0:3], 0 offen offset:4
	s_waitcnt vmcnt(2) lgkmcnt(0)
	v_mul_f64 v[37:38], v[3:4], v[33:34]
	v_mul_f64 v[33:34], v[1:2], v[33:34]
	s_waitcnt vmcnt(0)
	v_fma_f64 v[1:2], v[1:2], v[35:36], -v[37:38]
	v_fma_f64 v[3:4], v[3:4], v[35:36], v[33:34]
.LBB58_462:
	s_and_saveexec_b32 s5, s4
	s_cbranch_execz .LBB58_466
; %bb.463:
	v_add_nc_u32_e32 v33, -1, v0
	s_movk_i32 s68, 0x3c0
	s_mov_b32 s4, 0
	s_mov_b32 s69, s65
	.p2align	6
.LBB58_464:                             ; =>This Inner Loop Header: Depth=1
	v_mov_b32_e32 v34, s69
	v_add_nc_u32_e32 v33, -1, v33
	s_add_i32 s69, s69, 16
	s_clause 0x3
	buffer_load_dword v38, v34, s[0:3], 0 offen offset:8
	buffer_load_dword v39, v34, s[0:3], 0 offen offset:12
	buffer_load_dword v134, v34, s[0:3], 0 offen
	buffer_load_dword v135, v34, s[0:3], 0 offen offset:4
	v_mov_b32_e32 v34, s68
	v_cmp_eq_u32_e32 vcc_lo, 0, v33
	s_add_i32 s68, s68, 16
	ds_read_b128 v[34:37], v34
	s_or_b32 s4, vcc_lo, s4
	s_waitcnt vmcnt(2) lgkmcnt(0)
	v_mul_f64 v[136:137], v[36:37], v[38:39]
	v_mul_f64 v[38:39], v[34:35], v[38:39]
	s_waitcnt vmcnt(0)
	v_fma_f64 v[34:35], v[34:35], v[134:135], -v[136:137]
	v_fma_f64 v[36:37], v[36:37], v[134:135], v[38:39]
	v_add_f64 v[1:2], v[1:2], v[34:35]
	v_add_f64 v[3:4], v[3:4], v[36:37]
	s_andn2_b32 exec_lo, exec_lo, s4
	s_cbranch_execnz .LBB58_464
; %bb.465:
	s_or_b32 exec_lo, exec_lo, s4
.LBB58_466:
	s_or_b32 exec_lo, exec_lo, s5
	v_mov_b32_e32 v33, 0
	s_mov_b32 s5, exec_lo
	s_or_b32 s68, 0, 8
	ds_read_b128 v[33:36], v33
	s_waitcnt lgkmcnt(0)
	v_mul_f64 v[37:38], v[3:4], v[35:36]
	v_mul_f64 v[35:36], v[1:2], v[35:36]
	v_fma_f64 v[37:38], v[1:2], v[33:34], -v[37:38]
	v_fma_f64 v[1:2], v[3:4], v[33:34], v[35:36]
	buffer_store_dword v38, off, s[0:3], 0 offset:4
	buffer_store_dword v37, off, s[0:3], 0
.LBB58_467:
	s_or_b32 exec_lo, exec_lo, s67
	s_and_b32 vcc_lo, exec_lo, s8
	s_cbranch_vccnz .LBB58_469
	s_branch .LBB58_928
.LBB58_468:
	s_mov_b32 s5, 0
                                        ; implicit-def: $vgpr1_vgpr2
                                        ; implicit-def: $sgpr68
	s_cbranch_execz .LBB58_928
.LBB58_469:
	v_mov_b32_e32 v4, s65
	v_cmp_eq_u32_e64 s4, 0, v0
	v_cndmask_b32_e64 v33, 0, 1, s66
	s_clause 0x3
	buffer_load_dword v1, v4, s[0:3], 0 offen
	buffer_load_dword v2, v4, s[0:3], 0 offen offset:4
	buffer_load_dword v3, v4, s[0:3], 0 offen offset:8
	buffer_load_dword v4, v4, s[0:3], 0 offen offset:12
	s_waitcnt vmcnt(0)
	ds_write_b128 v32, v[1:4]
	s_waitcnt lgkmcnt(0)
	s_waitcnt_vscnt null, 0x0
	s_barrier
	buffer_gl0_inv
	s_and_saveexec_b32 s8, s4
	s_cbranch_execz .LBB58_473
; %bb.470:
	ds_read_b128 v[1:4], v32
	s_andn2_b32 vcc_lo, exec_lo, s66
	s_cbranch_vccnz .LBB58_472
; %bb.471:
	s_clause 0x3
	buffer_load_dword v34, v31, s[0:3], 0 offen offset:8
	buffer_load_dword v35, v31, s[0:3], 0 offen offset:12
	buffer_load_dword v36, v31, s[0:3], 0 offen
	buffer_load_dword v37, v31, s[0:3], 0 offen offset:4
	s_waitcnt vmcnt(2) lgkmcnt(0)
	v_mul_f64 v[38:39], v[3:4], v[34:35]
	v_mul_f64 v[34:35], v[1:2], v[34:35]
	s_waitcnt vmcnt(0)
	v_fma_f64 v[1:2], v[1:2], v[36:37], -v[38:39]
	v_fma_f64 v[3:4], v[3:4], v[36:37], v[34:35]
.LBB58_472:
	v_mov_b32_e32 v34, 0
	ds_read_b128 v[34:37], v34 offset:16
	s_waitcnt lgkmcnt(0)
	v_mul_f64 v[38:39], v[3:4], v[36:37]
	v_mul_f64 v[36:37], v[1:2], v[36:37]
	v_fma_f64 v[1:2], v[1:2], v[34:35], -v[38:39]
	v_fma_f64 v[3:4], v[3:4], v[34:35], v[36:37]
	buffer_store_dword v2, off, s[0:3], 0 offset:20
	buffer_store_dword v1, off, s[0:3], 0 offset:16
	;; [unrolled: 1-line block ×4, first 2 shown]
.LBB58_473:
	s_or_b32 exec_lo, exec_lo, s8
	v_mov_b32_e32 v4, s64
	s_mov_b32 s8, exec_lo
	s_clause 0x3
	buffer_load_dword v1, v4, s[0:3], 0 offen
	buffer_load_dword v2, v4, s[0:3], 0 offen offset:4
	buffer_load_dword v3, v4, s[0:3], 0 offen offset:8
	;; [unrolled: 1-line block ×3, first 2 shown]
	s_waitcnt vmcnt(0)
	ds_write_b128 v32, v[1:4]
	s_waitcnt lgkmcnt(0)
	s_waitcnt_vscnt null, 0x0
	s_barrier
	buffer_gl0_inv
	v_cmpx_gt_u32_e32 2, v0
	s_cbranch_execz .LBB58_479
; %bb.474:
	ds_read_b128 v[1:4], v32
	v_cmp_ne_u32_e32 vcc_lo, 1, v33
	s_cbranch_vccnz .LBB58_476
; %bb.475:
	s_clause 0x3
	buffer_load_dword v34, v31, s[0:3], 0 offen offset:8
	buffer_load_dword v35, v31, s[0:3], 0 offen offset:12
	buffer_load_dword v36, v31, s[0:3], 0 offen
	buffer_load_dword v37, v31, s[0:3], 0 offen offset:4
	s_waitcnt vmcnt(2) lgkmcnt(0)
	v_mul_f64 v[38:39], v[3:4], v[34:35]
	v_mul_f64 v[34:35], v[1:2], v[34:35]
	s_waitcnt vmcnt(0)
	v_fma_f64 v[1:2], v[1:2], v[36:37], -v[38:39]
	v_fma_f64 v[3:4], v[3:4], v[36:37], v[34:35]
.LBB58_476:
	s_and_saveexec_b32 s66, s4
	s_cbranch_execz .LBB58_478
; %bb.477:
	s_clause 0x3
	buffer_load_dword v38, off, s[0:3], 0 offset:24
	buffer_load_dword v39, off, s[0:3], 0 offset:28
	;; [unrolled: 1-line block ×4, first 2 shown]
	v_mov_b32_e32 v34, 0
	ds_read_b128 v[34:37], v34 offset:960
	s_waitcnt vmcnt(2) lgkmcnt(0)
	v_mul_f64 v[136:137], v[36:37], v[38:39]
	v_mul_f64 v[38:39], v[34:35], v[38:39]
	s_waitcnt vmcnt(0)
	v_fma_f64 v[34:35], v[34:35], v[134:135], -v[136:137]
	v_fma_f64 v[36:37], v[36:37], v[134:135], v[38:39]
	v_add_f64 v[1:2], v[1:2], v[34:35]
	v_add_f64 v[3:4], v[3:4], v[36:37]
.LBB58_478:
	s_or_b32 exec_lo, exec_lo, s66
	v_mov_b32_e32 v34, 0
	ds_read_b128 v[34:37], v34 offset:32
	s_waitcnt lgkmcnt(0)
	v_mul_f64 v[38:39], v[3:4], v[36:37]
	v_mul_f64 v[36:37], v[1:2], v[36:37]
	v_fma_f64 v[1:2], v[1:2], v[34:35], -v[38:39]
	v_fma_f64 v[3:4], v[3:4], v[34:35], v[36:37]
	buffer_store_dword v2, off, s[0:3], 0 offset:36
	buffer_store_dword v1, off, s[0:3], 0 offset:32
	;; [unrolled: 1-line block ×4, first 2 shown]
.LBB58_479:
	s_or_b32 exec_lo, exec_lo, s8
	v_mov_b32_e32 v4, s63
	s_mov_b32 s8, exec_lo
	s_clause 0x3
	buffer_load_dword v1, v4, s[0:3], 0 offen
	buffer_load_dword v2, v4, s[0:3], 0 offen offset:4
	buffer_load_dword v3, v4, s[0:3], 0 offen offset:8
	;; [unrolled: 1-line block ×3, first 2 shown]
	s_waitcnt vmcnt(0)
	ds_write_b128 v32, v[1:4]
	s_waitcnt lgkmcnt(0)
	s_waitcnt_vscnt null, 0x0
	s_barrier
	buffer_gl0_inv
	v_cmpx_gt_u32_e32 3, v0
	s_cbranch_execz .LBB58_487
; %bb.480:
	ds_read_b128 v[1:4], v32
	v_cmp_ne_u32_e32 vcc_lo, 1, v33
	s_cbranch_vccnz .LBB58_482
; %bb.481:
	s_clause 0x3
	buffer_load_dword v34, v31, s[0:3], 0 offen offset:8
	buffer_load_dword v35, v31, s[0:3], 0 offen offset:12
	buffer_load_dword v36, v31, s[0:3], 0 offen
	buffer_load_dword v37, v31, s[0:3], 0 offen offset:4
	s_waitcnt vmcnt(2) lgkmcnt(0)
	v_mul_f64 v[38:39], v[3:4], v[34:35]
	v_mul_f64 v[34:35], v[1:2], v[34:35]
	s_waitcnt vmcnt(0)
	v_fma_f64 v[1:2], v[1:2], v[36:37], -v[38:39]
	v_fma_f64 v[3:4], v[3:4], v[36:37], v[34:35]
.LBB58_482:
	s_mov_b32 s66, exec_lo
	v_cmpx_ne_u32_e32 2, v0
	s_cbranch_execz .LBB58_486
; %bb.483:
	s_clause 0x3
	buffer_load_dword v38, v31, s[0:3], 0 offen offset:24
	buffer_load_dword v39, v31, s[0:3], 0 offen offset:28
	;; [unrolled: 1-line block ×4, first 2 shown]
	ds_read_b128 v[34:37], v32 offset:16
	s_waitcnt vmcnt(2) lgkmcnt(0)
	v_mul_f64 v[136:137], v[36:37], v[38:39]
	v_mul_f64 v[38:39], v[34:35], v[38:39]
	s_waitcnt vmcnt(0)
	v_fma_f64 v[34:35], v[34:35], v[134:135], -v[136:137]
	v_fma_f64 v[36:37], v[36:37], v[134:135], v[38:39]
	v_add_f64 v[1:2], v[1:2], v[34:35]
	v_add_f64 v[3:4], v[3:4], v[36:37]
	s_and_saveexec_b32 s67, s4
	s_cbranch_execz .LBB58_485
; %bb.484:
	s_clause 0x3
	buffer_load_dword v38, off, s[0:3], 0 offset:40
	buffer_load_dword v39, off, s[0:3], 0 offset:44
	;; [unrolled: 1-line block ×4, first 2 shown]
	v_mov_b32_e32 v34, 0
	ds_read_b128 v[34:37], v34 offset:976
	s_waitcnt vmcnt(2) lgkmcnt(0)
	v_mul_f64 v[136:137], v[34:35], v[38:39]
	v_mul_f64 v[38:39], v[36:37], v[38:39]
	s_waitcnt vmcnt(0)
	v_fma_f64 v[36:37], v[36:37], v[134:135], v[136:137]
	v_fma_f64 v[34:35], v[34:35], v[134:135], -v[38:39]
	v_add_f64 v[3:4], v[3:4], v[36:37]
	v_add_f64 v[1:2], v[1:2], v[34:35]
.LBB58_485:
	s_or_b32 exec_lo, exec_lo, s67
.LBB58_486:
	s_or_b32 exec_lo, exec_lo, s66
	v_mov_b32_e32 v34, 0
	ds_read_b128 v[34:37], v34 offset:48
	s_waitcnt lgkmcnt(0)
	v_mul_f64 v[38:39], v[3:4], v[36:37]
	v_mul_f64 v[36:37], v[1:2], v[36:37]
	v_fma_f64 v[1:2], v[1:2], v[34:35], -v[38:39]
	v_fma_f64 v[3:4], v[3:4], v[34:35], v[36:37]
	buffer_store_dword v2, off, s[0:3], 0 offset:52
	buffer_store_dword v1, off, s[0:3], 0 offset:48
	;; [unrolled: 1-line block ×4, first 2 shown]
.LBB58_487:
	s_or_b32 exec_lo, exec_lo, s8
	v_mov_b32_e32 v4, s62
	s_mov_b32 s4, exec_lo
	s_clause 0x3
	buffer_load_dword v1, v4, s[0:3], 0 offen
	buffer_load_dword v2, v4, s[0:3], 0 offen offset:4
	buffer_load_dword v3, v4, s[0:3], 0 offen offset:8
	;; [unrolled: 1-line block ×3, first 2 shown]
	s_waitcnt vmcnt(0)
	ds_write_b128 v32, v[1:4]
	s_waitcnt lgkmcnt(0)
	s_waitcnt_vscnt null, 0x0
	s_barrier
	buffer_gl0_inv
	v_cmpx_gt_u32_e32 4, v0
	s_cbranch_execz .LBB58_495
; %bb.488:
	ds_read_b128 v[1:4], v32
	v_cmp_ne_u32_e32 vcc_lo, 1, v33
	s_cbranch_vccnz .LBB58_490
; %bb.489:
	s_clause 0x3
	buffer_load_dword v34, v31, s[0:3], 0 offen offset:8
	buffer_load_dword v35, v31, s[0:3], 0 offen offset:12
	buffer_load_dword v36, v31, s[0:3], 0 offen
	buffer_load_dword v37, v31, s[0:3], 0 offen offset:4
	s_waitcnt vmcnt(2) lgkmcnt(0)
	v_mul_f64 v[38:39], v[3:4], v[34:35]
	v_mul_f64 v[34:35], v[1:2], v[34:35]
	s_waitcnt vmcnt(0)
	v_fma_f64 v[1:2], v[1:2], v[36:37], -v[38:39]
	v_fma_f64 v[3:4], v[3:4], v[36:37], v[34:35]
.LBB58_490:
	s_mov_b32 s8, exec_lo
	v_cmpx_ne_u32_e32 3, v0
	s_cbranch_execz .LBB58_494
; %bb.491:
	v_add_nc_u32_e32 v34, 0x3c0, v133
	v_add3_u32 v35, 0, v133, 16
	v_mov_b32_e32 v36, v0
	s_mov_b32 s66, 0
	.p2align	6
.LBB58_492:                             ; =>This Inner Loop Header: Depth=1
	s_clause 0x3
	buffer_load_dword v134, v35, s[0:3], 0 offen offset:8
	buffer_load_dword v135, v35, s[0:3], 0 offen offset:12
	buffer_load_dword v136, v35, s[0:3], 0 offen
	buffer_load_dword v137, v35, s[0:3], 0 offen offset:4
	ds_read_b128 v[37:40], v34
	v_add_nc_u32_e32 v36, 1, v36
	v_add_nc_u32_e32 v34, 16, v34
	;; [unrolled: 1-line block ×3, first 2 shown]
	v_cmp_lt_u32_e32 vcc_lo, 2, v36
	s_or_b32 s66, vcc_lo, s66
	s_waitcnt vmcnt(2) lgkmcnt(0)
	v_mul_f64 v[138:139], v[39:40], v[134:135]
	v_mul_f64 v[134:135], v[37:38], v[134:135]
	s_waitcnt vmcnt(0)
	v_fma_f64 v[37:38], v[37:38], v[136:137], -v[138:139]
	v_fma_f64 v[39:40], v[39:40], v[136:137], v[134:135]
	v_add_f64 v[1:2], v[1:2], v[37:38]
	v_add_f64 v[3:4], v[3:4], v[39:40]
	s_andn2_b32 exec_lo, exec_lo, s66
	s_cbranch_execnz .LBB58_492
; %bb.493:
	s_or_b32 exec_lo, exec_lo, s66
.LBB58_494:
	s_or_b32 exec_lo, exec_lo, s8
	v_mov_b32_e32 v34, 0
	ds_read_b128 v[34:37], v34 offset:64
	s_waitcnt lgkmcnt(0)
	v_mul_f64 v[38:39], v[3:4], v[36:37]
	v_mul_f64 v[36:37], v[1:2], v[36:37]
	v_fma_f64 v[1:2], v[1:2], v[34:35], -v[38:39]
	v_fma_f64 v[3:4], v[3:4], v[34:35], v[36:37]
	buffer_store_dword v2, off, s[0:3], 0 offset:68
	buffer_store_dword v1, off, s[0:3], 0 offset:64
	;; [unrolled: 1-line block ×4, first 2 shown]
.LBB58_495:
	s_or_b32 exec_lo, exec_lo, s4
	v_mov_b32_e32 v4, s61
	s_mov_b32 s4, exec_lo
	s_clause 0x3
	buffer_load_dword v1, v4, s[0:3], 0 offen
	buffer_load_dword v2, v4, s[0:3], 0 offen offset:4
	buffer_load_dword v3, v4, s[0:3], 0 offen offset:8
	;; [unrolled: 1-line block ×3, first 2 shown]
	s_waitcnt vmcnt(0)
	ds_write_b128 v32, v[1:4]
	s_waitcnt lgkmcnt(0)
	s_waitcnt_vscnt null, 0x0
	s_barrier
	buffer_gl0_inv
	v_cmpx_gt_u32_e32 5, v0
	s_cbranch_execz .LBB58_503
; %bb.496:
	ds_read_b128 v[1:4], v32
	v_cmp_ne_u32_e32 vcc_lo, 1, v33
	s_cbranch_vccnz .LBB58_498
; %bb.497:
	s_clause 0x3
	buffer_load_dword v34, v31, s[0:3], 0 offen offset:8
	buffer_load_dword v35, v31, s[0:3], 0 offen offset:12
	buffer_load_dword v36, v31, s[0:3], 0 offen
	buffer_load_dword v37, v31, s[0:3], 0 offen offset:4
	s_waitcnt vmcnt(2) lgkmcnt(0)
	v_mul_f64 v[38:39], v[3:4], v[34:35]
	v_mul_f64 v[34:35], v[1:2], v[34:35]
	s_waitcnt vmcnt(0)
	v_fma_f64 v[1:2], v[1:2], v[36:37], -v[38:39]
	v_fma_f64 v[3:4], v[3:4], v[36:37], v[34:35]
.LBB58_498:
	s_mov_b32 s8, exec_lo
	v_cmpx_ne_u32_e32 4, v0
	s_cbranch_execz .LBB58_502
; %bb.499:
	v_add_nc_u32_e32 v34, 0x3c0, v133
	v_add3_u32 v35, 0, v133, 16
	v_mov_b32_e32 v36, v0
	s_mov_b32 s66, 0
	.p2align	6
.LBB58_500:                             ; =>This Inner Loop Header: Depth=1
	s_clause 0x3
	buffer_load_dword v134, v35, s[0:3], 0 offen offset:8
	buffer_load_dword v135, v35, s[0:3], 0 offen offset:12
	buffer_load_dword v136, v35, s[0:3], 0 offen
	buffer_load_dword v137, v35, s[0:3], 0 offen offset:4
	ds_read_b128 v[37:40], v34
	v_add_nc_u32_e32 v36, 1, v36
	v_add_nc_u32_e32 v34, 16, v34
	;; [unrolled: 1-line block ×3, first 2 shown]
	v_cmp_lt_u32_e32 vcc_lo, 3, v36
	s_or_b32 s66, vcc_lo, s66
	s_waitcnt vmcnt(2) lgkmcnt(0)
	v_mul_f64 v[138:139], v[39:40], v[134:135]
	v_mul_f64 v[134:135], v[37:38], v[134:135]
	s_waitcnt vmcnt(0)
	v_fma_f64 v[37:38], v[37:38], v[136:137], -v[138:139]
	v_fma_f64 v[39:40], v[39:40], v[136:137], v[134:135]
	v_add_f64 v[1:2], v[1:2], v[37:38]
	v_add_f64 v[3:4], v[3:4], v[39:40]
	s_andn2_b32 exec_lo, exec_lo, s66
	s_cbranch_execnz .LBB58_500
; %bb.501:
	s_or_b32 exec_lo, exec_lo, s66
.LBB58_502:
	s_or_b32 exec_lo, exec_lo, s8
	v_mov_b32_e32 v34, 0
	ds_read_b128 v[34:37], v34 offset:80
	s_waitcnt lgkmcnt(0)
	v_mul_f64 v[38:39], v[3:4], v[36:37]
	v_mul_f64 v[36:37], v[1:2], v[36:37]
	v_fma_f64 v[1:2], v[1:2], v[34:35], -v[38:39]
	v_fma_f64 v[3:4], v[3:4], v[34:35], v[36:37]
	buffer_store_dword v2, off, s[0:3], 0 offset:84
	buffer_store_dword v1, off, s[0:3], 0 offset:80
	;; [unrolled: 1-line block ×4, first 2 shown]
.LBB58_503:
	s_or_b32 exec_lo, exec_lo, s4
	v_mov_b32_e32 v4, s60
	s_mov_b32 s4, exec_lo
	s_clause 0x3
	buffer_load_dword v1, v4, s[0:3], 0 offen
	buffer_load_dword v2, v4, s[0:3], 0 offen offset:4
	buffer_load_dword v3, v4, s[0:3], 0 offen offset:8
	;; [unrolled: 1-line block ×3, first 2 shown]
	s_waitcnt vmcnt(0)
	ds_write_b128 v32, v[1:4]
	s_waitcnt lgkmcnt(0)
	s_waitcnt_vscnt null, 0x0
	s_barrier
	buffer_gl0_inv
	v_cmpx_gt_u32_e32 6, v0
	s_cbranch_execz .LBB58_511
; %bb.504:
	ds_read_b128 v[1:4], v32
	v_cmp_ne_u32_e32 vcc_lo, 1, v33
	s_cbranch_vccnz .LBB58_506
; %bb.505:
	s_clause 0x3
	buffer_load_dword v34, v31, s[0:3], 0 offen offset:8
	buffer_load_dword v35, v31, s[0:3], 0 offen offset:12
	buffer_load_dword v36, v31, s[0:3], 0 offen
	buffer_load_dword v37, v31, s[0:3], 0 offen offset:4
	s_waitcnt vmcnt(2) lgkmcnt(0)
	v_mul_f64 v[38:39], v[3:4], v[34:35]
	v_mul_f64 v[34:35], v[1:2], v[34:35]
	s_waitcnt vmcnt(0)
	v_fma_f64 v[1:2], v[1:2], v[36:37], -v[38:39]
	v_fma_f64 v[3:4], v[3:4], v[36:37], v[34:35]
.LBB58_506:
	s_mov_b32 s8, exec_lo
	v_cmpx_ne_u32_e32 5, v0
	s_cbranch_execz .LBB58_510
; %bb.507:
	v_add_nc_u32_e32 v34, 0x3c0, v133
	v_add3_u32 v35, 0, v133, 16
	v_mov_b32_e32 v36, v0
	s_mov_b32 s66, 0
	.p2align	6
.LBB58_508:                             ; =>This Inner Loop Header: Depth=1
	s_clause 0x3
	buffer_load_dword v134, v35, s[0:3], 0 offen offset:8
	buffer_load_dword v135, v35, s[0:3], 0 offen offset:12
	buffer_load_dword v136, v35, s[0:3], 0 offen
	buffer_load_dword v137, v35, s[0:3], 0 offen offset:4
	ds_read_b128 v[37:40], v34
	v_add_nc_u32_e32 v36, 1, v36
	v_add_nc_u32_e32 v34, 16, v34
	;; [unrolled: 1-line block ×3, first 2 shown]
	v_cmp_lt_u32_e32 vcc_lo, 4, v36
	s_or_b32 s66, vcc_lo, s66
	s_waitcnt vmcnt(2) lgkmcnt(0)
	v_mul_f64 v[138:139], v[39:40], v[134:135]
	v_mul_f64 v[134:135], v[37:38], v[134:135]
	s_waitcnt vmcnt(0)
	v_fma_f64 v[37:38], v[37:38], v[136:137], -v[138:139]
	v_fma_f64 v[39:40], v[39:40], v[136:137], v[134:135]
	v_add_f64 v[1:2], v[1:2], v[37:38]
	v_add_f64 v[3:4], v[3:4], v[39:40]
	s_andn2_b32 exec_lo, exec_lo, s66
	s_cbranch_execnz .LBB58_508
; %bb.509:
	s_or_b32 exec_lo, exec_lo, s66
.LBB58_510:
	s_or_b32 exec_lo, exec_lo, s8
	v_mov_b32_e32 v34, 0
	ds_read_b128 v[34:37], v34 offset:96
	s_waitcnt lgkmcnt(0)
	v_mul_f64 v[38:39], v[3:4], v[36:37]
	v_mul_f64 v[36:37], v[1:2], v[36:37]
	v_fma_f64 v[1:2], v[1:2], v[34:35], -v[38:39]
	v_fma_f64 v[3:4], v[3:4], v[34:35], v[36:37]
	buffer_store_dword v2, off, s[0:3], 0 offset:100
	buffer_store_dword v1, off, s[0:3], 0 offset:96
	buffer_store_dword v4, off, s[0:3], 0 offset:108
	buffer_store_dword v3, off, s[0:3], 0 offset:104
.LBB58_511:
	s_or_b32 exec_lo, exec_lo, s4
	v_mov_b32_e32 v4, s59
	s_mov_b32 s4, exec_lo
	s_clause 0x3
	buffer_load_dword v1, v4, s[0:3], 0 offen
	buffer_load_dword v2, v4, s[0:3], 0 offen offset:4
	buffer_load_dword v3, v4, s[0:3], 0 offen offset:8
	;; [unrolled: 1-line block ×3, first 2 shown]
	s_waitcnt vmcnt(0)
	ds_write_b128 v32, v[1:4]
	s_waitcnt lgkmcnt(0)
	s_waitcnt_vscnt null, 0x0
	s_barrier
	buffer_gl0_inv
	v_cmpx_gt_u32_e32 7, v0
	s_cbranch_execz .LBB58_519
; %bb.512:
	ds_read_b128 v[1:4], v32
	v_cmp_ne_u32_e32 vcc_lo, 1, v33
	s_cbranch_vccnz .LBB58_514
; %bb.513:
	s_clause 0x3
	buffer_load_dword v34, v31, s[0:3], 0 offen offset:8
	buffer_load_dword v35, v31, s[0:3], 0 offen offset:12
	buffer_load_dword v36, v31, s[0:3], 0 offen
	buffer_load_dword v37, v31, s[0:3], 0 offen offset:4
	s_waitcnt vmcnt(2) lgkmcnt(0)
	v_mul_f64 v[38:39], v[3:4], v[34:35]
	v_mul_f64 v[34:35], v[1:2], v[34:35]
	s_waitcnt vmcnt(0)
	v_fma_f64 v[1:2], v[1:2], v[36:37], -v[38:39]
	v_fma_f64 v[3:4], v[3:4], v[36:37], v[34:35]
.LBB58_514:
	s_mov_b32 s8, exec_lo
	v_cmpx_ne_u32_e32 6, v0
	s_cbranch_execz .LBB58_518
; %bb.515:
	v_add_nc_u32_e32 v34, 0x3c0, v133
	v_add3_u32 v35, 0, v133, 16
	v_mov_b32_e32 v36, v0
	s_mov_b32 s66, 0
	.p2align	6
.LBB58_516:                             ; =>This Inner Loop Header: Depth=1
	s_clause 0x3
	buffer_load_dword v134, v35, s[0:3], 0 offen offset:8
	buffer_load_dword v135, v35, s[0:3], 0 offen offset:12
	buffer_load_dword v136, v35, s[0:3], 0 offen
	buffer_load_dword v137, v35, s[0:3], 0 offen offset:4
	ds_read_b128 v[37:40], v34
	v_add_nc_u32_e32 v36, 1, v36
	v_add_nc_u32_e32 v34, 16, v34
	;; [unrolled: 1-line block ×3, first 2 shown]
	v_cmp_lt_u32_e32 vcc_lo, 5, v36
	s_or_b32 s66, vcc_lo, s66
	s_waitcnt vmcnt(2) lgkmcnt(0)
	v_mul_f64 v[138:139], v[39:40], v[134:135]
	v_mul_f64 v[134:135], v[37:38], v[134:135]
	s_waitcnt vmcnt(0)
	v_fma_f64 v[37:38], v[37:38], v[136:137], -v[138:139]
	v_fma_f64 v[39:40], v[39:40], v[136:137], v[134:135]
	v_add_f64 v[1:2], v[1:2], v[37:38]
	v_add_f64 v[3:4], v[3:4], v[39:40]
	s_andn2_b32 exec_lo, exec_lo, s66
	s_cbranch_execnz .LBB58_516
; %bb.517:
	s_or_b32 exec_lo, exec_lo, s66
.LBB58_518:
	s_or_b32 exec_lo, exec_lo, s8
	v_mov_b32_e32 v34, 0
	ds_read_b128 v[34:37], v34 offset:112
	s_waitcnt lgkmcnt(0)
	v_mul_f64 v[38:39], v[3:4], v[36:37]
	v_mul_f64 v[36:37], v[1:2], v[36:37]
	v_fma_f64 v[1:2], v[1:2], v[34:35], -v[38:39]
	v_fma_f64 v[3:4], v[3:4], v[34:35], v[36:37]
	buffer_store_dword v2, off, s[0:3], 0 offset:116
	buffer_store_dword v1, off, s[0:3], 0 offset:112
	;; [unrolled: 1-line block ×4, first 2 shown]
.LBB58_519:
	s_or_b32 exec_lo, exec_lo, s4
	v_mov_b32_e32 v4, s58
	s_mov_b32 s4, exec_lo
	s_clause 0x3
	buffer_load_dword v1, v4, s[0:3], 0 offen
	buffer_load_dword v2, v4, s[0:3], 0 offen offset:4
	buffer_load_dword v3, v4, s[0:3], 0 offen offset:8
	;; [unrolled: 1-line block ×3, first 2 shown]
	s_waitcnt vmcnt(0)
	ds_write_b128 v32, v[1:4]
	s_waitcnt lgkmcnt(0)
	s_waitcnt_vscnt null, 0x0
	s_barrier
	buffer_gl0_inv
	v_cmpx_gt_u32_e32 8, v0
	s_cbranch_execz .LBB58_527
; %bb.520:
	ds_read_b128 v[1:4], v32
	v_cmp_ne_u32_e32 vcc_lo, 1, v33
	s_cbranch_vccnz .LBB58_522
; %bb.521:
	s_clause 0x3
	buffer_load_dword v34, v31, s[0:3], 0 offen offset:8
	buffer_load_dword v35, v31, s[0:3], 0 offen offset:12
	buffer_load_dword v36, v31, s[0:3], 0 offen
	buffer_load_dword v37, v31, s[0:3], 0 offen offset:4
	s_waitcnt vmcnt(2) lgkmcnt(0)
	v_mul_f64 v[38:39], v[3:4], v[34:35]
	v_mul_f64 v[34:35], v[1:2], v[34:35]
	s_waitcnt vmcnt(0)
	v_fma_f64 v[1:2], v[1:2], v[36:37], -v[38:39]
	v_fma_f64 v[3:4], v[3:4], v[36:37], v[34:35]
.LBB58_522:
	s_mov_b32 s8, exec_lo
	v_cmpx_ne_u32_e32 7, v0
	s_cbranch_execz .LBB58_526
; %bb.523:
	v_add_nc_u32_e32 v34, 0x3c0, v133
	v_add3_u32 v35, 0, v133, 16
	v_mov_b32_e32 v36, v0
	s_mov_b32 s66, 0
	.p2align	6
.LBB58_524:                             ; =>This Inner Loop Header: Depth=1
	s_clause 0x3
	buffer_load_dword v134, v35, s[0:3], 0 offen offset:8
	buffer_load_dword v135, v35, s[0:3], 0 offen offset:12
	buffer_load_dword v136, v35, s[0:3], 0 offen
	buffer_load_dword v137, v35, s[0:3], 0 offen offset:4
	ds_read_b128 v[37:40], v34
	v_add_nc_u32_e32 v36, 1, v36
	v_add_nc_u32_e32 v34, 16, v34
	;; [unrolled: 1-line block ×3, first 2 shown]
	v_cmp_lt_u32_e32 vcc_lo, 6, v36
	s_or_b32 s66, vcc_lo, s66
	s_waitcnt vmcnt(2) lgkmcnt(0)
	v_mul_f64 v[138:139], v[39:40], v[134:135]
	v_mul_f64 v[134:135], v[37:38], v[134:135]
	s_waitcnt vmcnt(0)
	v_fma_f64 v[37:38], v[37:38], v[136:137], -v[138:139]
	v_fma_f64 v[39:40], v[39:40], v[136:137], v[134:135]
	v_add_f64 v[1:2], v[1:2], v[37:38]
	v_add_f64 v[3:4], v[3:4], v[39:40]
	s_andn2_b32 exec_lo, exec_lo, s66
	s_cbranch_execnz .LBB58_524
; %bb.525:
	s_or_b32 exec_lo, exec_lo, s66
.LBB58_526:
	s_or_b32 exec_lo, exec_lo, s8
	v_mov_b32_e32 v34, 0
	ds_read_b128 v[34:37], v34 offset:128
	s_waitcnt lgkmcnt(0)
	v_mul_f64 v[38:39], v[3:4], v[36:37]
	v_mul_f64 v[36:37], v[1:2], v[36:37]
	v_fma_f64 v[1:2], v[1:2], v[34:35], -v[38:39]
	v_fma_f64 v[3:4], v[3:4], v[34:35], v[36:37]
	buffer_store_dword v2, off, s[0:3], 0 offset:132
	buffer_store_dword v1, off, s[0:3], 0 offset:128
	buffer_store_dword v4, off, s[0:3], 0 offset:140
	buffer_store_dword v3, off, s[0:3], 0 offset:136
.LBB58_527:
	s_or_b32 exec_lo, exec_lo, s4
	v_mov_b32_e32 v4, s57
	s_mov_b32 s4, exec_lo
	s_clause 0x3
	buffer_load_dword v1, v4, s[0:3], 0 offen
	buffer_load_dword v2, v4, s[0:3], 0 offen offset:4
	buffer_load_dword v3, v4, s[0:3], 0 offen offset:8
	;; [unrolled: 1-line block ×3, first 2 shown]
	s_waitcnt vmcnt(0)
	ds_write_b128 v32, v[1:4]
	s_waitcnt lgkmcnt(0)
	s_waitcnt_vscnt null, 0x0
	s_barrier
	buffer_gl0_inv
	v_cmpx_gt_u32_e32 9, v0
	s_cbranch_execz .LBB58_535
; %bb.528:
	ds_read_b128 v[1:4], v32
	v_cmp_ne_u32_e32 vcc_lo, 1, v33
	s_cbranch_vccnz .LBB58_530
; %bb.529:
	s_clause 0x3
	buffer_load_dword v34, v31, s[0:3], 0 offen offset:8
	buffer_load_dword v35, v31, s[0:3], 0 offen offset:12
	buffer_load_dword v36, v31, s[0:3], 0 offen
	buffer_load_dword v37, v31, s[0:3], 0 offen offset:4
	s_waitcnt vmcnt(2) lgkmcnt(0)
	v_mul_f64 v[38:39], v[3:4], v[34:35]
	v_mul_f64 v[34:35], v[1:2], v[34:35]
	s_waitcnt vmcnt(0)
	v_fma_f64 v[1:2], v[1:2], v[36:37], -v[38:39]
	v_fma_f64 v[3:4], v[3:4], v[36:37], v[34:35]
.LBB58_530:
	s_mov_b32 s8, exec_lo
	v_cmpx_ne_u32_e32 8, v0
	s_cbranch_execz .LBB58_534
; %bb.531:
	v_add_nc_u32_e32 v34, 0x3c0, v133
	v_add3_u32 v35, 0, v133, 16
	v_mov_b32_e32 v36, v0
	s_mov_b32 s66, 0
	.p2align	6
.LBB58_532:                             ; =>This Inner Loop Header: Depth=1
	s_clause 0x3
	buffer_load_dword v134, v35, s[0:3], 0 offen offset:8
	buffer_load_dword v135, v35, s[0:3], 0 offen offset:12
	buffer_load_dword v136, v35, s[0:3], 0 offen
	buffer_load_dword v137, v35, s[0:3], 0 offen offset:4
	ds_read_b128 v[37:40], v34
	v_add_nc_u32_e32 v36, 1, v36
	v_add_nc_u32_e32 v34, 16, v34
	;; [unrolled: 1-line block ×3, first 2 shown]
	v_cmp_lt_u32_e32 vcc_lo, 7, v36
	s_or_b32 s66, vcc_lo, s66
	s_waitcnt vmcnt(2) lgkmcnt(0)
	v_mul_f64 v[138:139], v[39:40], v[134:135]
	v_mul_f64 v[134:135], v[37:38], v[134:135]
	s_waitcnt vmcnt(0)
	v_fma_f64 v[37:38], v[37:38], v[136:137], -v[138:139]
	v_fma_f64 v[39:40], v[39:40], v[136:137], v[134:135]
	v_add_f64 v[1:2], v[1:2], v[37:38]
	v_add_f64 v[3:4], v[3:4], v[39:40]
	s_andn2_b32 exec_lo, exec_lo, s66
	s_cbranch_execnz .LBB58_532
; %bb.533:
	s_or_b32 exec_lo, exec_lo, s66
.LBB58_534:
	s_or_b32 exec_lo, exec_lo, s8
	v_mov_b32_e32 v34, 0
	ds_read_b128 v[34:37], v34 offset:144
	s_waitcnt lgkmcnt(0)
	v_mul_f64 v[38:39], v[3:4], v[36:37]
	v_mul_f64 v[36:37], v[1:2], v[36:37]
	v_fma_f64 v[1:2], v[1:2], v[34:35], -v[38:39]
	v_fma_f64 v[3:4], v[3:4], v[34:35], v[36:37]
	buffer_store_dword v2, off, s[0:3], 0 offset:148
	buffer_store_dword v1, off, s[0:3], 0 offset:144
	;; [unrolled: 1-line block ×4, first 2 shown]
.LBB58_535:
	s_or_b32 exec_lo, exec_lo, s4
	v_mov_b32_e32 v4, s56
	s_mov_b32 s4, exec_lo
	s_clause 0x3
	buffer_load_dword v1, v4, s[0:3], 0 offen
	buffer_load_dword v2, v4, s[0:3], 0 offen offset:4
	buffer_load_dword v3, v4, s[0:3], 0 offen offset:8
	;; [unrolled: 1-line block ×3, first 2 shown]
	s_waitcnt vmcnt(0)
	ds_write_b128 v32, v[1:4]
	s_waitcnt lgkmcnt(0)
	s_waitcnt_vscnt null, 0x0
	s_barrier
	buffer_gl0_inv
	v_cmpx_gt_u32_e32 10, v0
	s_cbranch_execz .LBB58_543
; %bb.536:
	ds_read_b128 v[1:4], v32
	v_cmp_ne_u32_e32 vcc_lo, 1, v33
	s_cbranch_vccnz .LBB58_538
; %bb.537:
	s_clause 0x3
	buffer_load_dword v34, v31, s[0:3], 0 offen offset:8
	buffer_load_dword v35, v31, s[0:3], 0 offen offset:12
	buffer_load_dword v36, v31, s[0:3], 0 offen
	buffer_load_dword v37, v31, s[0:3], 0 offen offset:4
	s_waitcnt vmcnt(2) lgkmcnt(0)
	v_mul_f64 v[38:39], v[3:4], v[34:35]
	v_mul_f64 v[34:35], v[1:2], v[34:35]
	s_waitcnt vmcnt(0)
	v_fma_f64 v[1:2], v[1:2], v[36:37], -v[38:39]
	v_fma_f64 v[3:4], v[3:4], v[36:37], v[34:35]
.LBB58_538:
	s_mov_b32 s8, exec_lo
	v_cmpx_ne_u32_e32 9, v0
	s_cbranch_execz .LBB58_542
; %bb.539:
	v_add_nc_u32_e32 v34, 0x3c0, v133
	v_add3_u32 v35, 0, v133, 16
	v_mov_b32_e32 v36, v0
	s_mov_b32 s66, 0
	.p2align	6
.LBB58_540:                             ; =>This Inner Loop Header: Depth=1
	s_clause 0x3
	buffer_load_dword v134, v35, s[0:3], 0 offen offset:8
	buffer_load_dword v135, v35, s[0:3], 0 offen offset:12
	buffer_load_dword v136, v35, s[0:3], 0 offen
	buffer_load_dword v137, v35, s[0:3], 0 offen offset:4
	ds_read_b128 v[37:40], v34
	v_add_nc_u32_e32 v36, 1, v36
	v_add_nc_u32_e32 v34, 16, v34
	;; [unrolled: 1-line block ×3, first 2 shown]
	v_cmp_lt_u32_e32 vcc_lo, 8, v36
	s_or_b32 s66, vcc_lo, s66
	s_waitcnt vmcnt(2) lgkmcnt(0)
	v_mul_f64 v[138:139], v[39:40], v[134:135]
	v_mul_f64 v[134:135], v[37:38], v[134:135]
	s_waitcnt vmcnt(0)
	v_fma_f64 v[37:38], v[37:38], v[136:137], -v[138:139]
	v_fma_f64 v[39:40], v[39:40], v[136:137], v[134:135]
	v_add_f64 v[1:2], v[1:2], v[37:38]
	v_add_f64 v[3:4], v[3:4], v[39:40]
	s_andn2_b32 exec_lo, exec_lo, s66
	s_cbranch_execnz .LBB58_540
; %bb.541:
	s_or_b32 exec_lo, exec_lo, s66
.LBB58_542:
	s_or_b32 exec_lo, exec_lo, s8
	v_mov_b32_e32 v34, 0
	ds_read_b128 v[34:37], v34 offset:160
	s_waitcnt lgkmcnt(0)
	v_mul_f64 v[38:39], v[3:4], v[36:37]
	v_mul_f64 v[36:37], v[1:2], v[36:37]
	v_fma_f64 v[1:2], v[1:2], v[34:35], -v[38:39]
	v_fma_f64 v[3:4], v[3:4], v[34:35], v[36:37]
	buffer_store_dword v2, off, s[0:3], 0 offset:164
	buffer_store_dword v1, off, s[0:3], 0 offset:160
	;; [unrolled: 1-line block ×4, first 2 shown]
.LBB58_543:
	s_or_b32 exec_lo, exec_lo, s4
	v_mov_b32_e32 v4, s55
	s_mov_b32 s4, exec_lo
	s_clause 0x3
	buffer_load_dword v1, v4, s[0:3], 0 offen
	buffer_load_dword v2, v4, s[0:3], 0 offen offset:4
	buffer_load_dword v3, v4, s[0:3], 0 offen offset:8
	;; [unrolled: 1-line block ×3, first 2 shown]
	s_waitcnt vmcnt(0)
	ds_write_b128 v32, v[1:4]
	s_waitcnt lgkmcnt(0)
	s_waitcnt_vscnt null, 0x0
	s_barrier
	buffer_gl0_inv
	v_cmpx_gt_u32_e32 11, v0
	s_cbranch_execz .LBB58_551
; %bb.544:
	ds_read_b128 v[1:4], v32
	v_cmp_ne_u32_e32 vcc_lo, 1, v33
	s_cbranch_vccnz .LBB58_546
; %bb.545:
	s_clause 0x3
	buffer_load_dword v34, v31, s[0:3], 0 offen offset:8
	buffer_load_dword v35, v31, s[0:3], 0 offen offset:12
	buffer_load_dword v36, v31, s[0:3], 0 offen
	buffer_load_dword v37, v31, s[0:3], 0 offen offset:4
	s_waitcnt vmcnt(2) lgkmcnt(0)
	v_mul_f64 v[38:39], v[3:4], v[34:35]
	v_mul_f64 v[34:35], v[1:2], v[34:35]
	s_waitcnt vmcnt(0)
	v_fma_f64 v[1:2], v[1:2], v[36:37], -v[38:39]
	v_fma_f64 v[3:4], v[3:4], v[36:37], v[34:35]
.LBB58_546:
	s_mov_b32 s8, exec_lo
	v_cmpx_ne_u32_e32 10, v0
	s_cbranch_execz .LBB58_550
; %bb.547:
	v_add_nc_u32_e32 v34, 0x3c0, v133
	v_add3_u32 v35, 0, v133, 16
	v_mov_b32_e32 v36, v0
	s_mov_b32 s66, 0
	.p2align	6
.LBB58_548:                             ; =>This Inner Loop Header: Depth=1
	s_clause 0x3
	buffer_load_dword v134, v35, s[0:3], 0 offen offset:8
	buffer_load_dword v135, v35, s[0:3], 0 offen offset:12
	buffer_load_dword v136, v35, s[0:3], 0 offen
	buffer_load_dword v137, v35, s[0:3], 0 offen offset:4
	ds_read_b128 v[37:40], v34
	v_add_nc_u32_e32 v36, 1, v36
	v_add_nc_u32_e32 v34, 16, v34
	;; [unrolled: 1-line block ×3, first 2 shown]
	v_cmp_lt_u32_e32 vcc_lo, 9, v36
	s_or_b32 s66, vcc_lo, s66
	s_waitcnt vmcnt(2) lgkmcnt(0)
	v_mul_f64 v[138:139], v[39:40], v[134:135]
	v_mul_f64 v[134:135], v[37:38], v[134:135]
	s_waitcnt vmcnt(0)
	v_fma_f64 v[37:38], v[37:38], v[136:137], -v[138:139]
	v_fma_f64 v[39:40], v[39:40], v[136:137], v[134:135]
	v_add_f64 v[1:2], v[1:2], v[37:38]
	v_add_f64 v[3:4], v[3:4], v[39:40]
	s_andn2_b32 exec_lo, exec_lo, s66
	s_cbranch_execnz .LBB58_548
; %bb.549:
	s_or_b32 exec_lo, exec_lo, s66
.LBB58_550:
	s_or_b32 exec_lo, exec_lo, s8
	v_mov_b32_e32 v34, 0
	ds_read_b128 v[34:37], v34 offset:176
	s_waitcnt lgkmcnt(0)
	v_mul_f64 v[38:39], v[3:4], v[36:37]
	v_mul_f64 v[36:37], v[1:2], v[36:37]
	v_fma_f64 v[1:2], v[1:2], v[34:35], -v[38:39]
	v_fma_f64 v[3:4], v[3:4], v[34:35], v[36:37]
	buffer_store_dword v2, off, s[0:3], 0 offset:180
	buffer_store_dword v1, off, s[0:3], 0 offset:176
	;; [unrolled: 1-line block ×4, first 2 shown]
.LBB58_551:
	s_or_b32 exec_lo, exec_lo, s4
	v_mov_b32_e32 v4, s54
	s_mov_b32 s4, exec_lo
	s_clause 0x3
	buffer_load_dword v1, v4, s[0:3], 0 offen
	buffer_load_dword v2, v4, s[0:3], 0 offen offset:4
	buffer_load_dword v3, v4, s[0:3], 0 offen offset:8
	;; [unrolled: 1-line block ×3, first 2 shown]
	s_waitcnt vmcnt(0)
	ds_write_b128 v32, v[1:4]
	s_waitcnt lgkmcnt(0)
	s_waitcnt_vscnt null, 0x0
	s_barrier
	buffer_gl0_inv
	v_cmpx_gt_u32_e32 12, v0
	s_cbranch_execz .LBB58_559
; %bb.552:
	ds_read_b128 v[1:4], v32
	v_cmp_ne_u32_e32 vcc_lo, 1, v33
	s_cbranch_vccnz .LBB58_554
; %bb.553:
	s_clause 0x3
	buffer_load_dword v34, v31, s[0:3], 0 offen offset:8
	buffer_load_dword v35, v31, s[0:3], 0 offen offset:12
	buffer_load_dword v36, v31, s[0:3], 0 offen
	buffer_load_dword v37, v31, s[0:3], 0 offen offset:4
	s_waitcnt vmcnt(2) lgkmcnt(0)
	v_mul_f64 v[38:39], v[3:4], v[34:35]
	v_mul_f64 v[34:35], v[1:2], v[34:35]
	s_waitcnt vmcnt(0)
	v_fma_f64 v[1:2], v[1:2], v[36:37], -v[38:39]
	v_fma_f64 v[3:4], v[3:4], v[36:37], v[34:35]
.LBB58_554:
	s_mov_b32 s8, exec_lo
	v_cmpx_ne_u32_e32 11, v0
	s_cbranch_execz .LBB58_558
; %bb.555:
	v_add_nc_u32_e32 v34, 0x3c0, v133
	v_add3_u32 v35, 0, v133, 16
	v_mov_b32_e32 v36, v0
	s_mov_b32 s66, 0
	.p2align	6
.LBB58_556:                             ; =>This Inner Loop Header: Depth=1
	s_clause 0x3
	buffer_load_dword v134, v35, s[0:3], 0 offen offset:8
	buffer_load_dword v135, v35, s[0:3], 0 offen offset:12
	buffer_load_dword v136, v35, s[0:3], 0 offen
	buffer_load_dword v137, v35, s[0:3], 0 offen offset:4
	ds_read_b128 v[37:40], v34
	v_add_nc_u32_e32 v36, 1, v36
	v_add_nc_u32_e32 v34, 16, v34
	;; [unrolled: 1-line block ×3, first 2 shown]
	v_cmp_lt_u32_e32 vcc_lo, 10, v36
	s_or_b32 s66, vcc_lo, s66
	s_waitcnt vmcnt(2) lgkmcnt(0)
	v_mul_f64 v[138:139], v[39:40], v[134:135]
	v_mul_f64 v[134:135], v[37:38], v[134:135]
	s_waitcnt vmcnt(0)
	v_fma_f64 v[37:38], v[37:38], v[136:137], -v[138:139]
	v_fma_f64 v[39:40], v[39:40], v[136:137], v[134:135]
	v_add_f64 v[1:2], v[1:2], v[37:38]
	v_add_f64 v[3:4], v[3:4], v[39:40]
	s_andn2_b32 exec_lo, exec_lo, s66
	s_cbranch_execnz .LBB58_556
; %bb.557:
	s_or_b32 exec_lo, exec_lo, s66
.LBB58_558:
	s_or_b32 exec_lo, exec_lo, s8
	v_mov_b32_e32 v34, 0
	ds_read_b128 v[34:37], v34 offset:192
	s_waitcnt lgkmcnt(0)
	v_mul_f64 v[38:39], v[3:4], v[36:37]
	v_mul_f64 v[36:37], v[1:2], v[36:37]
	v_fma_f64 v[1:2], v[1:2], v[34:35], -v[38:39]
	v_fma_f64 v[3:4], v[3:4], v[34:35], v[36:37]
	buffer_store_dword v2, off, s[0:3], 0 offset:196
	buffer_store_dword v1, off, s[0:3], 0 offset:192
	;; [unrolled: 1-line block ×4, first 2 shown]
.LBB58_559:
	s_or_b32 exec_lo, exec_lo, s4
	v_mov_b32_e32 v4, s53
	s_mov_b32 s4, exec_lo
	s_clause 0x3
	buffer_load_dword v1, v4, s[0:3], 0 offen
	buffer_load_dword v2, v4, s[0:3], 0 offen offset:4
	buffer_load_dword v3, v4, s[0:3], 0 offen offset:8
	;; [unrolled: 1-line block ×3, first 2 shown]
	s_waitcnt vmcnt(0)
	ds_write_b128 v32, v[1:4]
	s_waitcnt lgkmcnt(0)
	s_waitcnt_vscnt null, 0x0
	s_barrier
	buffer_gl0_inv
	v_cmpx_gt_u32_e32 13, v0
	s_cbranch_execz .LBB58_567
; %bb.560:
	ds_read_b128 v[1:4], v32
	v_cmp_ne_u32_e32 vcc_lo, 1, v33
	s_cbranch_vccnz .LBB58_562
; %bb.561:
	s_clause 0x3
	buffer_load_dword v34, v31, s[0:3], 0 offen offset:8
	buffer_load_dword v35, v31, s[0:3], 0 offen offset:12
	buffer_load_dword v36, v31, s[0:3], 0 offen
	buffer_load_dword v37, v31, s[0:3], 0 offen offset:4
	s_waitcnt vmcnt(2) lgkmcnt(0)
	v_mul_f64 v[38:39], v[3:4], v[34:35]
	v_mul_f64 v[34:35], v[1:2], v[34:35]
	s_waitcnt vmcnt(0)
	v_fma_f64 v[1:2], v[1:2], v[36:37], -v[38:39]
	v_fma_f64 v[3:4], v[3:4], v[36:37], v[34:35]
.LBB58_562:
	s_mov_b32 s8, exec_lo
	v_cmpx_ne_u32_e32 12, v0
	s_cbranch_execz .LBB58_566
; %bb.563:
	v_add_nc_u32_e32 v34, 0x3c0, v133
	v_add3_u32 v35, 0, v133, 16
	v_mov_b32_e32 v36, v0
	s_mov_b32 s66, 0
	.p2align	6
.LBB58_564:                             ; =>This Inner Loop Header: Depth=1
	s_clause 0x3
	buffer_load_dword v134, v35, s[0:3], 0 offen offset:8
	buffer_load_dword v135, v35, s[0:3], 0 offen offset:12
	buffer_load_dword v136, v35, s[0:3], 0 offen
	buffer_load_dword v137, v35, s[0:3], 0 offen offset:4
	ds_read_b128 v[37:40], v34
	v_add_nc_u32_e32 v36, 1, v36
	v_add_nc_u32_e32 v34, 16, v34
	;; [unrolled: 1-line block ×3, first 2 shown]
	v_cmp_lt_u32_e32 vcc_lo, 11, v36
	s_or_b32 s66, vcc_lo, s66
	s_waitcnt vmcnt(2) lgkmcnt(0)
	v_mul_f64 v[138:139], v[39:40], v[134:135]
	v_mul_f64 v[134:135], v[37:38], v[134:135]
	s_waitcnt vmcnt(0)
	v_fma_f64 v[37:38], v[37:38], v[136:137], -v[138:139]
	v_fma_f64 v[39:40], v[39:40], v[136:137], v[134:135]
	v_add_f64 v[1:2], v[1:2], v[37:38]
	v_add_f64 v[3:4], v[3:4], v[39:40]
	s_andn2_b32 exec_lo, exec_lo, s66
	s_cbranch_execnz .LBB58_564
; %bb.565:
	s_or_b32 exec_lo, exec_lo, s66
.LBB58_566:
	s_or_b32 exec_lo, exec_lo, s8
	v_mov_b32_e32 v34, 0
	ds_read_b128 v[34:37], v34 offset:208
	s_waitcnt lgkmcnt(0)
	v_mul_f64 v[38:39], v[3:4], v[36:37]
	v_mul_f64 v[36:37], v[1:2], v[36:37]
	v_fma_f64 v[1:2], v[1:2], v[34:35], -v[38:39]
	v_fma_f64 v[3:4], v[3:4], v[34:35], v[36:37]
	buffer_store_dword v2, off, s[0:3], 0 offset:212
	buffer_store_dword v1, off, s[0:3], 0 offset:208
	;; [unrolled: 1-line block ×4, first 2 shown]
.LBB58_567:
	s_or_b32 exec_lo, exec_lo, s4
	v_mov_b32_e32 v4, s52
	s_mov_b32 s4, exec_lo
	s_clause 0x3
	buffer_load_dword v1, v4, s[0:3], 0 offen
	buffer_load_dword v2, v4, s[0:3], 0 offen offset:4
	buffer_load_dword v3, v4, s[0:3], 0 offen offset:8
	;; [unrolled: 1-line block ×3, first 2 shown]
	s_waitcnt vmcnt(0)
	ds_write_b128 v32, v[1:4]
	s_waitcnt lgkmcnt(0)
	s_waitcnt_vscnt null, 0x0
	s_barrier
	buffer_gl0_inv
	v_cmpx_gt_u32_e32 14, v0
	s_cbranch_execz .LBB58_575
; %bb.568:
	ds_read_b128 v[1:4], v32
	v_cmp_ne_u32_e32 vcc_lo, 1, v33
	s_cbranch_vccnz .LBB58_570
; %bb.569:
	s_clause 0x3
	buffer_load_dword v34, v31, s[0:3], 0 offen offset:8
	buffer_load_dword v35, v31, s[0:3], 0 offen offset:12
	buffer_load_dword v36, v31, s[0:3], 0 offen
	buffer_load_dword v37, v31, s[0:3], 0 offen offset:4
	s_waitcnt vmcnt(2) lgkmcnt(0)
	v_mul_f64 v[38:39], v[3:4], v[34:35]
	v_mul_f64 v[34:35], v[1:2], v[34:35]
	s_waitcnt vmcnt(0)
	v_fma_f64 v[1:2], v[1:2], v[36:37], -v[38:39]
	v_fma_f64 v[3:4], v[3:4], v[36:37], v[34:35]
.LBB58_570:
	s_mov_b32 s8, exec_lo
	v_cmpx_ne_u32_e32 13, v0
	s_cbranch_execz .LBB58_574
; %bb.571:
	v_add_nc_u32_e32 v34, 0x3c0, v133
	v_add3_u32 v35, 0, v133, 16
	v_mov_b32_e32 v36, v0
	s_mov_b32 s66, 0
	.p2align	6
.LBB58_572:                             ; =>This Inner Loop Header: Depth=1
	s_clause 0x3
	buffer_load_dword v134, v35, s[0:3], 0 offen offset:8
	buffer_load_dword v135, v35, s[0:3], 0 offen offset:12
	buffer_load_dword v136, v35, s[0:3], 0 offen
	buffer_load_dword v137, v35, s[0:3], 0 offen offset:4
	ds_read_b128 v[37:40], v34
	v_add_nc_u32_e32 v36, 1, v36
	v_add_nc_u32_e32 v34, 16, v34
	;; [unrolled: 1-line block ×3, first 2 shown]
	v_cmp_lt_u32_e32 vcc_lo, 12, v36
	s_or_b32 s66, vcc_lo, s66
	s_waitcnt vmcnt(2) lgkmcnt(0)
	v_mul_f64 v[138:139], v[39:40], v[134:135]
	v_mul_f64 v[134:135], v[37:38], v[134:135]
	s_waitcnt vmcnt(0)
	v_fma_f64 v[37:38], v[37:38], v[136:137], -v[138:139]
	v_fma_f64 v[39:40], v[39:40], v[136:137], v[134:135]
	v_add_f64 v[1:2], v[1:2], v[37:38]
	v_add_f64 v[3:4], v[3:4], v[39:40]
	s_andn2_b32 exec_lo, exec_lo, s66
	s_cbranch_execnz .LBB58_572
; %bb.573:
	s_or_b32 exec_lo, exec_lo, s66
.LBB58_574:
	s_or_b32 exec_lo, exec_lo, s8
	v_mov_b32_e32 v34, 0
	ds_read_b128 v[34:37], v34 offset:224
	s_waitcnt lgkmcnt(0)
	v_mul_f64 v[38:39], v[3:4], v[36:37]
	v_mul_f64 v[36:37], v[1:2], v[36:37]
	v_fma_f64 v[1:2], v[1:2], v[34:35], -v[38:39]
	v_fma_f64 v[3:4], v[3:4], v[34:35], v[36:37]
	buffer_store_dword v2, off, s[0:3], 0 offset:228
	buffer_store_dword v1, off, s[0:3], 0 offset:224
	;; [unrolled: 1-line block ×4, first 2 shown]
.LBB58_575:
	s_or_b32 exec_lo, exec_lo, s4
	v_mov_b32_e32 v4, s51
	s_mov_b32 s4, exec_lo
	s_clause 0x3
	buffer_load_dword v1, v4, s[0:3], 0 offen
	buffer_load_dword v2, v4, s[0:3], 0 offen offset:4
	buffer_load_dword v3, v4, s[0:3], 0 offen offset:8
	;; [unrolled: 1-line block ×3, first 2 shown]
	s_waitcnt vmcnt(0)
	ds_write_b128 v32, v[1:4]
	s_waitcnt lgkmcnt(0)
	s_waitcnt_vscnt null, 0x0
	s_barrier
	buffer_gl0_inv
	v_cmpx_gt_u32_e32 15, v0
	s_cbranch_execz .LBB58_583
; %bb.576:
	ds_read_b128 v[1:4], v32
	v_cmp_ne_u32_e32 vcc_lo, 1, v33
	s_cbranch_vccnz .LBB58_578
; %bb.577:
	s_clause 0x3
	buffer_load_dword v34, v31, s[0:3], 0 offen offset:8
	buffer_load_dword v35, v31, s[0:3], 0 offen offset:12
	buffer_load_dword v36, v31, s[0:3], 0 offen
	buffer_load_dword v37, v31, s[0:3], 0 offen offset:4
	s_waitcnt vmcnt(2) lgkmcnt(0)
	v_mul_f64 v[38:39], v[3:4], v[34:35]
	v_mul_f64 v[34:35], v[1:2], v[34:35]
	s_waitcnt vmcnt(0)
	v_fma_f64 v[1:2], v[1:2], v[36:37], -v[38:39]
	v_fma_f64 v[3:4], v[3:4], v[36:37], v[34:35]
.LBB58_578:
	s_mov_b32 s8, exec_lo
	v_cmpx_ne_u32_e32 14, v0
	s_cbranch_execz .LBB58_582
; %bb.579:
	v_add_nc_u32_e32 v34, 0x3c0, v133
	v_add3_u32 v35, 0, v133, 16
	v_mov_b32_e32 v36, v0
	s_mov_b32 s66, 0
	.p2align	6
.LBB58_580:                             ; =>This Inner Loop Header: Depth=1
	s_clause 0x3
	buffer_load_dword v134, v35, s[0:3], 0 offen offset:8
	buffer_load_dword v135, v35, s[0:3], 0 offen offset:12
	buffer_load_dword v136, v35, s[0:3], 0 offen
	buffer_load_dword v137, v35, s[0:3], 0 offen offset:4
	ds_read_b128 v[37:40], v34
	v_add_nc_u32_e32 v36, 1, v36
	v_add_nc_u32_e32 v34, 16, v34
	;; [unrolled: 1-line block ×3, first 2 shown]
	v_cmp_lt_u32_e32 vcc_lo, 13, v36
	s_or_b32 s66, vcc_lo, s66
	s_waitcnt vmcnt(2) lgkmcnt(0)
	v_mul_f64 v[138:139], v[39:40], v[134:135]
	v_mul_f64 v[134:135], v[37:38], v[134:135]
	s_waitcnt vmcnt(0)
	v_fma_f64 v[37:38], v[37:38], v[136:137], -v[138:139]
	v_fma_f64 v[39:40], v[39:40], v[136:137], v[134:135]
	v_add_f64 v[1:2], v[1:2], v[37:38]
	v_add_f64 v[3:4], v[3:4], v[39:40]
	s_andn2_b32 exec_lo, exec_lo, s66
	s_cbranch_execnz .LBB58_580
; %bb.581:
	s_or_b32 exec_lo, exec_lo, s66
.LBB58_582:
	s_or_b32 exec_lo, exec_lo, s8
	v_mov_b32_e32 v34, 0
	ds_read_b128 v[34:37], v34 offset:240
	s_waitcnt lgkmcnt(0)
	v_mul_f64 v[38:39], v[3:4], v[36:37]
	v_mul_f64 v[36:37], v[1:2], v[36:37]
	v_fma_f64 v[1:2], v[1:2], v[34:35], -v[38:39]
	v_fma_f64 v[3:4], v[3:4], v[34:35], v[36:37]
	buffer_store_dword v2, off, s[0:3], 0 offset:244
	buffer_store_dword v1, off, s[0:3], 0 offset:240
	;; [unrolled: 1-line block ×4, first 2 shown]
.LBB58_583:
	s_or_b32 exec_lo, exec_lo, s4
	v_mov_b32_e32 v4, s50
	s_mov_b32 s4, exec_lo
	s_clause 0x3
	buffer_load_dword v1, v4, s[0:3], 0 offen
	buffer_load_dword v2, v4, s[0:3], 0 offen offset:4
	buffer_load_dword v3, v4, s[0:3], 0 offen offset:8
	;; [unrolled: 1-line block ×3, first 2 shown]
	s_waitcnt vmcnt(0)
	ds_write_b128 v32, v[1:4]
	s_waitcnt lgkmcnt(0)
	s_waitcnt_vscnt null, 0x0
	s_barrier
	buffer_gl0_inv
	v_cmpx_gt_u32_e32 16, v0
	s_cbranch_execz .LBB58_591
; %bb.584:
	ds_read_b128 v[1:4], v32
	v_cmp_ne_u32_e32 vcc_lo, 1, v33
	s_cbranch_vccnz .LBB58_586
; %bb.585:
	s_clause 0x3
	buffer_load_dword v34, v31, s[0:3], 0 offen offset:8
	buffer_load_dword v35, v31, s[0:3], 0 offen offset:12
	buffer_load_dword v36, v31, s[0:3], 0 offen
	buffer_load_dword v37, v31, s[0:3], 0 offen offset:4
	s_waitcnt vmcnt(2) lgkmcnt(0)
	v_mul_f64 v[38:39], v[3:4], v[34:35]
	v_mul_f64 v[34:35], v[1:2], v[34:35]
	s_waitcnt vmcnt(0)
	v_fma_f64 v[1:2], v[1:2], v[36:37], -v[38:39]
	v_fma_f64 v[3:4], v[3:4], v[36:37], v[34:35]
.LBB58_586:
	s_mov_b32 s8, exec_lo
	v_cmpx_ne_u32_e32 15, v0
	s_cbranch_execz .LBB58_590
; %bb.587:
	v_add_nc_u32_e32 v34, 0x3c0, v133
	v_add3_u32 v35, 0, v133, 16
	v_mov_b32_e32 v36, v0
	s_mov_b32 s66, 0
	.p2align	6
.LBB58_588:                             ; =>This Inner Loop Header: Depth=1
	s_clause 0x3
	buffer_load_dword v134, v35, s[0:3], 0 offen offset:8
	buffer_load_dword v135, v35, s[0:3], 0 offen offset:12
	buffer_load_dword v136, v35, s[0:3], 0 offen
	buffer_load_dword v137, v35, s[0:3], 0 offen offset:4
	ds_read_b128 v[37:40], v34
	v_add_nc_u32_e32 v36, 1, v36
	v_add_nc_u32_e32 v34, 16, v34
	;; [unrolled: 1-line block ×3, first 2 shown]
	v_cmp_lt_u32_e32 vcc_lo, 14, v36
	s_or_b32 s66, vcc_lo, s66
	s_waitcnt vmcnt(2) lgkmcnt(0)
	v_mul_f64 v[138:139], v[39:40], v[134:135]
	v_mul_f64 v[134:135], v[37:38], v[134:135]
	s_waitcnt vmcnt(0)
	v_fma_f64 v[37:38], v[37:38], v[136:137], -v[138:139]
	v_fma_f64 v[39:40], v[39:40], v[136:137], v[134:135]
	v_add_f64 v[1:2], v[1:2], v[37:38]
	v_add_f64 v[3:4], v[3:4], v[39:40]
	s_andn2_b32 exec_lo, exec_lo, s66
	s_cbranch_execnz .LBB58_588
; %bb.589:
	s_or_b32 exec_lo, exec_lo, s66
.LBB58_590:
	s_or_b32 exec_lo, exec_lo, s8
	v_mov_b32_e32 v34, 0
	ds_read_b128 v[34:37], v34 offset:256
	s_waitcnt lgkmcnt(0)
	v_mul_f64 v[38:39], v[3:4], v[36:37]
	v_mul_f64 v[36:37], v[1:2], v[36:37]
	v_fma_f64 v[1:2], v[1:2], v[34:35], -v[38:39]
	v_fma_f64 v[3:4], v[3:4], v[34:35], v[36:37]
	buffer_store_dword v2, off, s[0:3], 0 offset:260
	buffer_store_dword v1, off, s[0:3], 0 offset:256
	;; [unrolled: 1-line block ×4, first 2 shown]
.LBB58_591:
	s_or_b32 exec_lo, exec_lo, s4
	v_mov_b32_e32 v4, s49
	s_mov_b32 s4, exec_lo
	s_clause 0x3
	buffer_load_dword v1, v4, s[0:3], 0 offen
	buffer_load_dword v2, v4, s[0:3], 0 offen offset:4
	buffer_load_dword v3, v4, s[0:3], 0 offen offset:8
	;; [unrolled: 1-line block ×3, first 2 shown]
	s_waitcnt vmcnt(0)
	ds_write_b128 v32, v[1:4]
	s_waitcnt lgkmcnt(0)
	s_waitcnt_vscnt null, 0x0
	s_barrier
	buffer_gl0_inv
	v_cmpx_gt_u32_e32 17, v0
	s_cbranch_execz .LBB58_599
; %bb.592:
	ds_read_b128 v[1:4], v32
	v_cmp_ne_u32_e32 vcc_lo, 1, v33
	s_cbranch_vccnz .LBB58_594
; %bb.593:
	s_clause 0x3
	buffer_load_dword v34, v31, s[0:3], 0 offen offset:8
	buffer_load_dword v35, v31, s[0:3], 0 offen offset:12
	buffer_load_dword v36, v31, s[0:3], 0 offen
	buffer_load_dword v37, v31, s[0:3], 0 offen offset:4
	s_waitcnt vmcnt(2) lgkmcnt(0)
	v_mul_f64 v[38:39], v[3:4], v[34:35]
	v_mul_f64 v[34:35], v[1:2], v[34:35]
	s_waitcnt vmcnt(0)
	v_fma_f64 v[1:2], v[1:2], v[36:37], -v[38:39]
	v_fma_f64 v[3:4], v[3:4], v[36:37], v[34:35]
.LBB58_594:
	s_mov_b32 s8, exec_lo
	v_cmpx_ne_u32_e32 16, v0
	s_cbranch_execz .LBB58_598
; %bb.595:
	v_add_nc_u32_e32 v34, 0x3c0, v133
	v_add3_u32 v35, 0, v133, 16
	v_mov_b32_e32 v36, v0
	s_mov_b32 s66, 0
	.p2align	6
.LBB58_596:                             ; =>This Inner Loop Header: Depth=1
	s_clause 0x3
	buffer_load_dword v134, v35, s[0:3], 0 offen offset:8
	buffer_load_dword v135, v35, s[0:3], 0 offen offset:12
	buffer_load_dword v136, v35, s[0:3], 0 offen
	buffer_load_dword v137, v35, s[0:3], 0 offen offset:4
	ds_read_b128 v[37:40], v34
	v_add_nc_u32_e32 v36, 1, v36
	v_add_nc_u32_e32 v34, 16, v34
	;; [unrolled: 1-line block ×3, first 2 shown]
	v_cmp_lt_u32_e32 vcc_lo, 15, v36
	s_or_b32 s66, vcc_lo, s66
	s_waitcnt vmcnt(2) lgkmcnt(0)
	v_mul_f64 v[138:139], v[39:40], v[134:135]
	v_mul_f64 v[134:135], v[37:38], v[134:135]
	s_waitcnt vmcnt(0)
	v_fma_f64 v[37:38], v[37:38], v[136:137], -v[138:139]
	v_fma_f64 v[39:40], v[39:40], v[136:137], v[134:135]
	v_add_f64 v[1:2], v[1:2], v[37:38]
	v_add_f64 v[3:4], v[3:4], v[39:40]
	s_andn2_b32 exec_lo, exec_lo, s66
	s_cbranch_execnz .LBB58_596
; %bb.597:
	s_or_b32 exec_lo, exec_lo, s66
.LBB58_598:
	s_or_b32 exec_lo, exec_lo, s8
	v_mov_b32_e32 v34, 0
	ds_read_b128 v[34:37], v34 offset:272
	s_waitcnt lgkmcnt(0)
	v_mul_f64 v[38:39], v[3:4], v[36:37]
	v_mul_f64 v[36:37], v[1:2], v[36:37]
	v_fma_f64 v[1:2], v[1:2], v[34:35], -v[38:39]
	v_fma_f64 v[3:4], v[3:4], v[34:35], v[36:37]
	buffer_store_dword v2, off, s[0:3], 0 offset:276
	buffer_store_dword v1, off, s[0:3], 0 offset:272
	;; [unrolled: 1-line block ×4, first 2 shown]
.LBB58_599:
	s_or_b32 exec_lo, exec_lo, s4
	v_mov_b32_e32 v4, s48
	s_mov_b32 s4, exec_lo
	s_clause 0x3
	buffer_load_dword v1, v4, s[0:3], 0 offen
	buffer_load_dword v2, v4, s[0:3], 0 offen offset:4
	buffer_load_dword v3, v4, s[0:3], 0 offen offset:8
	;; [unrolled: 1-line block ×3, first 2 shown]
	s_waitcnt vmcnt(0)
	ds_write_b128 v32, v[1:4]
	s_waitcnt lgkmcnt(0)
	s_waitcnt_vscnt null, 0x0
	s_barrier
	buffer_gl0_inv
	v_cmpx_gt_u32_e32 18, v0
	s_cbranch_execz .LBB58_607
; %bb.600:
	ds_read_b128 v[1:4], v32
	v_cmp_ne_u32_e32 vcc_lo, 1, v33
	s_cbranch_vccnz .LBB58_602
; %bb.601:
	s_clause 0x3
	buffer_load_dword v34, v31, s[0:3], 0 offen offset:8
	buffer_load_dword v35, v31, s[0:3], 0 offen offset:12
	buffer_load_dword v36, v31, s[0:3], 0 offen
	buffer_load_dword v37, v31, s[0:3], 0 offen offset:4
	s_waitcnt vmcnt(2) lgkmcnt(0)
	v_mul_f64 v[38:39], v[3:4], v[34:35]
	v_mul_f64 v[34:35], v[1:2], v[34:35]
	s_waitcnt vmcnt(0)
	v_fma_f64 v[1:2], v[1:2], v[36:37], -v[38:39]
	v_fma_f64 v[3:4], v[3:4], v[36:37], v[34:35]
.LBB58_602:
	s_mov_b32 s8, exec_lo
	v_cmpx_ne_u32_e32 17, v0
	s_cbranch_execz .LBB58_606
; %bb.603:
	v_add_nc_u32_e32 v34, 0x3c0, v133
	v_add3_u32 v35, 0, v133, 16
	v_mov_b32_e32 v36, v0
	s_mov_b32 s66, 0
	.p2align	6
.LBB58_604:                             ; =>This Inner Loop Header: Depth=1
	s_clause 0x3
	buffer_load_dword v134, v35, s[0:3], 0 offen offset:8
	buffer_load_dword v135, v35, s[0:3], 0 offen offset:12
	buffer_load_dword v136, v35, s[0:3], 0 offen
	buffer_load_dword v137, v35, s[0:3], 0 offen offset:4
	ds_read_b128 v[37:40], v34
	v_add_nc_u32_e32 v36, 1, v36
	v_add_nc_u32_e32 v34, 16, v34
	v_add_nc_u32_e32 v35, 16, v35
	v_cmp_lt_u32_e32 vcc_lo, 16, v36
	s_or_b32 s66, vcc_lo, s66
	s_waitcnt vmcnt(2) lgkmcnt(0)
	v_mul_f64 v[138:139], v[39:40], v[134:135]
	v_mul_f64 v[134:135], v[37:38], v[134:135]
	s_waitcnt vmcnt(0)
	v_fma_f64 v[37:38], v[37:38], v[136:137], -v[138:139]
	v_fma_f64 v[39:40], v[39:40], v[136:137], v[134:135]
	v_add_f64 v[1:2], v[1:2], v[37:38]
	v_add_f64 v[3:4], v[3:4], v[39:40]
	s_andn2_b32 exec_lo, exec_lo, s66
	s_cbranch_execnz .LBB58_604
; %bb.605:
	s_or_b32 exec_lo, exec_lo, s66
.LBB58_606:
	s_or_b32 exec_lo, exec_lo, s8
	v_mov_b32_e32 v34, 0
	ds_read_b128 v[34:37], v34 offset:288
	s_waitcnt lgkmcnt(0)
	v_mul_f64 v[38:39], v[3:4], v[36:37]
	v_mul_f64 v[36:37], v[1:2], v[36:37]
	v_fma_f64 v[1:2], v[1:2], v[34:35], -v[38:39]
	v_fma_f64 v[3:4], v[3:4], v[34:35], v[36:37]
	buffer_store_dword v2, off, s[0:3], 0 offset:292
	buffer_store_dword v1, off, s[0:3], 0 offset:288
	buffer_store_dword v4, off, s[0:3], 0 offset:300
	buffer_store_dword v3, off, s[0:3], 0 offset:296
.LBB58_607:
	s_or_b32 exec_lo, exec_lo, s4
	v_mov_b32_e32 v4, s47
	s_mov_b32 s4, exec_lo
	s_clause 0x3
	buffer_load_dword v1, v4, s[0:3], 0 offen
	buffer_load_dword v2, v4, s[0:3], 0 offen offset:4
	buffer_load_dword v3, v4, s[0:3], 0 offen offset:8
	buffer_load_dword v4, v4, s[0:3], 0 offen offset:12
	s_waitcnt vmcnt(0)
	ds_write_b128 v32, v[1:4]
	s_waitcnt lgkmcnt(0)
	s_waitcnt_vscnt null, 0x0
	s_barrier
	buffer_gl0_inv
	v_cmpx_gt_u32_e32 19, v0
	s_cbranch_execz .LBB58_615
; %bb.608:
	ds_read_b128 v[1:4], v32
	v_cmp_ne_u32_e32 vcc_lo, 1, v33
	s_cbranch_vccnz .LBB58_610
; %bb.609:
	s_clause 0x3
	buffer_load_dword v34, v31, s[0:3], 0 offen offset:8
	buffer_load_dword v35, v31, s[0:3], 0 offen offset:12
	buffer_load_dword v36, v31, s[0:3], 0 offen
	buffer_load_dword v37, v31, s[0:3], 0 offen offset:4
	s_waitcnt vmcnt(2) lgkmcnt(0)
	v_mul_f64 v[38:39], v[3:4], v[34:35]
	v_mul_f64 v[34:35], v[1:2], v[34:35]
	s_waitcnt vmcnt(0)
	v_fma_f64 v[1:2], v[1:2], v[36:37], -v[38:39]
	v_fma_f64 v[3:4], v[3:4], v[36:37], v[34:35]
.LBB58_610:
	s_mov_b32 s8, exec_lo
	v_cmpx_ne_u32_e32 18, v0
	s_cbranch_execz .LBB58_614
; %bb.611:
	v_add_nc_u32_e32 v34, 0x3c0, v133
	v_add3_u32 v35, 0, v133, 16
	v_mov_b32_e32 v36, v0
	s_mov_b32 s66, 0
	.p2align	6
.LBB58_612:                             ; =>This Inner Loop Header: Depth=1
	s_clause 0x3
	buffer_load_dword v134, v35, s[0:3], 0 offen offset:8
	buffer_load_dword v135, v35, s[0:3], 0 offen offset:12
	buffer_load_dword v136, v35, s[0:3], 0 offen
	buffer_load_dword v137, v35, s[0:3], 0 offen offset:4
	ds_read_b128 v[37:40], v34
	v_add_nc_u32_e32 v36, 1, v36
	v_add_nc_u32_e32 v34, 16, v34
	;; [unrolled: 1-line block ×3, first 2 shown]
	v_cmp_lt_u32_e32 vcc_lo, 17, v36
	s_or_b32 s66, vcc_lo, s66
	s_waitcnt vmcnt(2) lgkmcnt(0)
	v_mul_f64 v[138:139], v[39:40], v[134:135]
	v_mul_f64 v[134:135], v[37:38], v[134:135]
	s_waitcnt vmcnt(0)
	v_fma_f64 v[37:38], v[37:38], v[136:137], -v[138:139]
	v_fma_f64 v[39:40], v[39:40], v[136:137], v[134:135]
	v_add_f64 v[1:2], v[1:2], v[37:38]
	v_add_f64 v[3:4], v[3:4], v[39:40]
	s_andn2_b32 exec_lo, exec_lo, s66
	s_cbranch_execnz .LBB58_612
; %bb.613:
	s_or_b32 exec_lo, exec_lo, s66
.LBB58_614:
	s_or_b32 exec_lo, exec_lo, s8
	v_mov_b32_e32 v34, 0
	ds_read_b128 v[34:37], v34 offset:304
	s_waitcnt lgkmcnt(0)
	v_mul_f64 v[38:39], v[3:4], v[36:37]
	v_mul_f64 v[36:37], v[1:2], v[36:37]
	v_fma_f64 v[1:2], v[1:2], v[34:35], -v[38:39]
	v_fma_f64 v[3:4], v[3:4], v[34:35], v[36:37]
	buffer_store_dword v2, off, s[0:3], 0 offset:308
	buffer_store_dword v1, off, s[0:3], 0 offset:304
	;; [unrolled: 1-line block ×4, first 2 shown]
.LBB58_615:
	s_or_b32 exec_lo, exec_lo, s4
	v_mov_b32_e32 v4, s46
	s_mov_b32 s4, exec_lo
	s_clause 0x3
	buffer_load_dword v1, v4, s[0:3], 0 offen
	buffer_load_dword v2, v4, s[0:3], 0 offen offset:4
	buffer_load_dword v3, v4, s[0:3], 0 offen offset:8
	;; [unrolled: 1-line block ×3, first 2 shown]
	s_waitcnt vmcnt(0)
	ds_write_b128 v32, v[1:4]
	s_waitcnt lgkmcnt(0)
	s_waitcnt_vscnt null, 0x0
	s_barrier
	buffer_gl0_inv
	v_cmpx_gt_u32_e32 20, v0
	s_cbranch_execz .LBB58_623
; %bb.616:
	ds_read_b128 v[1:4], v32
	v_cmp_ne_u32_e32 vcc_lo, 1, v33
	s_cbranch_vccnz .LBB58_618
; %bb.617:
	s_clause 0x3
	buffer_load_dword v34, v31, s[0:3], 0 offen offset:8
	buffer_load_dword v35, v31, s[0:3], 0 offen offset:12
	buffer_load_dword v36, v31, s[0:3], 0 offen
	buffer_load_dword v37, v31, s[0:3], 0 offen offset:4
	s_waitcnt vmcnt(2) lgkmcnt(0)
	v_mul_f64 v[38:39], v[3:4], v[34:35]
	v_mul_f64 v[34:35], v[1:2], v[34:35]
	s_waitcnt vmcnt(0)
	v_fma_f64 v[1:2], v[1:2], v[36:37], -v[38:39]
	v_fma_f64 v[3:4], v[3:4], v[36:37], v[34:35]
.LBB58_618:
	s_mov_b32 s8, exec_lo
	v_cmpx_ne_u32_e32 19, v0
	s_cbranch_execz .LBB58_622
; %bb.619:
	v_add_nc_u32_e32 v34, 0x3c0, v133
	v_add3_u32 v35, 0, v133, 16
	v_mov_b32_e32 v36, v0
	s_mov_b32 s66, 0
	.p2align	6
.LBB58_620:                             ; =>This Inner Loop Header: Depth=1
	s_clause 0x3
	buffer_load_dword v134, v35, s[0:3], 0 offen offset:8
	buffer_load_dword v135, v35, s[0:3], 0 offen offset:12
	buffer_load_dword v136, v35, s[0:3], 0 offen
	buffer_load_dword v137, v35, s[0:3], 0 offen offset:4
	ds_read_b128 v[37:40], v34
	v_add_nc_u32_e32 v36, 1, v36
	v_add_nc_u32_e32 v34, 16, v34
	;; [unrolled: 1-line block ×3, first 2 shown]
	v_cmp_lt_u32_e32 vcc_lo, 18, v36
	s_or_b32 s66, vcc_lo, s66
	s_waitcnt vmcnt(2) lgkmcnt(0)
	v_mul_f64 v[138:139], v[39:40], v[134:135]
	v_mul_f64 v[134:135], v[37:38], v[134:135]
	s_waitcnt vmcnt(0)
	v_fma_f64 v[37:38], v[37:38], v[136:137], -v[138:139]
	v_fma_f64 v[39:40], v[39:40], v[136:137], v[134:135]
	v_add_f64 v[1:2], v[1:2], v[37:38]
	v_add_f64 v[3:4], v[3:4], v[39:40]
	s_andn2_b32 exec_lo, exec_lo, s66
	s_cbranch_execnz .LBB58_620
; %bb.621:
	s_or_b32 exec_lo, exec_lo, s66
.LBB58_622:
	s_or_b32 exec_lo, exec_lo, s8
	v_mov_b32_e32 v34, 0
	ds_read_b128 v[34:37], v34 offset:320
	s_waitcnt lgkmcnt(0)
	v_mul_f64 v[38:39], v[3:4], v[36:37]
	v_mul_f64 v[36:37], v[1:2], v[36:37]
	v_fma_f64 v[1:2], v[1:2], v[34:35], -v[38:39]
	v_fma_f64 v[3:4], v[3:4], v[34:35], v[36:37]
	buffer_store_dword v2, off, s[0:3], 0 offset:324
	buffer_store_dword v1, off, s[0:3], 0 offset:320
	;; [unrolled: 1-line block ×4, first 2 shown]
.LBB58_623:
	s_or_b32 exec_lo, exec_lo, s4
	v_mov_b32_e32 v4, s45
	s_mov_b32 s4, exec_lo
	s_clause 0x3
	buffer_load_dword v1, v4, s[0:3], 0 offen
	buffer_load_dword v2, v4, s[0:3], 0 offen offset:4
	buffer_load_dword v3, v4, s[0:3], 0 offen offset:8
	;; [unrolled: 1-line block ×3, first 2 shown]
	s_waitcnt vmcnt(0)
	ds_write_b128 v32, v[1:4]
	s_waitcnt lgkmcnt(0)
	s_waitcnt_vscnt null, 0x0
	s_barrier
	buffer_gl0_inv
	v_cmpx_gt_u32_e32 21, v0
	s_cbranch_execz .LBB58_631
; %bb.624:
	ds_read_b128 v[1:4], v32
	v_cmp_ne_u32_e32 vcc_lo, 1, v33
	s_cbranch_vccnz .LBB58_626
; %bb.625:
	s_clause 0x3
	buffer_load_dword v34, v31, s[0:3], 0 offen offset:8
	buffer_load_dword v35, v31, s[0:3], 0 offen offset:12
	buffer_load_dword v36, v31, s[0:3], 0 offen
	buffer_load_dword v37, v31, s[0:3], 0 offen offset:4
	s_waitcnt vmcnt(2) lgkmcnt(0)
	v_mul_f64 v[38:39], v[3:4], v[34:35]
	v_mul_f64 v[34:35], v[1:2], v[34:35]
	s_waitcnt vmcnt(0)
	v_fma_f64 v[1:2], v[1:2], v[36:37], -v[38:39]
	v_fma_f64 v[3:4], v[3:4], v[36:37], v[34:35]
.LBB58_626:
	s_mov_b32 s8, exec_lo
	v_cmpx_ne_u32_e32 20, v0
	s_cbranch_execz .LBB58_630
; %bb.627:
	v_add_nc_u32_e32 v34, 0x3c0, v133
	v_add3_u32 v35, 0, v133, 16
	v_mov_b32_e32 v36, v0
	s_mov_b32 s66, 0
	.p2align	6
.LBB58_628:                             ; =>This Inner Loop Header: Depth=1
	s_clause 0x3
	buffer_load_dword v134, v35, s[0:3], 0 offen offset:8
	buffer_load_dword v135, v35, s[0:3], 0 offen offset:12
	buffer_load_dword v136, v35, s[0:3], 0 offen
	buffer_load_dword v137, v35, s[0:3], 0 offen offset:4
	ds_read_b128 v[37:40], v34
	v_add_nc_u32_e32 v36, 1, v36
	v_add_nc_u32_e32 v34, 16, v34
	;; [unrolled: 1-line block ×3, first 2 shown]
	v_cmp_lt_u32_e32 vcc_lo, 19, v36
	s_or_b32 s66, vcc_lo, s66
	s_waitcnt vmcnt(2) lgkmcnt(0)
	v_mul_f64 v[138:139], v[39:40], v[134:135]
	v_mul_f64 v[134:135], v[37:38], v[134:135]
	s_waitcnt vmcnt(0)
	v_fma_f64 v[37:38], v[37:38], v[136:137], -v[138:139]
	v_fma_f64 v[39:40], v[39:40], v[136:137], v[134:135]
	v_add_f64 v[1:2], v[1:2], v[37:38]
	v_add_f64 v[3:4], v[3:4], v[39:40]
	s_andn2_b32 exec_lo, exec_lo, s66
	s_cbranch_execnz .LBB58_628
; %bb.629:
	s_or_b32 exec_lo, exec_lo, s66
.LBB58_630:
	s_or_b32 exec_lo, exec_lo, s8
	v_mov_b32_e32 v34, 0
	ds_read_b128 v[34:37], v34 offset:336
	s_waitcnt lgkmcnt(0)
	v_mul_f64 v[38:39], v[3:4], v[36:37]
	v_mul_f64 v[36:37], v[1:2], v[36:37]
	v_fma_f64 v[1:2], v[1:2], v[34:35], -v[38:39]
	v_fma_f64 v[3:4], v[3:4], v[34:35], v[36:37]
	buffer_store_dword v2, off, s[0:3], 0 offset:340
	buffer_store_dword v1, off, s[0:3], 0 offset:336
	;; [unrolled: 1-line block ×4, first 2 shown]
.LBB58_631:
	s_or_b32 exec_lo, exec_lo, s4
	v_mov_b32_e32 v4, s44
	s_mov_b32 s4, exec_lo
	s_clause 0x3
	buffer_load_dword v1, v4, s[0:3], 0 offen
	buffer_load_dword v2, v4, s[0:3], 0 offen offset:4
	buffer_load_dword v3, v4, s[0:3], 0 offen offset:8
	buffer_load_dword v4, v4, s[0:3], 0 offen offset:12
	s_waitcnt vmcnt(0)
	ds_write_b128 v32, v[1:4]
	s_waitcnt lgkmcnt(0)
	s_waitcnt_vscnt null, 0x0
	s_barrier
	buffer_gl0_inv
	v_cmpx_gt_u32_e32 22, v0
	s_cbranch_execz .LBB58_639
; %bb.632:
	ds_read_b128 v[1:4], v32
	v_cmp_ne_u32_e32 vcc_lo, 1, v33
	s_cbranch_vccnz .LBB58_634
; %bb.633:
	s_clause 0x3
	buffer_load_dword v34, v31, s[0:3], 0 offen offset:8
	buffer_load_dword v35, v31, s[0:3], 0 offen offset:12
	buffer_load_dword v36, v31, s[0:3], 0 offen
	buffer_load_dword v37, v31, s[0:3], 0 offen offset:4
	s_waitcnt vmcnt(2) lgkmcnt(0)
	v_mul_f64 v[38:39], v[3:4], v[34:35]
	v_mul_f64 v[34:35], v[1:2], v[34:35]
	s_waitcnt vmcnt(0)
	v_fma_f64 v[1:2], v[1:2], v[36:37], -v[38:39]
	v_fma_f64 v[3:4], v[3:4], v[36:37], v[34:35]
.LBB58_634:
	s_mov_b32 s8, exec_lo
	v_cmpx_ne_u32_e32 21, v0
	s_cbranch_execz .LBB58_638
; %bb.635:
	v_add_nc_u32_e32 v34, 0x3c0, v133
	v_add3_u32 v35, 0, v133, 16
	v_mov_b32_e32 v36, v0
	s_mov_b32 s66, 0
	.p2align	6
.LBB58_636:                             ; =>This Inner Loop Header: Depth=1
	s_clause 0x3
	buffer_load_dword v134, v35, s[0:3], 0 offen offset:8
	buffer_load_dword v135, v35, s[0:3], 0 offen offset:12
	buffer_load_dword v136, v35, s[0:3], 0 offen
	buffer_load_dword v137, v35, s[0:3], 0 offen offset:4
	ds_read_b128 v[37:40], v34
	v_add_nc_u32_e32 v36, 1, v36
	v_add_nc_u32_e32 v34, 16, v34
	;; [unrolled: 1-line block ×3, first 2 shown]
	v_cmp_lt_u32_e32 vcc_lo, 20, v36
	s_or_b32 s66, vcc_lo, s66
	s_waitcnt vmcnt(2) lgkmcnt(0)
	v_mul_f64 v[138:139], v[39:40], v[134:135]
	v_mul_f64 v[134:135], v[37:38], v[134:135]
	s_waitcnt vmcnt(0)
	v_fma_f64 v[37:38], v[37:38], v[136:137], -v[138:139]
	v_fma_f64 v[39:40], v[39:40], v[136:137], v[134:135]
	v_add_f64 v[1:2], v[1:2], v[37:38]
	v_add_f64 v[3:4], v[3:4], v[39:40]
	s_andn2_b32 exec_lo, exec_lo, s66
	s_cbranch_execnz .LBB58_636
; %bb.637:
	s_or_b32 exec_lo, exec_lo, s66
.LBB58_638:
	s_or_b32 exec_lo, exec_lo, s8
	v_mov_b32_e32 v34, 0
	ds_read_b128 v[34:37], v34 offset:352
	s_waitcnt lgkmcnt(0)
	v_mul_f64 v[38:39], v[3:4], v[36:37]
	v_mul_f64 v[36:37], v[1:2], v[36:37]
	v_fma_f64 v[1:2], v[1:2], v[34:35], -v[38:39]
	v_fma_f64 v[3:4], v[3:4], v[34:35], v[36:37]
	buffer_store_dword v2, off, s[0:3], 0 offset:356
	buffer_store_dword v1, off, s[0:3], 0 offset:352
	;; [unrolled: 1-line block ×4, first 2 shown]
.LBB58_639:
	s_or_b32 exec_lo, exec_lo, s4
	v_mov_b32_e32 v4, s43
	s_mov_b32 s4, exec_lo
	s_clause 0x3
	buffer_load_dword v1, v4, s[0:3], 0 offen
	buffer_load_dword v2, v4, s[0:3], 0 offen offset:4
	buffer_load_dword v3, v4, s[0:3], 0 offen offset:8
	;; [unrolled: 1-line block ×3, first 2 shown]
	s_waitcnt vmcnt(0)
	ds_write_b128 v32, v[1:4]
	s_waitcnt lgkmcnt(0)
	s_waitcnt_vscnt null, 0x0
	s_barrier
	buffer_gl0_inv
	v_cmpx_gt_u32_e32 23, v0
	s_cbranch_execz .LBB58_647
; %bb.640:
	ds_read_b128 v[1:4], v32
	v_cmp_ne_u32_e32 vcc_lo, 1, v33
	s_cbranch_vccnz .LBB58_642
; %bb.641:
	s_clause 0x3
	buffer_load_dword v34, v31, s[0:3], 0 offen offset:8
	buffer_load_dword v35, v31, s[0:3], 0 offen offset:12
	buffer_load_dword v36, v31, s[0:3], 0 offen
	buffer_load_dword v37, v31, s[0:3], 0 offen offset:4
	s_waitcnt vmcnt(2) lgkmcnt(0)
	v_mul_f64 v[38:39], v[3:4], v[34:35]
	v_mul_f64 v[34:35], v[1:2], v[34:35]
	s_waitcnt vmcnt(0)
	v_fma_f64 v[1:2], v[1:2], v[36:37], -v[38:39]
	v_fma_f64 v[3:4], v[3:4], v[36:37], v[34:35]
.LBB58_642:
	s_mov_b32 s8, exec_lo
	v_cmpx_ne_u32_e32 22, v0
	s_cbranch_execz .LBB58_646
; %bb.643:
	v_add_nc_u32_e32 v34, 0x3c0, v133
	v_add3_u32 v35, 0, v133, 16
	v_mov_b32_e32 v36, v0
	s_mov_b32 s66, 0
	.p2align	6
.LBB58_644:                             ; =>This Inner Loop Header: Depth=1
	s_clause 0x3
	buffer_load_dword v134, v35, s[0:3], 0 offen offset:8
	buffer_load_dword v135, v35, s[0:3], 0 offen offset:12
	buffer_load_dword v136, v35, s[0:3], 0 offen
	buffer_load_dword v137, v35, s[0:3], 0 offen offset:4
	ds_read_b128 v[37:40], v34
	v_add_nc_u32_e32 v36, 1, v36
	v_add_nc_u32_e32 v34, 16, v34
	;; [unrolled: 1-line block ×3, first 2 shown]
	v_cmp_lt_u32_e32 vcc_lo, 21, v36
	s_or_b32 s66, vcc_lo, s66
	s_waitcnt vmcnt(2) lgkmcnt(0)
	v_mul_f64 v[138:139], v[39:40], v[134:135]
	v_mul_f64 v[134:135], v[37:38], v[134:135]
	s_waitcnt vmcnt(0)
	v_fma_f64 v[37:38], v[37:38], v[136:137], -v[138:139]
	v_fma_f64 v[39:40], v[39:40], v[136:137], v[134:135]
	v_add_f64 v[1:2], v[1:2], v[37:38]
	v_add_f64 v[3:4], v[3:4], v[39:40]
	s_andn2_b32 exec_lo, exec_lo, s66
	s_cbranch_execnz .LBB58_644
; %bb.645:
	s_or_b32 exec_lo, exec_lo, s66
.LBB58_646:
	s_or_b32 exec_lo, exec_lo, s8
	v_mov_b32_e32 v34, 0
	ds_read_b128 v[34:37], v34 offset:368
	s_waitcnt lgkmcnt(0)
	v_mul_f64 v[38:39], v[3:4], v[36:37]
	v_mul_f64 v[36:37], v[1:2], v[36:37]
	v_fma_f64 v[1:2], v[1:2], v[34:35], -v[38:39]
	v_fma_f64 v[3:4], v[3:4], v[34:35], v[36:37]
	buffer_store_dword v2, off, s[0:3], 0 offset:372
	buffer_store_dword v1, off, s[0:3], 0 offset:368
	;; [unrolled: 1-line block ×4, first 2 shown]
.LBB58_647:
	s_or_b32 exec_lo, exec_lo, s4
	v_mov_b32_e32 v4, s42
	s_mov_b32 s4, exec_lo
	s_clause 0x3
	buffer_load_dword v1, v4, s[0:3], 0 offen
	buffer_load_dword v2, v4, s[0:3], 0 offen offset:4
	buffer_load_dword v3, v4, s[0:3], 0 offen offset:8
	;; [unrolled: 1-line block ×3, first 2 shown]
	s_waitcnt vmcnt(0)
	ds_write_b128 v32, v[1:4]
	s_waitcnt lgkmcnt(0)
	s_waitcnt_vscnt null, 0x0
	s_barrier
	buffer_gl0_inv
	v_cmpx_gt_u32_e32 24, v0
	s_cbranch_execz .LBB58_655
; %bb.648:
	ds_read_b128 v[1:4], v32
	v_cmp_ne_u32_e32 vcc_lo, 1, v33
	s_cbranch_vccnz .LBB58_650
; %bb.649:
	s_clause 0x3
	buffer_load_dword v34, v31, s[0:3], 0 offen offset:8
	buffer_load_dword v35, v31, s[0:3], 0 offen offset:12
	buffer_load_dword v36, v31, s[0:3], 0 offen
	buffer_load_dword v37, v31, s[0:3], 0 offen offset:4
	s_waitcnt vmcnt(2) lgkmcnt(0)
	v_mul_f64 v[38:39], v[3:4], v[34:35]
	v_mul_f64 v[34:35], v[1:2], v[34:35]
	s_waitcnt vmcnt(0)
	v_fma_f64 v[1:2], v[1:2], v[36:37], -v[38:39]
	v_fma_f64 v[3:4], v[3:4], v[36:37], v[34:35]
.LBB58_650:
	s_mov_b32 s8, exec_lo
	v_cmpx_ne_u32_e32 23, v0
	s_cbranch_execz .LBB58_654
; %bb.651:
	v_add_nc_u32_e32 v34, 0x3c0, v133
	v_add3_u32 v35, 0, v133, 16
	v_mov_b32_e32 v36, v0
	s_mov_b32 s66, 0
	.p2align	6
.LBB58_652:                             ; =>This Inner Loop Header: Depth=1
	s_clause 0x3
	buffer_load_dword v134, v35, s[0:3], 0 offen offset:8
	buffer_load_dword v135, v35, s[0:3], 0 offen offset:12
	buffer_load_dword v136, v35, s[0:3], 0 offen
	buffer_load_dword v137, v35, s[0:3], 0 offen offset:4
	ds_read_b128 v[37:40], v34
	v_add_nc_u32_e32 v36, 1, v36
	v_add_nc_u32_e32 v34, 16, v34
	;; [unrolled: 1-line block ×3, first 2 shown]
	v_cmp_lt_u32_e32 vcc_lo, 22, v36
	s_or_b32 s66, vcc_lo, s66
	s_waitcnt vmcnt(2) lgkmcnt(0)
	v_mul_f64 v[138:139], v[39:40], v[134:135]
	v_mul_f64 v[134:135], v[37:38], v[134:135]
	s_waitcnt vmcnt(0)
	v_fma_f64 v[37:38], v[37:38], v[136:137], -v[138:139]
	v_fma_f64 v[39:40], v[39:40], v[136:137], v[134:135]
	v_add_f64 v[1:2], v[1:2], v[37:38]
	v_add_f64 v[3:4], v[3:4], v[39:40]
	s_andn2_b32 exec_lo, exec_lo, s66
	s_cbranch_execnz .LBB58_652
; %bb.653:
	s_or_b32 exec_lo, exec_lo, s66
.LBB58_654:
	s_or_b32 exec_lo, exec_lo, s8
	v_mov_b32_e32 v34, 0
	ds_read_b128 v[34:37], v34 offset:384
	s_waitcnt lgkmcnt(0)
	v_mul_f64 v[38:39], v[3:4], v[36:37]
	v_mul_f64 v[36:37], v[1:2], v[36:37]
	v_fma_f64 v[1:2], v[1:2], v[34:35], -v[38:39]
	v_fma_f64 v[3:4], v[3:4], v[34:35], v[36:37]
	buffer_store_dword v2, off, s[0:3], 0 offset:388
	buffer_store_dword v1, off, s[0:3], 0 offset:384
	;; [unrolled: 1-line block ×4, first 2 shown]
.LBB58_655:
	s_or_b32 exec_lo, exec_lo, s4
	v_mov_b32_e32 v4, s41
	s_mov_b32 s4, exec_lo
	s_clause 0x3
	buffer_load_dword v1, v4, s[0:3], 0 offen
	buffer_load_dword v2, v4, s[0:3], 0 offen offset:4
	buffer_load_dword v3, v4, s[0:3], 0 offen offset:8
	buffer_load_dword v4, v4, s[0:3], 0 offen offset:12
	s_waitcnt vmcnt(0)
	ds_write_b128 v32, v[1:4]
	s_waitcnt lgkmcnt(0)
	s_waitcnt_vscnt null, 0x0
	s_barrier
	buffer_gl0_inv
	v_cmpx_gt_u32_e32 25, v0
	s_cbranch_execz .LBB58_663
; %bb.656:
	ds_read_b128 v[1:4], v32
	v_cmp_ne_u32_e32 vcc_lo, 1, v33
	s_cbranch_vccnz .LBB58_658
; %bb.657:
	s_clause 0x3
	buffer_load_dword v34, v31, s[0:3], 0 offen offset:8
	buffer_load_dword v35, v31, s[0:3], 0 offen offset:12
	buffer_load_dword v36, v31, s[0:3], 0 offen
	buffer_load_dword v37, v31, s[0:3], 0 offen offset:4
	s_waitcnt vmcnt(2) lgkmcnt(0)
	v_mul_f64 v[38:39], v[3:4], v[34:35]
	v_mul_f64 v[34:35], v[1:2], v[34:35]
	s_waitcnt vmcnt(0)
	v_fma_f64 v[1:2], v[1:2], v[36:37], -v[38:39]
	v_fma_f64 v[3:4], v[3:4], v[36:37], v[34:35]
.LBB58_658:
	s_mov_b32 s8, exec_lo
	v_cmpx_ne_u32_e32 24, v0
	s_cbranch_execz .LBB58_662
; %bb.659:
	v_add_nc_u32_e32 v34, 0x3c0, v133
	v_add3_u32 v35, 0, v133, 16
	v_mov_b32_e32 v36, v0
	s_mov_b32 s66, 0
	.p2align	6
.LBB58_660:                             ; =>This Inner Loop Header: Depth=1
	s_clause 0x3
	buffer_load_dword v134, v35, s[0:3], 0 offen offset:8
	buffer_load_dword v135, v35, s[0:3], 0 offen offset:12
	buffer_load_dword v136, v35, s[0:3], 0 offen
	buffer_load_dword v137, v35, s[0:3], 0 offen offset:4
	ds_read_b128 v[37:40], v34
	v_add_nc_u32_e32 v36, 1, v36
	v_add_nc_u32_e32 v34, 16, v34
	;; [unrolled: 1-line block ×3, first 2 shown]
	v_cmp_lt_u32_e32 vcc_lo, 23, v36
	s_or_b32 s66, vcc_lo, s66
	s_waitcnt vmcnt(2) lgkmcnt(0)
	v_mul_f64 v[138:139], v[39:40], v[134:135]
	v_mul_f64 v[134:135], v[37:38], v[134:135]
	s_waitcnt vmcnt(0)
	v_fma_f64 v[37:38], v[37:38], v[136:137], -v[138:139]
	v_fma_f64 v[39:40], v[39:40], v[136:137], v[134:135]
	v_add_f64 v[1:2], v[1:2], v[37:38]
	v_add_f64 v[3:4], v[3:4], v[39:40]
	s_andn2_b32 exec_lo, exec_lo, s66
	s_cbranch_execnz .LBB58_660
; %bb.661:
	s_or_b32 exec_lo, exec_lo, s66
.LBB58_662:
	s_or_b32 exec_lo, exec_lo, s8
	v_mov_b32_e32 v34, 0
	ds_read_b128 v[34:37], v34 offset:400
	s_waitcnt lgkmcnt(0)
	v_mul_f64 v[38:39], v[3:4], v[36:37]
	v_mul_f64 v[36:37], v[1:2], v[36:37]
	v_fma_f64 v[1:2], v[1:2], v[34:35], -v[38:39]
	v_fma_f64 v[3:4], v[3:4], v[34:35], v[36:37]
	buffer_store_dword v2, off, s[0:3], 0 offset:404
	buffer_store_dword v1, off, s[0:3], 0 offset:400
	buffer_store_dword v4, off, s[0:3], 0 offset:412
	buffer_store_dword v3, off, s[0:3], 0 offset:408
.LBB58_663:
	s_or_b32 exec_lo, exec_lo, s4
	v_mov_b32_e32 v4, s40
	s_mov_b32 s4, exec_lo
	s_clause 0x3
	buffer_load_dword v1, v4, s[0:3], 0 offen
	buffer_load_dword v2, v4, s[0:3], 0 offen offset:4
	buffer_load_dword v3, v4, s[0:3], 0 offen offset:8
	;; [unrolled: 1-line block ×3, first 2 shown]
	s_waitcnt vmcnt(0)
	ds_write_b128 v32, v[1:4]
	s_waitcnt lgkmcnt(0)
	s_waitcnt_vscnt null, 0x0
	s_barrier
	buffer_gl0_inv
	v_cmpx_gt_u32_e32 26, v0
	s_cbranch_execz .LBB58_671
; %bb.664:
	ds_read_b128 v[1:4], v32
	v_cmp_ne_u32_e32 vcc_lo, 1, v33
	s_cbranch_vccnz .LBB58_666
; %bb.665:
	s_clause 0x3
	buffer_load_dword v34, v31, s[0:3], 0 offen offset:8
	buffer_load_dword v35, v31, s[0:3], 0 offen offset:12
	buffer_load_dword v36, v31, s[0:3], 0 offen
	buffer_load_dword v37, v31, s[0:3], 0 offen offset:4
	s_waitcnt vmcnt(2) lgkmcnt(0)
	v_mul_f64 v[38:39], v[3:4], v[34:35]
	v_mul_f64 v[34:35], v[1:2], v[34:35]
	s_waitcnt vmcnt(0)
	v_fma_f64 v[1:2], v[1:2], v[36:37], -v[38:39]
	v_fma_f64 v[3:4], v[3:4], v[36:37], v[34:35]
.LBB58_666:
	s_mov_b32 s8, exec_lo
	v_cmpx_ne_u32_e32 25, v0
	s_cbranch_execz .LBB58_670
; %bb.667:
	v_add_nc_u32_e32 v34, 0x3c0, v133
	v_add3_u32 v35, 0, v133, 16
	v_mov_b32_e32 v36, v0
	s_mov_b32 s66, 0
	.p2align	6
.LBB58_668:                             ; =>This Inner Loop Header: Depth=1
	s_clause 0x3
	buffer_load_dword v134, v35, s[0:3], 0 offen offset:8
	buffer_load_dword v135, v35, s[0:3], 0 offen offset:12
	buffer_load_dword v136, v35, s[0:3], 0 offen
	buffer_load_dword v137, v35, s[0:3], 0 offen offset:4
	ds_read_b128 v[37:40], v34
	v_add_nc_u32_e32 v36, 1, v36
	v_add_nc_u32_e32 v34, 16, v34
	;; [unrolled: 1-line block ×3, first 2 shown]
	v_cmp_lt_u32_e32 vcc_lo, 24, v36
	s_or_b32 s66, vcc_lo, s66
	s_waitcnt vmcnt(2) lgkmcnt(0)
	v_mul_f64 v[138:139], v[39:40], v[134:135]
	v_mul_f64 v[134:135], v[37:38], v[134:135]
	s_waitcnt vmcnt(0)
	v_fma_f64 v[37:38], v[37:38], v[136:137], -v[138:139]
	v_fma_f64 v[39:40], v[39:40], v[136:137], v[134:135]
	v_add_f64 v[1:2], v[1:2], v[37:38]
	v_add_f64 v[3:4], v[3:4], v[39:40]
	s_andn2_b32 exec_lo, exec_lo, s66
	s_cbranch_execnz .LBB58_668
; %bb.669:
	s_or_b32 exec_lo, exec_lo, s66
.LBB58_670:
	s_or_b32 exec_lo, exec_lo, s8
	v_mov_b32_e32 v34, 0
	ds_read_b128 v[34:37], v34 offset:416
	s_waitcnt lgkmcnt(0)
	v_mul_f64 v[38:39], v[3:4], v[36:37]
	v_mul_f64 v[36:37], v[1:2], v[36:37]
	v_fma_f64 v[1:2], v[1:2], v[34:35], -v[38:39]
	v_fma_f64 v[3:4], v[3:4], v[34:35], v[36:37]
	buffer_store_dword v2, off, s[0:3], 0 offset:420
	buffer_store_dword v1, off, s[0:3], 0 offset:416
	;; [unrolled: 1-line block ×4, first 2 shown]
.LBB58_671:
	s_or_b32 exec_lo, exec_lo, s4
	v_mov_b32_e32 v4, s39
	s_mov_b32 s4, exec_lo
	s_clause 0x3
	buffer_load_dword v1, v4, s[0:3], 0 offen
	buffer_load_dword v2, v4, s[0:3], 0 offen offset:4
	buffer_load_dword v3, v4, s[0:3], 0 offen offset:8
	;; [unrolled: 1-line block ×3, first 2 shown]
	s_waitcnt vmcnt(0)
	ds_write_b128 v32, v[1:4]
	s_waitcnt lgkmcnt(0)
	s_waitcnt_vscnt null, 0x0
	s_barrier
	buffer_gl0_inv
	v_cmpx_gt_u32_e32 27, v0
	s_cbranch_execz .LBB58_679
; %bb.672:
	ds_read_b128 v[1:4], v32
	v_cmp_ne_u32_e32 vcc_lo, 1, v33
	s_cbranch_vccnz .LBB58_674
; %bb.673:
	s_clause 0x3
	buffer_load_dword v34, v31, s[0:3], 0 offen offset:8
	buffer_load_dword v35, v31, s[0:3], 0 offen offset:12
	buffer_load_dword v36, v31, s[0:3], 0 offen
	buffer_load_dword v37, v31, s[0:3], 0 offen offset:4
	s_waitcnt vmcnt(2) lgkmcnt(0)
	v_mul_f64 v[38:39], v[3:4], v[34:35]
	v_mul_f64 v[34:35], v[1:2], v[34:35]
	s_waitcnt vmcnt(0)
	v_fma_f64 v[1:2], v[1:2], v[36:37], -v[38:39]
	v_fma_f64 v[3:4], v[3:4], v[36:37], v[34:35]
.LBB58_674:
	s_mov_b32 s8, exec_lo
	v_cmpx_ne_u32_e32 26, v0
	s_cbranch_execz .LBB58_678
; %bb.675:
	v_add_nc_u32_e32 v34, 0x3c0, v133
	v_add3_u32 v35, 0, v133, 16
	v_mov_b32_e32 v36, v0
	s_mov_b32 s66, 0
	.p2align	6
.LBB58_676:                             ; =>This Inner Loop Header: Depth=1
	s_clause 0x3
	buffer_load_dword v134, v35, s[0:3], 0 offen offset:8
	buffer_load_dword v135, v35, s[0:3], 0 offen offset:12
	buffer_load_dword v136, v35, s[0:3], 0 offen
	buffer_load_dword v137, v35, s[0:3], 0 offen offset:4
	ds_read_b128 v[37:40], v34
	v_add_nc_u32_e32 v36, 1, v36
	v_add_nc_u32_e32 v34, 16, v34
	;; [unrolled: 1-line block ×3, first 2 shown]
	v_cmp_lt_u32_e32 vcc_lo, 25, v36
	s_or_b32 s66, vcc_lo, s66
	s_waitcnt vmcnt(2) lgkmcnt(0)
	v_mul_f64 v[138:139], v[39:40], v[134:135]
	v_mul_f64 v[134:135], v[37:38], v[134:135]
	s_waitcnt vmcnt(0)
	v_fma_f64 v[37:38], v[37:38], v[136:137], -v[138:139]
	v_fma_f64 v[39:40], v[39:40], v[136:137], v[134:135]
	v_add_f64 v[1:2], v[1:2], v[37:38]
	v_add_f64 v[3:4], v[3:4], v[39:40]
	s_andn2_b32 exec_lo, exec_lo, s66
	s_cbranch_execnz .LBB58_676
; %bb.677:
	s_or_b32 exec_lo, exec_lo, s66
.LBB58_678:
	s_or_b32 exec_lo, exec_lo, s8
	v_mov_b32_e32 v34, 0
	ds_read_b128 v[34:37], v34 offset:432
	s_waitcnt lgkmcnt(0)
	v_mul_f64 v[38:39], v[3:4], v[36:37]
	v_mul_f64 v[36:37], v[1:2], v[36:37]
	v_fma_f64 v[1:2], v[1:2], v[34:35], -v[38:39]
	v_fma_f64 v[3:4], v[3:4], v[34:35], v[36:37]
	buffer_store_dword v2, off, s[0:3], 0 offset:436
	buffer_store_dword v1, off, s[0:3], 0 offset:432
	;; [unrolled: 1-line block ×4, first 2 shown]
.LBB58_679:
	s_or_b32 exec_lo, exec_lo, s4
	v_mov_b32_e32 v4, s38
	s_mov_b32 s4, exec_lo
	s_clause 0x3
	buffer_load_dword v1, v4, s[0:3], 0 offen
	buffer_load_dword v2, v4, s[0:3], 0 offen offset:4
	buffer_load_dword v3, v4, s[0:3], 0 offen offset:8
	;; [unrolled: 1-line block ×3, first 2 shown]
	s_waitcnt vmcnt(0)
	ds_write_b128 v32, v[1:4]
	s_waitcnt lgkmcnt(0)
	s_waitcnt_vscnt null, 0x0
	s_barrier
	buffer_gl0_inv
	v_cmpx_gt_u32_e32 28, v0
	s_cbranch_execz .LBB58_687
; %bb.680:
	ds_read_b128 v[1:4], v32
	v_cmp_ne_u32_e32 vcc_lo, 1, v33
	s_cbranch_vccnz .LBB58_682
; %bb.681:
	s_clause 0x3
	buffer_load_dword v34, v31, s[0:3], 0 offen offset:8
	buffer_load_dword v35, v31, s[0:3], 0 offen offset:12
	buffer_load_dword v36, v31, s[0:3], 0 offen
	buffer_load_dword v37, v31, s[0:3], 0 offen offset:4
	s_waitcnt vmcnt(2) lgkmcnt(0)
	v_mul_f64 v[38:39], v[3:4], v[34:35]
	v_mul_f64 v[34:35], v[1:2], v[34:35]
	s_waitcnt vmcnt(0)
	v_fma_f64 v[1:2], v[1:2], v[36:37], -v[38:39]
	v_fma_f64 v[3:4], v[3:4], v[36:37], v[34:35]
.LBB58_682:
	s_mov_b32 s8, exec_lo
	v_cmpx_ne_u32_e32 27, v0
	s_cbranch_execz .LBB58_686
; %bb.683:
	v_add_nc_u32_e32 v34, 0x3c0, v133
	v_add3_u32 v35, 0, v133, 16
	v_mov_b32_e32 v36, v0
	s_mov_b32 s66, 0
	.p2align	6
.LBB58_684:                             ; =>This Inner Loop Header: Depth=1
	s_clause 0x3
	buffer_load_dword v134, v35, s[0:3], 0 offen offset:8
	buffer_load_dword v135, v35, s[0:3], 0 offen offset:12
	buffer_load_dword v136, v35, s[0:3], 0 offen
	buffer_load_dword v137, v35, s[0:3], 0 offen offset:4
	ds_read_b128 v[37:40], v34
	v_add_nc_u32_e32 v36, 1, v36
	v_add_nc_u32_e32 v34, 16, v34
	;; [unrolled: 1-line block ×3, first 2 shown]
	v_cmp_lt_u32_e32 vcc_lo, 26, v36
	s_or_b32 s66, vcc_lo, s66
	s_waitcnt vmcnt(2) lgkmcnt(0)
	v_mul_f64 v[138:139], v[39:40], v[134:135]
	v_mul_f64 v[134:135], v[37:38], v[134:135]
	s_waitcnt vmcnt(0)
	v_fma_f64 v[37:38], v[37:38], v[136:137], -v[138:139]
	v_fma_f64 v[39:40], v[39:40], v[136:137], v[134:135]
	v_add_f64 v[1:2], v[1:2], v[37:38]
	v_add_f64 v[3:4], v[3:4], v[39:40]
	s_andn2_b32 exec_lo, exec_lo, s66
	s_cbranch_execnz .LBB58_684
; %bb.685:
	s_or_b32 exec_lo, exec_lo, s66
.LBB58_686:
	s_or_b32 exec_lo, exec_lo, s8
	v_mov_b32_e32 v34, 0
	ds_read_b128 v[34:37], v34 offset:448
	s_waitcnt lgkmcnt(0)
	v_mul_f64 v[38:39], v[3:4], v[36:37]
	v_mul_f64 v[36:37], v[1:2], v[36:37]
	v_fma_f64 v[1:2], v[1:2], v[34:35], -v[38:39]
	v_fma_f64 v[3:4], v[3:4], v[34:35], v[36:37]
	buffer_store_dword v2, off, s[0:3], 0 offset:452
	buffer_store_dword v1, off, s[0:3], 0 offset:448
	;; [unrolled: 1-line block ×4, first 2 shown]
.LBB58_687:
	s_or_b32 exec_lo, exec_lo, s4
	v_mov_b32_e32 v4, s37
	s_mov_b32 s4, exec_lo
	s_clause 0x3
	buffer_load_dword v1, v4, s[0:3], 0 offen
	buffer_load_dword v2, v4, s[0:3], 0 offen offset:4
	buffer_load_dword v3, v4, s[0:3], 0 offen offset:8
	;; [unrolled: 1-line block ×3, first 2 shown]
	s_waitcnt vmcnt(0)
	ds_write_b128 v32, v[1:4]
	s_waitcnt lgkmcnt(0)
	s_waitcnt_vscnt null, 0x0
	s_barrier
	buffer_gl0_inv
	v_cmpx_gt_u32_e32 29, v0
	s_cbranch_execz .LBB58_695
; %bb.688:
	ds_read_b128 v[1:4], v32
	v_cmp_ne_u32_e32 vcc_lo, 1, v33
	s_cbranch_vccnz .LBB58_690
; %bb.689:
	s_clause 0x3
	buffer_load_dword v34, v31, s[0:3], 0 offen offset:8
	buffer_load_dword v35, v31, s[0:3], 0 offen offset:12
	buffer_load_dword v36, v31, s[0:3], 0 offen
	buffer_load_dword v37, v31, s[0:3], 0 offen offset:4
	s_waitcnt vmcnt(2) lgkmcnt(0)
	v_mul_f64 v[38:39], v[3:4], v[34:35]
	v_mul_f64 v[34:35], v[1:2], v[34:35]
	s_waitcnt vmcnt(0)
	v_fma_f64 v[1:2], v[1:2], v[36:37], -v[38:39]
	v_fma_f64 v[3:4], v[3:4], v[36:37], v[34:35]
.LBB58_690:
	s_mov_b32 s8, exec_lo
	v_cmpx_ne_u32_e32 28, v0
	s_cbranch_execz .LBB58_694
; %bb.691:
	v_add_nc_u32_e32 v34, 0x3c0, v133
	v_add3_u32 v35, 0, v133, 16
	v_mov_b32_e32 v36, v0
	s_mov_b32 s66, 0
	.p2align	6
.LBB58_692:                             ; =>This Inner Loop Header: Depth=1
	s_clause 0x3
	buffer_load_dword v134, v35, s[0:3], 0 offen offset:8
	buffer_load_dword v135, v35, s[0:3], 0 offen offset:12
	buffer_load_dword v136, v35, s[0:3], 0 offen
	buffer_load_dword v137, v35, s[0:3], 0 offen offset:4
	ds_read_b128 v[37:40], v34
	v_add_nc_u32_e32 v36, 1, v36
	v_add_nc_u32_e32 v34, 16, v34
	;; [unrolled: 1-line block ×3, first 2 shown]
	v_cmp_lt_u32_e32 vcc_lo, 27, v36
	s_or_b32 s66, vcc_lo, s66
	s_waitcnt vmcnt(2) lgkmcnt(0)
	v_mul_f64 v[138:139], v[39:40], v[134:135]
	v_mul_f64 v[134:135], v[37:38], v[134:135]
	s_waitcnt vmcnt(0)
	v_fma_f64 v[37:38], v[37:38], v[136:137], -v[138:139]
	v_fma_f64 v[39:40], v[39:40], v[136:137], v[134:135]
	v_add_f64 v[1:2], v[1:2], v[37:38]
	v_add_f64 v[3:4], v[3:4], v[39:40]
	s_andn2_b32 exec_lo, exec_lo, s66
	s_cbranch_execnz .LBB58_692
; %bb.693:
	s_or_b32 exec_lo, exec_lo, s66
.LBB58_694:
	s_or_b32 exec_lo, exec_lo, s8
	v_mov_b32_e32 v34, 0
	ds_read_b128 v[34:37], v34 offset:464
	s_waitcnt lgkmcnt(0)
	v_mul_f64 v[38:39], v[3:4], v[36:37]
	v_mul_f64 v[36:37], v[1:2], v[36:37]
	v_fma_f64 v[1:2], v[1:2], v[34:35], -v[38:39]
	v_fma_f64 v[3:4], v[3:4], v[34:35], v[36:37]
	buffer_store_dword v2, off, s[0:3], 0 offset:468
	buffer_store_dword v1, off, s[0:3], 0 offset:464
	;; [unrolled: 1-line block ×4, first 2 shown]
.LBB58_695:
	s_or_b32 exec_lo, exec_lo, s4
	v_mov_b32_e32 v4, s36
	s_mov_b32 s4, exec_lo
	s_clause 0x3
	buffer_load_dword v1, v4, s[0:3], 0 offen
	buffer_load_dword v2, v4, s[0:3], 0 offen offset:4
	buffer_load_dword v3, v4, s[0:3], 0 offen offset:8
	;; [unrolled: 1-line block ×3, first 2 shown]
	s_waitcnt vmcnt(0)
	ds_write_b128 v32, v[1:4]
	s_waitcnt lgkmcnt(0)
	s_waitcnt_vscnt null, 0x0
	s_barrier
	buffer_gl0_inv
	v_cmpx_gt_u32_e32 30, v0
	s_cbranch_execz .LBB58_703
; %bb.696:
	ds_read_b128 v[1:4], v32
	v_cmp_ne_u32_e32 vcc_lo, 1, v33
	s_cbranch_vccnz .LBB58_698
; %bb.697:
	s_clause 0x3
	buffer_load_dword v34, v31, s[0:3], 0 offen offset:8
	buffer_load_dword v35, v31, s[0:3], 0 offen offset:12
	buffer_load_dword v36, v31, s[0:3], 0 offen
	buffer_load_dword v37, v31, s[0:3], 0 offen offset:4
	s_waitcnt vmcnt(2) lgkmcnt(0)
	v_mul_f64 v[38:39], v[3:4], v[34:35]
	v_mul_f64 v[34:35], v[1:2], v[34:35]
	s_waitcnt vmcnt(0)
	v_fma_f64 v[1:2], v[1:2], v[36:37], -v[38:39]
	v_fma_f64 v[3:4], v[3:4], v[36:37], v[34:35]
.LBB58_698:
	s_mov_b32 s8, exec_lo
	v_cmpx_ne_u32_e32 29, v0
	s_cbranch_execz .LBB58_702
; %bb.699:
	v_add_nc_u32_e32 v34, 0x3c0, v133
	v_add3_u32 v35, 0, v133, 16
	v_mov_b32_e32 v36, v0
	s_mov_b32 s66, 0
	.p2align	6
.LBB58_700:                             ; =>This Inner Loop Header: Depth=1
	s_clause 0x3
	buffer_load_dword v134, v35, s[0:3], 0 offen offset:8
	buffer_load_dword v135, v35, s[0:3], 0 offen offset:12
	buffer_load_dword v136, v35, s[0:3], 0 offen
	buffer_load_dword v137, v35, s[0:3], 0 offen offset:4
	ds_read_b128 v[37:40], v34
	v_add_nc_u32_e32 v36, 1, v36
	v_add_nc_u32_e32 v34, 16, v34
	;; [unrolled: 1-line block ×3, first 2 shown]
	v_cmp_lt_u32_e32 vcc_lo, 28, v36
	s_or_b32 s66, vcc_lo, s66
	s_waitcnt vmcnt(2) lgkmcnt(0)
	v_mul_f64 v[138:139], v[39:40], v[134:135]
	v_mul_f64 v[134:135], v[37:38], v[134:135]
	s_waitcnt vmcnt(0)
	v_fma_f64 v[37:38], v[37:38], v[136:137], -v[138:139]
	v_fma_f64 v[39:40], v[39:40], v[136:137], v[134:135]
	v_add_f64 v[1:2], v[1:2], v[37:38]
	v_add_f64 v[3:4], v[3:4], v[39:40]
	s_andn2_b32 exec_lo, exec_lo, s66
	s_cbranch_execnz .LBB58_700
; %bb.701:
	s_or_b32 exec_lo, exec_lo, s66
.LBB58_702:
	s_or_b32 exec_lo, exec_lo, s8
	v_mov_b32_e32 v34, 0
	ds_read_b128 v[34:37], v34 offset:480
	s_waitcnt lgkmcnt(0)
	v_mul_f64 v[38:39], v[3:4], v[36:37]
	v_mul_f64 v[36:37], v[1:2], v[36:37]
	v_fma_f64 v[1:2], v[1:2], v[34:35], -v[38:39]
	v_fma_f64 v[3:4], v[3:4], v[34:35], v[36:37]
	buffer_store_dword v2, off, s[0:3], 0 offset:484
	buffer_store_dword v1, off, s[0:3], 0 offset:480
	;; [unrolled: 1-line block ×4, first 2 shown]
.LBB58_703:
	s_or_b32 exec_lo, exec_lo, s4
	v_mov_b32_e32 v4, s35
	s_mov_b32 s4, exec_lo
	s_clause 0x3
	buffer_load_dword v1, v4, s[0:3], 0 offen
	buffer_load_dword v2, v4, s[0:3], 0 offen offset:4
	buffer_load_dword v3, v4, s[0:3], 0 offen offset:8
	;; [unrolled: 1-line block ×3, first 2 shown]
	s_waitcnt vmcnt(0)
	ds_write_b128 v32, v[1:4]
	s_waitcnt lgkmcnt(0)
	s_waitcnt_vscnt null, 0x0
	s_barrier
	buffer_gl0_inv
	v_cmpx_gt_u32_e32 31, v0
	s_cbranch_execz .LBB58_711
; %bb.704:
	ds_read_b128 v[1:4], v32
	v_cmp_ne_u32_e32 vcc_lo, 1, v33
	s_cbranch_vccnz .LBB58_706
; %bb.705:
	s_clause 0x3
	buffer_load_dword v34, v31, s[0:3], 0 offen offset:8
	buffer_load_dword v35, v31, s[0:3], 0 offen offset:12
	buffer_load_dword v36, v31, s[0:3], 0 offen
	buffer_load_dword v37, v31, s[0:3], 0 offen offset:4
	s_waitcnt vmcnt(2) lgkmcnt(0)
	v_mul_f64 v[38:39], v[3:4], v[34:35]
	v_mul_f64 v[34:35], v[1:2], v[34:35]
	s_waitcnt vmcnt(0)
	v_fma_f64 v[1:2], v[1:2], v[36:37], -v[38:39]
	v_fma_f64 v[3:4], v[3:4], v[36:37], v[34:35]
.LBB58_706:
	s_mov_b32 s8, exec_lo
	v_cmpx_ne_u32_e32 30, v0
	s_cbranch_execz .LBB58_710
; %bb.707:
	v_add_nc_u32_e32 v34, 0x3c0, v133
	v_add3_u32 v35, 0, v133, 16
	v_mov_b32_e32 v36, v0
	s_mov_b32 s66, 0
	.p2align	6
.LBB58_708:                             ; =>This Inner Loop Header: Depth=1
	s_clause 0x3
	buffer_load_dword v134, v35, s[0:3], 0 offen offset:8
	buffer_load_dword v135, v35, s[0:3], 0 offen offset:12
	buffer_load_dword v136, v35, s[0:3], 0 offen
	buffer_load_dword v137, v35, s[0:3], 0 offen offset:4
	ds_read_b128 v[37:40], v34
	v_add_nc_u32_e32 v36, 1, v36
	v_add_nc_u32_e32 v34, 16, v34
	;; [unrolled: 1-line block ×3, first 2 shown]
	v_cmp_lt_u32_e32 vcc_lo, 29, v36
	s_or_b32 s66, vcc_lo, s66
	s_waitcnt vmcnt(2) lgkmcnt(0)
	v_mul_f64 v[138:139], v[39:40], v[134:135]
	v_mul_f64 v[134:135], v[37:38], v[134:135]
	s_waitcnt vmcnt(0)
	v_fma_f64 v[37:38], v[37:38], v[136:137], -v[138:139]
	v_fma_f64 v[39:40], v[39:40], v[136:137], v[134:135]
	v_add_f64 v[1:2], v[1:2], v[37:38]
	v_add_f64 v[3:4], v[3:4], v[39:40]
	s_andn2_b32 exec_lo, exec_lo, s66
	s_cbranch_execnz .LBB58_708
; %bb.709:
	s_or_b32 exec_lo, exec_lo, s66
.LBB58_710:
	s_or_b32 exec_lo, exec_lo, s8
	v_mov_b32_e32 v34, 0
	ds_read_b128 v[34:37], v34 offset:496
	s_waitcnt lgkmcnt(0)
	v_mul_f64 v[38:39], v[3:4], v[36:37]
	v_mul_f64 v[36:37], v[1:2], v[36:37]
	v_fma_f64 v[1:2], v[1:2], v[34:35], -v[38:39]
	v_fma_f64 v[3:4], v[3:4], v[34:35], v[36:37]
	buffer_store_dword v2, off, s[0:3], 0 offset:500
	buffer_store_dword v1, off, s[0:3], 0 offset:496
	;; [unrolled: 1-line block ×4, first 2 shown]
.LBB58_711:
	s_or_b32 exec_lo, exec_lo, s4
	v_mov_b32_e32 v4, s34
	s_mov_b32 s4, exec_lo
	s_clause 0x3
	buffer_load_dword v1, v4, s[0:3], 0 offen
	buffer_load_dword v2, v4, s[0:3], 0 offen offset:4
	buffer_load_dword v3, v4, s[0:3], 0 offen offset:8
	;; [unrolled: 1-line block ×3, first 2 shown]
	s_waitcnt vmcnt(0)
	ds_write_b128 v32, v[1:4]
	s_waitcnt lgkmcnt(0)
	s_waitcnt_vscnt null, 0x0
	s_barrier
	buffer_gl0_inv
	v_cmpx_gt_u32_e32 32, v0
	s_cbranch_execz .LBB58_719
; %bb.712:
	ds_read_b128 v[1:4], v32
	v_cmp_ne_u32_e32 vcc_lo, 1, v33
	s_cbranch_vccnz .LBB58_714
; %bb.713:
	s_clause 0x3
	buffer_load_dword v34, v31, s[0:3], 0 offen offset:8
	buffer_load_dword v35, v31, s[0:3], 0 offen offset:12
	buffer_load_dword v36, v31, s[0:3], 0 offen
	buffer_load_dword v37, v31, s[0:3], 0 offen offset:4
	s_waitcnt vmcnt(2) lgkmcnt(0)
	v_mul_f64 v[38:39], v[3:4], v[34:35]
	v_mul_f64 v[34:35], v[1:2], v[34:35]
	s_waitcnt vmcnt(0)
	v_fma_f64 v[1:2], v[1:2], v[36:37], -v[38:39]
	v_fma_f64 v[3:4], v[3:4], v[36:37], v[34:35]
.LBB58_714:
	s_mov_b32 s8, exec_lo
	v_cmpx_ne_u32_e32 31, v0
	s_cbranch_execz .LBB58_718
; %bb.715:
	v_add_nc_u32_e32 v34, 0x3c0, v133
	v_add3_u32 v35, 0, v133, 16
	v_mov_b32_e32 v36, v0
	s_mov_b32 s66, 0
	.p2align	6
.LBB58_716:                             ; =>This Inner Loop Header: Depth=1
	s_clause 0x3
	buffer_load_dword v134, v35, s[0:3], 0 offen offset:8
	buffer_load_dword v135, v35, s[0:3], 0 offen offset:12
	buffer_load_dword v136, v35, s[0:3], 0 offen
	buffer_load_dword v137, v35, s[0:3], 0 offen offset:4
	ds_read_b128 v[37:40], v34
	v_add_nc_u32_e32 v36, 1, v36
	v_add_nc_u32_e32 v34, 16, v34
	;; [unrolled: 1-line block ×3, first 2 shown]
	v_cmp_lt_u32_e32 vcc_lo, 30, v36
	s_or_b32 s66, vcc_lo, s66
	s_waitcnt vmcnt(2) lgkmcnt(0)
	v_mul_f64 v[138:139], v[39:40], v[134:135]
	v_mul_f64 v[134:135], v[37:38], v[134:135]
	s_waitcnt vmcnt(0)
	v_fma_f64 v[37:38], v[37:38], v[136:137], -v[138:139]
	v_fma_f64 v[39:40], v[39:40], v[136:137], v[134:135]
	v_add_f64 v[1:2], v[1:2], v[37:38]
	v_add_f64 v[3:4], v[3:4], v[39:40]
	s_andn2_b32 exec_lo, exec_lo, s66
	s_cbranch_execnz .LBB58_716
; %bb.717:
	s_or_b32 exec_lo, exec_lo, s66
.LBB58_718:
	s_or_b32 exec_lo, exec_lo, s8
	v_mov_b32_e32 v34, 0
	ds_read_b128 v[34:37], v34 offset:512
	s_waitcnt lgkmcnt(0)
	v_mul_f64 v[38:39], v[3:4], v[36:37]
	v_mul_f64 v[36:37], v[1:2], v[36:37]
	v_fma_f64 v[1:2], v[1:2], v[34:35], -v[38:39]
	v_fma_f64 v[3:4], v[3:4], v[34:35], v[36:37]
	buffer_store_dword v2, off, s[0:3], 0 offset:516
	buffer_store_dword v1, off, s[0:3], 0 offset:512
	;; [unrolled: 1-line block ×4, first 2 shown]
.LBB58_719:
	s_or_b32 exec_lo, exec_lo, s4
	v_mov_b32_e32 v4, s33
	s_mov_b32 s4, exec_lo
	s_clause 0x3
	buffer_load_dword v1, v4, s[0:3], 0 offen
	buffer_load_dword v2, v4, s[0:3], 0 offen offset:4
	buffer_load_dword v3, v4, s[0:3], 0 offen offset:8
	;; [unrolled: 1-line block ×3, first 2 shown]
	s_waitcnt vmcnt(0)
	ds_write_b128 v32, v[1:4]
	s_waitcnt lgkmcnt(0)
	s_waitcnt_vscnt null, 0x0
	s_barrier
	buffer_gl0_inv
	v_cmpx_gt_u32_e32 33, v0
	s_cbranch_execz .LBB58_727
; %bb.720:
	ds_read_b128 v[1:4], v32
	v_cmp_ne_u32_e32 vcc_lo, 1, v33
	s_cbranch_vccnz .LBB58_722
; %bb.721:
	s_clause 0x3
	buffer_load_dword v34, v31, s[0:3], 0 offen offset:8
	buffer_load_dword v35, v31, s[0:3], 0 offen offset:12
	buffer_load_dword v36, v31, s[0:3], 0 offen
	buffer_load_dword v37, v31, s[0:3], 0 offen offset:4
	s_waitcnt vmcnt(2) lgkmcnt(0)
	v_mul_f64 v[38:39], v[3:4], v[34:35]
	v_mul_f64 v[34:35], v[1:2], v[34:35]
	s_waitcnt vmcnt(0)
	v_fma_f64 v[1:2], v[1:2], v[36:37], -v[38:39]
	v_fma_f64 v[3:4], v[3:4], v[36:37], v[34:35]
.LBB58_722:
	s_mov_b32 s8, exec_lo
	v_cmpx_ne_u32_e32 32, v0
	s_cbranch_execz .LBB58_726
; %bb.723:
	v_add_nc_u32_e32 v34, 0x3c0, v133
	v_add3_u32 v35, 0, v133, 16
	v_mov_b32_e32 v36, v0
	s_mov_b32 s66, 0
	.p2align	6
.LBB58_724:                             ; =>This Inner Loop Header: Depth=1
	s_clause 0x3
	buffer_load_dword v134, v35, s[0:3], 0 offen offset:8
	buffer_load_dword v135, v35, s[0:3], 0 offen offset:12
	buffer_load_dword v136, v35, s[0:3], 0 offen
	buffer_load_dword v137, v35, s[0:3], 0 offen offset:4
	ds_read_b128 v[37:40], v34
	v_add_nc_u32_e32 v36, 1, v36
	v_add_nc_u32_e32 v34, 16, v34
	;; [unrolled: 1-line block ×3, first 2 shown]
	v_cmp_lt_u32_e32 vcc_lo, 31, v36
	s_or_b32 s66, vcc_lo, s66
	s_waitcnt vmcnt(2) lgkmcnt(0)
	v_mul_f64 v[138:139], v[39:40], v[134:135]
	v_mul_f64 v[134:135], v[37:38], v[134:135]
	s_waitcnt vmcnt(0)
	v_fma_f64 v[37:38], v[37:38], v[136:137], -v[138:139]
	v_fma_f64 v[39:40], v[39:40], v[136:137], v[134:135]
	v_add_f64 v[1:2], v[1:2], v[37:38]
	v_add_f64 v[3:4], v[3:4], v[39:40]
	s_andn2_b32 exec_lo, exec_lo, s66
	s_cbranch_execnz .LBB58_724
; %bb.725:
	s_or_b32 exec_lo, exec_lo, s66
.LBB58_726:
	s_or_b32 exec_lo, exec_lo, s8
	v_mov_b32_e32 v34, 0
	ds_read_b128 v[34:37], v34 offset:528
	s_waitcnt lgkmcnt(0)
	v_mul_f64 v[38:39], v[3:4], v[36:37]
	v_mul_f64 v[36:37], v[1:2], v[36:37]
	v_fma_f64 v[1:2], v[1:2], v[34:35], -v[38:39]
	v_fma_f64 v[3:4], v[3:4], v[34:35], v[36:37]
	buffer_store_dword v2, off, s[0:3], 0 offset:532
	buffer_store_dword v1, off, s[0:3], 0 offset:528
	;; [unrolled: 1-line block ×4, first 2 shown]
.LBB58_727:
	s_or_b32 exec_lo, exec_lo, s4
	v_mov_b32_e32 v4, s31
	s_mov_b32 s4, exec_lo
	s_clause 0x3
	buffer_load_dword v1, v4, s[0:3], 0 offen
	buffer_load_dword v2, v4, s[0:3], 0 offen offset:4
	buffer_load_dword v3, v4, s[0:3], 0 offen offset:8
	;; [unrolled: 1-line block ×3, first 2 shown]
	s_waitcnt vmcnt(0)
	ds_write_b128 v32, v[1:4]
	s_waitcnt lgkmcnt(0)
	s_waitcnt_vscnt null, 0x0
	s_barrier
	buffer_gl0_inv
	v_cmpx_gt_u32_e32 34, v0
	s_cbranch_execz .LBB58_735
; %bb.728:
	ds_read_b128 v[1:4], v32
	v_cmp_ne_u32_e32 vcc_lo, 1, v33
	s_cbranch_vccnz .LBB58_730
; %bb.729:
	s_clause 0x3
	buffer_load_dword v34, v31, s[0:3], 0 offen offset:8
	buffer_load_dword v35, v31, s[0:3], 0 offen offset:12
	buffer_load_dword v36, v31, s[0:3], 0 offen
	buffer_load_dword v37, v31, s[0:3], 0 offen offset:4
	s_waitcnt vmcnt(2) lgkmcnt(0)
	v_mul_f64 v[38:39], v[3:4], v[34:35]
	v_mul_f64 v[34:35], v[1:2], v[34:35]
	s_waitcnt vmcnt(0)
	v_fma_f64 v[1:2], v[1:2], v[36:37], -v[38:39]
	v_fma_f64 v[3:4], v[3:4], v[36:37], v[34:35]
.LBB58_730:
	s_mov_b32 s8, exec_lo
	v_cmpx_ne_u32_e32 33, v0
	s_cbranch_execz .LBB58_734
; %bb.731:
	v_add_nc_u32_e32 v34, 0x3c0, v133
	v_add3_u32 v35, 0, v133, 16
	v_mov_b32_e32 v36, v0
	s_mov_b32 s66, 0
	.p2align	6
.LBB58_732:                             ; =>This Inner Loop Header: Depth=1
	s_clause 0x3
	buffer_load_dword v134, v35, s[0:3], 0 offen offset:8
	buffer_load_dword v135, v35, s[0:3], 0 offen offset:12
	buffer_load_dword v136, v35, s[0:3], 0 offen
	buffer_load_dword v137, v35, s[0:3], 0 offen offset:4
	ds_read_b128 v[37:40], v34
	v_add_nc_u32_e32 v36, 1, v36
	v_add_nc_u32_e32 v34, 16, v34
	;; [unrolled: 1-line block ×3, first 2 shown]
	v_cmp_lt_u32_e32 vcc_lo, 32, v36
	s_or_b32 s66, vcc_lo, s66
	s_waitcnt vmcnt(2) lgkmcnt(0)
	v_mul_f64 v[138:139], v[39:40], v[134:135]
	v_mul_f64 v[134:135], v[37:38], v[134:135]
	s_waitcnt vmcnt(0)
	v_fma_f64 v[37:38], v[37:38], v[136:137], -v[138:139]
	v_fma_f64 v[39:40], v[39:40], v[136:137], v[134:135]
	v_add_f64 v[1:2], v[1:2], v[37:38]
	v_add_f64 v[3:4], v[3:4], v[39:40]
	s_andn2_b32 exec_lo, exec_lo, s66
	s_cbranch_execnz .LBB58_732
; %bb.733:
	s_or_b32 exec_lo, exec_lo, s66
.LBB58_734:
	s_or_b32 exec_lo, exec_lo, s8
	v_mov_b32_e32 v34, 0
	ds_read_b128 v[34:37], v34 offset:544
	s_waitcnt lgkmcnt(0)
	v_mul_f64 v[38:39], v[3:4], v[36:37]
	v_mul_f64 v[36:37], v[1:2], v[36:37]
	v_fma_f64 v[1:2], v[1:2], v[34:35], -v[38:39]
	v_fma_f64 v[3:4], v[3:4], v[34:35], v[36:37]
	buffer_store_dword v2, off, s[0:3], 0 offset:548
	buffer_store_dword v1, off, s[0:3], 0 offset:544
	;; [unrolled: 1-line block ×4, first 2 shown]
.LBB58_735:
	s_or_b32 exec_lo, exec_lo, s4
	v_mov_b32_e32 v4, s30
	s_mov_b32 s4, exec_lo
	s_clause 0x3
	buffer_load_dword v1, v4, s[0:3], 0 offen
	buffer_load_dword v2, v4, s[0:3], 0 offen offset:4
	buffer_load_dword v3, v4, s[0:3], 0 offen offset:8
	;; [unrolled: 1-line block ×3, first 2 shown]
	s_waitcnt vmcnt(0)
	ds_write_b128 v32, v[1:4]
	s_waitcnt lgkmcnt(0)
	s_waitcnt_vscnt null, 0x0
	s_barrier
	buffer_gl0_inv
	v_cmpx_gt_u32_e32 35, v0
	s_cbranch_execz .LBB58_743
; %bb.736:
	ds_read_b128 v[1:4], v32
	v_cmp_ne_u32_e32 vcc_lo, 1, v33
	s_cbranch_vccnz .LBB58_738
; %bb.737:
	s_clause 0x3
	buffer_load_dword v34, v31, s[0:3], 0 offen offset:8
	buffer_load_dword v35, v31, s[0:3], 0 offen offset:12
	buffer_load_dword v36, v31, s[0:3], 0 offen
	buffer_load_dword v37, v31, s[0:3], 0 offen offset:4
	s_waitcnt vmcnt(2) lgkmcnt(0)
	v_mul_f64 v[38:39], v[3:4], v[34:35]
	v_mul_f64 v[34:35], v[1:2], v[34:35]
	s_waitcnt vmcnt(0)
	v_fma_f64 v[1:2], v[1:2], v[36:37], -v[38:39]
	v_fma_f64 v[3:4], v[3:4], v[36:37], v[34:35]
.LBB58_738:
	s_mov_b32 s8, exec_lo
	v_cmpx_ne_u32_e32 34, v0
	s_cbranch_execz .LBB58_742
; %bb.739:
	v_add_nc_u32_e32 v34, 0x3c0, v133
	v_add3_u32 v35, 0, v133, 16
	v_mov_b32_e32 v36, v0
	s_mov_b32 s66, 0
	.p2align	6
.LBB58_740:                             ; =>This Inner Loop Header: Depth=1
	s_clause 0x3
	buffer_load_dword v134, v35, s[0:3], 0 offen offset:8
	buffer_load_dword v135, v35, s[0:3], 0 offen offset:12
	buffer_load_dword v136, v35, s[0:3], 0 offen
	buffer_load_dword v137, v35, s[0:3], 0 offen offset:4
	ds_read_b128 v[37:40], v34
	v_add_nc_u32_e32 v36, 1, v36
	v_add_nc_u32_e32 v34, 16, v34
	v_add_nc_u32_e32 v35, 16, v35
	v_cmp_lt_u32_e32 vcc_lo, 33, v36
	s_or_b32 s66, vcc_lo, s66
	s_waitcnt vmcnt(2) lgkmcnt(0)
	v_mul_f64 v[138:139], v[39:40], v[134:135]
	v_mul_f64 v[134:135], v[37:38], v[134:135]
	s_waitcnt vmcnt(0)
	v_fma_f64 v[37:38], v[37:38], v[136:137], -v[138:139]
	v_fma_f64 v[39:40], v[39:40], v[136:137], v[134:135]
	v_add_f64 v[1:2], v[1:2], v[37:38]
	v_add_f64 v[3:4], v[3:4], v[39:40]
	s_andn2_b32 exec_lo, exec_lo, s66
	s_cbranch_execnz .LBB58_740
; %bb.741:
	s_or_b32 exec_lo, exec_lo, s66
.LBB58_742:
	s_or_b32 exec_lo, exec_lo, s8
	v_mov_b32_e32 v34, 0
	ds_read_b128 v[34:37], v34 offset:560
	s_waitcnt lgkmcnt(0)
	v_mul_f64 v[38:39], v[3:4], v[36:37]
	v_mul_f64 v[36:37], v[1:2], v[36:37]
	v_fma_f64 v[1:2], v[1:2], v[34:35], -v[38:39]
	v_fma_f64 v[3:4], v[3:4], v[34:35], v[36:37]
	buffer_store_dword v2, off, s[0:3], 0 offset:564
	buffer_store_dword v1, off, s[0:3], 0 offset:560
	;; [unrolled: 1-line block ×4, first 2 shown]
.LBB58_743:
	s_or_b32 exec_lo, exec_lo, s4
	v_mov_b32_e32 v4, s29
	s_mov_b32 s4, exec_lo
	s_clause 0x3
	buffer_load_dword v1, v4, s[0:3], 0 offen
	buffer_load_dword v2, v4, s[0:3], 0 offen offset:4
	buffer_load_dword v3, v4, s[0:3], 0 offen offset:8
	;; [unrolled: 1-line block ×3, first 2 shown]
	s_waitcnt vmcnt(0)
	ds_write_b128 v32, v[1:4]
	s_waitcnt lgkmcnt(0)
	s_waitcnt_vscnt null, 0x0
	s_barrier
	buffer_gl0_inv
	v_cmpx_gt_u32_e32 36, v0
	s_cbranch_execz .LBB58_751
; %bb.744:
	ds_read_b128 v[1:4], v32
	v_cmp_ne_u32_e32 vcc_lo, 1, v33
	s_cbranch_vccnz .LBB58_746
; %bb.745:
	s_clause 0x3
	buffer_load_dword v34, v31, s[0:3], 0 offen offset:8
	buffer_load_dword v35, v31, s[0:3], 0 offen offset:12
	buffer_load_dword v36, v31, s[0:3], 0 offen
	buffer_load_dword v37, v31, s[0:3], 0 offen offset:4
	s_waitcnt vmcnt(2) lgkmcnt(0)
	v_mul_f64 v[38:39], v[3:4], v[34:35]
	v_mul_f64 v[34:35], v[1:2], v[34:35]
	s_waitcnt vmcnt(0)
	v_fma_f64 v[1:2], v[1:2], v[36:37], -v[38:39]
	v_fma_f64 v[3:4], v[3:4], v[36:37], v[34:35]
.LBB58_746:
	s_mov_b32 s8, exec_lo
	v_cmpx_ne_u32_e32 35, v0
	s_cbranch_execz .LBB58_750
; %bb.747:
	v_add_nc_u32_e32 v34, 0x3c0, v133
	v_add3_u32 v35, 0, v133, 16
	v_mov_b32_e32 v36, v0
	s_mov_b32 s66, 0
	.p2align	6
.LBB58_748:                             ; =>This Inner Loop Header: Depth=1
	s_clause 0x3
	buffer_load_dword v134, v35, s[0:3], 0 offen offset:8
	buffer_load_dword v135, v35, s[0:3], 0 offen offset:12
	buffer_load_dword v136, v35, s[0:3], 0 offen
	buffer_load_dword v137, v35, s[0:3], 0 offen offset:4
	ds_read_b128 v[37:40], v34
	v_add_nc_u32_e32 v36, 1, v36
	v_add_nc_u32_e32 v34, 16, v34
	;; [unrolled: 1-line block ×3, first 2 shown]
	v_cmp_lt_u32_e32 vcc_lo, 34, v36
	s_or_b32 s66, vcc_lo, s66
	s_waitcnt vmcnt(2) lgkmcnt(0)
	v_mul_f64 v[138:139], v[39:40], v[134:135]
	v_mul_f64 v[134:135], v[37:38], v[134:135]
	s_waitcnt vmcnt(0)
	v_fma_f64 v[37:38], v[37:38], v[136:137], -v[138:139]
	v_fma_f64 v[39:40], v[39:40], v[136:137], v[134:135]
	v_add_f64 v[1:2], v[1:2], v[37:38]
	v_add_f64 v[3:4], v[3:4], v[39:40]
	s_andn2_b32 exec_lo, exec_lo, s66
	s_cbranch_execnz .LBB58_748
; %bb.749:
	s_or_b32 exec_lo, exec_lo, s66
.LBB58_750:
	s_or_b32 exec_lo, exec_lo, s8
	v_mov_b32_e32 v34, 0
	ds_read_b128 v[34:37], v34 offset:576
	s_waitcnt lgkmcnt(0)
	v_mul_f64 v[38:39], v[3:4], v[36:37]
	v_mul_f64 v[36:37], v[1:2], v[36:37]
	v_fma_f64 v[1:2], v[1:2], v[34:35], -v[38:39]
	v_fma_f64 v[3:4], v[3:4], v[34:35], v[36:37]
	buffer_store_dword v2, off, s[0:3], 0 offset:580
	buffer_store_dword v1, off, s[0:3], 0 offset:576
	;; [unrolled: 1-line block ×4, first 2 shown]
.LBB58_751:
	s_or_b32 exec_lo, exec_lo, s4
	v_mov_b32_e32 v4, s28
	s_mov_b32 s4, exec_lo
	s_clause 0x3
	buffer_load_dword v1, v4, s[0:3], 0 offen
	buffer_load_dword v2, v4, s[0:3], 0 offen offset:4
	buffer_load_dword v3, v4, s[0:3], 0 offen offset:8
	;; [unrolled: 1-line block ×3, first 2 shown]
	s_waitcnt vmcnt(0)
	ds_write_b128 v32, v[1:4]
	s_waitcnt lgkmcnt(0)
	s_waitcnt_vscnt null, 0x0
	s_barrier
	buffer_gl0_inv
	v_cmpx_gt_u32_e32 37, v0
	s_cbranch_execz .LBB58_759
; %bb.752:
	ds_read_b128 v[1:4], v32
	v_cmp_ne_u32_e32 vcc_lo, 1, v33
	s_cbranch_vccnz .LBB58_754
; %bb.753:
	s_clause 0x3
	buffer_load_dword v34, v31, s[0:3], 0 offen offset:8
	buffer_load_dword v35, v31, s[0:3], 0 offen offset:12
	buffer_load_dword v36, v31, s[0:3], 0 offen
	buffer_load_dword v37, v31, s[0:3], 0 offen offset:4
	s_waitcnt vmcnt(2) lgkmcnt(0)
	v_mul_f64 v[38:39], v[3:4], v[34:35]
	v_mul_f64 v[34:35], v[1:2], v[34:35]
	s_waitcnt vmcnt(0)
	v_fma_f64 v[1:2], v[1:2], v[36:37], -v[38:39]
	v_fma_f64 v[3:4], v[3:4], v[36:37], v[34:35]
.LBB58_754:
	s_mov_b32 s8, exec_lo
	v_cmpx_ne_u32_e32 36, v0
	s_cbranch_execz .LBB58_758
; %bb.755:
	v_add_nc_u32_e32 v34, 0x3c0, v133
	v_add3_u32 v35, 0, v133, 16
	v_mov_b32_e32 v36, v0
	s_mov_b32 s66, 0
	.p2align	6
.LBB58_756:                             ; =>This Inner Loop Header: Depth=1
	s_clause 0x3
	buffer_load_dword v134, v35, s[0:3], 0 offen offset:8
	buffer_load_dword v135, v35, s[0:3], 0 offen offset:12
	buffer_load_dword v136, v35, s[0:3], 0 offen
	buffer_load_dword v137, v35, s[0:3], 0 offen offset:4
	ds_read_b128 v[37:40], v34
	v_add_nc_u32_e32 v36, 1, v36
	v_add_nc_u32_e32 v34, 16, v34
	;; [unrolled: 1-line block ×3, first 2 shown]
	v_cmp_lt_u32_e32 vcc_lo, 35, v36
	s_or_b32 s66, vcc_lo, s66
	s_waitcnt vmcnt(2) lgkmcnt(0)
	v_mul_f64 v[138:139], v[39:40], v[134:135]
	v_mul_f64 v[134:135], v[37:38], v[134:135]
	s_waitcnt vmcnt(0)
	v_fma_f64 v[37:38], v[37:38], v[136:137], -v[138:139]
	v_fma_f64 v[39:40], v[39:40], v[136:137], v[134:135]
	v_add_f64 v[1:2], v[1:2], v[37:38]
	v_add_f64 v[3:4], v[3:4], v[39:40]
	s_andn2_b32 exec_lo, exec_lo, s66
	s_cbranch_execnz .LBB58_756
; %bb.757:
	s_or_b32 exec_lo, exec_lo, s66
.LBB58_758:
	s_or_b32 exec_lo, exec_lo, s8
	v_mov_b32_e32 v34, 0
	ds_read_b128 v[34:37], v34 offset:592
	s_waitcnt lgkmcnt(0)
	v_mul_f64 v[38:39], v[3:4], v[36:37]
	v_mul_f64 v[36:37], v[1:2], v[36:37]
	v_fma_f64 v[1:2], v[1:2], v[34:35], -v[38:39]
	v_fma_f64 v[3:4], v[3:4], v[34:35], v[36:37]
	buffer_store_dword v2, off, s[0:3], 0 offset:596
	buffer_store_dword v1, off, s[0:3], 0 offset:592
	;; [unrolled: 1-line block ×4, first 2 shown]
.LBB58_759:
	s_or_b32 exec_lo, exec_lo, s4
	v_mov_b32_e32 v4, s27
	s_mov_b32 s4, exec_lo
	s_clause 0x3
	buffer_load_dword v1, v4, s[0:3], 0 offen
	buffer_load_dword v2, v4, s[0:3], 0 offen offset:4
	buffer_load_dword v3, v4, s[0:3], 0 offen offset:8
	;; [unrolled: 1-line block ×3, first 2 shown]
	s_waitcnt vmcnt(0)
	ds_write_b128 v32, v[1:4]
	s_waitcnt lgkmcnt(0)
	s_waitcnt_vscnt null, 0x0
	s_barrier
	buffer_gl0_inv
	v_cmpx_gt_u32_e32 38, v0
	s_cbranch_execz .LBB58_767
; %bb.760:
	ds_read_b128 v[1:4], v32
	v_cmp_ne_u32_e32 vcc_lo, 1, v33
	s_cbranch_vccnz .LBB58_762
; %bb.761:
	s_clause 0x3
	buffer_load_dword v34, v31, s[0:3], 0 offen offset:8
	buffer_load_dword v35, v31, s[0:3], 0 offen offset:12
	buffer_load_dword v36, v31, s[0:3], 0 offen
	buffer_load_dword v37, v31, s[0:3], 0 offen offset:4
	s_waitcnt vmcnt(2) lgkmcnt(0)
	v_mul_f64 v[38:39], v[3:4], v[34:35]
	v_mul_f64 v[34:35], v[1:2], v[34:35]
	s_waitcnt vmcnt(0)
	v_fma_f64 v[1:2], v[1:2], v[36:37], -v[38:39]
	v_fma_f64 v[3:4], v[3:4], v[36:37], v[34:35]
.LBB58_762:
	s_mov_b32 s8, exec_lo
	v_cmpx_ne_u32_e32 37, v0
	s_cbranch_execz .LBB58_766
; %bb.763:
	v_add_nc_u32_e32 v34, 0x3c0, v133
	v_add3_u32 v35, 0, v133, 16
	v_mov_b32_e32 v36, v0
	s_mov_b32 s66, 0
	.p2align	6
.LBB58_764:                             ; =>This Inner Loop Header: Depth=1
	s_clause 0x3
	buffer_load_dword v134, v35, s[0:3], 0 offen offset:8
	buffer_load_dword v135, v35, s[0:3], 0 offen offset:12
	buffer_load_dword v136, v35, s[0:3], 0 offen
	buffer_load_dword v137, v35, s[0:3], 0 offen offset:4
	ds_read_b128 v[37:40], v34
	v_add_nc_u32_e32 v36, 1, v36
	v_add_nc_u32_e32 v34, 16, v34
	;; [unrolled: 1-line block ×3, first 2 shown]
	v_cmp_lt_u32_e32 vcc_lo, 36, v36
	s_or_b32 s66, vcc_lo, s66
	s_waitcnt vmcnt(2) lgkmcnt(0)
	v_mul_f64 v[138:139], v[39:40], v[134:135]
	v_mul_f64 v[134:135], v[37:38], v[134:135]
	s_waitcnt vmcnt(0)
	v_fma_f64 v[37:38], v[37:38], v[136:137], -v[138:139]
	v_fma_f64 v[39:40], v[39:40], v[136:137], v[134:135]
	v_add_f64 v[1:2], v[1:2], v[37:38]
	v_add_f64 v[3:4], v[3:4], v[39:40]
	s_andn2_b32 exec_lo, exec_lo, s66
	s_cbranch_execnz .LBB58_764
; %bb.765:
	s_or_b32 exec_lo, exec_lo, s66
.LBB58_766:
	s_or_b32 exec_lo, exec_lo, s8
	v_mov_b32_e32 v34, 0
	ds_read_b128 v[34:37], v34 offset:608
	s_waitcnt lgkmcnt(0)
	v_mul_f64 v[38:39], v[3:4], v[36:37]
	v_mul_f64 v[36:37], v[1:2], v[36:37]
	v_fma_f64 v[1:2], v[1:2], v[34:35], -v[38:39]
	v_fma_f64 v[3:4], v[3:4], v[34:35], v[36:37]
	buffer_store_dword v2, off, s[0:3], 0 offset:612
	buffer_store_dword v1, off, s[0:3], 0 offset:608
	;; [unrolled: 1-line block ×4, first 2 shown]
.LBB58_767:
	s_or_b32 exec_lo, exec_lo, s4
	v_mov_b32_e32 v4, s26
	s_mov_b32 s4, exec_lo
	s_clause 0x3
	buffer_load_dword v1, v4, s[0:3], 0 offen
	buffer_load_dword v2, v4, s[0:3], 0 offen offset:4
	buffer_load_dword v3, v4, s[0:3], 0 offen offset:8
	;; [unrolled: 1-line block ×3, first 2 shown]
	s_waitcnt vmcnt(0)
	ds_write_b128 v32, v[1:4]
	s_waitcnt lgkmcnt(0)
	s_waitcnt_vscnt null, 0x0
	s_barrier
	buffer_gl0_inv
	v_cmpx_gt_u32_e32 39, v0
	s_cbranch_execz .LBB58_775
; %bb.768:
	ds_read_b128 v[1:4], v32
	v_cmp_ne_u32_e32 vcc_lo, 1, v33
	s_cbranch_vccnz .LBB58_770
; %bb.769:
	s_clause 0x3
	buffer_load_dword v34, v31, s[0:3], 0 offen offset:8
	buffer_load_dword v35, v31, s[0:3], 0 offen offset:12
	buffer_load_dword v36, v31, s[0:3], 0 offen
	buffer_load_dword v37, v31, s[0:3], 0 offen offset:4
	s_waitcnt vmcnt(2) lgkmcnt(0)
	v_mul_f64 v[38:39], v[3:4], v[34:35]
	v_mul_f64 v[34:35], v[1:2], v[34:35]
	s_waitcnt vmcnt(0)
	v_fma_f64 v[1:2], v[1:2], v[36:37], -v[38:39]
	v_fma_f64 v[3:4], v[3:4], v[36:37], v[34:35]
.LBB58_770:
	s_mov_b32 s8, exec_lo
	v_cmpx_ne_u32_e32 38, v0
	s_cbranch_execz .LBB58_774
; %bb.771:
	v_add_nc_u32_e32 v34, 0x3c0, v133
	v_add3_u32 v35, 0, v133, 16
	v_mov_b32_e32 v36, v0
	s_mov_b32 s66, 0
	.p2align	6
.LBB58_772:                             ; =>This Inner Loop Header: Depth=1
	s_clause 0x3
	buffer_load_dword v134, v35, s[0:3], 0 offen offset:8
	buffer_load_dword v135, v35, s[0:3], 0 offen offset:12
	buffer_load_dword v136, v35, s[0:3], 0 offen
	buffer_load_dword v137, v35, s[0:3], 0 offen offset:4
	ds_read_b128 v[37:40], v34
	v_add_nc_u32_e32 v36, 1, v36
	v_add_nc_u32_e32 v34, 16, v34
	;; [unrolled: 1-line block ×3, first 2 shown]
	v_cmp_lt_u32_e32 vcc_lo, 37, v36
	s_or_b32 s66, vcc_lo, s66
	s_waitcnt vmcnt(2) lgkmcnt(0)
	v_mul_f64 v[138:139], v[39:40], v[134:135]
	v_mul_f64 v[134:135], v[37:38], v[134:135]
	s_waitcnt vmcnt(0)
	v_fma_f64 v[37:38], v[37:38], v[136:137], -v[138:139]
	v_fma_f64 v[39:40], v[39:40], v[136:137], v[134:135]
	v_add_f64 v[1:2], v[1:2], v[37:38]
	v_add_f64 v[3:4], v[3:4], v[39:40]
	s_andn2_b32 exec_lo, exec_lo, s66
	s_cbranch_execnz .LBB58_772
; %bb.773:
	s_or_b32 exec_lo, exec_lo, s66
.LBB58_774:
	s_or_b32 exec_lo, exec_lo, s8
	v_mov_b32_e32 v34, 0
	ds_read_b128 v[34:37], v34 offset:624
	s_waitcnt lgkmcnt(0)
	v_mul_f64 v[38:39], v[3:4], v[36:37]
	v_mul_f64 v[36:37], v[1:2], v[36:37]
	v_fma_f64 v[1:2], v[1:2], v[34:35], -v[38:39]
	v_fma_f64 v[3:4], v[3:4], v[34:35], v[36:37]
	buffer_store_dword v2, off, s[0:3], 0 offset:628
	buffer_store_dword v1, off, s[0:3], 0 offset:624
	;; [unrolled: 1-line block ×4, first 2 shown]
.LBB58_775:
	s_or_b32 exec_lo, exec_lo, s4
	v_mov_b32_e32 v4, s25
	s_mov_b32 s4, exec_lo
	s_clause 0x3
	buffer_load_dword v1, v4, s[0:3], 0 offen
	buffer_load_dword v2, v4, s[0:3], 0 offen offset:4
	buffer_load_dword v3, v4, s[0:3], 0 offen offset:8
	;; [unrolled: 1-line block ×3, first 2 shown]
	s_waitcnt vmcnt(0)
	ds_write_b128 v32, v[1:4]
	s_waitcnt lgkmcnt(0)
	s_waitcnt_vscnt null, 0x0
	s_barrier
	buffer_gl0_inv
	v_cmpx_gt_u32_e32 40, v0
	s_cbranch_execz .LBB58_783
; %bb.776:
	ds_read_b128 v[1:4], v32
	v_cmp_ne_u32_e32 vcc_lo, 1, v33
	s_cbranch_vccnz .LBB58_778
; %bb.777:
	s_clause 0x3
	buffer_load_dword v34, v31, s[0:3], 0 offen offset:8
	buffer_load_dword v35, v31, s[0:3], 0 offen offset:12
	buffer_load_dword v36, v31, s[0:3], 0 offen
	buffer_load_dword v37, v31, s[0:3], 0 offen offset:4
	s_waitcnt vmcnt(2) lgkmcnt(0)
	v_mul_f64 v[38:39], v[3:4], v[34:35]
	v_mul_f64 v[34:35], v[1:2], v[34:35]
	s_waitcnt vmcnt(0)
	v_fma_f64 v[1:2], v[1:2], v[36:37], -v[38:39]
	v_fma_f64 v[3:4], v[3:4], v[36:37], v[34:35]
.LBB58_778:
	s_mov_b32 s8, exec_lo
	v_cmpx_ne_u32_e32 39, v0
	s_cbranch_execz .LBB58_782
; %bb.779:
	v_add_nc_u32_e32 v34, 0x3c0, v133
	v_add3_u32 v35, 0, v133, 16
	v_mov_b32_e32 v36, v0
	s_mov_b32 s66, 0
	.p2align	6
.LBB58_780:                             ; =>This Inner Loop Header: Depth=1
	s_clause 0x3
	buffer_load_dword v134, v35, s[0:3], 0 offen offset:8
	buffer_load_dword v135, v35, s[0:3], 0 offen offset:12
	buffer_load_dword v136, v35, s[0:3], 0 offen
	buffer_load_dword v137, v35, s[0:3], 0 offen offset:4
	ds_read_b128 v[37:40], v34
	v_add_nc_u32_e32 v36, 1, v36
	v_add_nc_u32_e32 v34, 16, v34
	;; [unrolled: 1-line block ×3, first 2 shown]
	v_cmp_lt_u32_e32 vcc_lo, 38, v36
	s_or_b32 s66, vcc_lo, s66
	s_waitcnt vmcnt(2) lgkmcnt(0)
	v_mul_f64 v[138:139], v[39:40], v[134:135]
	v_mul_f64 v[134:135], v[37:38], v[134:135]
	s_waitcnt vmcnt(0)
	v_fma_f64 v[37:38], v[37:38], v[136:137], -v[138:139]
	v_fma_f64 v[39:40], v[39:40], v[136:137], v[134:135]
	v_add_f64 v[1:2], v[1:2], v[37:38]
	v_add_f64 v[3:4], v[3:4], v[39:40]
	s_andn2_b32 exec_lo, exec_lo, s66
	s_cbranch_execnz .LBB58_780
; %bb.781:
	s_or_b32 exec_lo, exec_lo, s66
.LBB58_782:
	s_or_b32 exec_lo, exec_lo, s8
	v_mov_b32_e32 v34, 0
	ds_read_b128 v[34:37], v34 offset:640
	s_waitcnt lgkmcnt(0)
	v_mul_f64 v[38:39], v[3:4], v[36:37]
	v_mul_f64 v[36:37], v[1:2], v[36:37]
	v_fma_f64 v[1:2], v[1:2], v[34:35], -v[38:39]
	v_fma_f64 v[3:4], v[3:4], v[34:35], v[36:37]
	buffer_store_dword v2, off, s[0:3], 0 offset:644
	buffer_store_dword v1, off, s[0:3], 0 offset:640
	buffer_store_dword v4, off, s[0:3], 0 offset:652
	buffer_store_dword v3, off, s[0:3], 0 offset:648
.LBB58_783:
	s_or_b32 exec_lo, exec_lo, s4
	v_mov_b32_e32 v4, s24
	s_mov_b32 s4, exec_lo
	s_clause 0x3
	buffer_load_dword v1, v4, s[0:3], 0 offen
	buffer_load_dword v2, v4, s[0:3], 0 offen offset:4
	buffer_load_dword v3, v4, s[0:3], 0 offen offset:8
	;; [unrolled: 1-line block ×3, first 2 shown]
	s_waitcnt vmcnt(0)
	ds_write_b128 v32, v[1:4]
	s_waitcnt lgkmcnt(0)
	s_waitcnt_vscnt null, 0x0
	s_barrier
	buffer_gl0_inv
	v_cmpx_gt_u32_e32 41, v0
	s_cbranch_execz .LBB58_791
; %bb.784:
	ds_read_b128 v[1:4], v32
	v_cmp_ne_u32_e32 vcc_lo, 1, v33
	s_cbranch_vccnz .LBB58_786
; %bb.785:
	s_clause 0x3
	buffer_load_dword v34, v31, s[0:3], 0 offen offset:8
	buffer_load_dword v35, v31, s[0:3], 0 offen offset:12
	buffer_load_dword v36, v31, s[0:3], 0 offen
	buffer_load_dword v37, v31, s[0:3], 0 offen offset:4
	s_waitcnt vmcnt(2) lgkmcnt(0)
	v_mul_f64 v[38:39], v[3:4], v[34:35]
	v_mul_f64 v[34:35], v[1:2], v[34:35]
	s_waitcnt vmcnt(0)
	v_fma_f64 v[1:2], v[1:2], v[36:37], -v[38:39]
	v_fma_f64 v[3:4], v[3:4], v[36:37], v[34:35]
.LBB58_786:
	s_mov_b32 s8, exec_lo
	v_cmpx_ne_u32_e32 40, v0
	s_cbranch_execz .LBB58_790
; %bb.787:
	v_add_nc_u32_e32 v34, 0x3c0, v133
	v_add3_u32 v35, 0, v133, 16
	v_mov_b32_e32 v36, v0
	s_mov_b32 s66, 0
	.p2align	6
.LBB58_788:                             ; =>This Inner Loop Header: Depth=1
	s_clause 0x3
	buffer_load_dword v134, v35, s[0:3], 0 offen offset:8
	buffer_load_dword v135, v35, s[0:3], 0 offen offset:12
	buffer_load_dword v136, v35, s[0:3], 0 offen
	buffer_load_dword v137, v35, s[0:3], 0 offen offset:4
	ds_read_b128 v[37:40], v34
	v_add_nc_u32_e32 v36, 1, v36
	v_add_nc_u32_e32 v34, 16, v34
	;; [unrolled: 1-line block ×3, first 2 shown]
	v_cmp_lt_u32_e32 vcc_lo, 39, v36
	s_or_b32 s66, vcc_lo, s66
	s_waitcnt vmcnt(2) lgkmcnt(0)
	v_mul_f64 v[138:139], v[39:40], v[134:135]
	v_mul_f64 v[134:135], v[37:38], v[134:135]
	s_waitcnt vmcnt(0)
	v_fma_f64 v[37:38], v[37:38], v[136:137], -v[138:139]
	v_fma_f64 v[39:40], v[39:40], v[136:137], v[134:135]
	v_add_f64 v[1:2], v[1:2], v[37:38]
	v_add_f64 v[3:4], v[3:4], v[39:40]
	s_andn2_b32 exec_lo, exec_lo, s66
	s_cbranch_execnz .LBB58_788
; %bb.789:
	s_or_b32 exec_lo, exec_lo, s66
.LBB58_790:
	s_or_b32 exec_lo, exec_lo, s8
	v_mov_b32_e32 v34, 0
	ds_read_b128 v[34:37], v34 offset:656
	s_waitcnt lgkmcnt(0)
	v_mul_f64 v[38:39], v[3:4], v[36:37]
	v_mul_f64 v[36:37], v[1:2], v[36:37]
	v_fma_f64 v[1:2], v[1:2], v[34:35], -v[38:39]
	v_fma_f64 v[3:4], v[3:4], v[34:35], v[36:37]
	buffer_store_dword v2, off, s[0:3], 0 offset:660
	buffer_store_dword v1, off, s[0:3], 0 offset:656
	;; [unrolled: 1-line block ×4, first 2 shown]
.LBB58_791:
	s_or_b32 exec_lo, exec_lo, s4
	v_mov_b32_e32 v4, s23
	s_mov_b32 s4, exec_lo
	s_clause 0x3
	buffer_load_dword v1, v4, s[0:3], 0 offen
	buffer_load_dword v2, v4, s[0:3], 0 offen offset:4
	buffer_load_dword v3, v4, s[0:3], 0 offen offset:8
	;; [unrolled: 1-line block ×3, first 2 shown]
	s_waitcnt vmcnt(0)
	ds_write_b128 v32, v[1:4]
	s_waitcnt lgkmcnt(0)
	s_waitcnt_vscnt null, 0x0
	s_barrier
	buffer_gl0_inv
	v_cmpx_gt_u32_e32 42, v0
	s_cbranch_execz .LBB58_799
; %bb.792:
	ds_read_b128 v[1:4], v32
	v_cmp_ne_u32_e32 vcc_lo, 1, v33
	s_cbranch_vccnz .LBB58_794
; %bb.793:
	s_clause 0x3
	buffer_load_dword v34, v31, s[0:3], 0 offen offset:8
	buffer_load_dword v35, v31, s[0:3], 0 offen offset:12
	buffer_load_dword v36, v31, s[0:3], 0 offen
	buffer_load_dword v37, v31, s[0:3], 0 offen offset:4
	s_waitcnt vmcnt(2) lgkmcnt(0)
	v_mul_f64 v[38:39], v[3:4], v[34:35]
	v_mul_f64 v[34:35], v[1:2], v[34:35]
	s_waitcnt vmcnt(0)
	v_fma_f64 v[1:2], v[1:2], v[36:37], -v[38:39]
	v_fma_f64 v[3:4], v[3:4], v[36:37], v[34:35]
.LBB58_794:
	s_mov_b32 s8, exec_lo
	v_cmpx_ne_u32_e32 41, v0
	s_cbranch_execz .LBB58_798
; %bb.795:
	v_add_nc_u32_e32 v34, 0x3c0, v133
	v_add3_u32 v35, 0, v133, 16
	v_mov_b32_e32 v36, v0
	s_mov_b32 s66, 0
	.p2align	6
.LBB58_796:                             ; =>This Inner Loop Header: Depth=1
	s_clause 0x3
	buffer_load_dword v134, v35, s[0:3], 0 offen offset:8
	buffer_load_dword v135, v35, s[0:3], 0 offen offset:12
	buffer_load_dword v136, v35, s[0:3], 0 offen
	buffer_load_dword v137, v35, s[0:3], 0 offen offset:4
	ds_read_b128 v[37:40], v34
	v_add_nc_u32_e32 v36, 1, v36
	v_add_nc_u32_e32 v34, 16, v34
	;; [unrolled: 1-line block ×3, first 2 shown]
	v_cmp_lt_u32_e32 vcc_lo, 40, v36
	s_or_b32 s66, vcc_lo, s66
	s_waitcnt vmcnt(2) lgkmcnt(0)
	v_mul_f64 v[138:139], v[39:40], v[134:135]
	v_mul_f64 v[134:135], v[37:38], v[134:135]
	s_waitcnt vmcnt(0)
	v_fma_f64 v[37:38], v[37:38], v[136:137], -v[138:139]
	v_fma_f64 v[39:40], v[39:40], v[136:137], v[134:135]
	v_add_f64 v[1:2], v[1:2], v[37:38]
	v_add_f64 v[3:4], v[3:4], v[39:40]
	s_andn2_b32 exec_lo, exec_lo, s66
	s_cbranch_execnz .LBB58_796
; %bb.797:
	s_or_b32 exec_lo, exec_lo, s66
.LBB58_798:
	s_or_b32 exec_lo, exec_lo, s8
	v_mov_b32_e32 v34, 0
	ds_read_b128 v[34:37], v34 offset:672
	s_waitcnt lgkmcnt(0)
	v_mul_f64 v[38:39], v[3:4], v[36:37]
	v_mul_f64 v[36:37], v[1:2], v[36:37]
	v_fma_f64 v[1:2], v[1:2], v[34:35], -v[38:39]
	v_fma_f64 v[3:4], v[3:4], v[34:35], v[36:37]
	buffer_store_dword v2, off, s[0:3], 0 offset:676
	buffer_store_dword v1, off, s[0:3], 0 offset:672
	;; [unrolled: 1-line block ×4, first 2 shown]
.LBB58_799:
	s_or_b32 exec_lo, exec_lo, s4
	v_mov_b32_e32 v4, s22
	s_mov_b32 s4, exec_lo
	s_clause 0x3
	buffer_load_dword v1, v4, s[0:3], 0 offen
	buffer_load_dword v2, v4, s[0:3], 0 offen offset:4
	buffer_load_dword v3, v4, s[0:3], 0 offen offset:8
	;; [unrolled: 1-line block ×3, first 2 shown]
	s_waitcnt vmcnt(0)
	ds_write_b128 v32, v[1:4]
	s_waitcnt lgkmcnt(0)
	s_waitcnt_vscnt null, 0x0
	s_barrier
	buffer_gl0_inv
	v_cmpx_gt_u32_e32 43, v0
	s_cbranch_execz .LBB58_807
; %bb.800:
	ds_read_b128 v[1:4], v32
	v_cmp_ne_u32_e32 vcc_lo, 1, v33
	s_cbranch_vccnz .LBB58_802
; %bb.801:
	s_clause 0x3
	buffer_load_dword v34, v31, s[0:3], 0 offen offset:8
	buffer_load_dword v35, v31, s[0:3], 0 offen offset:12
	buffer_load_dword v36, v31, s[0:3], 0 offen
	buffer_load_dword v37, v31, s[0:3], 0 offen offset:4
	s_waitcnt vmcnt(2) lgkmcnt(0)
	v_mul_f64 v[38:39], v[3:4], v[34:35]
	v_mul_f64 v[34:35], v[1:2], v[34:35]
	s_waitcnt vmcnt(0)
	v_fma_f64 v[1:2], v[1:2], v[36:37], -v[38:39]
	v_fma_f64 v[3:4], v[3:4], v[36:37], v[34:35]
.LBB58_802:
	s_mov_b32 s8, exec_lo
	v_cmpx_ne_u32_e32 42, v0
	s_cbranch_execz .LBB58_806
; %bb.803:
	v_add_nc_u32_e32 v34, 0x3c0, v133
	v_add3_u32 v35, 0, v133, 16
	v_mov_b32_e32 v36, v0
	s_mov_b32 s66, 0
	.p2align	6
.LBB58_804:                             ; =>This Inner Loop Header: Depth=1
	s_clause 0x3
	buffer_load_dword v134, v35, s[0:3], 0 offen offset:8
	buffer_load_dword v135, v35, s[0:3], 0 offen offset:12
	buffer_load_dword v136, v35, s[0:3], 0 offen
	buffer_load_dword v137, v35, s[0:3], 0 offen offset:4
	ds_read_b128 v[37:40], v34
	v_add_nc_u32_e32 v36, 1, v36
	v_add_nc_u32_e32 v34, 16, v34
	;; [unrolled: 1-line block ×3, first 2 shown]
	v_cmp_lt_u32_e32 vcc_lo, 41, v36
	s_or_b32 s66, vcc_lo, s66
	s_waitcnt vmcnt(2) lgkmcnt(0)
	v_mul_f64 v[138:139], v[39:40], v[134:135]
	v_mul_f64 v[134:135], v[37:38], v[134:135]
	s_waitcnt vmcnt(0)
	v_fma_f64 v[37:38], v[37:38], v[136:137], -v[138:139]
	v_fma_f64 v[39:40], v[39:40], v[136:137], v[134:135]
	v_add_f64 v[1:2], v[1:2], v[37:38]
	v_add_f64 v[3:4], v[3:4], v[39:40]
	s_andn2_b32 exec_lo, exec_lo, s66
	s_cbranch_execnz .LBB58_804
; %bb.805:
	s_or_b32 exec_lo, exec_lo, s66
.LBB58_806:
	s_or_b32 exec_lo, exec_lo, s8
	v_mov_b32_e32 v34, 0
	ds_read_b128 v[34:37], v34 offset:688
	s_waitcnt lgkmcnt(0)
	v_mul_f64 v[38:39], v[3:4], v[36:37]
	v_mul_f64 v[36:37], v[1:2], v[36:37]
	v_fma_f64 v[1:2], v[1:2], v[34:35], -v[38:39]
	v_fma_f64 v[3:4], v[3:4], v[34:35], v[36:37]
	buffer_store_dword v2, off, s[0:3], 0 offset:692
	buffer_store_dword v1, off, s[0:3], 0 offset:688
	;; [unrolled: 1-line block ×4, first 2 shown]
.LBB58_807:
	s_or_b32 exec_lo, exec_lo, s4
	v_mov_b32_e32 v4, s21
	s_mov_b32 s4, exec_lo
	s_clause 0x3
	buffer_load_dword v1, v4, s[0:3], 0 offen
	buffer_load_dword v2, v4, s[0:3], 0 offen offset:4
	buffer_load_dword v3, v4, s[0:3], 0 offen offset:8
	;; [unrolled: 1-line block ×3, first 2 shown]
	s_waitcnt vmcnt(0)
	ds_write_b128 v32, v[1:4]
	s_waitcnt lgkmcnt(0)
	s_waitcnt_vscnt null, 0x0
	s_barrier
	buffer_gl0_inv
	v_cmpx_gt_u32_e32 44, v0
	s_cbranch_execz .LBB58_815
; %bb.808:
	ds_read_b128 v[1:4], v32
	v_cmp_ne_u32_e32 vcc_lo, 1, v33
	s_cbranch_vccnz .LBB58_810
; %bb.809:
	s_clause 0x3
	buffer_load_dword v34, v31, s[0:3], 0 offen offset:8
	buffer_load_dword v35, v31, s[0:3], 0 offen offset:12
	buffer_load_dword v36, v31, s[0:3], 0 offen
	buffer_load_dword v37, v31, s[0:3], 0 offen offset:4
	s_waitcnt vmcnt(2) lgkmcnt(0)
	v_mul_f64 v[38:39], v[3:4], v[34:35]
	v_mul_f64 v[34:35], v[1:2], v[34:35]
	s_waitcnt vmcnt(0)
	v_fma_f64 v[1:2], v[1:2], v[36:37], -v[38:39]
	v_fma_f64 v[3:4], v[3:4], v[36:37], v[34:35]
.LBB58_810:
	s_mov_b32 s8, exec_lo
	v_cmpx_ne_u32_e32 43, v0
	s_cbranch_execz .LBB58_814
; %bb.811:
	v_add_nc_u32_e32 v34, 0x3c0, v133
	v_add3_u32 v35, 0, v133, 16
	v_mov_b32_e32 v36, v0
	s_mov_b32 s66, 0
	.p2align	6
.LBB58_812:                             ; =>This Inner Loop Header: Depth=1
	s_clause 0x3
	buffer_load_dword v134, v35, s[0:3], 0 offen offset:8
	buffer_load_dword v135, v35, s[0:3], 0 offen offset:12
	buffer_load_dword v136, v35, s[0:3], 0 offen
	buffer_load_dword v137, v35, s[0:3], 0 offen offset:4
	ds_read_b128 v[37:40], v34
	v_add_nc_u32_e32 v36, 1, v36
	v_add_nc_u32_e32 v34, 16, v34
	;; [unrolled: 1-line block ×3, first 2 shown]
	v_cmp_lt_u32_e32 vcc_lo, 42, v36
	s_or_b32 s66, vcc_lo, s66
	s_waitcnt vmcnt(2) lgkmcnt(0)
	v_mul_f64 v[138:139], v[39:40], v[134:135]
	v_mul_f64 v[134:135], v[37:38], v[134:135]
	s_waitcnt vmcnt(0)
	v_fma_f64 v[37:38], v[37:38], v[136:137], -v[138:139]
	v_fma_f64 v[39:40], v[39:40], v[136:137], v[134:135]
	v_add_f64 v[1:2], v[1:2], v[37:38]
	v_add_f64 v[3:4], v[3:4], v[39:40]
	s_andn2_b32 exec_lo, exec_lo, s66
	s_cbranch_execnz .LBB58_812
; %bb.813:
	s_or_b32 exec_lo, exec_lo, s66
.LBB58_814:
	s_or_b32 exec_lo, exec_lo, s8
	v_mov_b32_e32 v34, 0
	ds_read_b128 v[34:37], v34 offset:704
	s_waitcnt lgkmcnt(0)
	v_mul_f64 v[38:39], v[3:4], v[36:37]
	v_mul_f64 v[36:37], v[1:2], v[36:37]
	v_fma_f64 v[1:2], v[1:2], v[34:35], -v[38:39]
	v_fma_f64 v[3:4], v[3:4], v[34:35], v[36:37]
	buffer_store_dword v2, off, s[0:3], 0 offset:708
	buffer_store_dword v1, off, s[0:3], 0 offset:704
	;; [unrolled: 1-line block ×4, first 2 shown]
.LBB58_815:
	s_or_b32 exec_lo, exec_lo, s4
	v_mov_b32_e32 v4, s20
	s_mov_b32 s4, exec_lo
	s_clause 0x3
	buffer_load_dword v1, v4, s[0:3], 0 offen
	buffer_load_dword v2, v4, s[0:3], 0 offen offset:4
	buffer_load_dword v3, v4, s[0:3], 0 offen offset:8
	;; [unrolled: 1-line block ×3, first 2 shown]
	s_waitcnt vmcnt(0)
	ds_write_b128 v32, v[1:4]
	s_waitcnt lgkmcnt(0)
	s_waitcnt_vscnt null, 0x0
	s_barrier
	buffer_gl0_inv
	v_cmpx_gt_u32_e32 45, v0
	s_cbranch_execz .LBB58_823
; %bb.816:
	ds_read_b128 v[1:4], v32
	v_cmp_ne_u32_e32 vcc_lo, 1, v33
	s_cbranch_vccnz .LBB58_818
; %bb.817:
	s_clause 0x3
	buffer_load_dword v34, v31, s[0:3], 0 offen offset:8
	buffer_load_dword v35, v31, s[0:3], 0 offen offset:12
	buffer_load_dword v36, v31, s[0:3], 0 offen
	buffer_load_dword v37, v31, s[0:3], 0 offen offset:4
	s_waitcnt vmcnt(2) lgkmcnt(0)
	v_mul_f64 v[38:39], v[3:4], v[34:35]
	v_mul_f64 v[34:35], v[1:2], v[34:35]
	s_waitcnt vmcnt(0)
	v_fma_f64 v[1:2], v[1:2], v[36:37], -v[38:39]
	v_fma_f64 v[3:4], v[3:4], v[36:37], v[34:35]
.LBB58_818:
	s_mov_b32 s8, exec_lo
	v_cmpx_ne_u32_e32 44, v0
	s_cbranch_execz .LBB58_822
; %bb.819:
	v_add_nc_u32_e32 v34, 0x3c0, v133
	v_add3_u32 v35, 0, v133, 16
	v_mov_b32_e32 v36, v0
	s_mov_b32 s66, 0
	.p2align	6
.LBB58_820:                             ; =>This Inner Loop Header: Depth=1
	s_clause 0x3
	buffer_load_dword v134, v35, s[0:3], 0 offen offset:8
	buffer_load_dword v135, v35, s[0:3], 0 offen offset:12
	buffer_load_dword v136, v35, s[0:3], 0 offen
	buffer_load_dword v137, v35, s[0:3], 0 offen offset:4
	ds_read_b128 v[37:40], v34
	v_add_nc_u32_e32 v36, 1, v36
	v_add_nc_u32_e32 v34, 16, v34
	;; [unrolled: 1-line block ×3, first 2 shown]
	v_cmp_lt_u32_e32 vcc_lo, 43, v36
	s_or_b32 s66, vcc_lo, s66
	s_waitcnt vmcnt(2) lgkmcnt(0)
	v_mul_f64 v[138:139], v[39:40], v[134:135]
	v_mul_f64 v[134:135], v[37:38], v[134:135]
	s_waitcnt vmcnt(0)
	v_fma_f64 v[37:38], v[37:38], v[136:137], -v[138:139]
	v_fma_f64 v[39:40], v[39:40], v[136:137], v[134:135]
	v_add_f64 v[1:2], v[1:2], v[37:38]
	v_add_f64 v[3:4], v[3:4], v[39:40]
	s_andn2_b32 exec_lo, exec_lo, s66
	s_cbranch_execnz .LBB58_820
; %bb.821:
	s_or_b32 exec_lo, exec_lo, s66
.LBB58_822:
	s_or_b32 exec_lo, exec_lo, s8
	v_mov_b32_e32 v34, 0
	ds_read_b128 v[34:37], v34 offset:720
	s_waitcnt lgkmcnt(0)
	v_mul_f64 v[38:39], v[3:4], v[36:37]
	v_mul_f64 v[36:37], v[1:2], v[36:37]
	v_fma_f64 v[1:2], v[1:2], v[34:35], -v[38:39]
	v_fma_f64 v[3:4], v[3:4], v[34:35], v[36:37]
	buffer_store_dword v2, off, s[0:3], 0 offset:724
	buffer_store_dword v1, off, s[0:3], 0 offset:720
	;; [unrolled: 1-line block ×4, first 2 shown]
.LBB58_823:
	s_or_b32 exec_lo, exec_lo, s4
	v_mov_b32_e32 v4, s19
	s_mov_b32 s4, exec_lo
	s_clause 0x3
	buffer_load_dword v1, v4, s[0:3], 0 offen
	buffer_load_dword v2, v4, s[0:3], 0 offen offset:4
	buffer_load_dword v3, v4, s[0:3], 0 offen offset:8
	;; [unrolled: 1-line block ×3, first 2 shown]
	s_waitcnt vmcnt(0)
	ds_write_b128 v32, v[1:4]
	s_waitcnt lgkmcnt(0)
	s_waitcnt_vscnt null, 0x0
	s_barrier
	buffer_gl0_inv
	v_cmpx_gt_u32_e32 46, v0
	s_cbranch_execz .LBB58_831
; %bb.824:
	ds_read_b128 v[1:4], v32
	v_cmp_ne_u32_e32 vcc_lo, 1, v33
	s_cbranch_vccnz .LBB58_826
; %bb.825:
	s_clause 0x3
	buffer_load_dword v34, v31, s[0:3], 0 offen offset:8
	buffer_load_dword v35, v31, s[0:3], 0 offen offset:12
	buffer_load_dword v36, v31, s[0:3], 0 offen
	buffer_load_dword v37, v31, s[0:3], 0 offen offset:4
	s_waitcnt vmcnt(2) lgkmcnt(0)
	v_mul_f64 v[38:39], v[3:4], v[34:35]
	v_mul_f64 v[34:35], v[1:2], v[34:35]
	s_waitcnt vmcnt(0)
	v_fma_f64 v[1:2], v[1:2], v[36:37], -v[38:39]
	v_fma_f64 v[3:4], v[3:4], v[36:37], v[34:35]
.LBB58_826:
	s_mov_b32 s8, exec_lo
	v_cmpx_ne_u32_e32 45, v0
	s_cbranch_execz .LBB58_830
; %bb.827:
	v_add_nc_u32_e32 v34, 0x3c0, v133
	v_add3_u32 v35, 0, v133, 16
	v_mov_b32_e32 v36, v0
	s_mov_b32 s66, 0
	.p2align	6
.LBB58_828:                             ; =>This Inner Loop Header: Depth=1
	s_clause 0x3
	buffer_load_dword v134, v35, s[0:3], 0 offen offset:8
	buffer_load_dword v135, v35, s[0:3], 0 offen offset:12
	buffer_load_dword v136, v35, s[0:3], 0 offen
	buffer_load_dword v137, v35, s[0:3], 0 offen offset:4
	ds_read_b128 v[37:40], v34
	v_add_nc_u32_e32 v36, 1, v36
	v_add_nc_u32_e32 v34, 16, v34
	;; [unrolled: 1-line block ×3, first 2 shown]
	v_cmp_lt_u32_e32 vcc_lo, 44, v36
	s_or_b32 s66, vcc_lo, s66
	s_waitcnt vmcnt(2) lgkmcnt(0)
	v_mul_f64 v[138:139], v[39:40], v[134:135]
	v_mul_f64 v[134:135], v[37:38], v[134:135]
	s_waitcnt vmcnt(0)
	v_fma_f64 v[37:38], v[37:38], v[136:137], -v[138:139]
	v_fma_f64 v[39:40], v[39:40], v[136:137], v[134:135]
	v_add_f64 v[1:2], v[1:2], v[37:38]
	v_add_f64 v[3:4], v[3:4], v[39:40]
	s_andn2_b32 exec_lo, exec_lo, s66
	s_cbranch_execnz .LBB58_828
; %bb.829:
	s_or_b32 exec_lo, exec_lo, s66
.LBB58_830:
	s_or_b32 exec_lo, exec_lo, s8
	v_mov_b32_e32 v34, 0
	ds_read_b128 v[34:37], v34 offset:736
	s_waitcnt lgkmcnt(0)
	v_mul_f64 v[38:39], v[3:4], v[36:37]
	v_mul_f64 v[36:37], v[1:2], v[36:37]
	v_fma_f64 v[1:2], v[1:2], v[34:35], -v[38:39]
	v_fma_f64 v[3:4], v[3:4], v[34:35], v[36:37]
	buffer_store_dword v2, off, s[0:3], 0 offset:740
	buffer_store_dword v1, off, s[0:3], 0 offset:736
	;; [unrolled: 1-line block ×4, first 2 shown]
.LBB58_831:
	s_or_b32 exec_lo, exec_lo, s4
	v_mov_b32_e32 v4, s18
	s_mov_b32 s4, exec_lo
	s_clause 0x3
	buffer_load_dword v1, v4, s[0:3], 0 offen
	buffer_load_dword v2, v4, s[0:3], 0 offen offset:4
	buffer_load_dword v3, v4, s[0:3], 0 offen offset:8
	;; [unrolled: 1-line block ×3, first 2 shown]
	s_waitcnt vmcnt(0)
	ds_write_b128 v32, v[1:4]
	s_waitcnt lgkmcnt(0)
	s_waitcnt_vscnt null, 0x0
	s_barrier
	buffer_gl0_inv
	v_cmpx_gt_u32_e32 47, v0
	s_cbranch_execz .LBB58_839
; %bb.832:
	ds_read_b128 v[1:4], v32
	v_cmp_ne_u32_e32 vcc_lo, 1, v33
	s_cbranch_vccnz .LBB58_834
; %bb.833:
	s_clause 0x3
	buffer_load_dword v34, v31, s[0:3], 0 offen offset:8
	buffer_load_dword v35, v31, s[0:3], 0 offen offset:12
	buffer_load_dword v36, v31, s[0:3], 0 offen
	buffer_load_dword v37, v31, s[0:3], 0 offen offset:4
	s_waitcnt vmcnt(2) lgkmcnt(0)
	v_mul_f64 v[38:39], v[3:4], v[34:35]
	v_mul_f64 v[34:35], v[1:2], v[34:35]
	s_waitcnt vmcnt(0)
	v_fma_f64 v[1:2], v[1:2], v[36:37], -v[38:39]
	v_fma_f64 v[3:4], v[3:4], v[36:37], v[34:35]
.LBB58_834:
	s_mov_b32 s8, exec_lo
	v_cmpx_ne_u32_e32 46, v0
	s_cbranch_execz .LBB58_838
; %bb.835:
	v_add_nc_u32_e32 v34, 0x3c0, v133
	v_add3_u32 v35, 0, v133, 16
	v_mov_b32_e32 v36, v0
	s_mov_b32 s66, 0
	.p2align	6
.LBB58_836:                             ; =>This Inner Loop Header: Depth=1
	s_clause 0x3
	buffer_load_dword v134, v35, s[0:3], 0 offen offset:8
	buffer_load_dword v135, v35, s[0:3], 0 offen offset:12
	buffer_load_dword v136, v35, s[0:3], 0 offen
	buffer_load_dword v137, v35, s[0:3], 0 offen offset:4
	ds_read_b128 v[37:40], v34
	v_add_nc_u32_e32 v36, 1, v36
	v_add_nc_u32_e32 v34, 16, v34
	;; [unrolled: 1-line block ×3, first 2 shown]
	v_cmp_lt_u32_e32 vcc_lo, 45, v36
	s_or_b32 s66, vcc_lo, s66
	s_waitcnt vmcnt(2) lgkmcnt(0)
	v_mul_f64 v[138:139], v[39:40], v[134:135]
	v_mul_f64 v[134:135], v[37:38], v[134:135]
	s_waitcnt vmcnt(0)
	v_fma_f64 v[37:38], v[37:38], v[136:137], -v[138:139]
	v_fma_f64 v[39:40], v[39:40], v[136:137], v[134:135]
	v_add_f64 v[1:2], v[1:2], v[37:38]
	v_add_f64 v[3:4], v[3:4], v[39:40]
	s_andn2_b32 exec_lo, exec_lo, s66
	s_cbranch_execnz .LBB58_836
; %bb.837:
	s_or_b32 exec_lo, exec_lo, s66
.LBB58_838:
	s_or_b32 exec_lo, exec_lo, s8
	v_mov_b32_e32 v34, 0
	ds_read_b128 v[34:37], v34 offset:752
	s_waitcnt lgkmcnt(0)
	v_mul_f64 v[38:39], v[3:4], v[36:37]
	v_mul_f64 v[36:37], v[1:2], v[36:37]
	v_fma_f64 v[1:2], v[1:2], v[34:35], -v[38:39]
	v_fma_f64 v[3:4], v[3:4], v[34:35], v[36:37]
	buffer_store_dword v2, off, s[0:3], 0 offset:756
	buffer_store_dword v1, off, s[0:3], 0 offset:752
	;; [unrolled: 1-line block ×4, first 2 shown]
.LBB58_839:
	s_or_b32 exec_lo, exec_lo, s4
	v_mov_b32_e32 v4, s17
	s_mov_b32 s4, exec_lo
	s_clause 0x3
	buffer_load_dword v1, v4, s[0:3], 0 offen
	buffer_load_dword v2, v4, s[0:3], 0 offen offset:4
	buffer_load_dword v3, v4, s[0:3], 0 offen offset:8
	;; [unrolled: 1-line block ×3, first 2 shown]
	s_waitcnt vmcnt(0)
	ds_write_b128 v32, v[1:4]
	s_waitcnt lgkmcnt(0)
	s_waitcnt_vscnt null, 0x0
	s_barrier
	buffer_gl0_inv
	v_cmpx_gt_u32_e32 48, v0
	s_cbranch_execz .LBB58_847
; %bb.840:
	ds_read_b128 v[1:4], v32
	v_cmp_ne_u32_e32 vcc_lo, 1, v33
	s_cbranch_vccnz .LBB58_842
; %bb.841:
	s_clause 0x3
	buffer_load_dword v34, v31, s[0:3], 0 offen offset:8
	buffer_load_dword v35, v31, s[0:3], 0 offen offset:12
	buffer_load_dword v36, v31, s[0:3], 0 offen
	buffer_load_dword v37, v31, s[0:3], 0 offen offset:4
	s_waitcnt vmcnt(2) lgkmcnt(0)
	v_mul_f64 v[38:39], v[3:4], v[34:35]
	v_mul_f64 v[34:35], v[1:2], v[34:35]
	s_waitcnt vmcnt(0)
	v_fma_f64 v[1:2], v[1:2], v[36:37], -v[38:39]
	v_fma_f64 v[3:4], v[3:4], v[36:37], v[34:35]
.LBB58_842:
	s_mov_b32 s8, exec_lo
	v_cmpx_ne_u32_e32 47, v0
	s_cbranch_execz .LBB58_846
; %bb.843:
	v_add_nc_u32_e32 v34, 0x3c0, v133
	v_add3_u32 v35, 0, v133, 16
	v_mov_b32_e32 v36, v0
	s_mov_b32 s66, 0
	.p2align	6
.LBB58_844:                             ; =>This Inner Loop Header: Depth=1
	s_clause 0x3
	buffer_load_dword v134, v35, s[0:3], 0 offen offset:8
	buffer_load_dword v135, v35, s[0:3], 0 offen offset:12
	buffer_load_dword v136, v35, s[0:3], 0 offen
	buffer_load_dword v137, v35, s[0:3], 0 offen offset:4
	ds_read_b128 v[37:40], v34
	v_add_nc_u32_e32 v36, 1, v36
	v_add_nc_u32_e32 v34, 16, v34
	;; [unrolled: 1-line block ×3, first 2 shown]
	v_cmp_lt_u32_e32 vcc_lo, 46, v36
	s_or_b32 s66, vcc_lo, s66
	s_waitcnt vmcnt(2) lgkmcnt(0)
	v_mul_f64 v[138:139], v[39:40], v[134:135]
	v_mul_f64 v[134:135], v[37:38], v[134:135]
	s_waitcnt vmcnt(0)
	v_fma_f64 v[37:38], v[37:38], v[136:137], -v[138:139]
	v_fma_f64 v[39:40], v[39:40], v[136:137], v[134:135]
	v_add_f64 v[1:2], v[1:2], v[37:38]
	v_add_f64 v[3:4], v[3:4], v[39:40]
	s_andn2_b32 exec_lo, exec_lo, s66
	s_cbranch_execnz .LBB58_844
; %bb.845:
	s_or_b32 exec_lo, exec_lo, s66
.LBB58_846:
	s_or_b32 exec_lo, exec_lo, s8
	v_mov_b32_e32 v34, 0
	ds_read_b128 v[34:37], v34 offset:768
	s_waitcnt lgkmcnt(0)
	v_mul_f64 v[38:39], v[3:4], v[36:37]
	v_mul_f64 v[36:37], v[1:2], v[36:37]
	v_fma_f64 v[1:2], v[1:2], v[34:35], -v[38:39]
	v_fma_f64 v[3:4], v[3:4], v[34:35], v[36:37]
	buffer_store_dword v2, off, s[0:3], 0 offset:772
	buffer_store_dword v1, off, s[0:3], 0 offset:768
	;; [unrolled: 1-line block ×4, first 2 shown]
.LBB58_847:
	s_or_b32 exec_lo, exec_lo, s4
	v_mov_b32_e32 v4, s16
	s_mov_b32 s4, exec_lo
	s_clause 0x3
	buffer_load_dword v1, v4, s[0:3], 0 offen
	buffer_load_dword v2, v4, s[0:3], 0 offen offset:4
	buffer_load_dword v3, v4, s[0:3], 0 offen offset:8
	;; [unrolled: 1-line block ×3, first 2 shown]
	s_waitcnt vmcnt(0)
	ds_write_b128 v32, v[1:4]
	s_waitcnt lgkmcnt(0)
	s_waitcnt_vscnt null, 0x0
	s_barrier
	buffer_gl0_inv
	v_cmpx_gt_u32_e32 49, v0
	s_cbranch_execz .LBB58_855
; %bb.848:
	ds_read_b128 v[1:4], v32
	v_cmp_ne_u32_e32 vcc_lo, 1, v33
	s_cbranch_vccnz .LBB58_850
; %bb.849:
	s_clause 0x3
	buffer_load_dword v34, v31, s[0:3], 0 offen offset:8
	buffer_load_dword v35, v31, s[0:3], 0 offen offset:12
	buffer_load_dword v36, v31, s[0:3], 0 offen
	buffer_load_dword v37, v31, s[0:3], 0 offen offset:4
	s_waitcnt vmcnt(2) lgkmcnt(0)
	v_mul_f64 v[38:39], v[3:4], v[34:35]
	v_mul_f64 v[34:35], v[1:2], v[34:35]
	s_waitcnt vmcnt(0)
	v_fma_f64 v[1:2], v[1:2], v[36:37], -v[38:39]
	v_fma_f64 v[3:4], v[3:4], v[36:37], v[34:35]
.LBB58_850:
	s_mov_b32 s8, exec_lo
	v_cmpx_ne_u32_e32 48, v0
	s_cbranch_execz .LBB58_854
; %bb.851:
	v_add_nc_u32_e32 v34, 0x3c0, v133
	v_add3_u32 v35, 0, v133, 16
	v_mov_b32_e32 v36, v0
	s_mov_b32 s66, 0
	.p2align	6
.LBB58_852:                             ; =>This Inner Loop Header: Depth=1
	s_clause 0x3
	buffer_load_dword v134, v35, s[0:3], 0 offen offset:8
	buffer_load_dword v135, v35, s[0:3], 0 offen offset:12
	buffer_load_dword v136, v35, s[0:3], 0 offen
	buffer_load_dword v137, v35, s[0:3], 0 offen offset:4
	ds_read_b128 v[37:40], v34
	v_add_nc_u32_e32 v36, 1, v36
	v_add_nc_u32_e32 v34, 16, v34
	;; [unrolled: 1-line block ×3, first 2 shown]
	v_cmp_lt_u32_e32 vcc_lo, 47, v36
	s_or_b32 s66, vcc_lo, s66
	s_waitcnt vmcnt(2) lgkmcnt(0)
	v_mul_f64 v[138:139], v[39:40], v[134:135]
	v_mul_f64 v[134:135], v[37:38], v[134:135]
	s_waitcnt vmcnt(0)
	v_fma_f64 v[37:38], v[37:38], v[136:137], -v[138:139]
	v_fma_f64 v[39:40], v[39:40], v[136:137], v[134:135]
	v_add_f64 v[1:2], v[1:2], v[37:38]
	v_add_f64 v[3:4], v[3:4], v[39:40]
	s_andn2_b32 exec_lo, exec_lo, s66
	s_cbranch_execnz .LBB58_852
; %bb.853:
	s_or_b32 exec_lo, exec_lo, s66
.LBB58_854:
	s_or_b32 exec_lo, exec_lo, s8
	v_mov_b32_e32 v34, 0
	ds_read_b128 v[34:37], v34 offset:784
	s_waitcnt lgkmcnt(0)
	v_mul_f64 v[38:39], v[3:4], v[36:37]
	v_mul_f64 v[36:37], v[1:2], v[36:37]
	v_fma_f64 v[1:2], v[1:2], v[34:35], -v[38:39]
	v_fma_f64 v[3:4], v[3:4], v[34:35], v[36:37]
	buffer_store_dword v2, off, s[0:3], 0 offset:788
	buffer_store_dword v1, off, s[0:3], 0 offset:784
	;; [unrolled: 1-line block ×4, first 2 shown]
.LBB58_855:
	s_or_b32 exec_lo, exec_lo, s4
	v_mov_b32_e32 v4, s15
	s_mov_b32 s4, exec_lo
	s_clause 0x3
	buffer_load_dword v1, v4, s[0:3], 0 offen
	buffer_load_dword v2, v4, s[0:3], 0 offen offset:4
	buffer_load_dword v3, v4, s[0:3], 0 offen offset:8
	;; [unrolled: 1-line block ×3, first 2 shown]
	s_waitcnt vmcnt(0)
	ds_write_b128 v32, v[1:4]
	s_waitcnt lgkmcnt(0)
	s_waitcnt_vscnt null, 0x0
	s_barrier
	buffer_gl0_inv
	v_cmpx_gt_u32_e32 50, v0
	s_cbranch_execz .LBB58_863
; %bb.856:
	ds_read_b128 v[1:4], v32
	v_cmp_ne_u32_e32 vcc_lo, 1, v33
	s_cbranch_vccnz .LBB58_858
; %bb.857:
	s_clause 0x3
	buffer_load_dword v34, v31, s[0:3], 0 offen offset:8
	buffer_load_dword v35, v31, s[0:3], 0 offen offset:12
	buffer_load_dword v36, v31, s[0:3], 0 offen
	buffer_load_dword v37, v31, s[0:3], 0 offen offset:4
	s_waitcnt vmcnt(2) lgkmcnt(0)
	v_mul_f64 v[38:39], v[3:4], v[34:35]
	v_mul_f64 v[34:35], v[1:2], v[34:35]
	s_waitcnt vmcnt(0)
	v_fma_f64 v[1:2], v[1:2], v[36:37], -v[38:39]
	v_fma_f64 v[3:4], v[3:4], v[36:37], v[34:35]
.LBB58_858:
	s_mov_b32 s8, exec_lo
	v_cmpx_ne_u32_e32 49, v0
	s_cbranch_execz .LBB58_862
; %bb.859:
	v_add_nc_u32_e32 v34, 0x3c0, v133
	v_add3_u32 v35, 0, v133, 16
	v_mov_b32_e32 v36, v0
	s_mov_b32 s66, 0
	.p2align	6
.LBB58_860:                             ; =>This Inner Loop Header: Depth=1
	s_clause 0x3
	buffer_load_dword v134, v35, s[0:3], 0 offen offset:8
	buffer_load_dword v135, v35, s[0:3], 0 offen offset:12
	buffer_load_dword v136, v35, s[0:3], 0 offen
	buffer_load_dword v137, v35, s[0:3], 0 offen offset:4
	ds_read_b128 v[37:40], v34
	v_add_nc_u32_e32 v36, 1, v36
	v_add_nc_u32_e32 v34, 16, v34
	;; [unrolled: 1-line block ×3, first 2 shown]
	v_cmp_lt_u32_e32 vcc_lo, 48, v36
	s_or_b32 s66, vcc_lo, s66
	s_waitcnt vmcnt(2) lgkmcnt(0)
	v_mul_f64 v[138:139], v[39:40], v[134:135]
	v_mul_f64 v[134:135], v[37:38], v[134:135]
	s_waitcnt vmcnt(0)
	v_fma_f64 v[37:38], v[37:38], v[136:137], -v[138:139]
	v_fma_f64 v[39:40], v[39:40], v[136:137], v[134:135]
	v_add_f64 v[1:2], v[1:2], v[37:38]
	v_add_f64 v[3:4], v[3:4], v[39:40]
	s_andn2_b32 exec_lo, exec_lo, s66
	s_cbranch_execnz .LBB58_860
; %bb.861:
	s_or_b32 exec_lo, exec_lo, s66
.LBB58_862:
	s_or_b32 exec_lo, exec_lo, s8
	v_mov_b32_e32 v34, 0
	ds_read_b128 v[34:37], v34 offset:800
	s_waitcnt lgkmcnt(0)
	v_mul_f64 v[38:39], v[3:4], v[36:37]
	v_mul_f64 v[36:37], v[1:2], v[36:37]
	v_fma_f64 v[1:2], v[1:2], v[34:35], -v[38:39]
	v_fma_f64 v[3:4], v[3:4], v[34:35], v[36:37]
	buffer_store_dword v2, off, s[0:3], 0 offset:804
	buffer_store_dword v1, off, s[0:3], 0 offset:800
	;; [unrolled: 1-line block ×4, first 2 shown]
.LBB58_863:
	s_or_b32 exec_lo, exec_lo, s4
	v_mov_b32_e32 v4, s14
	s_mov_b32 s4, exec_lo
	s_clause 0x3
	buffer_load_dword v1, v4, s[0:3], 0 offen
	buffer_load_dword v2, v4, s[0:3], 0 offen offset:4
	buffer_load_dword v3, v4, s[0:3], 0 offen offset:8
	buffer_load_dword v4, v4, s[0:3], 0 offen offset:12
	s_waitcnt vmcnt(0)
	ds_write_b128 v32, v[1:4]
	s_waitcnt lgkmcnt(0)
	s_waitcnt_vscnt null, 0x0
	s_barrier
	buffer_gl0_inv
	v_cmpx_gt_u32_e32 51, v0
	s_cbranch_execz .LBB58_871
; %bb.864:
	ds_read_b128 v[1:4], v32
	v_cmp_ne_u32_e32 vcc_lo, 1, v33
	s_cbranch_vccnz .LBB58_866
; %bb.865:
	s_clause 0x3
	buffer_load_dword v34, v31, s[0:3], 0 offen offset:8
	buffer_load_dword v35, v31, s[0:3], 0 offen offset:12
	buffer_load_dword v36, v31, s[0:3], 0 offen
	buffer_load_dword v37, v31, s[0:3], 0 offen offset:4
	s_waitcnt vmcnt(2) lgkmcnt(0)
	v_mul_f64 v[38:39], v[3:4], v[34:35]
	v_mul_f64 v[34:35], v[1:2], v[34:35]
	s_waitcnt vmcnt(0)
	v_fma_f64 v[1:2], v[1:2], v[36:37], -v[38:39]
	v_fma_f64 v[3:4], v[3:4], v[36:37], v[34:35]
.LBB58_866:
	s_mov_b32 s8, exec_lo
	v_cmpx_ne_u32_e32 50, v0
	s_cbranch_execz .LBB58_870
; %bb.867:
	v_add_nc_u32_e32 v34, 0x3c0, v133
	v_add3_u32 v35, 0, v133, 16
	v_mov_b32_e32 v36, v0
	s_mov_b32 s66, 0
	.p2align	6
.LBB58_868:                             ; =>This Inner Loop Header: Depth=1
	s_clause 0x3
	buffer_load_dword v134, v35, s[0:3], 0 offen offset:8
	buffer_load_dword v135, v35, s[0:3], 0 offen offset:12
	buffer_load_dword v136, v35, s[0:3], 0 offen
	buffer_load_dword v137, v35, s[0:3], 0 offen offset:4
	ds_read_b128 v[37:40], v34
	v_add_nc_u32_e32 v36, 1, v36
	v_add_nc_u32_e32 v34, 16, v34
	;; [unrolled: 1-line block ×3, first 2 shown]
	v_cmp_lt_u32_e32 vcc_lo, 49, v36
	s_or_b32 s66, vcc_lo, s66
	s_waitcnt vmcnt(2) lgkmcnt(0)
	v_mul_f64 v[138:139], v[39:40], v[134:135]
	v_mul_f64 v[134:135], v[37:38], v[134:135]
	s_waitcnt vmcnt(0)
	v_fma_f64 v[37:38], v[37:38], v[136:137], -v[138:139]
	v_fma_f64 v[39:40], v[39:40], v[136:137], v[134:135]
	v_add_f64 v[1:2], v[1:2], v[37:38]
	v_add_f64 v[3:4], v[3:4], v[39:40]
	s_andn2_b32 exec_lo, exec_lo, s66
	s_cbranch_execnz .LBB58_868
; %bb.869:
	s_or_b32 exec_lo, exec_lo, s66
.LBB58_870:
	s_or_b32 exec_lo, exec_lo, s8
	v_mov_b32_e32 v34, 0
	ds_read_b128 v[34:37], v34 offset:816
	s_waitcnt lgkmcnt(0)
	v_mul_f64 v[38:39], v[3:4], v[36:37]
	v_mul_f64 v[36:37], v[1:2], v[36:37]
	v_fma_f64 v[1:2], v[1:2], v[34:35], -v[38:39]
	v_fma_f64 v[3:4], v[3:4], v[34:35], v[36:37]
	buffer_store_dword v2, off, s[0:3], 0 offset:820
	buffer_store_dword v1, off, s[0:3], 0 offset:816
	;; [unrolled: 1-line block ×4, first 2 shown]
.LBB58_871:
	s_or_b32 exec_lo, exec_lo, s4
	v_mov_b32_e32 v4, s13
	s_mov_b32 s4, exec_lo
	s_clause 0x3
	buffer_load_dword v1, v4, s[0:3], 0 offen
	buffer_load_dword v2, v4, s[0:3], 0 offen offset:4
	buffer_load_dword v3, v4, s[0:3], 0 offen offset:8
	;; [unrolled: 1-line block ×3, first 2 shown]
	s_waitcnt vmcnt(0)
	ds_write_b128 v32, v[1:4]
	s_waitcnt lgkmcnt(0)
	s_waitcnt_vscnt null, 0x0
	s_barrier
	buffer_gl0_inv
	v_cmpx_gt_u32_e32 52, v0
	s_cbranch_execz .LBB58_879
; %bb.872:
	ds_read_b128 v[1:4], v32
	v_cmp_ne_u32_e32 vcc_lo, 1, v33
	s_cbranch_vccnz .LBB58_874
; %bb.873:
	s_clause 0x3
	buffer_load_dword v34, v31, s[0:3], 0 offen offset:8
	buffer_load_dword v35, v31, s[0:3], 0 offen offset:12
	buffer_load_dword v36, v31, s[0:3], 0 offen
	buffer_load_dword v37, v31, s[0:3], 0 offen offset:4
	s_waitcnt vmcnt(2) lgkmcnt(0)
	v_mul_f64 v[38:39], v[3:4], v[34:35]
	v_mul_f64 v[34:35], v[1:2], v[34:35]
	s_waitcnt vmcnt(0)
	v_fma_f64 v[1:2], v[1:2], v[36:37], -v[38:39]
	v_fma_f64 v[3:4], v[3:4], v[36:37], v[34:35]
.LBB58_874:
	s_mov_b32 s8, exec_lo
	v_cmpx_ne_u32_e32 51, v0
	s_cbranch_execz .LBB58_878
; %bb.875:
	v_add_nc_u32_e32 v34, 0x3c0, v133
	v_add3_u32 v35, 0, v133, 16
	v_mov_b32_e32 v36, v0
	s_mov_b32 s66, 0
	.p2align	6
.LBB58_876:                             ; =>This Inner Loop Header: Depth=1
	s_clause 0x3
	buffer_load_dword v134, v35, s[0:3], 0 offen offset:8
	buffer_load_dword v135, v35, s[0:3], 0 offen offset:12
	buffer_load_dword v136, v35, s[0:3], 0 offen
	buffer_load_dword v137, v35, s[0:3], 0 offen offset:4
	ds_read_b128 v[37:40], v34
	v_add_nc_u32_e32 v36, 1, v36
	v_add_nc_u32_e32 v34, 16, v34
	;; [unrolled: 1-line block ×3, first 2 shown]
	v_cmp_lt_u32_e32 vcc_lo, 50, v36
	s_or_b32 s66, vcc_lo, s66
	s_waitcnt vmcnt(2) lgkmcnt(0)
	v_mul_f64 v[138:139], v[39:40], v[134:135]
	v_mul_f64 v[134:135], v[37:38], v[134:135]
	s_waitcnt vmcnt(0)
	v_fma_f64 v[37:38], v[37:38], v[136:137], -v[138:139]
	v_fma_f64 v[39:40], v[39:40], v[136:137], v[134:135]
	v_add_f64 v[1:2], v[1:2], v[37:38]
	v_add_f64 v[3:4], v[3:4], v[39:40]
	s_andn2_b32 exec_lo, exec_lo, s66
	s_cbranch_execnz .LBB58_876
; %bb.877:
	s_or_b32 exec_lo, exec_lo, s66
.LBB58_878:
	s_or_b32 exec_lo, exec_lo, s8
	v_mov_b32_e32 v34, 0
	ds_read_b128 v[34:37], v34 offset:832
	s_waitcnt lgkmcnt(0)
	v_mul_f64 v[38:39], v[3:4], v[36:37]
	v_mul_f64 v[36:37], v[1:2], v[36:37]
	v_fma_f64 v[1:2], v[1:2], v[34:35], -v[38:39]
	v_fma_f64 v[3:4], v[3:4], v[34:35], v[36:37]
	buffer_store_dword v2, off, s[0:3], 0 offset:836
	buffer_store_dword v1, off, s[0:3], 0 offset:832
	;; [unrolled: 1-line block ×4, first 2 shown]
.LBB58_879:
	s_or_b32 exec_lo, exec_lo, s4
	v_mov_b32_e32 v4, s12
	s_mov_b32 s4, exec_lo
	s_clause 0x3
	buffer_load_dword v1, v4, s[0:3], 0 offen
	buffer_load_dword v2, v4, s[0:3], 0 offen offset:4
	buffer_load_dword v3, v4, s[0:3], 0 offen offset:8
	;; [unrolled: 1-line block ×3, first 2 shown]
	s_waitcnt vmcnt(0)
	ds_write_b128 v32, v[1:4]
	s_waitcnt lgkmcnt(0)
	s_waitcnt_vscnt null, 0x0
	s_barrier
	buffer_gl0_inv
	v_cmpx_gt_u32_e32 53, v0
	s_cbranch_execz .LBB58_887
; %bb.880:
	ds_read_b128 v[1:4], v32
	v_cmp_ne_u32_e32 vcc_lo, 1, v33
	s_cbranch_vccnz .LBB58_882
; %bb.881:
	s_clause 0x3
	buffer_load_dword v34, v31, s[0:3], 0 offen offset:8
	buffer_load_dword v35, v31, s[0:3], 0 offen offset:12
	buffer_load_dword v36, v31, s[0:3], 0 offen
	buffer_load_dword v37, v31, s[0:3], 0 offen offset:4
	s_waitcnt vmcnt(2) lgkmcnt(0)
	v_mul_f64 v[38:39], v[3:4], v[34:35]
	v_mul_f64 v[34:35], v[1:2], v[34:35]
	s_waitcnt vmcnt(0)
	v_fma_f64 v[1:2], v[1:2], v[36:37], -v[38:39]
	v_fma_f64 v[3:4], v[3:4], v[36:37], v[34:35]
.LBB58_882:
	s_mov_b32 s8, exec_lo
	v_cmpx_ne_u32_e32 52, v0
	s_cbranch_execz .LBB58_886
; %bb.883:
	v_add_nc_u32_e32 v34, 0x3c0, v133
	v_add3_u32 v35, 0, v133, 16
	v_mov_b32_e32 v36, v0
	s_mov_b32 s66, 0
	.p2align	6
.LBB58_884:                             ; =>This Inner Loop Header: Depth=1
	s_clause 0x3
	buffer_load_dword v134, v35, s[0:3], 0 offen offset:8
	buffer_load_dword v135, v35, s[0:3], 0 offen offset:12
	buffer_load_dword v136, v35, s[0:3], 0 offen
	buffer_load_dword v137, v35, s[0:3], 0 offen offset:4
	ds_read_b128 v[37:40], v34
	v_add_nc_u32_e32 v36, 1, v36
	v_add_nc_u32_e32 v34, 16, v34
	;; [unrolled: 1-line block ×3, first 2 shown]
	v_cmp_lt_u32_e32 vcc_lo, 51, v36
	s_or_b32 s66, vcc_lo, s66
	s_waitcnt vmcnt(2) lgkmcnt(0)
	v_mul_f64 v[138:139], v[39:40], v[134:135]
	v_mul_f64 v[134:135], v[37:38], v[134:135]
	s_waitcnt vmcnt(0)
	v_fma_f64 v[37:38], v[37:38], v[136:137], -v[138:139]
	v_fma_f64 v[39:40], v[39:40], v[136:137], v[134:135]
	v_add_f64 v[1:2], v[1:2], v[37:38]
	v_add_f64 v[3:4], v[3:4], v[39:40]
	s_andn2_b32 exec_lo, exec_lo, s66
	s_cbranch_execnz .LBB58_884
; %bb.885:
	s_or_b32 exec_lo, exec_lo, s66
.LBB58_886:
	s_or_b32 exec_lo, exec_lo, s8
	v_mov_b32_e32 v34, 0
	ds_read_b128 v[34:37], v34 offset:848
	s_waitcnt lgkmcnt(0)
	v_mul_f64 v[38:39], v[3:4], v[36:37]
	v_mul_f64 v[36:37], v[1:2], v[36:37]
	v_fma_f64 v[1:2], v[1:2], v[34:35], -v[38:39]
	v_fma_f64 v[3:4], v[3:4], v[34:35], v[36:37]
	buffer_store_dword v2, off, s[0:3], 0 offset:852
	buffer_store_dword v1, off, s[0:3], 0 offset:848
	;; [unrolled: 1-line block ×4, first 2 shown]
.LBB58_887:
	s_or_b32 exec_lo, exec_lo, s4
	v_mov_b32_e32 v4, s11
	s_mov_b32 s4, exec_lo
	s_clause 0x3
	buffer_load_dword v1, v4, s[0:3], 0 offen
	buffer_load_dword v2, v4, s[0:3], 0 offen offset:4
	buffer_load_dword v3, v4, s[0:3], 0 offen offset:8
	;; [unrolled: 1-line block ×3, first 2 shown]
	s_waitcnt vmcnt(0)
	ds_write_b128 v32, v[1:4]
	s_waitcnt lgkmcnt(0)
	s_waitcnt_vscnt null, 0x0
	s_barrier
	buffer_gl0_inv
	v_cmpx_gt_u32_e32 54, v0
	s_cbranch_execz .LBB58_895
; %bb.888:
	ds_read_b128 v[1:4], v32
	v_cmp_ne_u32_e32 vcc_lo, 1, v33
	s_cbranch_vccnz .LBB58_890
; %bb.889:
	s_clause 0x3
	buffer_load_dword v34, v31, s[0:3], 0 offen offset:8
	buffer_load_dword v35, v31, s[0:3], 0 offen offset:12
	buffer_load_dword v36, v31, s[0:3], 0 offen
	buffer_load_dword v37, v31, s[0:3], 0 offen offset:4
	s_waitcnt vmcnt(2) lgkmcnt(0)
	v_mul_f64 v[38:39], v[3:4], v[34:35]
	v_mul_f64 v[34:35], v[1:2], v[34:35]
	s_waitcnt vmcnt(0)
	v_fma_f64 v[1:2], v[1:2], v[36:37], -v[38:39]
	v_fma_f64 v[3:4], v[3:4], v[36:37], v[34:35]
.LBB58_890:
	s_mov_b32 s8, exec_lo
	v_cmpx_ne_u32_e32 53, v0
	s_cbranch_execz .LBB58_894
; %bb.891:
	v_add_nc_u32_e32 v34, 0x3c0, v133
	v_add3_u32 v35, 0, v133, 16
	v_mov_b32_e32 v36, v0
	s_mov_b32 s66, 0
	.p2align	6
.LBB58_892:                             ; =>This Inner Loop Header: Depth=1
	s_clause 0x3
	buffer_load_dword v134, v35, s[0:3], 0 offen offset:8
	buffer_load_dword v135, v35, s[0:3], 0 offen offset:12
	buffer_load_dword v136, v35, s[0:3], 0 offen
	buffer_load_dword v137, v35, s[0:3], 0 offen offset:4
	ds_read_b128 v[37:40], v34
	v_add_nc_u32_e32 v36, 1, v36
	v_add_nc_u32_e32 v34, 16, v34
	;; [unrolled: 1-line block ×3, first 2 shown]
	v_cmp_lt_u32_e32 vcc_lo, 52, v36
	s_or_b32 s66, vcc_lo, s66
	s_waitcnt vmcnt(2) lgkmcnt(0)
	v_mul_f64 v[138:139], v[39:40], v[134:135]
	v_mul_f64 v[134:135], v[37:38], v[134:135]
	s_waitcnt vmcnt(0)
	v_fma_f64 v[37:38], v[37:38], v[136:137], -v[138:139]
	v_fma_f64 v[39:40], v[39:40], v[136:137], v[134:135]
	v_add_f64 v[1:2], v[1:2], v[37:38]
	v_add_f64 v[3:4], v[3:4], v[39:40]
	s_andn2_b32 exec_lo, exec_lo, s66
	s_cbranch_execnz .LBB58_892
; %bb.893:
	s_or_b32 exec_lo, exec_lo, s66
.LBB58_894:
	s_or_b32 exec_lo, exec_lo, s8
	v_mov_b32_e32 v34, 0
	ds_read_b128 v[34:37], v34 offset:864
	s_waitcnt lgkmcnt(0)
	v_mul_f64 v[38:39], v[3:4], v[36:37]
	v_mul_f64 v[36:37], v[1:2], v[36:37]
	v_fma_f64 v[1:2], v[1:2], v[34:35], -v[38:39]
	v_fma_f64 v[3:4], v[3:4], v[34:35], v[36:37]
	buffer_store_dword v2, off, s[0:3], 0 offset:868
	buffer_store_dword v1, off, s[0:3], 0 offset:864
	;; [unrolled: 1-line block ×4, first 2 shown]
.LBB58_895:
	s_or_b32 exec_lo, exec_lo, s4
	v_mov_b32_e32 v4, s10
	s_mov_b32 s4, exec_lo
	s_clause 0x3
	buffer_load_dword v1, v4, s[0:3], 0 offen
	buffer_load_dword v2, v4, s[0:3], 0 offen offset:4
	buffer_load_dword v3, v4, s[0:3], 0 offen offset:8
	;; [unrolled: 1-line block ×3, first 2 shown]
	s_waitcnt vmcnt(0)
	ds_write_b128 v32, v[1:4]
	s_waitcnt lgkmcnt(0)
	s_waitcnt_vscnt null, 0x0
	s_barrier
	buffer_gl0_inv
	v_cmpx_gt_u32_e32 55, v0
	s_cbranch_execz .LBB58_903
; %bb.896:
	ds_read_b128 v[1:4], v32
	v_cmp_ne_u32_e32 vcc_lo, 1, v33
	s_cbranch_vccnz .LBB58_898
; %bb.897:
	s_clause 0x3
	buffer_load_dword v34, v31, s[0:3], 0 offen offset:8
	buffer_load_dword v35, v31, s[0:3], 0 offen offset:12
	buffer_load_dword v36, v31, s[0:3], 0 offen
	buffer_load_dword v37, v31, s[0:3], 0 offen offset:4
	s_waitcnt vmcnt(2) lgkmcnt(0)
	v_mul_f64 v[38:39], v[3:4], v[34:35]
	v_mul_f64 v[34:35], v[1:2], v[34:35]
	s_waitcnt vmcnt(0)
	v_fma_f64 v[1:2], v[1:2], v[36:37], -v[38:39]
	v_fma_f64 v[3:4], v[3:4], v[36:37], v[34:35]
.LBB58_898:
	s_mov_b32 s8, exec_lo
	v_cmpx_ne_u32_e32 54, v0
	s_cbranch_execz .LBB58_902
; %bb.899:
	v_add_nc_u32_e32 v34, 0x3c0, v133
	v_add3_u32 v35, 0, v133, 16
	v_mov_b32_e32 v36, v0
	s_mov_b32 s66, 0
	.p2align	6
.LBB58_900:                             ; =>This Inner Loop Header: Depth=1
	s_clause 0x3
	buffer_load_dword v134, v35, s[0:3], 0 offen offset:8
	buffer_load_dword v135, v35, s[0:3], 0 offen offset:12
	buffer_load_dword v136, v35, s[0:3], 0 offen
	buffer_load_dword v137, v35, s[0:3], 0 offen offset:4
	ds_read_b128 v[37:40], v34
	v_add_nc_u32_e32 v36, 1, v36
	v_add_nc_u32_e32 v34, 16, v34
	;; [unrolled: 1-line block ×3, first 2 shown]
	v_cmp_lt_u32_e32 vcc_lo, 53, v36
	s_or_b32 s66, vcc_lo, s66
	s_waitcnt vmcnt(2) lgkmcnt(0)
	v_mul_f64 v[138:139], v[39:40], v[134:135]
	v_mul_f64 v[134:135], v[37:38], v[134:135]
	s_waitcnt vmcnt(0)
	v_fma_f64 v[37:38], v[37:38], v[136:137], -v[138:139]
	v_fma_f64 v[39:40], v[39:40], v[136:137], v[134:135]
	v_add_f64 v[1:2], v[1:2], v[37:38]
	v_add_f64 v[3:4], v[3:4], v[39:40]
	s_andn2_b32 exec_lo, exec_lo, s66
	s_cbranch_execnz .LBB58_900
; %bb.901:
	s_or_b32 exec_lo, exec_lo, s66
.LBB58_902:
	s_or_b32 exec_lo, exec_lo, s8
	v_mov_b32_e32 v34, 0
	ds_read_b128 v[34:37], v34 offset:880
	s_waitcnt lgkmcnt(0)
	v_mul_f64 v[38:39], v[3:4], v[36:37]
	v_mul_f64 v[36:37], v[1:2], v[36:37]
	v_fma_f64 v[1:2], v[1:2], v[34:35], -v[38:39]
	v_fma_f64 v[3:4], v[3:4], v[34:35], v[36:37]
	buffer_store_dword v2, off, s[0:3], 0 offset:884
	buffer_store_dword v1, off, s[0:3], 0 offset:880
	;; [unrolled: 1-line block ×4, first 2 shown]
.LBB58_903:
	s_or_b32 exec_lo, exec_lo, s4
	v_mov_b32_e32 v4, s9
	s_mov_b32 s4, exec_lo
	s_clause 0x3
	buffer_load_dword v1, v4, s[0:3], 0 offen
	buffer_load_dword v2, v4, s[0:3], 0 offen offset:4
	buffer_load_dword v3, v4, s[0:3], 0 offen offset:8
	;; [unrolled: 1-line block ×3, first 2 shown]
	s_waitcnt vmcnt(0)
	ds_write_b128 v32, v[1:4]
	s_waitcnt lgkmcnt(0)
	s_waitcnt_vscnt null, 0x0
	s_barrier
	buffer_gl0_inv
	v_cmpx_gt_u32_e32 56, v0
	s_cbranch_execz .LBB58_911
; %bb.904:
	ds_read_b128 v[1:4], v32
	v_cmp_ne_u32_e32 vcc_lo, 1, v33
	s_cbranch_vccnz .LBB58_906
; %bb.905:
	s_clause 0x3
	buffer_load_dword v34, v31, s[0:3], 0 offen offset:8
	buffer_load_dword v35, v31, s[0:3], 0 offen offset:12
	buffer_load_dword v36, v31, s[0:3], 0 offen
	buffer_load_dword v37, v31, s[0:3], 0 offen offset:4
	s_waitcnt vmcnt(2) lgkmcnt(0)
	v_mul_f64 v[38:39], v[3:4], v[34:35]
	v_mul_f64 v[34:35], v[1:2], v[34:35]
	s_waitcnt vmcnt(0)
	v_fma_f64 v[1:2], v[1:2], v[36:37], -v[38:39]
	v_fma_f64 v[3:4], v[3:4], v[36:37], v[34:35]
.LBB58_906:
	s_mov_b32 s8, exec_lo
	v_cmpx_ne_u32_e32 55, v0
	s_cbranch_execz .LBB58_910
; %bb.907:
	v_add_nc_u32_e32 v34, 0x3c0, v133
	v_add3_u32 v35, 0, v133, 16
	v_mov_b32_e32 v36, v0
	s_mov_b32 s66, 0
	.p2align	6
.LBB58_908:                             ; =>This Inner Loop Header: Depth=1
	s_clause 0x3
	buffer_load_dword v134, v35, s[0:3], 0 offen offset:8
	buffer_load_dword v135, v35, s[0:3], 0 offen offset:12
	buffer_load_dword v136, v35, s[0:3], 0 offen
	buffer_load_dword v137, v35, s[0:3], 0 offen offset:4
	ds_read_b128 v[37:40], v34
	v_add_nc_u32_e32 v36, 1, v36
	v_add_nc_u32_e32 v34, 16, v34
	;; [unrolled: 1-line block ×3, first 2 shown]
	v_cmp_lt_u32_e32 vcc_lo, 54, v36
	s_or_b32 s66, vcc_lo, s66
	s_waitcnt vmcnt(2) lgkmcnt(0)
	v_mul_f64 v[138:139], v[39:40], v[134:135]
	v_mul_f64 v[134:135], v[37:38], v[134:135]
	s_waitcnt vmcnt(0)
	v_fma_f64 v[37:38], v[37:38], v[136:137], -v[138:139]
	v_fma_f64 v[39:40], v[39:40], v[136:137], v[134:135]
	v_add_f64 v[1:2], v[1:2], v[37:38]
	v_add_f64 v[3:4], v[3:4], v[39:40]
	s_andn2_b32 exec_lo, exec_lo, s66
	s_cbranch_execnz .LBB58_908
; %bb.909:
	s_or_b32 exec_lo, exec_lo, s66
.LBB58_910:
	s_or_b32 exec_lo, exec_lo, s8
	v_mov_b32_e32 v34, 0
	ds_read_b128 v[34:37], v34 offset:896
	s_waitcnt lgkmcnt(0)
	v_mul_f64 v[38:39], v[3:4], v[36:37]
	v_mul_f64 v[36:37], v[1:2], v[36:37]
	v_fma_f64 v[1:2], v[1:2], v[34:35], -v[38:39]
	v_fma_f64 v[3:4], v[3:4], v[34:35], v[36:37]
	buffer_store_dword v2, off, s[0:3], 0 offset:900
	buffer_store_dword v1, off, s[0:3], 0 offset:896
	;; [unrolled: 1-line block ×4, first 2 shown]
.LBB58_911:
	s_or_b32 exec_lo, exec_lo, s4
	v_mov_b32_e32 v4, s7
	v_cmp_gt_u32_e64 s4, 57, v0
	s_clause 0x3
	buffer_load_dword v1, v4, s[0:3], 0 offen
	buffer_load_dword v2, v4, s[0:3], 0 offen offset:4
	buffer_load_dword v3, v4, s[0:3], 0 offen offset:8
	;; [unrolled: 1-line block ×3, first 2 shown]
	s_waitcnt vmcnt(0)
	ds_write_b128 v32, v[1:4]
	s_waitcnt lgkmcnt(0)
	s_waitcnt_vscnt null, 0x0
	s_barrier
	buffer_gl0_inv
	s_and_saveexec_b32 s8, s4
	s_cbranch_execz .LBB58_919
; %bb.912:
	ds_read_b128 v[1:4], v32
	v_cmp_ne_u32_e32 vcc_lo, 1, v33
	s_cbranch_vccnz .LBB58_914
; %bb.913:
	s_clause 0x3
	buffer_load_dword v34, v31, s[0:3], 0 offen offset:8
	buffer_load_dword v35, v31, s[0:3], 0 offen offset:12
	buffer_load_dword v36, v31, s[0:3], 0 offen
	buffer_load_dword v37, v31, s[0:3], 0 offen offset:4
	s_waitcnt vmcnt(2) lgkmcnt(0)
	v_mul_f64 v[38:39], v[3:4], v[34:35]
	v_mul_f64 v[34:35], v[1:2], v[34:35]
	s_waitcnt vmcnt(0)
	v_fma_f64 v[1:2], v[1:2], v[36:37], -v[38:39]
	v_fma_f64 v[3:4], v[3:4], v[36:37], v[34:35]
.LBB58_914:
	s_mov_b32 s66, exec_lo
	v_cmpx_ne_u32_e32 56, v0
	s_cbranch_execz .LBB58_918
; %bb.915:
	v_add_nc_u32_e32 v34, 0x3c0, v133
	v_add3_u32 v35, 0, v133, 16
	v_mov_b32_e32 v36, v0
	s_mov_b32 s67, 0
	.p2align	6
.LBB58_916:                             ; =>This Inner Loop Header: Depth=1
	s_clause 0x3
	buffer_load_dword v134, v35, s[0:3], 0 offen offset:8
	buffer_load_dword v135, v35, s[0:3], 0 offen offset:12
	buffer_load_dword v136, v35, s[0:3], 0 offen
	buffer_load_dword v137, v35, s[0:3], 0 offen offset:4
	ds_read_b128 v[37:40], v34
	v_add_nc_u32_e32 v36, 1, v36
	v_add_nc_u32_e32 v34, 16, v34
	v_add_nc_u32_e32 v35, 16, v35
	v_cmp_lt_u32_e32 vcc_lo, 55, v36
	s_or_b32 s67, vcc_lo, s67
	s_waitcnt vmcnt(2) lgkmcnt(0)
	v_mul_f64 v[138:139], v[39:40], v[134:135]
	v_mul_f64 v[134:135], v[37:38], v[134:135]
	s_waitcnt vmcnt(0)
	v_fma_f64 v[37:38], v[37:38], v[136:137], -v[138:139]
	v_fma_f64 v[39:40], v[39:40], v[136:137], v[134:135]
	v_add_f64 v[1:2], v[1:2], v[37:38]
	v_add_f64 v[3:4], v[3:4], v[39:40]
	s_andn2_b32 exec_lo, exec_lo, s67
	s_cbranch_execnz .LBB58_916
; %bb.917:
	s_or_b32 exec_lo, exec_lo, s67
.LBB58_918:
	s_or_b32 exec_lo, exec_lo, s66
	v_mov_b32_e32 v34, 0
	ds_read_b128 v[34:37], v34 offset:912
	s_waitcnt lgkmcnt(0)
	v_mul_f64 v[38:39], v[3:4], v[36:37]
	v_mul_f64 v[36:37], v[1:2], v[36:37]
	v_fma_f64 v[1:2], v[1:2], v[34:35], -v[38:39]
	v_fma_f64 v[3:4], v[3:4], v[34:35], v[36:37]
	buffer_store_dword v2, off, s[0:3], 0 offset:916
	buffer_store_dword v1, off, s[0:3], 0 offset:912
	;; [unrolled: 1-line block ×4, first 2 shown]
.LBB58_919:
	s_or_b32 exec_lo, exec_lo, s8
	v_mov_b32_e32 v4, s6
	s_mov_b32 s8, exec_lo
                                        ; implicit-def: $sgpr68
	s_clause 0x3
	buffer_load_dword v1, v4, s[0:3], 0 offen
	buffer_load_dword v2, v4, s[0:3], 0 offen offset:4
	buffer_load_dword v3, v4, s[0:3], 0 offen offset:8
	;; [unrolled: 1-line block ×3, first 2 shown]
	s_waitcnt vmcnt(0)
	ds_write_b128 v32, v[1:4]
	s_waitcnt lgkmcnt(0)
	s_waitcnt_vscnt null, 0x0
	s_barrier
	buffer_gl0_inv
                                        ; implicit-def: $vgpr1_vgpr2
	v_cmpx_ne_u32_e32 58, v0
	s_cbranch_execz .LBB58_927
; %bb.920:
	ds_read_b128 v[1:4], v32
	v_cmp_ne_u32_e32 vcc_lo, 1, v33
	s_cbranch_vccnz .LBB58_922
; %bb.921:
	s_clause 0x3
	buffer_load_dword v32, v31, s[0:3], 0 offen offset:8
	buffer_load_dword v33, v31, s[0:3], 0 offen offset:12
	buffer_load_dword v34, v31, s[0:3], 0 offen
	buffer_load_dword v35, v31, s[0:3], 0 offen offset:4
	s_waitcnt vmcnt(2) lgkmcnt(0)
	v_mul_f64 v[36:37], v[3:4], v[32:33]
	v_mul_f64 v[31:32], v[1:2], v[32:33]
	s_waitcnt vmcnt(0)
	v_fma_f64 v[1:2], v[1:2], v[34:35], -v[36:37]
	v_fma_f64 v[3:4], v[3:4], v[34:35], v[31:32]
.LBB58_922:
	s_and_saveexec_b32 s66, s4
	s_cbranch_execz .LBB58_926
; %bb.923:
	v_add_nc_u32_e32 v31, 0x3c0, v133
	v_add3_u32 v32, 0, v133, 16
	s_mov_b32 s4, 0
	.p2align	6
.LBB58_924:                             ; =>This Inner Loop Header: Depth=1
	s_clause 0x3
	buffer_load_dword v37, v32, s[0:3], 0 offen offset:8
	buffer_load_dword v38, v32, s[0:3], 0 offen offset:12
	buffer_load_dword v39, v32, s[0:3], 0 offen
	buffer_load_dword v40, v32, s[0:3], 0 offen offset:4
	ds_read_b128 v[33:36], v31
	v_add_nc_u32_e32 v0, 1, v0
	v_add_nc_u32_e32 v31, 16, v31
	;; [unrolled: 1-line block ×3, first 2 shown]
	v_cmp_lt_u32_e32 vcc_lo, 56, v0
	s_or_b32 s4, vcc_lo, s4
	s_waitcnt vmcnt(2) lgkmcnt(0)
	v_mul_f64 v[133:134], v[35:36], v[37:38]
	v_mul_f64 v[37:38], v[33:34], v[37:38]
	s_waitcnt vmcnt(0)
	v_fma_f64 v[33:34], v[33:34], v[39:40], -v[133:134]
	v_fma_f64 v[35:36], v[35:36], v[39:40], v[37:38]
	v_add_f64 v[1:2], v[1:2], v[33:34]
	v_add_f64 v[3:4], v[3:4], v[35:36]
	s_andn2_b32 exec_lo, exec_lo, s4
	s_cbranch_execnz .LBB58_924
; %bb.925:
	s_or_b32 exec_lo, exec_lo, s4
.LBB58_926:
	s_or_b32 exec_lo, exec_lo, s66
	v_mov_b32_e32 v0, 0
	s_movk_i32 s68, 0x3a8
	s_or_b32 s5, s5, exec_lo
	ds_read_b128 v[31:34], v0 offset:928
	s_waitcnt lgkmcnt(0)
	v_mul_f64 v[35:36], v[3:4], v[33:34]
	v_mul_f64 v[33:34], v[1:2], v[33:34]
	v_fma_f64 v[35:36], v[1:2], v[31:32], -v[35:36]
	v_fma_f64 v[1:2], v[3:4], v[31:32], v[33:34]
	buffer_store_dword v36, off, s[0:3], 0 offset:932
	buffer_store_dword v35, off, s[0:3], 0 offset:928
.LBB58_927:
	s_or_b32 exec_lo, exec_lo, s8
.LBB58_928:
	s_and_saveexec_b32 s4, s5
	s_cbranch_execz .LBB58_930
; %bb.929:
	v_mov_b32_e32 v0, s68
	buffer_store_dword v2, v0, s[0:3], 0 offen offset:4
	buffer_store_dword v1, v0, s[0:3], 0 offen
.LBB58_930:
	s_or_b32 exec_lo, exec_lo, s4
	s_clause 0x3
	buffer_load_dword v0, off, s[0:3], 0
	buffer_load_dword v1, off, s[0:3], 0 offset:4
	buffer_load_dword v2, off, s[0:3], 0 offset:8
	;; [unrolled: 1-line block ×3, first 2 shown]
	v_mov_b32_e32 v4, s65
	v_mov_b32_e32 v151, s13
	;; [unrolled: 1-line block ×4, first 2 shown]
	s_clause 0x3
	buffer_load_dword v31, v4, s[0:3], 0 offen
	buffer_load_dword v32, v4, s[0:3], 0 offen offset:4
	buffer_load_dword v33, v4, s[0:3], 0 offen offset:8
	buffer_load_dword v34, v4, s[0:3], 0 offen offset:12
	v_mov_b32_e32 v4, s64
	v_mov_b32_e32 v152, s12
	;; [unrolled: 1-line block ×3, first 2 shown]
	s_clause 0x3
	buffer_load_dword v35, v4, s[0:3], 0 offen
	buffer_load_dword v36, v4, s[0:3], 0 offen offset:4
	buffer_load_dword v37, v4, s[0:3], 0 offen offset:8
	;; [unrolled: 1-line block ×3, first 2 shown]
	v_mov_b32_e32 v4, s63
	v_mov_b32_e32 v156, s7
	s_clause 0x3
	buffer_load_dword v133, v4, s[0:3], 0 offen
	buffer_load_dword v134, v4, s[0:3], 0 offen offset:4
	buffer_load_dword v135, v4, s[0:3], 0 offen offset:8
	;; [unrolled: 1-line block ×3, first 2 shown]
	v_mov_b32_e32 v4, s62
	s_clause 0x3
	buffer_load_dword v137, v4, s[0:3], 0 offen
	buffer_load_dword v138, v4, s[0:3], 0 offen offset:4
	buffer_load_dword v139, v4, s[0:3], 0 offen offset:8
	;; [unrolled: 1-line block ×3, first 2 shown]
	v_mov_b32_e32 v4, s61
	v_mov_b32_e32 v157, s6
	s_waitcnt vmcnt(16)
	global_store_dwordx4 v[41:42], v[0:3], off
	s_clause 0x3
	buffer_load_dword v0, v4, s[0:3], 0 offen
	buffer_load_dword v1, v4, s[0:3], 0 offen offset:4
	buffer_load_dword v2, v4, s[0:3], 0 offen offset:8
	;; [unrolled: 1-line block ×3, first 2 shown]
	v_mov_b32_e32 v4, s60
	s_clause 0x3
	buffer_load_dword v39, v4, s[0:3], 0 offen
	buffer_load_dword v40, v4, s[0:3], 0 offen offset:4
	buffer_load_dword v41, v4, s[0:3], 0 offen offset:8
	;; [unrolled: 1-line block ×3, first 2 shown]
	v_mov_b32_e32 v4, s59
	s_waitcnt vmcnt(20)
	global_store_dwordx4 v[43:44], v[31:34], off
	v_mov_b32_e32 v43, s53
	s_clause 0x3
	buffer_load_dword v31, v4, s[0:3], 0 offen
	buffer_load_dword v32, v4, s[0:3], 0 offen offset:4
	buffer_load_dword v33, v4, s[0:3], 0 offen offset:8
	;; [unrolled: 1-line block ×3, first 2 shown]
	v_mov_b32_e32 v4, s58
	s_waitcnt vmcnt(20)
	global_store_dwordx4 v[131:132], v[35:38], off
	s_clause 0x3
	buffer_load_dword v35, v4, s[0:3], 0 offen
	buffer_load_dword v36, v4, s[0:3], 0 offen offset:4
	buffer_load_dword v37, v4, s[0:3], 0 offen offset:8
	;; [unrolled: 1-line block ×3, first 2 shown]
	v_mov_b32_e32 v4, s57
	s_clause 0x3
	buffer_load_dword v141, v4, s[0:3], 0 offen
	buffer_load_dword v142, v4, s[0:3], 0 offen offset:4
	buffer_load_dword v143, v4, s[0:3], 0 offen offset:8
	;; [unrolled: 1-line block ×3, first 2 shown]
	v_mov_b32_e32 v4, s56
	s_waitcnt vmcnt(24)
	global_store_dwordx4 v[121:122], v[133:136], off
	s_clause 0x3
	buffer_load_dword v131, v4, s[0:3], 0 offen
	buffer_load_dword v132, v4, s[0:3], 0 offen offset:4
	buffer_load_dword v133, v4, s[0:3], 0 offen offset:8
	;; [unrolled: 1-line block ×3, first 2 shown]
	v_mov_b32_e32 v4, s55
	s_waitcnt vmcnt(24)
	global_store_dwordx4 v[119:120], v[137:140], off
	s_clause 0x3
	buffer_load_dword v119, v4, s[0:3], 0 offen
	buffer_load_dword v120, v4, s[0:3], 0 offen offset:4
	buffer_load_dword v121, v4, s[0:3], 0 offen offset:8
	;; [unrolled: 1-line block ×3, first 2 shown]
	v_mov_b32_e32 v4, s54
	v_mov_b32_e32 v44, s41
	s_waitcnt vmcnt(24)
	global_store_dwordx4 v[113:114], v[0:3], off
	s_clause 0x7
	buffer_load_dword v0, v4, s[0:3], 0 offen
	buffer_load_dword v1, v4, s[0:3], 0 offen offset:4
	buffer_load_dword v2, v4, s[0:3], 0 offen offset:8
	;; [unrolled: 1-line block ×3, first 2 shown]
	buffer_load_dword v135, v43, s[0:3], 0 offen
	buffer_load_dword v136, v43, s[0:3], 0 offen offset:4
	buffer_load_dword v137, v43, s[0:3], 0 offen offset:8
	;; [unrolled: 1-line block ×3, first 2 shown]
	v_mov_b32_e32 v4, s52
	v_mov_b32_e32 v43, s44
	s_waitcnt vmcnt(28)
	global_store_dwordx4 v[115:116], v[39:42], off
	s_clause 0x3
	buffer_load_dword v39, v4, s[0:3], 0 offen
	buffer_load_dword v40, v4, s[0:3], 0 offen offset:4
	buffer_load_dword v41, v4, s[0:3], 0 offen offset:8
	buffer_load_dword v42, v4, s[0:3], 0 offen offset:12
	v_mov_b32_e32 v4, s51
	s_clause 0x3
	buffer_load_dword v113, v4, s[0:3], 0 offen
	buffer_load_dword v114, v4, s[0:3], 0 offen offset:4
	buffer_load_dword v115, v4, s[0:3], 0 offen offset:8
	;; [unrolled: 1-line block ×3, first 2 shown]
	v_mov_b32_e32 v4, s50
	s_waitcnt vmcnt(32)
	global_store_dwordx4 v[111:112], v[31:34], off
	s_clause 0x3
	buffer_load_dword v31, v4, s[0:3], 0 offen
	buffer_load_dword v32, v4, s[0:3], 0 offen offset:4
	buffer_load_dword v33, v4, s[0:3], 0 offen offset:8
	;; [unrolled: 1-line block ×3, first 2 shown]
	v_mov_b32_e32 v4, s49
	s_waitcnt vmcnt(32)
	global_store_dwordx4 v[109:110], v[35:38], off
	s_clause 0x3
	buffer_load_dword v35, v4, s[0:3], 0 offen
	buffer_load_dword v36, v4, s[0:3], 0 offen offset:4
	buffer_load_dword v37, v4, s[0:3], 0 offen offset:8
	;; [unrolled: 1-line block ×3, first 2 shown]
	v_mov_b32_e32 v4, s48
	s_clause 0x3
	buffer_load_dword v109, v4, s[0:3], 0 offen
	buffer_load_dword v110, v4, s[0:3], 0 offen offset:4
	buffer_load_dword v111, v4, s[0:3], 0 offen offset:8
	buffer_load_dword v112, v4, s[0:3], 0 offen offset:12
	v_mov_b32_e32 v4, s47
	s_waitcnt vmcnt(36)
	global_store_dwordx4 v[105:106], v[141:144], off
	s_clause 0x3
	buffer_load_dword v139, v4, s[0:3], 0 offen
	buffer_load_dword v140, v4, s[0:3], 0 offen offset:4
	buffer_load_dword v141, v4, s[0:3], 0 offen offset:8
	buffer_load_dword v142, v4, s[0:3], 0 offen offset:12
	v_mov_b32_e32 v4, s46
	s_waitcnt vmcnt(36)
	global_store_dwordx4 v[103:104], v[131:134], off
	;; [unrolled: 8-line block ×3, first 2 shown]
	s_clause 0x3
	buffer_load_dword v119, v4, s[0:3], 0 offen
	buffer_load_dword v120, v4, s[0:3], 0 offen offset:4
	buffer_load_dword v121, v4, s[0:3], 0 offen offset:8
	;; [unrolled: 1-line block ×3, first 2 shown]
	v_mov_b32_e32 v4, s43
	s_clause 0x3
	buffer_load_dword v131, v43, s[0:3], 0 offen
	buffer_load_dword v132, v43, s[0:3], 0 offen offset:4
	buffer_load_dword v133, v43, s[0:3], 0 offen offset:8
	;; [unrolled: 1-line block ×3, first 2 shown]
	v_mov_b32_e32 v43, s42
	s_waitcnt vmcnt(40)
	global_store_dwordx4 v[95:96], v[0:3], off
	s_clause 0x3
	buffer_load_dword v0, v4, s[0:3], 0 offen
	buffer_load_dword v1, v4, s[0:3], 0 offen offset:4
	buffer_load_dword v2, v4, s[0:3], 0 offen offset:8
	;; [unrolled: 1-line block ×3, first 2 shown]
	v_mov_b32_e32 v4, s40
	s_waitcnt vmcnt(40)
	global_store_dwordx4 v[93:94], v[135:138], off
	s_clause 0x7
	buffer_load_dword v93, v43, s[0:3], 0 offen
	buffer_load_dword v94, v43, s[0:3], 0 offen offset:4
	buffer_load_dword v95, v43, s[0:3], 0 offen offset:8
	;; [unrolled: 1-line block ×3, first 2 shown]
	buffer_load_dword v135, v44, s[0:3], 0 offen
	buffer_load_dword v136, v44, s[0:3], 0 offen offset:4
	buffer_load_dword v137, v44, s[0:3], 0 offen offset:8
	;; [unrolled: 1-line block ×3, first 2 shown]
	v_mov_b32_e32 v43, s39
	s_waitcnt vmcnt(44)
	global_store_dwordx4 v[89:90], v[39:42], off
	s_clause 0x7
	buffer_load_dword v39, v4, s[0:3], 0 offen
	buffer_load_dword v40, v4, s[0:3], 0 offen offset:4
	buffer_load_dword v41, v4, s[0:3], 0 offen offset:8
	;; [unrolled: 1-line block ×3, first 2 shown]
	buffer_load_dword v143, v43, s[0:3], 0 offen
	buffer_load_dword v144, v43, s[0:3], 0 offen offset:4
	buffer_load_dword v145, v43, s[0:3], 0 offen offset:8
	;; [unrolled: 1-line block ×3, first 2 shown]
	v_mov_b32_e32 v4, s38
	v_mov_b32_e32 v43, s36
	;; [unrolled: 1-line block ×4, first 2 shown]
	s_waitcnt vmcnt(48)
	global_store_dwordx4 v[85:86], v[113:116], off
	s_clause 0x3
	buffer_load_dword v113, v4, s[0:3], 0 offen
	buffer_load_dword v114, v4, s[0:3], 0 offen offset:4
	buffer_load_dword v115, v4, s[0:3], 0 offen offset:8
	;; [unrolled: 1-line block ×3, first 2 shown]
	v_mov_b32_e32 v4, s37
	v_mov_b32_e32 v86, s23
	v_mov_b32_e32 v85, s26
	s_waitcnt vmcnt(48)
	global_store_dwordx4 v[79:80], v[31:34], off
	s_clause 0x7
	buffer_load_dword v31, v4, s[0:3], 0 offen
	buffer_load_dword v32, v4, s[0:3], 0 offen offset:4
	buffer_load_dword v33, v4, s[0:3], 0 offen offset:8
	;; [unrolled: 1-line block ×3, first 2 shown]
	buffer_load_dword v147, v43, s[0:3], 0 offen
	buffer_load_dword v148, v43, s[0:3], 0 offen offset:4
	buffer_load_dword v149, v43, s[0:3], 0 offen offset:8
	;; [unrolled: 1-line block ×3, first 2 shown]
	v_mov_b32_e32 v4, s35
	v_mov_b32_e32 v43, s33
	s_waitcnt vmcnt(52)
	global_store_dwordx4 v[77:78], v[35:38], off
	s_clause 0x3
	buffer_load_dword v35, v4, s[0:3], 0 offen
	buffer_load_dword v36, v4, s[0:3], 0 offen offset:4
	buffer_load_dword v37, v4, s[0:3], 0 offen offset:8
	;; [unrolled: 1-line block ×3, first 2 shown]
	v_mov_b32_e32 v4, s34
	s_waitcnt vmcnt(52)
	global_store_dwordx4 v[69:70], v[109:112], off
	s_clause 0x7
	buffer_load_dword v77, v4, s[0:3], 0 offen
	buffer_load_dword v78, v4, s[0:3], 0 offen offset:4
	buffer_load_dword v79, v4, s[0:3], 0 offen offset:8
	;; [unrolled: 1-line block ×3, first 2 shown]
	buffer_load_dword v109, v43, s[0:3], 0 offen
	buffer_load_dword v110, v43, s[0:3], 0 offen offset:4
	buffer_load_dword v111, v43, s[0:3], 0 offen offset:8
	;; [unrolled: 1-line block ×3, first 2 shown]
	v_mov_b32_e32 v4, s31
	s_waitcnt vmcnt(56)
	global_store_dwordx4 v[67:68], v[139:142], off
	s_clause 0x3
	buffer_load_dword v67, v4, s[0:3], 0 offen
	buffer_load_dword v68, v4, s[0:3], 0 offen offset:4
	buffer_load_dword v69, v4, s[0:3], 0 offen offset:8
	;; [unrolled: 1-line block ×3, first 2 shown]
	v_mov_b32_e32 v4, s30
	v_mov_b32_e32 v139, s17
	;; [unrolled: 1-line block ×4, first 2 shown]
	s_waitcnt vmcnt(56)
	global_store_dwordx4 v[61:62], v[103:106], off
	s_clause 0x3
	buffer_load_dword v101, v4, s[0:3], 0 offen
	buffer_load_dword v102, v4, s[0:3], 0 offen offset:4
	buffer_load_dword v103, v4, s[0:3], 0 offen offset:8
	buffer_load_dword v104, v4, s[0:3], 0 offen offset:12
	v_mov_b32_e32 v4, s29
	v_mov_b32_e32 v62, s27
	;; [unrolled: 1-line block ×4, first 2 shown]
	s_waitcnt vmcnt(56)
	global_store_dwordx4 v[75:76], v[119:122], off
	v_mov_b32_e32 v75, s25
	s_waitcnt vmcnt(52)
	global_store_dwordx4 v[63:64], v[131:134], off
	v_mov_b32_e32 v76, s24
	v_mov_b32_e32 v105, s20
	v_mov_b32_e32 v134, s18
	v_mov_b32_e32 v142, s14
	s_waitcnt vmcnt(48)
	global_store_dwordx4 v[53:54], v[0:3], off
	s_waitcnt vmcnt(44)
	global_store_dwordx4 v[45:46], v[93:96], off
	;; [unrolled: 2-line block ×3, first 2 shown]
	s_clause 0x7
	buffer_load_dword v0, v4, s[0:3], 0 offen
	buffer_load_dword v1, v4, s[0:3], 0 offen offset:4
	buffer_load_dword v2, v4, s[0:3], 0 offen offset:8
	buffer_load_dword v3, v4, s[0:3], 0 offen offset:12
	buffer_load_dword v43, v61, s[0:3], 0 offen
	buffer_load_dword v44, v61, s[0:3], 0 offen offset:4
	buffer_load_dword v45, v61, s[0:3], 0 offen offset:8
	buffer_load_dword v46, v61, s[0:3], 0 offen offset:12
	s_waitcnt vmcnt(44)
	global_store_dwordx4 v[49:50], v[39:42], off
	s_clause 0x7
	buffer_load_dword v39, v62, s[0:3], 0 offen
	buffer_load_dword v40, v62, s[0:3], 0 offen offset:4
	buffer_load_dword v41, v62, s[0:3], 0 offen offset:8
	buffer_load_dword v42, v62, s[0:3], 0 offen offset:12
	buffer_load_dword v47, v85, s[0:3], 0 offen
	buffer_load_dword v48, v85, s[0:3], 0 offen offset:4
	buffer_load_dword v49, v85, s[0:3], 0 offen offset:8
	buffer_load_dword v50, v85, s[0:3], 0 offen offset:12
	s_waitcnt vmcnt(48)
	global_store_dwordx4 v[51:52], v[143:146], off
	;; [unrolled: 11-line block ×7, first 2 shown]
	s_clause 0x7
	buffer_load_dword v75, v141, s[0:3], 0 offen
	buffer_load_dword v76, v141, s[0:3], 0 offen offset:4
	buffer_load_dword v77, v141, s[0:3], 0 offen offset:8
	;; [unrolled: 1-line block ×3, first 2 shown]
	buffer_load_dword v139, v142, s[0:3], 0 offen
	buffer_load_dword v140, v142, s[0:3], 0 offen offset:4
	buffer_load_dword v141, v142, s[0:3], 0 offen offset:8
	buffer_load_dword v142, v142, s[0:3], 0 offen offset:12
	global_store_dwordx4 v[73:74], v[109:112], off
	s_clause 0x7
	buffer_load_dword v71, v151, s[0:3], 0 offen
	buffer_load_dword v72, v151, s[0:3], 0 offen offset:4
	buffer_load_dword v73, v151, s[0:3], 0 offen offset:8
	;; [unrolled: 1-line block ×3, first 2 shown]
	buffer_load_dword v109, v152, s[0:3], 0 offen
	buffer_load_dword v110, v152, s[0:3], 0 offen offset:4
	buffer_load_dword v111, v152, s[0:3], 0 offen offset:8
	;; [unrolled: 1-line block ×3, first 2 shown]
	s_waitcnt vmcnt(62)
	global_store_dwordx4 v[81:82], v[67:70], off
	s_clause 0x7
	buffer_load_dword v65, v153, s[0:3], 0 offen
	buffer_load_dword v66, v153, s[0:3], 0 offen offset:4
	buffer_load_dword v67, v153, s[0:3], 0 offen offset:8
	;; [unrolled: 1-line block ×3, first 2 shown]
	buffer_load_dword v79, v154, s[0:3], 0 offen
	buffer_load_dword v80, v154, s[0:3], 0 offen offset:4
	buffer_load_dword v81, v154, s[0:3], 0 offen offset:8
	;; [unrolled: 1-line block ×3, first 2 shown]
	global_store_dwordx4 v[83:84], v[101:104], off
	s_clause 0xb
	buffer_load_dword v83, v155, s[0:3], 0 offen
	buffer_load_dword v84, v155, s[0:3], 0 offen offset:4
	buffer_load_dword v85, v155, s[0:3], 0 offen offset:8
	buffer_load_dword v86, v155, s[0:3], 0 offen offset:12
	buffer_load_dword v101, v156, s[0:3], 0 offen
	buffer_load_dword v102, v156, s[0:3], 0 offen offset:4
	buffer_load_dword v103, v156, s[0:3], 0 offen offset:8
	buffer_load_dword v104, v156, s[0:3], 0 offen offset:12
	;; [unrolled: 4-line block ×3, first 2 shown]
	global_store_dwordx4 v[87:88], v[0:3], off
	global_store_dwordx4 v[91:92], v[43:46], off
	s_waitcnt vmcnt(62)
	global_store_dwordx4 v[97:98], v[39:42], off
	global_store_dwordx4 v[99:100], v[47:50], off
	;; [unrolled: 1-line block ×5, first 2 shown]
	s_waitcnt vmcnt(60)
	global_store_dwordx4 v[125:126], v[113:116], off
	s_waitcnt vmcnt(56)
	global_store_dwordx4 v[127:128], v[31:34], off
	;; [unrolled: 2-line block ×16, first 2 shown]
.LBB58_931:
	s_endpgm
	.section	.rodata,"a",@progbits
	.p2align	6, 0x0
	.amdhsa_kernel _ZN9rocsolver6v33100L18trti2_kernel_smallILi59E19rocblas_complex_numIdEPS3_EEv13rocblas_fill_17rocblas_diagonal_T1_iil
		.amdhsa_group_segment_fixed_size 1888
		.amdhsa_private_segment_fixed_size 960
		.amdhsa_kernarg_size 32
		.amdhsa_user_sgpr_count 6
		.amdhsa_user_sgpr_private_segment_buffer 1
		.amdhsa_user_sgpr_dispatch_ptr 0
		.amdhsa_user_sgpr_queue_ptr 0
		.amdhsa_user_sgpr_kernarg_segment_ptr 1
		.amdhsa_user_sgpr_dispatch_id 0
		.amdhsa_user_sgpr_flat_scratch_init 0
		.amdhsa_user_sgpr_private_segment_size 0
		.amdhsa_wavefront_size32 1
		.amdhsa_uses_dynamic_stack 0
		.amdhsa_system_sgpr_private_segment_wavefront_offset 1
		.amdhsa_system_sgpr_workgroup_id_x 1
		.amdhsa_system_sgpr_workgroup_id_y 0
		.amdhsa_system_sgpr_workgroup_id_z 0
		.amdhsa_system_sgpr_workgroup_info 0
		.amdhsa_system_vgpr_workitem_id 0
		.amdhsa_next_free_vgpr 158
		.amdhsa_next_free_sgpr 92
		.amdhsa_reserve_vcc 1
		.amdhsa_reserve_flat_scratch 0
		.amdhsa_float_round_mode_32 0
		.amdhsa_float_round_mode_16_64 0
		.amdhsa_float_denorm_mode_32 3
		.amdhsa_float_denorm_mode_16_64 3
		.amdhsa_dx10_clamp 1
		.amdhsa_ieee_mode 1
		.amdhsa_fp16_overflow 0
		.amdhsa_workgroup_processor_mode 1
		.amdhsa_memory_ordered 1
		.amdhsa_forward_progress 1
		.amdhsa_shared_vgpr_count 0
		.amdhsa_exception_fp_ieee_invalid_op 0
		.amdhsa_exception_fp_denorm_src 0
		.amdhsa_exception_fp_ieee_div_zero 0
		.amdhsa_exception_fp_ieee_overflow 0
		.amdhsa_exception_fp_ieee_underflow 0
		.amdhsa_exception_fp_ieee_inexact 0
		.amdhsa_exception_int_div_zero 0
	.end_amdhsa_kernel
	.section	.text._ZN9rocsolver6v33100L18trti2_kernel_smallILi59E19rocblas_complex_numIdEPS3_EEv13rocblas_fill_17rocblas_diagonal_T1_iil,"axG",@progbits,_ZN9rocsolver6v33100L18trti2_kernel_smallILi59E19rocblas_complex_numIdEPS3_EEv13rocblas_fill_17rocblas_diagonal_T1_iil,comdat
.Lfunc_end58:
	.size	_ZN9rocsolver6v33100L18trti2_kernel_smallILi59E19rocblas_complex_numIdEPS3_EEv13rocblas_fill_17rocblas_diagonal_T1_iil, .Lfunc_end58-_ZN9rocsolver6v33100L18trti2_kernel_smallILi59E19rocblas_complex_numIdEPS3_EEv13rocblas_fill_17rocblas_diagonal_T1_iil
                                        ; -- End function
	.set _ZN9rocsolver6v33100L18trti2_kernel_smallILi59E19rocblas_complex_numIdEPS3_EEv13rocblas_fill_17rocblas_diagonal_T1_iil.num_vgpr, 158
	.set _ZN9rocsolver6v33100L18trti2_kernel_smallILi59E19rocblas_complex_numIdEPS3_EEv13rocblas_fill_17rocblas_diagonal_T1_iil.num_agpr, 0
	.set _ZN9rocsolver6v33100L18trti2_kernel_smallILi59E19rocblas_complex_numIdEPS3_EEv13rocblas_fill_17rocblas_diagonal_T1_iil.numbered_sgpr, 92
	.set _ZN9rocsolver6v33100L18trti2_kernel_smallILi59E19rocblas_complex_numIdEPS3_EEv13rocblas_fill_17rocblas_diagonal_T1_iil.num_named_barrier, 0
	.set _ZN9rocsolver6v33100L18trti2_kernel_smallILi59E19rocblas_complex_numIdEPS3_EEv13rocblas_fill_17rocblas_diagonal_T1_iil.private_seg_size, 960
	.set _ZN9rocsolver6v33100L18trti2_kernel_smallILi59E19rocblas_complex_numIdEPS3_EEv13rocblas_fill_17rocblas_diagonal_T1_iil.uses_vcc, 1
	.set _ZN9rocsolver6v33100L18trti2_kernel_smallILi59E19rocblas_complex_numIdEPS3_EEv13rocblas_fill_17rocblas_diagonal_T1_iil.uses_flat_scratch, 0
	.set _ZN9rocsolver6v33100L18trti2_kernel_smallILi59E19rocblas_complex_numIdEPS3_EEv13rocblas_fill_17rocblas_diagonal_T1_iil.has_dyn_sized_stack, 0
	.set _ZN9rocsolver6v33100L18trti2_kernel_smallILi59E19rocblas_complex_numIdEPS3_EEv13rocblas_fill_17rocblas_diagonal_T1_iil.has_recursion, 0
	.set _ZN9rocsolver6v33100L18trti2_kernel_smallILi59E19rocblas_complex_numIdEPS3_EEv13rocblas_fill_17rocblas_diagonal_T1_iil.has_indirect_call, 0
	.section	.AMDGPU.csdata,"",@progbits
; Kernel info:
; codeLenInByte = 60172
; TotalNumSgprs: 94
; NumVgprs: 158
; ScratchSize: 960
; MemoryBound: 0
; FloatMode: 240
; IeeeMode: 1
; LDSByteSize: 1888 bytes/workgroup (compile time only)
; SGPRBlocks: 0
; VGPRBlocks: 19
; NumSGPRsForWavesPerEU: 94
; NumVGPRsForWavesPerEU: 158
; Occupancy: 6
; WaveLimiterHint : 0
; COMPUTE_PGM_RSRC2:SCRATCH_EN: 1
; COMPUTE_PGM_RSRC2:USER_SGPR: 6
; COMPUTE_PGM_RSRC2:TRAP_HANDLER: 0
; COMPUTE_PGM_RSRC2:TGID_X_EN: 1
; COMPUTE_PGM_RSRC2:TGID_Y_EN: 0
; COMPUTE_PGM_RSRC2:TGID_Z_EN: 0
; COMPUTE_PGM_RSRC2:TIDIG_COMP_CNT: 0
	.section	.text._ZN9rocsolver6v33100L18trti2_kernel_smallILi60E19rocblas_complex_numIdEPS3_EEv13rocblas_fill_17rocblas_diagonal_T1_iil,"axG",@progbits,_ZN9rocsolver6v33100L18trti2_kernel_smallILi60E19rocblas_complex_numIdEPS3_EEv13rocblas_fill_17rocblas_diagonal_T1_iil,comdat
	.globl	_ZN9rocsolver6v33100L18trti2_kernel_smallILi60E19rocblas_complex_numIdEPS3_EEv13rocblas_fill_17rocblas_diagonal_T1_iil ; -- Begin function _ZN9rocsolver6v33100L18trti2_kernel_smallILi60E19rocblas_complex_numIdEPS3_EEv13rocblas_fill_17rocblas_diagonal_T1_iil
	.p2align	8
	.type	_ZN9rocsolver6v33100L18trti2_kernel_smallILi60E19rocblas_complex_numIdEPS3_EEv13rocblas_fill_17rocblas_diagonal_T1_iil,@function
_ZN9rocsolver6v33100L18trti2_kernel_smallILi60E19rocblas_complex_numIdEPS3_EEv13rocblas_fill_17rocblas_diagonal_T1_iil: ; @_ZN9rocsolver6v33100L18trti2_kernel_smallILi60E19rocblas_complex_numIdEPS3_EEv13rocblas_fill_17rocblas_diagonal_T1_iil
; %bb.0:
	s_add_u32 s0, s0, s7
	s_addc_u32 s1, s1, 0
	s_mov_b32 s7, exec_lo
	v_cmpx_gt_u32_e32 60, v0
	s_cbranch_execz .LBB59_947
; %bb.1:
	s_load_dwordx8 s[8:15], s[4:5], 0x0
	s_ashr_i32 s4, s6, 31
	v_lshlrev_b32_e32 v173, 4, v0
	s_movk_i32 s16, 0xa0
	s_movk_i32 s17, 0xb0
	;; [unrolled: 1-line block ×17, first 2 shown]
	s_waitcnt lgkmcnt(0)
	s_mul_hi_u32 s5, s14, s6
	s_mul_i32 s4, s14, s4
	s_mul_i32 s7, s15, s6
	s_add_i32 s5, s5, s4
	s_mul_i32 s4, s14, s6
	s_add_i32 s5, s5, s7
	s_ashr_i32 s7, s12, 31
	s_lshl_b64 s[4:5], s[4:5], 4
	s_mov_b32 s6, s12
	s_add_u32 s10, s10, s4
	s_addc_u32 s11, s11, s5
	s_lshl_b64 s[4:5], s[6:7], 4
	s_mov_b32 s6, s13
	s_add_u32 s4, s10, s4
	s_addc_u32 s5, s11, s5
	v_add_co_u32 v15, s10, s4, v173
	global_load_dwordx4 v[1:4], v173, s[4:5]
	s_ashr_i32 s7, s13, 31
	v_add_co_ci_u32_e64 v16, null, s5, 0, s10
	s_lshl_b64 s[6:7], s[6:7], 4
	v_add3_u32 v10, s13, s13, v0
	v_add_co_u32 v13, vcc_lo, v15, s6
	v_add_co_ci_u32_e64 v14, null, s7, v16, vcc_lo
	v_add_nc_u32_e32 v9, s13, v10
	v_ashrrev_i32_e32 v11, 31, v10
	s_cmpk_lg_i32 s9, 0x84
	global_load_dwordx4 v[5:8], v[13:14], off
	s_movk_i32 s11, 0x50
	v_add_nc_u32_e32 v19, s13, v9
	v_lshlrev_b64 v[10:11], 4, v[10:11]
	s_movk_i32 s12, 0x60
	s_movk_i32 s14, 0x80
	;; [unrolled: 1-line block ×3, first 2 shown]
	v_add_nc_u32_e32 v21, s13, v19
	v_ashrrev_i32_e32 v20, 31, v19
	v_add_co_u32 v123, vcc_lo, s4, v10
	v_ashrrev_i32_e32 v10, 31, v9
	v_add_nc_u32_e32 v23, s13, v21
	v_add_co_ci_u32_e64 v124, null, s5, v11, vcc_lo
	v_lshlrev_b64 v[19:20], 4, v[19:20]
	v_lshlrev_b64 v[9:10], 4, v[9:10]
	v_add_nc_u32_e32 v25, s13, v23
	global_load_dwordx4 v[88:91], v[123:124], off
	v_ashrrev_i32_e32 v22, 31, v21
	v_ashrrev_i32_e32 v24, 31, v23
	s_movk_i32 s34, 0x1b0
	v_add_nc_u32_e32 v27, s13, v25
	v_ashrrev_i32_e32 v26, 31, v25
	s_movk_i32 s35, 0x1c0
	v_lshlrev_b64 v[23:24], 4, v[23:24]
	s_movk_i32 s36, 0x1d0
	v_add_nc_u32_e32 v29, s13, v27
	v_ashrrev_i32_e32 v28, 31, v27
	s_movk_i32 s37, 0x1e0
	s_movk_i32 s69, 0x1f0
	s_movk_i32 s70, 0x200
	v_add_nc_u32_e32 v31, s13, v29
	v_ashrrev_i32_e32 v30, 31, v29
	s_movk_i32 s71, 0x210
	s_movk_i32 s6, 0x290
	;; [unrolled: 5-line block ×9, first 2 shown]
	s_movk_i32 s90, 0x3a0
	v_add_nc_u32_e32 v47, s13, v45
	v_ashrrev_i32_e32 v46, 31, v45
	s_movk_i32 s92, 0x3b0
	s_cselect_b32 s68, -1, 0
	s_cmpk_eq_i32 s9, 0x84
	v_add_nc_u32_e32 v49, s13, v47
	v_ashrrev_i32_e32 v48, 31, v47
	v_add_nc_u32_e32 v51, s13, v49
	v_ashrrev_i32_e32 v50, 31, v49
	;; [unrolled: 2-line block ×18, first 2 shown]
	v_add_nc_u32_e32 v129, s13, v87
	v_add_nc_u32_e32 v131, s13, v129
	v_ashrrev_i32_e32 v130, 31, v129
	v_add_nc_u32_e32 v133, s13, v131
	v_ashrrev_i32_e32 v132, 31, v131
	;; [unrolled: 2-line block ×22, first 2 shown]
	s_movk_i32 s13, 0x70
	v_ashrrev_i32_e32 v18, 31, v17
	v_lshlrev_b64 v[11:12], 4, v[17:18]
	v_add_co_u32 v17, vcc_lo, s4, v11
	v_add_co_ci_u32_e64 v18, null, s5, v12, vcc_lo
	v_add_co_u32 v125, vcc_lo, s4, v9
	v_add_co_ci_u32_e64 v126, null, s5, v10, vcc_lo
	global_load_dwordx4 v[9:12], v[17:18], off
	v_add_co_u32 v127, vcc_lo, s4, v19
	s_waitcnt vmcnt(3)
	buffer_store_dword v4, off, s[0:3], 0 offset:12
	buffer_store_dword v3, off, s[0:3], 0 offset:8
	;; [unrolled: 1-line block ×3, first 2 shown]
	buffer_store_dword v1, off, s[0:3], 0
	global_load_dwordx4 v[1:4], v[125:126], off
	v_add_co_ci_u32_e64 v128, null, s5, v20, vcc_lo
	v_lshlrev_b64 v[19:20], 4, v[21:22]
	s_waitcnt vmcnt(3)
	buffer_store_dword v8, off, s[0:3], 0 offset:28
	buffer_store_dword v7, off, s[0:3], 0 offset:24
	;; [unrolled: 1-line block ×4, first 2 shown]
	global_load_dwordx4 v[5:8], v[127:128], off
	v_add_co_u32 v121, vcc_lo, s4, v19
	v_add_co_ci_u32_e64 v122, null, s5, v20, vcc_lo
	s_waitcnt vmcnt(3)
	buffer_store_dword v91, off, s[0:3], 0 offset:44
	buffer_store_dword v90, off, s[0:3], 0 offset:40
	buffer_store_dword v89, off, s[0:3], 0 offset:36
	buffer_store_dword v88, off, s[0:3], 0 offset:32
	global_load_dwordx4 v[19:22], v[121:122], off
	v_add_co_u32 v119, vcc_lo, s4, v23
	v_add_co_ci_u32_e64 v120, null, s5, v24, vcc_lo
	v_lshlrev_b64 v[23:24], 4, v[25:26]
	v_ashrrev_i32_e32 v88, 31, v87
	s_waitcnt vmcnt(2)
	buffer_store_dword v4, off, s[0:3], 0 offset:60
	buffer_store_dword v3, off, s[0:3], 0 offset:56
	buffer_store_dword v2, off, s[0:3], 0 offset:52
	buffer_store_dword v1, off, s[0:3], 0 offset:48
	global_load_dwordx4 v[1:4], v[119:120], off
	v_add_co_u32 v117, vcc_lo, s4, v23
	v_add_co_ci_u32_e64 v118, null, s5, v24, vcc_lo
	v_lshlrev_b64 v[23:24], 4, v[27:28]
	s_waitcnt vmcnt(2)
	buffer_store_dword v8, off, s[0:3], 0 offset:76
	buffer_store_dword v7, off, s[0:3], 0 offset:72
	;; [unrolled: 1-line block ×4, first 2 shown]
	global_load_dwordx4 v[5:8], v[117:118], off
	v_add_co_u32 v115, vcc_lo, s4, v23
	v_add_co_ci_u32_e64 v116, null, s5, v24, vcc_lo
	s_waitcnt vmcnt(2)
	buffer_store_dword v22, off, s[0:3], 0 offset:92
	buffer_store_dword v21, off, s[0:3], 0 offset:88
	;; [unrolled: 1-line block ×4, first 2 shown]
	v_lshlrev_b64 v[23:24], 4, v[29:30]
	global_load_dwordx4 v[19:22], v[115:116], off
	s_waitcnt vmcnt(2)
	buffer_store_dword v4, off, s[0:3], 0 offset:108
	buffer_store_dword v3, off, s[0:3], 0 offset:104
	buffer_store_dword v2, off, s[0:3], 0 offset:100
	buffer_store_dword v1, off, s[0:3], 0 offset:96
	v_add_co_u32 v113, vcc_lo, s4, v23
	v_add_co_ci_u32_e64 v114, null, s5, v24, vcc_lo
	v_lshlrev_b64 v[23:24], 4, v[31:32]
	global_load_dwordx4 v[1:4], v[113:114], off
	s_waitcnt vmcnt(2)
	buffer_store_dword v8, off, s[0:3], 0 offset:124
	buffer_store_dword v7, off, s[0:3], 0 offset:120
	buffer_store_dword v6, off, s[0:3], 0 offset:116
	buffer_store_dword v5, off, s[0:3], 0 offset:112
	v_add_co_u32 v111, vcc_lo, s4, v23
	v_add_co_ci_u32_e64 v112, null, s5, v24, vcc_lo
	;; [unrolled: 9-line block ×15, first 2 shown]
	v_lshlrev_b64 v[5:6], 4, v[59:60]
	v_lshlrev_b64 v[19:20], 4, v[131:132]
	global_load_dwordx4 v[27:30], v[69:70], off
	s_waitcnt vmcnt(2)
	buffer_store_dword v4, off, s[0:3], 0 offset:348
	buffer_store_dword v3, off, s[0:3], 0 offset:344
	buffer_store_dword v2, off, s[0:3], 0 offset:340
	buffer_store_dword v1, off, s[0:3], 0 offset:336
	v_add_co_u32 v55, vcc_lo, s4, v5
	v_add_co_ci_u32_e64 v56, null, s5, v6, vcc_lo
	v_lshlrev_b64 v[5:6], 4, v[61:62]
	global_load_dwordx4 v[1:4], v[55:56], off
	s_waitcnt vmcnt(2)
	buffer_store_dword v26, off, s[0:3], 0 offset:364
	buffer_store_dword v25, off, s[0:3], 0 offset:360
	buffer_store_dword v24, off, s[0:3], 0 offset:356
	buffer_store_dword v23, off, s[0:3], 0 offset:352
	v_add_co_u32 v7, vcc_lo, s4, v5
	v_add_co_ci_u32_e64 v8, null, s5, v6, vcc_lo
	;; [unrolled: 9-line block ×11, first 2 shown]
	v_lshlrev_b64 v[5:6], 4, v[85:86]
	v_lshlrev_b64 v[41:42], 4, v[133:134]
	global_load_dwordx4 v[47:50], v[37:38], off
	s_waitcnt vmcnt(2)
	buffer_store_dword v46, off, s[0:3], 0 offset:524
	buffer_store_dword v45, off, s[0:3], 0 offset:520
	;; [unrolled: 1-line block ×4, first 2 shown]
	v_add_co_u32 v39, vcc_lo, s4, v5
	v_add_co_ci_u32_e64 v40, null, s5, v6, vcc_lo
	v_lshlrev_b64 v[5:6], 4, v[87:88]
	v_lshlrev_b64 v[45:46], 4, v[135:136]
	global_load_dwordx4 v[51:54], v[39:40], off
	s_waitcnt vmcnt(2)
	buffer_store_dword v4, off, s[0:3], 0 offset:540
	buffer_store_dword v3, off, s[0:3], 0 offset:536
	;; [unrolled: 1-line block ×4, first 2 shown]
	v_add_co_u32 v43, vcc_lo, s4, v5
	v_add_co_ci_u32_e64 v44, null, s5, v6, vcc_lo
	v_lshlrev_b64 v[5:6], 4, v[129:130]
	global_load_dwordx4 v[1:4], v[43:44], off
	s_waitcnt vmcnt(2)
	buffer_store_dword v50, off, s[0:3], 0 offset:556
	buffer_store_dword v49, off, s[0:3], 0 offset:552
	;; [unrolled: 1-line block ×4, first 2 shown]
	v_add_co_u32 v5, vcc_lo, s4, v5
	v_add_co_ci_u32_e64 v6, null, s5, v6, vcc_lo
	v_add_co_u32 v19, vcc_lo, s4, v19
	v_add_co_ci_u32_e64 v20, null, s5, v20, vcc_lo
	global_load_dwordx4 v[47:50], v[5:6], off
	s_waitcnt vmcnt(2)
	buffer_store_dword v54, off, s[0:3], 0 offset:572
	buffer_store_dword v53, off, s[0:3], 0 offset:568
	;; [unrolled: 1-line block ×4, first 2 shown]
	global_load_dwordx4 v[51:54], v[19:20], off
	v_add_co_u32 v41, vcc_lo, s4, v41
	v_add_co_ci_u32_e64 v42, null, s5, v42, vcc_lo
	v_add_co_u32 v45, vcc_lo, s4, v45
	v_add_co_ci_u32_e64 v46, null, s5, v46, vcc_lo
	s_waitcnt vmcnt(2)
	buffer_store_dword v4, off, s[0:3], 0 offset:588
	buffer_store_dword v3, off, s[0:3], 0 offset:584
	;; [unrolled: 1-line block ×4, first 2 shown]
	global_load_dwordx4 v[1:4], v[41:42], off
	s_waitcnt vmcnt(2)
	buffer_store_dword v50, off, s[0:3], 0 offset:604
	buffer_store_dword v49, off, s[0:3], 0 offset:600
	;; [unrolled: 1-line block ×4, first 2 shown]
	global_load_dwordx4 v[57:60], v[45:46], off
	v_lshlrev_b64 v[47:48], 4, v[137:138]
	s_waitcnt vmcnt(2)
	buffer_store_dword v54, off, s[0:3], 0 offset:620
	buffer_store_dword v53, off, s[0:3], 0 offset:616
	;; [unrolled: 1-line block ×4, first 2 shown]
	v_add_co_u32 v47, vcc_lo, s4, v47
	v_add_co_ci_u32_e64 v48, null, s5, v48, vcc_lo
	v_lshlrev_b64 v[49:50], 4, v[139:140]
	v_lshlrev_b64 v[51:52], 4, v[141:142]
	;; [unrolled: 1-line block ×3, first 2 shown]
	global_load_dwordx4 v[61:64], v[47:48], off
	s_waitcnt vmcnt(2)
	buffer_store_dword v4, off, s[0:3], 0 offset:636
	buffer_store_dword v3, off, s[0:3], 0 offset:632
	;; [unrolled: 1-line block ×4, first 2 shown]
	v_add_co_u32 v49, vcc_lo, s4, v49
	v_add_co_ci_u32_e64 v50, null, s5, v50, vcc_lo
	v_add_co_u32 v51, vcc_lo, s4, v51
	v_add_co_ci_u32_e64 v52, null, s5, v52, vcc_lo
	global_load_dwordx4 v[1:4], v[49:50], off
	s_waitcnt vmcnt(2)
	buffer_store_dword v60, off, s[0:3], 0 offset:652
	buffer_store_dword v59, off, s[0:3], 0 offset:648
	buffer_store_dword v58, off, s[0:3], 0 offset:644
	buffer_store_dword v57, off, s[0:3], 0 offset:640
	global_load_dwordx4 v[65:68], v[51:52], off
	v_add_co_u32 v53, vcc_lo, s4, v53
	v_add_co_ci_u32_e64 v54, null, s5, v54, vcc_lo
	s_waitcnt vmcnt(2)
	buffer_store_dword v64, off, s[0:3], 0 offset:668
	buffer_store_dword v63, off, s[0:3], 0 offset:664
	;; [unrolled: 1-line block ×4, first 2 shown]
	v_lshlrev_b64 v[57:58], 4, v[145:146]
	global_load_dwordx4 v[71:74], v[53:54], off
	v_lshlrev_b64 v[59:60], 4, v[147:148]
	v_lshlrev_b64 v[61:62], 4, v[149:150]
	;; [unrolled: 1-line block ×3, first 2 shown]
	s_waitcnt vmcnt(2)
	buffer_store_dword v4, off, s[0:3], 0 offset:684
	buffer_store_dword v3, off, s[0:3], 0 offset:680
	;; [unrolled: 1-line block ×4, first 2 shown]
	v_add_co_u32 v57, vcc_lo, s4, v57
	v_add_co_ci_u32_e64 v58, null, s5, v58, vcc_lo
	v_add_co_u32 v59, vcc_lo, s4, v59
	v_add_co_ci_u32_e64 v60, null, s5, v60, vcc_lo
	global_load_dwordx4 v[1:4], v[57:58], off
	s_waitcnt vmcnt(2)
	buffer_store_dword v68, off, s[0:3], 0 offset:700
	buffer_store_dword v67, off, s[0:3], 0 offset:696
	;; [unrolled: 1-line block ×4, first 2 shown]
	v_add_co_u32 v61, vcc_lo, s4, v61
	global_load_dwordx4 v[75:78], v[59:60], off
	v_add_co_ci_u32_e64 v62, null, s5, v62, vcc_lo
	s_waitcnt vmcnt(2)
	buffer_store_dword v74, off, s[0:3], 0 offset:716
	buffer_store_dword v73, off, s[0:3], 0 offset:712
	;; [unrolled: 1-line block ×4, first 2 shown]
	global_load_dwordx4 v[71:74], v[61:62], off
	v_add_co_u32 v63, vcc_lo, s4, v63
	v_add_co_ci_u32_e64 v64, null, s5, v64, vcc_lo
	v_lshlrev_b64 v[65:66], 4, v[153:154]
	v_lshlrev_b64 v[67:68], 4, v[155:156]
	s_waitcnt vmcnt(2)
	buffer_store_dword v4, off, s[0:3], 0 offset:732
	buffer_store_dword v3, off, s[0:3], 0 offset:728
	;; [unrolled: 1-line block ×4, first 2 shown]
	global_load_dwordx4 v[1:4], v[63:64], off
	v_add_co_u32 v65, vcc_lo, s4, v65
	v_add_co_ci_u32_e64 v66, null, s5, v66, vcc_lo
	s_waitcnt vmcnt(2)
	buffer_store_dword v78, off, s[0:3], 0 offset:748
	buffer_store_dword v77, off, s[0:3], 0 offset:744
	;; [unrolled: 1-line block ×4, first 2 shown]
	v_add_co_u32 v67, vcc_lo, s4, v67
	global_load_dwordx4 v[75:78], v[65:66], off
	v_add_co_ci_u32_e64 v68, null, s5, v68, vcc_lo
	s_waitcnt vmcnt(2)
	buffer_store_dword v74, off, s[0:3], 0 offset:764
	buffer_store_dword v73, off, s[0:3], 0 offset:760
	;; [unrolled: 1-line block ×4, first 2 shown]
	v_lshlrev_b64 v[71:72], 4, v[157:158]
	global_load_dwordx4 v[79:82], v[67:68], off
	v_lshlrev_b64 v[73:74], 4, v[159:160]
	s_waitcnt vmcnt(2)
	buffer_store_dword v4, off, s[0:3], 0 offset:780
	buffer_store_dword v3, off, s[0:3], 0 offset:776
	;; [unrolled: 1-line block ×4, first 2 shown]
	v_add_co_u32 v71, vcc_lo, s4, v71
	v_add_co_ci_u32_e64 v72, null, s5, v72, vcc_lo
	v_add_co_u32 v73, vcc_lo, s4, v73
	v_add_co_ci_u32_e64 v74, null, s5, v74, vcc_lo
	global_load_dwordx4 v[1:4], v[71:72], off
	s_waitcnt vmcnt(2)
	buffer_store_dword v78, off, s[0:3], 0 offset:796
	buffer_store_dword v77, off, s[0:3], 0 offset:792
	;; [unrolled: 1-line block ×4, first 2 shown]
	v_lshlrev_b64 v[75:76], 4, v[161:162]
	global_load_dwordx4 v[85:88], v[73:74], off
	v_lshlrev_b64 v[77:78], 4, v[163:164]
	v_add_co_u32 v75, vcc_lo, s4, v75
	v_add_co_ci_u32_e64 v76, null, s5, v76, vcc_lo
	v_add_co_u32 v77, vcc_lo, s4, v77
	v_add_co_ci_u32_e64 v78, null, s5, v78, vcc_lo
	s_waitcnt vmcnt(2)
	buffer_store_dword v82, off, s[0:3], 0 offset:812
	buffer_store_dword v81, off, s[0:3], 0 offset:808
	;; [unrolled: 1-line block ×4, first 2 shown]
	global_load_dwordx4 v[129:132], v[75:76], off
	v_lshlrev_b64 v[79:80], 4, v[165:166]
	v_lshlrev_b64 v[81:82], 4, v[167:168]
	s_waitcnt vmcnt(2)
	buffer_store_dword v4, off, s[0:3], 0 offset:828
	buffer_store_dword v3, off, s[0:3], 0 offset:824
	;; [unrolled: 1-line block ×4, first 2 shown]
	global_load_dwordx4 v[1:4], v[77:78], off
	v_add_co_u32 v79, vcc_lo, s4, v79
	v_add_co_ci_u32_e64 v80, null, s5, v80, vcc_lo
	s_waitcnt vmcnt(2)
	buffer_store_dword v88, off, s[0:3], 0 offset:844
	buffer_store_dword v87, off, s[0:3], 0 offset:840
	;; [unrolled: 1-line block ×4, first 2 shown]
	v_lshlrev_b64 v[87:88], 4, v[171:172]
	v_add_co_u32 v81, vcc_lo, s4, v81
	global_load_dwordx4 v[133:136], v[79:80], off
	s_waitcnt vmcnt(2)
	buffer_store_dword v132, off, s[0:3], 0 offset:860
	buffer_store_dword v131, off, s[0:3], 0 offset:856
	;; [unrolled: 1-line block ×3, first 2 shown]
	v_add_co_ci_u32_e64 v82, null, s5, v82, vcc_lo
	buffer_store_dword v129, off, s[0:3], 0 offset:848
	s_waitcnt vmcnt(1)
	buffer_store_dword v4, off, s[0:3], 0 offset:876
	buffer_store_dword v3, off, s[0:3], 0 offset:872
	v_lshlrev_b64 v[3:4], 4, v[169:170]
	buffer_store_dword v2, off, s[0:3], 0 offset:868
	buffer_store_dword v1, off, s[0:3], 0 offset:864
	v_add_co_u32 v85, vcc_lo, s4, v3
	v_add_co_ci_u32_e64 v86, null, s5, v4, vcc_lo
	v_add_co_u32 v87, vcc_lo, s4, v87
	v_add_co_ci_u32_e64 v88, null, s5, v88, vcc_lo
	s_clause 0x1
	global_load_dwordx4 v[1:4], v[81:82], off
	global_load_dwordx4 v[129:132], v[85:86], off
	s_waitcnt vmcnt(2)
	buffer_store_dword v136, off, s[0:3], 0 offset:892
	buffer_store_dword v135, off, s[0:3], 0 offset:888
	;; [unrolled: 1-line block ×4, first 2 shown]
	s_movk_i32 s4, 0x2b0
	global_load_dwordx4 v[133:136], v[87:88], off
	s_movk_i32 s5, 0x2a0
	s_waitcnt vmcnt(2)
	buffer_store_dword v4, off, s[0:3], 0 offset:908
	buffer_store_dword v3, off, s[0:3], 0 offset:904
	buffer_store_dword v2, off, s[0:3], 0 offset:900
	buffer_store_dword v1, off, s[0:3], 0 offset:896
	s_waitcnt vmcnt(1)
	buffer_store_dword v132, off, s[0:3], 0 offset:924
	buffer_store_dword v131, off, s[0:3], 0 offset:920
	buffer_store_dword v130, off, s[0:3], 0 offset:916
	buffer_store_dword v129, off, s[0:3], 0 offset:912
	;; [unrolled: 5-line block ×3, first 2 shown]
	buffer_store_dword v12, off, s[0:3], 0 offset:956
	buffer_store_dword v11, off, s[0:3], 0 offset:952
	;; [unrolled: 1-line block ×4, first 2 shown]
	s_cbranch_scc1 .LBB59_7
; %bb.2:
	v_lshl_add_u32 v131, v0, 4, 0
                                        ; implicit-def: $vgpr11_vgpr12
                                        ; implicit-def: $vgpr3_vgpr4
	s_clause 0x3
	buffer_load_dword v9, v131, s[0:3], 0 offen
	buffer_load_dword v10, v131, s[0:3], 0 offen offset:4
	buffer_load_dword v129, v131, s[0:3], 0 offen offset:8
	;; [unrolled: 1-line block ×3, first 2 shown]
	s_waitcnt vmcnt(0)
	v_cmp_ngt_f64_e64 s9, |v[9:10]|, |v[129:130]|
	s_and_saveexec_b32 s38, s9
	s_xor_b32 s9, exec_lo, s38
	s_cbranch_execz .LBB59_4
; %bb.3:
	v_div_scale_f64 v[1:2], null, v[129:130], v[129:130], v[9:10]
	v_div_scale_f64 v[132:133], vcc_lo, v[9:10], v[129:130], v[9:10]
	v_rcp_f64_e32 v[3:4], v[1:2]
	v_fma_f64 v[11:12], -v[1:2], v[3:4], 1.0
	v_fma_f64 v[3:4], v[3:4], v[11:12], v[3:4]
	v_fma_f64 v[11:12], -v[1:2], v[3:4], 1.0
	v_fma_f64 v[3:4], v[3:4], v[11:12], v[3:4]
	v_mul_f64 v[11:12], v[132:133], v[3:4]
	v_fma_f64 v[1:2], -v[1:2], v[11:12], v[132:133]
	v_div_fmas_f64 v[1:2], v[1:2], v[3:4], v[11:12]
	v_div_fixup_f64 v[1:2], v[1:2], v[129:130], v[9:10]
	v_fma_f64 v[3:4], v[9:10], v[1:2], v[129:130]
	v_div_scale_f64 v[9:10], null, v[3:4], v[3:4], 1.0
	v_div_scale_f64 v[132:133], vcc_lo, 1.0, v[3:4], 1.0
	v_rcp_f64_e32 v[11:12], v[9:10]
	v_fma_f64 v[129:130], -v[9:10], v[11:12], 1.0
	v_fma_f64 v[11:12], v[11:12], v[129:130], v[11:12]
	v_fma_f64 v[129:130], -v[9:10], v[11:12], 1.0
	v_fma_f64 v[11:12], v[11:12], v[129:130], v[11:12]
	v_mul_f64 v[129:130], v[132:133], v[11:12]
	v_fma_f64 v[9:10], -v[9:10], v[129:130], v[132:133]
	v_div_fmas_f64 v[9:10], v[9:10], v[11:12], v[129:130]
                                        ; implicit-def: $vgpr129_vgpr130
	v_div_fixup_f64 v[3:4], v[9:10], v[3:4], 1.0
                                        ; implicit-def: $vgpr9_vgpr10
	v_mul_f64 v[11:12], v[1:2], v[3:4]
	v_xor_b32_e32 v4, 0x80000000, v4
	v_xor_b32_e32 v2, 0x80000000, v12
	v_mov_b32_e32 v1, v11
.LBB59_4:
	s_andn2_saveexec_b32 s9, s9
	s_cbranch_execz .LBB59_6
; %bb.5:
	v_div_scale_f64 v[1:2], null, v[9:10], v[9:10], v[129:130]
	v_div_scale_f64 v[132:133], vcc_lo, v[129:130], v[9:10], v[129:130]
	v_rcp_f64_e32 v[3:4], v[1:2]
	v_fma_f64 v[11:12], -v[1:2], v[3:4], 1.0
	v_fma_f64 v[3:4], v[3:4], v[11:12], v[3:4]
	v_fma_f64 v[11:12], -v[1:2], v[3:4], 1.0
	v_fma_f64 v[3:4], v[3:4], v[11:12], v[3:4]
	v_mul_f64 v[11:12], v[132:133], v[3:4]
	v_fma_f64 v[1:2], -v[1:2], v[11:12], v[132:133]
	v_div_fmas_f64 v[1:2], v[1:2], v[3:4], v[11:12]
	v_div_fixup_f64 v[1:2], v[1:2], v[9:10], v[129:130]
	v_fma_f64 v[3:4], v[129:130], v[1:2], v[9:10]
	v_div_scale_f64 v[9:10], null, v[3:4], v[3:4], 1.0
	v_rcp_f64_e32 v[11:12], v[9:10]
	v_fma_f64 v[129:130], -v[9:10], v[11:12], 1.0
	v_fma_f64 v[11:12], v[11:12], v[129:130], v[11:12]
	v_fma_f64 v[129:130], -v[9:10], v[11:12], 1.0
	v_fma_f64 v[11:12], v[11:12], v[129:130], v[11:12]
	v_div_scale_f64 v[129:130], vcc_lo, 1.0, v[3:4], 1.0
	v_mul_f64 v[132:133], v[129:130], v[11:12]
	v_fma_f64 v[9:10], -v[9:10], v[132:133], v[129:130]
	v_div_fmas_f64 v[9:10], v[9:10], v[11:12], v[132:133]
	v_div_fixup_f64 v[11:12], v[9:10], v[3:4], 1.0
	v_mul_f64 v[3:4], v[1:2], -v[11:12]
	v_xor_b32_e32 v2, 0x80000000, v12
	v_mov_b32_e32 v1, v11
.LBB59_6:
	s_or_b32 exec_lo, exec_lo, s9
	buffer_store_dword v4, v131, s[0:3], 0 offen offset:12
	v_xor_b32_e32 v4, 0x80000000, v4
	buffer_store_dword v12, v131, s[0:3], 0 offen offset:4
	buffer_store_dword v11, v131, s[0:3], 0 offen
	buffer_store_dword v3, v131, s[0:3], 0 offen offset:8
	s_branch .LBB59_8
.LBB59_7:
	v_mov_b32_e32 v1, 0
	v_mov_b32_e32 v3, 0
	;; [unrolled: 1-line block ×4, first 2 shown]
.LBB59_8:
	v_add_nc_u32_e32 v10, 0x3c0, v173
	v_mov_b32_e32 v9, v173
	s_mov_b32 s66, 16
	s_mov_b32 s67, 32
	;; [unrolled: 1-line block ×59, first 2 shown]
	s_cmpk_eq_i32 s8, 0x79
	ds_write_b128 v173, v[1:4]
	s_cbranch_scc1 .LBB59_476
; %bb.9:
	v_mov_b32_e32 v4, s9
	v_cmp_eq_u32_e64 s4, 59, v0
	s_clause 0x3
	buffer_load_dword v1, v4, s[0:3], 0 offen
	buffer_load_dword v2, v4, s[0:3], 0 offen offset:4
	buffer_load_dword v3, v4, s[0:3], 0 offen offset:8
	;; [unrolled: 1-line block ×3, first 2 shown]
	s_waitcnt vmcnt(0)
	ds_write_b128 v10, v[1:4]
	s_waitcnt lgkmcnt(0)
	s_waitcnt_vscnt null, 0x0
	s_barrier
	buffer_gl0_inv
	s_and_saveexec_b32 s5, s4
	s_cbranch_execz .LBB59_13
; %bb.10:
	ds_read_b128 v[1:4], v10
	s_andn2_b32 vcc_lo, exec_lo, s68
	s_cbranch_vccnz .LBB59_12
; %bb.11:
	s_clause 0x3
	buffer_load_dword v11, v9, s[0:3], 0 offen offset:8
	buffer_load_dword v12, v9, s[0:3], 0 offen offset:12
	buffer_load_dword v129, v9, s[0:3], 0 offen
	buffer_load_dword v130, v9, s[0:3], 0 offen offset:4
	s_waitcnt vmcnt(2) lgkmcnt(0)
	v_mul_f64 v[131:132], v[3:4], v[11:12]
	v_mul_f64 v[11:12], v[1:2], v[11:12]
	s_waitcnt vmcnt(0)
	v_fma_f64 v[1:2], v[1:2], v[129:130], -v[131:132]
	v_fma_f64 v[3:4], v[3:4], v[129:130], v[11:12]
.LBB59_12:
	v_mov_b32_e32 v11, 0
	ds_read_b128 v[129:132], v11 offset:928
	s_waitcnt lgkmcnt(0)
	v_mul_f64 v[11:12], v[3:4], v[131:132]
	v_mul_f64 v[131:132], v[1:2], v[131:132]
	v_fma_f64 v[1:2], v[1:2], v[129:130], -v[11:12]
	v_fma_f64 v[3:4], v[3:4], v[129:130], v[131:132]
	buffer_store_dword v2, off, s[0:3], 0 offset:932
	buffer_store_dword v1, off, s[0:3], 0 offset:928
	;; [unrolled: 1-line block ×4, first 2 shown]
.LBB59_13:
	s_or_b32 exec_lo, exec_lo, s5
	v_mov_b32_e32 v4, s10
	v_cmp_lt_u32_e64 s5, 57, v0
	s_clause 0x3
	buffer_load_dword v1, v4, s[0:3], 0 offen
	buffer_load_dword v2, v4, s[0:3], 0 offen offset:4
	buffer_load_dword v3, v4, s[0:3], 0 offen offset:8
	;; [unrolled: 1-line block ×3, first 2 shown]
	s_waitcnt vmcnt(0)
	ds_write_b128 v10, v[1:4]
	s_waitcnt lgkmcnt(0)
	s_waitcnt_vscnt null, 0x0
	s_barrier
	buffer_gl0_inv
	s_and_saveexec_b32 s6, s5
	s_cbranch_execz .LBB59_19
; %bb.14:
	ds_read_b128 v[1:4], v10
	s_andn2_b32 vcc_lo, exec_lo, s68
	s_cbranch_vccnz .LBB59_16
; %bb.15:
	s_clause 0x3
	buffer_load_dword v11, v9, s[0:3], 0 offen offset:8
	buffer_load_dword v12, v9, s[0:3], 0 offen offset:12
	buffer_load_dword v129, v9, s[0:3], 0 offen
	buffer_load_dword v130, v9, s[0:3], 0 offen offset:4
	s_waitcnt vmcnt(2) lgkmcnt(0)
	v_mul_f64 v[131:132], v[3:4], v[11:12]
	v_mul_f64 v[11:12], v[1:2], v[11:12]
	s_waitcnt vmcnt(0)
	v_fma_f64 v[1:2], v[1:2], v[129:130], -v[131:132]
	v_fma_f64 v[3:4], v[3:4], v[129:130], v[11:12]
.LBB59_16:
	s_and_saveexec_b32 s8, s4
	s_cbranch_execz .LBB59_18
; %bb.17:
	s_clause 0x3
	buffer_load_dword v11, off, s[0:3], 0 offset:936
	buffer_load_dword v12, off, s[0:3], 0 offset:940
	buffer_load_dword v133, off, s[0:3], 0 offset:928
	buffer_load_dword v134, off, s[0:3], 0 offset:932
	v_mov_b32_e32 v129, 0
	ds_read_b128 v[129:132], v129 offset:1888
	s_waitcnt vmcnt(2) lgkmcnt(0)
	v_mul_f64 v[135:136], v[129:130], v[11:12]
	v_mul_f64 v[11:12], v[131:132], v[11:12]
	s_waitcnt vmcnt(0)
	v_fma_f64 v[131:132], v[131:132], v[133:134], v[135:136]
	v_fma_f64 v[11:12], v[129:130], v[133:134], -v[11:12]
	v_add_f64 v[3:4], v[3:4], v[131:132]
	v_add_f64 v[1:2], v[1:2], v[11:12]
.LBB59_18:
	s_or_b32 exec_lo, exec_lo, s8
	v_mov_b32_e32 v11, 0
	ds_read_b128 v[129:132], v11 offset:912
	s_waitcnt lgkmcnt(0)
	v_mul_f64 v[11:12], v[3:4], v[131:132]
	v_mul_f64 v[131:132], v[1:2], v[131:132]
	v_fma_f64 v[1:2], v[1:2], v[129:130], -v[11:12]
	v_fma_f64 v[3:4], v[3:4], v[129:130], v[131:132]
	buffer_store_dword v2, off, s[0:3], 0 offset:916
	buffer_store_dword v1, off, s[0:3], 0 offset:912
	;; [unrolled: 1-line block ×4, first 2 shown]
.LBB59_19:
	s_or_b32 exec_lo, exec_lo, s6
	v_mov_b32_e32 v4, s11
	v_cmp_lt_u32_e64 s4, 56, v0
	s_clause 0x3
	buffer_load_dword v1, v4, s[0:3], 0 offen
	buffer_load_dword v2, v4, s[0:3], 0 offen offset:4
	buffer_load_dword v3, v4, s[0:3], 0 offen offset:8
	;; [unrolled: 1-line block ×3, first 2 shown]
	s_waitcnt vmcnt(0)
	ds_write_b128 v10, v[1:4]
	s_waitcnt lgkmcnt(0)
	s_waitcnt_vscnt null, 0x0
	s_barrier
	buffer_gl0_inv
	s_and_saveexec_b32 s6, s4
	s_cbranch_execz .LBB59_27
; %bb.20:
	ds_read_b128 v[1:4], v10
	s_andn2_b32 vcc_lo, exec_lo, s68
	s_cbranch_vccnz .LBB59_22
; %bb.21:
	s_clause 0x3
	buffer_load_dword v11, v9, s[0:3], 0 offen offset:8
	buffer_load_dword v12, v9, s[0:3], 0 offen offset:12
	buffer_load_dword v129, v9, s[0:3], 0 offen
	buffer_load_dword v130, v9, s[0:3], 0 offen offset:4
	s_waitcnt vmcnt(2) lgkmcnt(0)
	v_mul_f64 v[131:132], v[3:4], v[11:12]
	v_mul_f64 v[11:12], v[1:2], v[11:12]
	s_waitcnt vmcnt(0)
	v_fma_f64 v[1:2], v[1:2], v[129:130], -v[131:132]
	v_fma_f64 v[3:4], v[3:4], v[129:130], v[11:12]
.LBB59_22:
	s_and_saveexec_b32 s8, s5
	s_cbranch_execz .LBB59_26
; %bb.23:
	v_subrev_nc_u32_e32 v11, 57, v0
	s_movk_i32 s69, 0x750
	s_mov_b32 s5, 0
	s_mov_b32 s70, s10
	.p2align	6
.LBB59_24:                              ; =>This Inner Loop Header: Depth=1
	v_mov_b32_e32 v12, s70
	v_add_nc_u32_e32 v11, -1, v11
	s_add_i32 s70, s70, 16
	s_clause 0x3
	buffer_load_dword v133, v12, s[0:3], 0 offen offset:8
	buffer_load_dword v134, v12, s[0:3], 0 offen offset:12
	buffer_load_dword v135, v12, s[0:3], 0 offen
	buffer_load_dword v136, v12, s[0:3], 0 offen offset:4
	v_mov_b32_e32 v12, s69
	v_cmp_eq_u32_e32 vcc_lo, 0, v11
	s_add_i32 s69, s69, 16
	ds_read_b128 v[129:132], v12
	s_or_b32 s5, vcc_lo, s5
	s_waitcnt vmcnt(2) lgkmcnt(0)
	v_mul_f64 v[137:138], v[131:132], v[133:134]
	v_mul_f64 v[133:134], v[129:130], v[133:134]
	s_waitcnt vmcnt(0)
	v_fma_f64 v[129:130], v[129:130], v[135:136], -v[137:138]
	v_fma_f64 v[131:132], v[131:132], v[135:136], v[133:134]
	v_add_f64 v[1:2], v[1:2], v[129:130]
	v_add_f64 v[3:4], v[3:4], v[131:132]
	s_andn2_b32 exec_lo, exec_lo, s5
	s_cbranch_execnz .LBB59_24
; %bb.25:
	s_or_b32 exec_lo, exec_lo, s5
.LBB59_26:
	s_or_b32 exec_lo, exec_lo, s8
	v_mov_b32_e32 v11, 0
	ds_read_b128 v[129:132], v11 offset:896
	s_waitcnt lgkmcnt(0)
	v_mul_f64 v[11:12], v[3:4], v[131:132]
	v_mul_f64 v[131:132], v[1:2], v[131:132]
	v_fma_f64 v[1:2], v[1:2], v[129:130], -v[11:12]
	v_fma_f64 v[3:4], v[3:4], v[129:130], v[131:132]
	buffer_store_dword v2, off, s[0:3], 0 offset:900
	buffer_store_dword v1, off, s[0:3], 0 offset:896
	;; [unrolled: 1-line block ×4, first 2 shown]
.LBB59_27:
	s_or_b32 exec_lo, exec_lo, s6
	v_mov_b32_e32 v4, s12
	v_cmp_lt_u32_e64 s5, 55, v0
	s_clause 0x3
	buffer_load_dword v1, v4, s[0:3], 0 offen
	buffer_load_dword v2, v4, s[0:3], 0 offen offset:4
	buffer_load_dword v3, v4, s[0:3], 0 offen offset:8
	;; [unrolled: 1-line block ×3, first 2 shown]
	s_waitcnt vmcnt(0)
	ds_write_b128 v10, v[1:4]
	s_waitcnt lgkmcnt(0)
	s_waitcnt_vscnt null, 0x0
	s_barrier
	buffer_gl0_inv
	s_and_saveexec_b32 s6, s5
	s_cbranch_execz .LBB59_35
; %bb.28:
	ds_read_b128 v[1:4], v10
	s_andn2_b32 vcc_lo, exec_lo, s68
	s_cbranch_vccnz .LBB59_30
; %bb.29:
	s_clause 0x3
	buffer_load_dword v11, v9, s[0:3], 0 offen offset:8
	buffer_load_dword v12, v9, s[0:3], 0 offen offset:12
	buffer_load_dword v129, v9, s[0:3], 0 offen
	buffer_load_dword v130, v9, s[0:3], 0 offen offset:4
	s_waitcnt vmcnt(2) lgkmcnt(0)
	v_mul_f64 v[131:132], v[3:4], v[11:12]
	v_mul_f64 v[11:12], v[1:2], v[11:12]
	s_waitcnt vmcnt(0)
	v_fma_f64 v[1:2], v[1:2], v[129:130], -v[131:132]
	v_fma_f64 v[3:4], v[3:4], v[129:130], v[11:12]
.LBB59_30:
	s_and_saveexec_b32 s8, s4
	s_cbranch_execz .LBB59_34
; %bb.31:
	v_subrev_nc_u32_e32 v11, 56, v0
	s_movk_i32 s69, 0x740
	s_mov_b32 s4, 0
	s_mov_b32 s70, s11
	.p2align	6
.LBB59_32:                              ; =>This Inner Loop Header: Depth=1
	v_mov_b32_e32 v12, s70
	v_add_nc_u32_e32 v11, -1, v11
	s_add_i32 s70, s70, 16
	s_clause 0x3
	buffer_load_dword v133, v12, s[0:3], 0 offen offset:8
	buffer_load_dword v134, v12, s[0:3], 0 offen offset:12
	buffer_load_dword v135, v12, s[0:3], 0 offen
	buffer_load_dword v136, v12, s[0:3], 0 offen offset:4
	v_mov_b32_e32 v12, s69
	v_cmp_eq_u32_e32 vcc_lo, 0, v11
	s_add_i32 s69, s69, 16
	ds_read_b128 v[129:132], v12
	s_or_b32 s4, vcc_lo, s4
	s_waitcnt vmcnt(2) lgkmcnt(0)
	v_mul_f64 v[137:138], v[131:132], v[133:134]
	v_mul_f64 v[133:134], v[129:130], v[133:134]
	s_waitcnt vmcnt(0)
	v_fma_f64 v[129:130], v[129:130], v[135:136], -v[137:138]
	v_fma_f64 v[131:132], v[131:132], v[135:136], v[133:134]
	v_add_f64 v[1:2], v[1:2], v[129:130]
	v_add_f64 v[3:4], v[3:4], v[131:132]
	s_andn2_b32 exec_lo, exec_lo, s4
	s_cbranch_execnz .LBB59_32
; %bb.33:
	s_or_b32 exec_lo, exec_lo, s4
.LBB59_34:
	s_or_b32 exec_lo, exec_lo, s8
	v_mov_b32_e32 v11, 0
	ds_read_b128 v[129:132], v11 offset:880
	s_waitcnt lgkmcnt(0)
	v_mul_f64 v[11:12], v[3:4], v[131:132]
	v_mul_f64 v[131:132], v[1:2], v[131:132]
	v_fma_f64 v[1:2], v[1:2], v[129:130], -v[11:12]
	v_fma_f64 v[3:4], v[3:4], v[129:130], v[131:132]
	buffer_store_dword v2, off, s[0:3], 0 offset:884
	buffer_store_dword v1, off, s[0:3], 0 offset:880
	;; [unrolled: 1-line block ×4, first 2 shown]
.LBB59_35:
	s_or_b32 exec_lo, exec_lo, s6
	v_mov_b32_e32 v4, s13
	v_cmp_lt_u32_e64 s4, 54, v0
	s_clause 0x3
	buffer_load_dword v1, v4, s[0:3], 0 offen
	buffer_load_dword v2, v4, s[0:3], 0 offen offset:4
	buffer_load_dword v3, v4, s[0:3], 0 offen offset:8
	;; [unrolled: 1-line block ×3, first 2 shown]
	s_waitcnt vmcnt(0)
	ds_write_b128 v10, v[1:4]
	s_waitcnt lgkmcnt(0)
	s_waitcnt_vscnt null, 0x0
	s_barrier
	buffer_gl0_inv
	s_and_saveexec_b32 s6, s4
	s_cbranch_execz .LBB59_43
; %bb.36:
	ds_read_b128 v[1:4], v10
	s_andn2_b32 vcc_lo, exec_lo, s68
	s_cbranch_vccnz .LBB59_38
; %bb.37:
	s_clause 0x3
	buffer_load_dword v11, v9, s[0:3], 0 offen offset:8
	buffer_load_dword v12, v9, s[0:3], 0 offen offset:12
	buffer_load_dword v129, v9, s[0:3], 0 offen
	buffer_load_dword v130, v9, s[0:3], 0 offen offset:4
	s_waitcnt vmcnt(2) lgkmcnt(0)
	v_mul_f64 v[131:132], v[3:4], v[11:12]
	v_mul_f64 v[11:12], v[1:2], v[11:12]
	s_waitcnt vmcnt(0)
	v_fma_f64 v[1:2], v[1:2], v[129:130], -v[131:132]
	v_fma_f64 v[3:4], v[3:4], v[129:130], v[11:12]
.LBB59_38:
	s_and_saveexec_b32 s8, s5
	s_cbranch_execz .LBB59_42
; %bb.39:
	v_subrev_nc_u32_e32 v11, 55, v0
	s_movk_i32 s69, 0x730
	s_mov_b32 s5, 0
	s_mov_b32 s70, s12
	.p2align	6
.LBB59_40:                              ; =>This Inner Loop Header: Depth=1
	v_mov_b32_e32 v12, s70
	v_add_nc_u32_e32 v11, -1, v11
	s_add_i32 s70, s70, 16
	s_clause 0x3
	buffer_load_dword v133, v12, s[0:3], 0 offen offset:8
	buffer_load_dword v134, v12, s[0:3], 0 offen offset:12
	buffer_load_dword v135, v12, s[0:3], 0 offen
	buffer_load_dword v136, v12, s[0:3], 0 offen offset:4
	v_mov_b32_e32 v12, s69
	v_cmp_eq_u32_e32 vcc_lo, 0, v11
	s_add_i32 s69, s69, 16
	ds_read_b128 v[129:132], v12
	s_or_b32 s5, vcc_lo, s5
	s_waitcnt vmcnt(2) lgkmcnt(0)
	v_mul_f64 v[137:138], v[131:132], v[133:134]
	v_mul_f64 v[133:134], v[129:130], v[133:134]
	s_waitcnt vmcnt(0)
	v_fma_f64 v[129:130], v[129:130], v[135:136], -v[137:138]
	v_fma_f64 v[131:132], v[131:132], v[135:136], v[133:134]
	v_add_f64 v[1:2], v[1:2], v[129:130]
	v_add_f64 v[3:4], v[3:4], v[131:132]
	s_andn2_b32 exec_lo, exec_lo, s5
	s_cbranch_execnz .LBB59_40
; %bb.41:
	s_or_b32 exec_lo, exec_lo, s5
.LBB59_42:
	s_or_b32 exec_lo, exec_lo, s8
	v_mov_b32_e32 v11, 0
	ds_read_b128 v[129:132], v11 offset:864
	s_waitcnt lgkmcnt(0)
	v_mul_f64 v[11:12], v[3:4], v[131:132]
	v_mul_f64 v[131:132], v[1:2], v[131:132]
	v_fma_f64 v[1:2], v[1:2], v[129:130], -v[11:12]
	v_fma_f64 v[3:4], v[3:4], v[129:130], v[131:132]
	buffer_store_dword v2, off, s[0:3], 0 offset:868
	buffer_store_dword v1, off, s[0:3], 0 offset:864
	;; [unrolled: 1-line block ×4, first 2 shown]
.LBB59_43:
	s_or_b32 exec_lo, exec_lo, s6
	v_mov_b32_e32 v4, s14
	v_cmp_lt_u32_e64 s5, 53, v0
	s_clause 0x3
	buffer_load_dword v1, v4, s[0:3], 0 offen
	buffer_load_dword v2, v4, s[0:3], 0 offen offset:4
	buffer_load_dword v3, v4, s[0:3], 0 offen offset:8
	;; [unrolled: 1-line block ×3, first 2 shown]
	s_waitcnt vmcnt(0)
	ds_write_b128 v10, v[1:4]
	s_waitcnt lgkmcnt(0)
	s_waitcnt_vscnt null, 0x0
	s_barrier
	buffer_gl0_inv
	s_and_saveexec_b32 s6, s5
	s_cbranch_execz .LBB59_51
; %bb.44:
	ds_read_b128 v[1:4], v10
	s_andn2_b32 vcc_lo, exec_lo, s68
	s_cbranch_vccnz .LBB59_46
; %bb.45:
	s_clause 0x3
	buffer_load_dword v11, v9, s[0:3], 0 offen offset:8
	buffer_load_dword v12, v9, s[0:3], 0 offen offset:12
	buffer_load_dword v129, v9, s[0:3], 0 offen
	buffer_load_dword v130, v9, s[0:3], 0 offen offset:4
	s_waitcnt vmcnt(2) lgkmcnt(0)
	v_mul_f64 v[131:132], v[3:4], v[11:12]
	v_mul_f64 v[11:12], v[1:2], v[11:12]
	s_waitcnt vmcnt(0)
	v_fma_f64 v[1:2], v[1:2], v[129:130], -v[131:132]
	v_fma_f64 v[3:4], v[3:4], v[129:130], v[11:12]
.LBB59_46:
	s_and_saveexec_b32 s8, s4
	s_cbranch_execz .LBB59_50
; %bb.47:
	v_subrev_nc_u32_e32 v11, 54, v0
	s_movk_i32 s69, 0x720
	s_mov_b32 s4, 0
	s_mov_b32 s70, s13
	.p2align	6
.LBB59_48:                              ; =>This Inner Loop Header: Depth=1
	v_mov_b32_e32 v12, s70
	v_add_nc_u32_e32 v11, -1, v11
	s_add_i32 s70, s70, 16
	s_clause 0x3
	buffer_load_dword v133, v12, s[0:3], 0 offen offset:8
	buffer_load_dword v134, v12, s[0:3], 0 offen offset:12
	buffer_load_dword v135, v12, s[0:3], 0 offen
	buffer_load_dword v136, v12, s[0:3], 0 offen offset:4
	v_mov_b32_e32 v12, s69
	v_cmp_eq_u32_e32 vcc_lo, 0, v11
	s_add_i32 s69, s69, 16
	ds_read_b128 v[129:132], v12
	s_or_b32 s4, vcc_lo, s4
	s_waitcnt vmcnt(2) lgkmcnt(0)
	v_mul_f64 v[137:138], v[131:132], v[133:134]
	v_mul_f64 v[133:134], v[129:130], v[133:134]
	s_waitcnt vmcnt(0)
	v_fma_f64 v[129:130], v[129:130], v[135:136], -v[137:138]
	v_fma_f64 v[131:132], v[131:132], v[135:136], v[133:134]
	v_add_f64 v[1:2], v[1:2], v[129:130]
	v_add_f64 v[3:4], v[3:4], v[131:132]
	s_andn2_b32 exec_lo, exec_lo, s4
	s_cbranch_execnz .LBB59_48
; %bb.49:
	s_or_b32 exec_lo, exec_lo, s4
.LBB59_50:
	s_or_b32 exec_lo, exec_lo, s8
	v_mov_b32_e32 v11, 0
	ds_read_b128 v[129:132], v11 offset:848
	s_waitcnt lgkmcnt(0)
	v_mul_f64 v[11:12], v[3:4], v[131:132]
	v_mul_f64 v[131:132], v[1:2], v[131:132]
	v_fma_f64 v[1:2], v[1:2], v[129:130], -v[11:12]
	v_fma_f64 v[3:4], v[3:4], v[129:130], v[131:132]
	buffer_store_dword v2, off, s[0:3], 0 offset:852
	buffer_store_dword v1, off, s[0:3], 0 offset:848
	;; [unrolled: 1-line block ×4, first 2 shown]
.LBB59_51:
	s_or_b32 exec_lo, exec_lo, s6
	v_mov_b32_e32 v4, s15
	v_cmp_lt_u32_e64 s4, 52, v0
	s_clause 0x3
	buffer_load_dword v1, v4, s[0:3], 0 offen
	buffer_load_dword v2, v4, s[0:3], 0 offen offset:4
	buffer_load_dword v3, v4, s[0:3], 0 offen offset:8
	;; [unrolled: 1-line block ×3, first 2 shown]
	s_waitcnt vmcnt(0)
	ds_write_b128 v10, v[1:4]
	s_waitcnt lgkmcnt(0)
	s_waitcnt_vscnt null, 0x0
	s_barrier
	buffer_gl0_inv
	s_and_saveexec_b32 s6, s4
	s_cbranch_execz .LBB59_59
; %bb.52:
	ds_read_b128 v[1:4], v10
	s_andn2_b32 vcc_lo, exec_lo, s68
	s_cbranch_vccnz .LBB59_54
; %bb.53:
	s_clause 0x3
	buffer_load_dword v11, v9, s[0:3], 0 offen offset:8
	buffer_load_dword v12, v9, s[0:3], 0 offen offset:12
	buffer_load_dword v129, v9, s[0:3], 0 offen
	buffer_load_dword v130, v9, s[0:3], 0 offen offset:4
	s_waitcnt vmcnt(2) lgkmcnt(0)
	v_mul_f64 v[131:132], v[3:4], v[11:12]
	v_mul_f64 v[11:12], v[1:2], v[11:12]
	s_waitcnt vmcnt(0)
	v_fma_f64 v[1:2], v[1:2], v[129:130], -v[131:132]
	v_fma_f64 v[3:4], v[3:4], v[129:130], v[11:12]
.LBB59_54:
	s_and_saveexec_b32 s8, s5
	s_cbranch_execz .LBB59_58
; %bb.55:
	v_subrev_nc_u32_e32 v11, 53, v0
	s_movk_i32 s69, 0x710
	s_mov_b32 s5, 0
	s_mov_b32 s70, s14
	.p2align	6
.LBB59_56:                              ; =>This Inner Loop Header: Depth=1
	v_mov_b32_e32 v12, s70
	v_add_nc_u32_e32 v11, -1, v11
	s_add_i32 s70, s70, 16
	s_clause 0x3
	buffer_load_dword v133, v12, s[0:3], 0 offen offset:8
	buffer_load_dword v134, v12, s[0:3], 0 offen offset:12
	buffer_load_dword v135, v12, s[0:3], 0 offen
	buffer_load_dword v136, v12, s[0:3], 0 offen offset:4
	v_mov_b32_e32 v12, s69
	v_cmp_eq_u32_e32 vcc_lo, 0, v11
	s_add_i32 s69, s69, 16
	ds_read_b128 v[129:132], v12
	s_or_b32 s5, vcc_lo, s5
	s_waitcnt vmcnt(2) lgkmcnt(0)
	v_mul_f64 v[137:138], v[131:132], v[133:134]
	v_mul_f64 v[133:134], v[129:130], v[133:134]
	s_waitcnt vmcnt(0)
	v_fma_f64 v[129:130], v[129:130], v[135:136], -v[137:138]
	v_fma_f64 v[131:132], v[131:132], v[135:136], v[133:134]
	v_add_f64 v[1:2], v[1:2], v[129:130]
	v_add_f64 v[3:4], v[3:4], v[131:132]
	s_andn2_b32 exec_lo, exec_lo, s5
	s_cbranch_execnz .LBB59_56
; %bb.57:
	s_or_b32 exec_lo, exec_lo, s5
.LBB59_58:
	s_or_b32 exec_lo, exec_lo, s8
	v_mov_b32_e32 v11, 0
	ds_read_b128 v[129:132], v11 offset:832
	s_waitcnt lgkmcnt(0)
	v_mul_f64 v[11:12], v[3:4], v[131:132]
	v_mul_f64 v[131:132], v[1:2], v[131:132]
	v_fma_f64 v[1:2], v[1:2], v[129:130], -v[11:12]
	v_fma_f64 v[3:4], v[3:4], v[129:130], v[131:132]
	buffer_store_dword v2, off, s[0:3], 0 offset:836
	buffer_store_dword v1, off, s[0:3], 0 offset:832
	;; [unrolled: 1-line block ×4, first 2 shown]
.LBB59_59:
	s_or_b32 exec_lo, exec_lo, s6
	v_mov_b32_e32 v4, s16
	v_cmp_lt_u32_e64 s5, 51, v0
	s_clause 0x3
	buffer_load_dword v1, v4, s[0:3], 0 offen
	buffer_load_dword v2, v4, s[0:3], 0 offen offset:4
	buffer_load_dword v3, v4, s[0:3], 0 offen offset:8
	;; [unrolled: 1-line block ×3, first 2 shown]
	s_waitcnt vmcnt(0)
	ds_write_b128 v10, v[1:4]
	s_waitcnt lgkmcnt(0)
	s_waitcnt_vscnt null, 0x0
	s_barrier
	buffer_gl0_inv
	s_and_saveexec_b32 s6, s5
	s_cbranch_execz .LBB59_67
; %bb.60:
	ds_read_b128 v[1:4], v10
	s_andn2_b32 vcc_lo, exec_lo, s68
	s_cbranch_vccnz .LBB59_62
; %bb.61:
	s_clause 0x3
	buffer_load_dword v11, v9, s[0:3], 0 offen offset:8
	buffer_load_dword v12, v9, s[0:3], 0 offen offset:12
	buffer_load_dword v129, v9, s[0:3], 0 offen
	buffer_load_dword v130, v9, s[0:3], 0 offen offset:4
	s_waitcnt vmcnt(2) lgkmcnt(0)
	v_mul_f64 v[131:132], v[3:4], v[11:12]
	v_mul_f64 v[11:12], v[1:2], v[11:12]
	s_waitcnt vmcnt(0)
	v_fma_f64 v[1:2], v[1:2], v[129:130], -v[131:132]
	v_fma_f64 v[3:4], v[3:4], v[129:130], v[11:12]
.LBB59_62:
	s_and_saveexec_b32 s8, s4
	s_cbranch_execz .LBB59_66
; %bb.63:
	v_subrev_nc_u32_e32 v11, 52, v0
	s_movk_i32 s69, 0x700
	s_mov_b32 s4, 0
	s_mov_b32 s70, s15
	.p2align	6
.LBB59_64:                              ; =>This Inner Loop Header: Depth=1
	v_mov_b32_e32 v12, s70
	v_add_nc_u32_e32 v11, -1, v11
	s_add_i32 s70, s70, 16
	s_clause 0x3
	buffer_load_dword v133, v12, s[0:3], 0 offen offset:8
	buffer_load_dword v134, v12, s[0:3], 0 offen offset:12
	buffer_load_dword v135, v12, s[0:3], 0 offen
	buffer_load_dword v136, v12, s[0:3], 0 offen offset:4
	v_mov_b32_e32 v12, s69
	v_cmp_eq_u32_e32 vcc_lo, 0, v11
	s_add_i32 s69, s69, 16
	ds_read_b128 v[129:132], v12
	s_or_b32 s4, vcc_lo, s4
	s_waitcnt vmcnt(2) lgkmcnt(0)
	v_mul_f64 v[137:138], v[131:132], v[133:134]
	v_mul_f64 v[133:134], v[129:130], v[133:134]
	s_waitcnt vmcnt(0)
	v_fma_f64 v[129:130], v[129:130], v[135:136], -v[137:138]
	v_fma_f64 v[131:132], v[131:132], v[135:136], v[133:134]
	v_add_f64 v[1:2], v[1:2], v[129:130]
	v_add_f64 v[3:4], v[3:4], v[131:132]
	s_andn2_b32 exec_lo, exec_lo, s4
	s_cbranch_execnz .LBB59_64
; %bb.65:
	s_or_b32 exec_lo, exec_lo, s4
.LBB59_66:
	s_or_b32 exec_lo, exec_lo, s8
	v_mov_b32_e32 v11, 0
	ds_read_b128 v[129:132], v11 offset:816
	s_waitcnt lgkmcnt(0)
	v_mul_f64 v[11:12], v[3:4], v[131:132]
	v_mul_f64 v[131:132], v[1:2], v[131:132]
	v_fma_f64 v[1:2], v[1:2], v[129:130], -v[11:12]
	v_fma_f64 v[3:4], v[3:4], v[129:130], v[131:132]
	buffer_store_dword v2, off, s[0:3], 0 offset:820
	buffer_store_dword v1, off, s[0:3], 0 offset:816
	;; [unrolled: 1-line block ×4, first 2 shown]
.LBB59_67:
	s_or_b32 exec_lo, exec_lo, s6
	v_mov_b32_e32 v4, s17
	v_cmp_lt_u32_e64 s4, 50, v0
	s_clause 0x3
	buffer_load_dword v1, v4, s[0:3], 0 offen
	buffer_load_dword v2, v4, s[0:3], 0 offen offset:4
	buffer_load_dword v3, v4, s[0:3], 0 offen offset:8
	;; [unrolled: 1-line block ×3, first 2 shown]
	s_waitcnt vmcnt(0)
	ds_write_b128 v10, v[1:4]
	s_waitcnt lgkmcnt(0)
	s_waitcnt_vscnt null, 0x0
	s_barrier
	buffer_gl0_inv
	s_and_saveexec_b32 s6, s4
	s_cbranch_execz .LBB59_75
; %bb.68:
	ds_read_b128 v[1:4], v10
	s_andn2_b32 vcc_lo, exec_lo, s68
	s_cbranch_vccnz .LBB59_70
; %bb.69:
	s_clause 0x3
	buffer_load_dword v11, v9, s[0:3], 0 offen offset:8
	buffer_load_dword v12, v9, s[0:3], 0 offen offset:12
	buffer_load_dword v129, v9, s[0:3], 0 offen
	buffer_load_dword v130, v9, s[0:3], 0 offen offset:4
	s_waitcnt vmcnt(2) lgkmcnt(0)
	v_mul_f64 v[131:132], v[3:4], v[11:12]
	v_mul_f64 v[11:12], v[1:2], v[11:12]
	s_waitcnt vmcnt(0)
	v_fma_f64 v[1:2], v[1:2], v[129:130], -v[131:132]
	v_fma_f64 v[3:4], v[3:4], v[129:130], v[11:12]
.LBB59_70:
	s_and_saveexec_b32 s8, s5
	s_cbranch_execz .LBB59_74
; %bb.71:
	v_subrev_nc_u32_e32 v11, 51, v0
	s_movk_i32 s69, 0x6f0
	s_mov_b32 s5, 0
	s_mov_b32 s70, s16
	.p2align	6
.LBB59_72:                              ; =>This Inner Loop Header: Depth=1
	v_mov_b32_e32 v12, s70
	v_add_nc_u32_e32 v11, -1, v11
	s_add_i32 s70, s70, 16
	s_clause 0x3
	buffer_load_dword v133, v12, s[0:3], 0 offen offset:8
	buffer_load_dword v134, v12, s[0:3], 0 offen offset:12
	buffer_load_dword v135, v12, s[0:3], 0 offen
	buffer_load_dword v136, v12, s[0:3], 0 offen offset:4
	v_mov_b32_e32 v12, s69
	v_cmp_eq_u32_e32 vcc_lo, 0, v11
	s_add_i32 s69, s69, 16
	ds_read_b128 v[129:132], v12
	s_or_b32 s5, vcc_lo, s5
	s_waitcnt vmcnt(2) lgkmcnt(0)
	v_mul_f64 v[137:138], v[131:132], v[133:134]
	v_mul_f64 v[133:134], v[129:130], v[133:134]
	s_waitcnt vmcnt(0)
	v_fma_f64 v[129:130], v[129:130], v[135:136], -v[137:138]
	v_fma_f64 v[131:132], v[131:132], v[135:136], v[133:134]
	v_add_f64 v[1:2], v[1:2], v[129:130]
	v_add_f64 v[3:4], v[3:4], v[131:132]
	s_andn2_b32 exec_lo, exec_lo, s5
	s_cbranch_execnz .LBB59_72
; %bb.73:
	s_or_b32 exec_lo, exec_lo, s5
.LBB59_74:
	s_or_b32 exec_lo, exec_lo, s8
	v_mov_b32_e32 v11, 0
	ds_read_b128 v[129:132], v11 offset:800
	s_waitcnt lgkmcnt(0)
	v_mul_f64 v[11:12], v[3:4], v[131:132]
	v_mul_f64 v[131:132], v[1:2], v[131:132]
	v_fma_f64 v[1:2], v[1:2], v[129:130], -v[11:12]
	v_fma_f64 v[3:4], v[3:4], v[129:130], v[131:132]
	buffer_store_dword v2, off, s[0:3], 0 offset:804
	buffer_store_dword v1, off, s[0:3], 0 offset:800
	;; [unrolled: 1-line block ×4, first 2 shown]
.LBB59_75:
	s_or_b32 exec_lo, exec_lo, s6
	v_mov_b32_e32 v4, s18
	v_cmp_lt_u32_e64 s5, 49, v0
	s_clause 0x3
	buffer_load_dword v1, v4, s[0:3], 0 offen
	buffer_load_dword v2, v4, s[0:3], 0 offen offset:4
	buffer_load_dword v3, v4, s[0:3], 0 offen offset:8
	;; [unrolled: 1-line block ×3, first 2 shown]
	s_waitcnt vmcnt(0)
	ds_write_b128 v10, v[1:4]
	s_waitcnt lgkmcnt(0)
	s_waitcnt_vscnt null, 0x0
	s_barrier
	buffer_gl0_inv
	s_and_saveexec_b32 s6, s5
	s_cbranch_execz .LBB59_83
; %bb.76:
	ds_read_b128 v[1:4], v10
	s_andn2_b32 vcc_lo, exec_lo, s68
	s_cbranch_vccnz .LBB59_78
; %bb.77:
	s_clause 0x3
	buffer_load_dword v11, v9, s[0:3], 0 offen offset:8
	buffer_load_dword v12, v9, s[0:3], 0 offen offset:12
	buffer_load_dword v129, v9, s[0:3], 0 offen
	buffer_load_dword v130, v9, s[0:3], 0 offen offset:4
	s_waitcnt vmcnt(2) lgkmcnt(0)
	v_mul_f64 v[131:132], v[3:4], v[11:12]
	v_mul_f64 v[11:12], v[1:2], v[11:12]
	s_waitcnt vmcnt(0)
	v_fma_f64 v[1:2], v[1:2], v[129:130], -v[131:132]
	v_fma_f64 v[3:4], v[3:4], v[129:130], v[11:12]
.LBB59_78:
	s_and_saveexec_b32 s8, s4
	s_cbranch_execz .LBB59_82
; %bb.79:
	v_subrev_nc_u32_e32 v11, 50, v0
	s_movk_i32 s69, 0x6e0
	s_mov_b32 s4, 0
	s_mov_b32 s70, s17
	.p2align	6
.LBB59_80:                              ; =>This Inner Loop Header: Depth=1
	v_mov_b32_e32 v12, s70
	v_add_nc_u32_e32 v11, -1, v11
	s_add_i32 s70, s70, 16
	s_clause 0x3
	buffer_load_dword v133, v12, s[0:3], 0 offen offset:8
	buffer_load_dword v134, v12, s[0:3], 0 offen offset:12
	buffer_load_dword v135, v12, s[0:3], 0 offen
	buffer_load_dword v136, v12, s[0:3], 0 offen offset:4
	v_mov_b32_e32 v12, s69
	v_cmp_eq_u32_e32 vcc_lo, 0, v11
	s_add_i32 s69, s69, 16
	ds_read_b128 v[129:132], v12
	s_or_b32 s4, vcc_lo, s4
	s_waitcnt vmcnt(2) lgkmcnt(0)
	v_mul_f64 v[137:138], v[131:132], v[133:134]
	v_mul_f64 v[133:134], v[129:130], v[133:134]
	s_waitcnt vmcnt(0)
	v_fma_f64 v[129:130], v[129:130], v[135:136], -v[137:138]
	v_fma_f64 v[131:132], v[131:132], v[135:136], v[133:134]
	v_add_f64 v[1:2], v[1:2], v[129:130]
	v_add_f64 v[3:4], v[3:4], v[131:132]
	s_andn2_b32 exec_lo, exec_lo, s4
	s_cbranch_execnz .LBB59_80
; %bb.81:
	s_or_b32 exec_lo, exec_lo, s4
.LBB59_82:
	s_or_b32 exec_lo, exec_lo, s8
	v_mov_b32_e32 v11, 0
	ds_read_b128 v[129:132], v11 offset:784
	s_waitcnt lgkmcnt(0)
	v_mul_f64 v[11:12], v[3:4], v[131:132]
	v_mul_f64 v[131:132], v[1:2], v[131:132]
	v_fma_f64 v[1:2], v[1:2], v[129:130], -v[11:12]
	v_fma_f64 v[3:4], v[3:4], v[129:130], v[131:132]
	buffer_store_dword v2, off, s[0:3], 0 offset:788
	buffer_store_dword v1, off, s[0:3], 0 offset:784
	;; [unrolled: 1-line block ×4, first 2 shown]
.LBB59_83:
	s_or_b32 exec_lo, exec_lo, s6
	v_mov_b32_e32 v4, s19
	v_cmp_lt_u32_e64 s4, 48, v0
	s_clause 0x3
	buffer_load_dword v1, v4, s[0:3], 0 offen
	buffer_load_dword v2, v4, s[0:3], 0 offen offset:4
	buffer_load_dword v3, v4, s[0:3], 0 offen offset:8
	;; [unrolled: 1-line block ×3, first 2 shown]
	s_waitcnt vmcnt(0)
	ds_write_b128 v10, v[1:4]
	s_waitcnt lgkmcnt(0)
	s_waitcnt_vscnt null, 0x0
	s_barrier
	buffer_gl0_inv
	s_and_saveexec_b32 s6, s4
	s_cbranch_execz .LBB59_91
; %bb.84:
	ds_read_b128 v[1:4], v10
	s_andn2_b32 vcc_lo, exec_lo, s68
	s_cbranch_vccnz .LBB59_86
; %bb.85:
	s_clause 0x3
	buffer_load_dword v11, v9, s[0:3], 0 offen offset:8
	buffer_load_dword v12, v9, s[0:3], 0 offen offset:12
	buffer_load_dword v129, v9, s[0:3], 0 offen
	buffer_load_dword v130, v9, s[0:3], 0 offen offset:4
	s_waitcnt vmcnt(2) lgkmcnt(0)
	v_mul_f64 v[131:132], v[3:4], v[11:12]
	v_mul_f64 v[11:12], v[1:2], v[11:12]
	s_waitcnt vmcnt(0)
	v_fma_f64 v[1:2], v[1:2], v[129:130], -v[131:132]
	v_fma_f64 v[3:4], v[3:4], v[129:130], v[11:12]
.LBB59_86:
	s_and_saveexec_b32 s8, s5
	s_cbranch_execz .LBB59_90
; %bb.87:
	v_subrev_nc_u32_e32 v11, 49, v0
	s_movk_i32 s69, 0x6d0
	s_mov_b32 s5, 0
	s_mov_b32 s70, s18
	.p2align	6
.LBB59_88:                              ; =>This Inner Loop Header: Depth=1
	v_mov_b32_e32 v12, s70
	v_add_nc_u32_e32 v11, -1, v11
	s_add_i32 s70, s70, 16
	s_clause 0x3
	buffer_load_dword v133, v12, s[0:3], 0 offen offset:8
	buffer_load_dword v134, v12, s[0:3], 0 offen offset:12
	buffer_load_dword v135, v12, s[0:3], 0 offen
	buffer_load_dword v136, v12, s[0:3], 0 offen offset:4
	v_mov_b32_e32 v12, s69
	v_cmp_eq_u32_e32 vcc_lo, 0, v11
	s_add_i32 s69, s69, 16
	ds_read_b128 v[129:132], v12
	s_or_b32 s5, vcc_lo, s5
	s_waitcnt vmcnt(2) lgkmcnt(0)
	v_mul_f64 v[137:138], v[131:132], v[133:134]
	v_mul_f64 v[133:134], v[129:130], v[133:134]
	s_waitcnt vmcnt(0)
	v_fma_f64 v[129:130], v[129:130], v[135:136], -v[137:138]
	v_fma_f64 v[131:132], v[131:132], v[135:136], v[133:134]
	v_add_f64 v[1:2], v[1:2], v[129:130]
	v_add_f64 v[3:4], v[3:4], v[131:132]
	s_andn2_b32 exec_lo, exec_lo, s5
	s_cbranch_execnz .LBB59_88
; %bb.89:
	s_or_b32 exec_lo, exec_lo, s5
.LBB59_90:
	s_or_b32 exec_lo, exec_lo, s8
	v_mov_b32_e32 v11, 0
	ds_read_b128 v[129:132], v11 offset:768
	s_waitcnt lgkmcnt(0)
	v_mul_f64 v[11:12], v[3:4], v[131:132]
	v_mul_f64 v[131:132], v[1:2], v[131:132]
	v_fma_f64 v[1:2], v[1:2], v[129:130], -v[11:12]
	v_fma_f64 v[3:4], v[3:4], v[129:130], v[131:132]
	buffer_store_dword v2, off, s[0:3], 0 offset:772
	buffer_store_dword v1, off, s[0:3], 0 offset:768
	;; [unrolled: 1-line block ×4, first 2 shown]
.LBB59_91:
	s_or_b32 exec_lo, exec_lo, s6
	v_mov_b32_e32 v4, s20
	v_cmp_lt_u32_e64 s5, 47, v0
	s_clause 0x3
	buffer_load_dword v1, v4, s[0:3], 0 offen
	buffer_load_dword v2, v4, s[0:3], 0 offen offset:4
	buffer_load_dword v3, v4, s[0:3], 0 offen offset:8
	;; [unrolled: 1-line block ×3, first 2 shown]
	s_waitcnt vmcnt(0)
	ds_write_b128 v10, v[1:4]
	s_waitcnt lgkmcnt(0)
	s_waitcnt_vscnt null, 0x0
	s_barrier
	buffer_gl0_inv
	s_and_saveexec_b32 s6, s5
	s_cbranch_execz .LBB59_99
; %bb.92:
	ds_read_b128 v[1:4], v10
	s_andn2_b32 vcc_lo, exec_lo, s68
	s_cbranch_vccnz .LBB59_94
; %bb.93:
	s_clause 0x3
	buffer_load_dword v11, v9, s[0:3], 0 offen offset:8
	buffer_load_dword v12, v9, s[0:3], 0 offen offset:12
	buffer_load_dword v129, v9, s[0:3], 0 offen
	buffer_load_dword v130, v9, s[0:3], 0 offen offset:4
	s_waitcnt vmcnt(2) lgkmcnt(0)
	v_mul_f64 v[131:132], v[3:4], v[11:12]
	v_mul_f64 v[11:12], v[1:2], v[11:12]
	s_waitcnt vmcnt(0)
	v_fma_f64 v[1:2], v[1:2], v[129:130], -v[131:132]
	v_fma_f64 v[3:4], v[3:4], v[129:130], v[11:12]
.LBB59_94:
	s_and_saveexec_b32 s8, s4
	s_cbranch_execz .LBB59_98
; %bb.95:
	v_subrev_nc_u32_e32 v11, 48, v0
	s_movk_i32 s69, 0x6c0
	s_mov_b32 s4, 0
	s_mov_b32 s70, s19
	.p2align	6
.LBB59_96:                              ; =>This Inner Loop Header: Depth=1
	v_mov_b32_e32 v12, s70
	v_add_nc_u32_e32 v11, -1, v11
	s_add_i32 s70, s70, 16
	s_clause 0x3
	buffer_load_dword v133, v12, s[0:3], 0 offen offset:8
	buffer_load_dword v134, v12, s[0:3], 0 offen offset:12
	buffer_load_dword v135, v12, s[0:3], 0 offen
	buffer_load_dword v136, v12, s[0:3], 0 offen offset:4
	v_mov_b32_e32 v12, s69
	v_cmp_eq_u32_e32 vcc_lo, 0, v11
	s_add_i32 s69, s69, 16
	ds_read_b128 v[129:132], v12
	s_or_b32 s4, vcc_lo, s4
	s_waitcnt vmcnt(2) lgkmcnt(0)
	v_mul_f64 v[137:138], v[131:132], v[133:134]
	v_mul_f64 v[133:134], v[129:130], v[133:134]
	s_waitcnt vmcnt(0)
	v_fma_f64 v[129:130], v[129:130], v[135:136], -v[137:138]
	v_fma_f64 v[131:132], v[131:132], v[135:136], v[133:134]
	v_add_f64 v[1:2], v[1:2], v[129:130]
	v_add_f64 v[3:4], v[3:4], v[131:132]
	s_andn2_b32 exec_lo, exec_lo, s4
	s_cbranch_execnz .LBB59_96
; %bb.97:
	s_or_b32 exec_lo, exec_lo, s4
.LBB59_98:
	s_or_b32 exec_lo, exec_lo, s8
	v_mov_b32_e32 v11, 0
	ds_read_b128 v[129:132], v11 offset:752
	s_waitcnt lgkmcnt(0)
	v_mul_f64 v[11:12], v[3:4], v[131:132]
	v_mul_f64 v[131:132], v[1:2], v[131:132]
	v_fma_f64 v[1:2], v[1:2], v[129:130], -v[11:12]
	v_fma_f64 v[3:4], v[3:4], v[129:130], v[131:132]
	buffer_store_dword v2, off, s[0:3], 0 offset:756
	buffer_store_dword v1, off, s[0:3], 0 offset:752
	;; [unrolled: 1-line block ×4, first 2 shown]
.LBB59_99:
	s_or_b32 exec_lo, exec_lo, s6
	v_mov_b32_e32 v4, s21
	v_cmp_lt_u32_e64 s4, 46, v0
	s_clause 0x3
	buffer_load_dword v1, v4, s[0:3], 0 offen
	buffer_load_dword v2, v4, s[0:3], 0 offen offset:4
	buffer_load_dword v3, v4, s[0:3], 0 offen offset:8
	;; [unrolled: 1-line block ×3, first 2 shown]
	s_waitcnt vmcnt(0)
	ds_write_b128 v10, v[1:4]
	s_waitcnt lgkmcnt(0)
	s_waitcnt_vscnt null, 0x0
	s_barrier
	buffer_gl0_inv
	s_and_saveexec_b32 s6, s4
	s_cbranch_execz .LBB59_107
; %bb.100:
	ds_read_b128 v[1:4], v10
	s_andn2_b32 vcc_lo, exec_lo, s68
	s_cbranch_vccnz .LBB59_102
; %bb.101:
	s_clause 0x3
	buffer_load_dword v11, v9, s[0:3], 0 offen offset:8
	buffer_load_dword v12, v9, s[0:3], 0 offen offset:12
	buffer_load_dword v129, v9, s[0:3], 0 offen
	buffer_load_dword v130, v9, s[0:3], 0 offen offset:4
	s_waitcnt vmcnt(2) lgkmcnt(0)
	v_mul_f64 v[131:132], v[3:4], v[11:12]
	v_mul_f64 v[11:12], v[1:2], v[11:12]
	s_waitcnt vmcnt(0)
	v_fma_f64 v[1:2], v[1:2], v[129:130], -v[131:132]
	v_fma_f64 v[3:4], v[3:4], v[129:130], v[11:12]
.LBB59_102:
	s_and_saveexec_b32 s8, s5
	s_cbranch_execz .LBB59_106
; %bb.103:
	v_subrev_nc_u32_e32 v11, 47, v0
	s_movk_i32 s69, 0x6b0
	s_mov_b32 s5, 0
	s_mov_b32 s70, s20
	.p2align	6
.LBB59_104:                             ; =>This Inner Loop Header: Depth=1
	v_mov_b32_e32 v12, s70
	v_add_nc_u32_e32 v11, -1, v11
	s_add_i32 s70, s70, 16
	s_clause 0x3
	buffer_load_dword v133, v12, s[0:3], 0 offen offset:8
	buffer_load_dword v134, v12, s[0:3], 0 offen offset:12
	buffer_load_dword v135, v12, s[0:3], 0 offen
	buffer_load_dword v136, v12, s[0:3], 0 offen offset:4
	v_mov_b32_e32 v12, s69
	v_cmp_eq_u32_e32 vcc_lo, 0, v11
	s_add_i32 s69, s69, 16
	ds_read_b128 v[129:132], v12
	s_or_b32 s5, vcc_lo, s5
	s_waitcnt vmcnt(2) lgkmcnt(0)
	v_mul_f64 v[137:138], v[131:132], v[133:134]
	v_mul_f64 v[133:134], v[129:130], v[133:134]
	s_waitcnt vmcnt(0)
	v_fma_f64 v[129:130], v[129:130], v[135:136], -v[137:138]
	v_fma_f64 v[131:132], v[131:132], v[135:136], v[133:134]
	v_add_f64 v[1:2], v[1:2], v[129:130]
	v_add_f64 v[3:4], v[3:4], v[131:132]
	s_andn2_b32 exec_lo, exec_lo, s5
	s_cbranch_execnz .LBB59_104
; %bb.105:
	s_or_b32 exec_lo, exec_lo, s5
.LBB59_106:
	s_or_b32 exec_lo, exec_lo, s8
	v_mov_b32_e32 v11, 0
	ds_read_b128 v[129:132], v11 offset:736
	s_waitcnt lgkmcnt(0)
	v_mul_f64 v[11:12], v[3:4], v[131:132]
	v_mul_f64 v[131:132], v[1:2], v[131:132]
	v_fma_f64 v[1:2], v[1:2], v[129:130], -v[11:12]
	v_fma_f64 v[3:4], v[3:4], v[129:130], v[131:132]
	buffer_store_dword v2, off, s[0:3], 0 offset:740
	buffer_store_dword v1, off, s[0:3], 0 offset:736
	buffer_store_dword v4, off, s[0:3], 0 offset:748
	buffer_store_dword v3, off, s[0:3], 0 offset:744
.LBB59_107:
	s_or_b32 exec_lo, exec_lo, s6
	v_mov_b32_e32 v4, s22
	v_cmp_lt_u32_e64 s5, 45, v0
	s_clause 0x3
	buffer_load_dword v1, v4, s[0:3], 0 offen
	buffer_load_dword v2, v4, s[0:3], 0 offen offset:4
	buffer_load_dword v3, v4, s[0:3], 0 offen offset:8
	;; [unrolled: 1-line block ×3, first 2 shown]
	s_waitcnt vmcnt(0)
	ds_write_b128 v10, v[1:4]
	s_waitcnt lgkmcnt(0)
	s_waitcnt_vscnt null, 0x0
	s_barrier
	buffer_gl0_inv
	s_and_saveexec_b32 s6, s5
	s_cbranch_execz .LBB59_115
; %bb.108:
	ds_read_b128 v[1:4], v10
	s_andn2_b32 vcc_lo, exec_lo, s68
	s_cbranch_vccnz .LBB59_110
; %bb.109:
	s_clause 0x3
	buffer_load_dword v11, v9, s[0:3], 0 offen offset:8
	buffer_load_dword v12, v9, s[0:3], 0 offen offset:12
	buffer_load_dword v129, v9, s[0:3], 0 offen
	buffer_load_dword v130, v9, s[0:3], 0 offen offset:4
	s_waitcnt vmcnt(2) lgkmcnt(0)
	v_mul_f64 v[131:132], v[3:4], v[11:12]
	v_mul_f64 v[11:12], v[1:2], v[11:12]
	s_waitcnt vmcnt(0)
	v_fma_f64 v[1:2], v[1:2], v[129:130], -v[131:132]
	v_fma_f64 v[3:4], v[3:4], v[129:130], v[11:12]
.LBB59_110:
	s_and_saveexec_b32 s8, s4
	s_cbranch_execz .LBB59_114
; %bb.111:
	v_subrev_nc_u32_e32 v11, 46, v0
	s_movk_i32 s69, 0x6a0
	s_mov_b32 s4, 0
	s_mov_b32 s70, s21
	.p2align	6
.LBB59_112:                             ; =>This Inner Loop Header: Depth=1
	v_mov_b32_e32 v12, s70
	v_add_nc_u32_e32 v11, -1, v11
	s_add_i32 s70, s70, 16
	s_clause 0x3
	buffer_load_dword v133, v12, s[0:3], 0 offen offset:8
	buffer_load_dword v134, v12, s[0:3], 0 offen offset:12
	buffer_load_dword v135, v12, s[0:3], 0 offen
	buffer_load_dword v136, v12, s[0:3], 0 offen offset:4
	v_mov_b32_e32 v12, s69
	v_cmp_eq_u32_e32 vcc_lo, 0, v11
	s_add_i32 s69, s69, 16
	ds_read_b128 v[129:132], v12
	s_or_b32 s4, vcc_lo, s4
	s_waitcnt vmcnt(2) lgkmcnt(0)
	v_mul_f64 v[137:138], v[131:132], v[133:134]
	v_mul_f64 v[133:134], v[129:130], v[133:134]
	s_waitcnt vmcnt(0)
	v_fma_f64 v[129:130], v[129:130], v[135:136], -v[137:138]
	v_fma_f64 v[131:132], v[131:132], v[135:136], v[133:134]
	v_add_f64 v[1:2], v[1:2], v[129:130]
	v_add_f64 v[3:4], v[3:4], v[131:132]
	s_andn2_b32 exec_lo, exec_lo, s4
	s_cbranch_execnz .LBB59_112
; %bb.113:
	s_or_b32 exec_lo, exec_lo, s4
.LBB59_114:
	s_or_b32 exec_lo, exec_lo, s8
	v_mov_b32_e32 v11, 0
	ds_read_b128 v[129:132], v11 offset:720
	s_waitcnt lgkmcnt(0)
	v_mul_f64 v[11:12], v[3:4], v[131:132]
	v_mul_f64 v[131:132], v[1:2], v[131:132]
	v_fma_f64 v[1:2], v[1:2], v[129:130], -v[11:12]
	v_fma_f64 v[3:4], v[3:4], v[129:130], v[131:132]
	buffer_store_dword v2, off, s[0:3], 0 offset:724
	buffer_store_dword v1, off, s[0:3], 0 offset:720
	;; [unrolled: 1-line block ×4, first 2 shown]
.LBB59_115:
	s_or_b32 exec_lo, exec_lo, s6
	v_mov_b32_e32 v4, s23
	v_cmp_lt_u32_e64 s4, 44, v0
	s_clause 0x3
	buffer_load_dword v1, v4, s[0:3], 0 offen
	buffer_load_dword v2, v4, s[0:3], 0 offen offset:4
	buffer_load_dword v3, v4, s[0:3], 0 offen offset:8
	buffer_load_dword v4, v4, s[0:3], 0 offen offset:12
	s_waitcnt vmcnt(0)
	ds_write_b128 v10, v[1:4]
	s_waitcnt lgkmcnt(0)
	s_waitcnt_vscnt null, 0x0
	s_barrier
	buffer_gl0_inv
	s_and_saveexec_b32 s6, s4
	s_cbranch_execz .LBB59_123
; %bb.116:
	ds_read_b128 v[1:4], v10
	s_andn2_b32 vcc_lo, exec_lo, s68
	s_cbranch_vccnz .LBB59_118
; %bb.117:
	s_clause 0x3
	buffer_load_dword v11, v9, s[0:3], 0 offen offset:8
	buffer_load_dword v12, v9, s[0:3], 0 offen offset:12
	buffer_load_dword v129, v9, s[0:3], 0 offen
	buffer_load_dword v130, v9, s[0:3], 0 offen offset:4
	s_waitcnt vmcnt(2) lgkmcnt(0)
	v_mul_f64 v[131:132], v[3:4], v[11:12]
	v_mul_f64 v[11:12], v[1:2], v[11:12]
	s_waitcnt vmcnt(0)
	v_fma_f64 v[1:2], v[1:2], v[129:130], -v[131:132]
	v_fma_f64 v[3:4], v[3:4], v[129:130], v[11:12]
.LBB59_118:
	s_and_saveexec_b32 s8, s5
	s_cbranch_execz .LBB59_122
; %bb.119:
	v_subrev_nc_u32_e32 v11, 45, v0
	s_movk_i32 s69, 0x690
	s_mov_b32 s5, 0
	s_mov_b32 s70, s22
	.p2align	6
.LBB59_120:                             ; =>This Inner Loop Header: Depth=1
	v_mov_b32_e32 v12, s70
	v_add_nc_u32_e32 v11, -1, v11
	s_add_i32 s70, s70, 16
	s_clause 0x3
	buffer_load_dword v133, v12, s[0:3], 0 offen offset:8
	buffer_load_dword v134, v12, s[0:3], 0 offen offset:12
	buffer_load_dword v135, v12, s[0:3], 0 offen
	buffer_load_dword v136, v12, s[0:3], 0 offen offset:4
	v_mov_b32_e32 v12, s69
	v_cmp_eq_u32_e32 vcc_lo, 0, v11
	s_add_i32 s69, s69, 16
	ds_read_b128 v[129:132], v12
	s_or_b32 s5, vcc_lo, s5
	s_waitcnt vmcnt(2) lgkmcnt(0)
	v_mul_f64 v[137:138], v[131:132], v[133:134]
	v_mul_f64 v[133:134], v[129:130], v[133:134]
	s_waitcnt vmcnt(0)
	v_fma_f64 v[129:130], v[129:130], v[135:136], -v[137:138]
	v_fma_f64 v[131:132], v[131:132], v[135:136], v[133:134]
	v_add_f64 v[1:2], v[1:2], v[129:130]
	v_add_f64 v[3:4], v[3:4], v[131:132]
	s_andn2_b32 exec_lo, exec_lo, s5
	s_cbranch_execnz .LBB59_120
; %bb.121:
	s_or_b32 exec_lo, exec_lo, s5
.LBB59_122:
	s_or_b32 exec_lo, exec_lo, s8
	v_mov_b32_e32 v11, 0
	ds_read_b128 v[129:132], v11 offset:704
	s_waitcnt lgkmcnt(0)
	v_mul_f64 v[11:12], v[3:4], v[131:132]
	v_mul_f64 v[131:132], v[1:2], v[131:132]
	v_fma_f64 v[1:2], v[1:2], v[129:130], -v[11:12]
	v_fma_f64 v[3:4], v[3:4], v[129:130], v[131:132]
	buffer_store_dword v2, off, s[0:3], 0 offset:708
	buffer_store_dword v1, off, s[0:3], 0 offset:704
	;; [unrolled: 1-line block ×4, first 2 shown]
.LBB59_123:
	s_or_b32 exec_lo, exec_lo, s6
	v_mov_b32_e32 v4, s24
	v_cmp_lt_u32_e64 s5, 43, v0
	s_clause 0x3
	buffer_load_dword v1, v4, s[0:3], 0 offen
	buffer_load_dword v2, v4, s[0:3], 0 offen offset:4
	buffer_load_dword v3, v4, s[0:3], 0 offen offset:8
	;; [unrolled: 1-line block ×3, first 2 shown]
	s_waitcnt vmcnt(0)
	ds_write_b128 v10, v[1:4]
	s_waitcnt lgkmcnt(0)
	s_waitcnt_vscnt null, 0x0
	s_barrier
	buffer_gl0_inv
	s_and_saveexec_b32 s6, s5
	s_cbranch_execz .LBB59_131
; %bb.124:
	ds_read_b128 v[1:4], v10
	s_andn2_b32 vcc_lo, exec_lo, s68
	s_cbranch_vccnz .LBB59_126
; %bb.125:
	s_clause 0x3
	buffer_load_dword v11, v9, s[0:3], 0 offen offset:8
	buffer_load_dword v12, v9, s[0:3], 0 offen offset:12
	buffer_load_dword v129, v9, s[0:3], 0 offen
	buffer_load_dword v130, v9, s[0:3], 0 offen offset:4
	s_waitcnt vmcnt(2) lgkmcnt(0)
	v_mul_f64 v[131:132], v[3:4], v[11:12]
	v_mul_f64 v[11:12], v[1:2], v[11:12]
	s_waitcnt vmcnt(0)
	v_fma_f64 v[1:2], v[1:2], v[129:130], -v[131:132]
	v_fma_f64 v[3:4], v[3:4], v[129:130], v[11:12]
.LBB59_126:
	s_and_saveexec_b32 s8, s4
	s_cbranch_execz .LBB59_130
; %bb.127:
	v_subrev_nc_u32_e32 v11, 44, v0
	s_movk_i32 s69, 0x680
	s_mov_b32 s4, 0
	s_mov_b32 s70, s23
	.p2align	6
.LBB59_128:                             ; =>This Inner Loop Header: Depth=1
	v_mov_b32_e32 v12, s70
	v_add_nc_u32_e32 v11, -1, v11
	s_add_i32 s70, s70, 16
	s_clause 0x3
	buffer_load_dword v133, v12, s[0:3], 0 offen offset:8
	buffer_load_dword v134, v12, s[0:3], 0 offen offset:12
	buffer_load_dword v135, v12, s[0:3], 0 offen
	buffer_load_dword v136, v12, s[0:3], 0 offen offset:4
	v_mov_b32_e32 v12, s69
	v_cmp_eq_u32_e32 vcc_lo, 0, v11
	s_add_i32 s69, s69, 16
	ds_read_b128 v[129:132], v12
	s_or_b32 s4, vcc_lo, s4
	s_waitcnt vmcnt(2) lgkmcnt(0)
	v_mul_f64 v[137:138], v[131:132], v[133:134]
	v_mul_f64 v[133:134], v[129:130], v[133:134]
	s_waitcnt vmcnt(0)
	v_fma_f64 v[129:130], v[129:130], v[135:136], -v[137:138]
	v_fma_f64 v[131:132], v[131:132], v[135:136], v[133:134]
	v_add_f64 v[1:2], v[1:2], v[129:130]
	v_add_f64 v[3:4], v[3:4], v[131:132]
	s_andn2_b32 exec_lo, exec_lo, s4
	s_cbranch_execnz .LBB59_128
; %bb.129:
	s_or_b32 exec_lo, exec_lo, s4
.LBB59_130:
	s_or_b32 exec_lo, exec_lo, s8
	v_mov_b32_e32 v11, 0
	ds_read_b128 v[129:132], v11 offset:688
	s_waitcnt lgkmcnt(0)
	v_mul_f64 v[11:12], v[3:4], v[131:132]
	v_mul_f64 v[131:132], v[1:2], v[131:132]
	v_fma_f64 v[1:2], v[1:2], v[129:130], -v[11:12]
	v_fma_f64 v[3:4], v[3:4], v[129:130], v[131:132]
	buffer_store_dword v2, off, s[0:3], 0 offset:692
	buffer_store_dword v1, off, s[0:3], 0 offset:688
	;; [unrolled: 1-line block ×4, first 2 shown]
.LBB59_131:
	s_or_b32 exec_lo, exec_lo, s6
	v_mov_b32_e32 v4, s25
	v_cmp_lt_u32_e64 s4, 42, v0
	s_clause 0x3
	buffer_load_dword v1, v4, s[0:3], 0 offen
	buffer_load_dword v2, v4, s[0:3], 0 offen offset:4
	buffer_load_dword v3, v4, s[0:3], 0 offen offset:8
	buffer_load_dword v4, v4, s[0:3], 0 offen offset:12
	s_waitcnt vmcnt(0)
	ds_write_b128 v10, v[1:4]
	s_waitcnt lgkmcnt(0)
	s_waitcnt_vscnt null, 0x0
	s_barrier
	buffer_gl0_inv
	s_and_saveexec_b32 s6, s4
	s_cbranch_execz .LBB59_139
; %bb.132:
	ds_read_b128 v[1:4], v10
	s_andn2_b32 vcc_lo, exec_lo, s68
	s_cbranch_vccnz .LBB59_134
; %bb.133:
	s_clause 0x3
	buffer_load_dword v11, v9, s[0:3], 0 offen offset:8
	buffer_load_dword v12, v9, s[0:3], 0 offen offset:12
	buffer_load_dword v129, v9, s[0:3], 0 offen
	buffer_load_dword v130, v9, s[0:3], 0 offen offset:4
	s_waitcnt vmcnt(2) lgkmcnt(0)
	v_mul_f64 v[131:132], v[3:4], v[11:12]
	v_mul_f64 v[11:12], v[1:2], v[11:12]
	s_waitcnt vmcnt(0)
	v_fma_f64 v[1:2], v[1:2], v[129:130], -v[131:132]
	v_fma_f64 v[3:4], v[3:4], v[129:130], v[11:12]
.LBB59_134:
	s_and_saveexec_b32 s8, s5
	s_cbranch_execz .LBB59_138
; %bb.135:
	v_subrev_nc_u32_e32 v11, 43, v0
	s_movk_i32 s69, 0x670
	s_mov_b32 s5, 0
	s_mov_b32 s70, s24
	.p2align	6
.LBB59_136:                             ; =>This Inner Loop Header: Depth=1
	v_mov_b32_e32 v12, s70
	v_add_nc_u32_e32 v11, -1, v11
	s_add_i32 s70, s70, 16
	s_clause 0x3
	buffer_load_dword v133, v12, s[0:3], 0 offen offset:8
	buffer_load_dword v134, v12, s[0:3], 0 offen offset:12
	buffer_load_dword v135, v12, s[0:3], 0 offen
	buffer_load_dword v136, v12, s[0:3], 0 offen offset:4
	v_mov_b32_e32 v12, s69
	v_cmp_eq_u32_e32 vcc_lo, 0, v11
	s_add_i32 s69, s69, 16
	ds_read_b128 v[129:132], v12
	s_or_b32 s5, vcc_lo, s5
	s_waitcnt vmcnt(2) lgkmcnt(0)
	v_mul_f64 v[137:138], v[131:132], v[133:134]
	v_mul_f64 v[133:134], v[129:130], v[133:134]
	s_waitcnt vmcnt(0)
	v_fma_f64 v[129:130], v[129:130], v[135:136], -v[137:138]
	v_fma_f64 v[131:132], v[131:132], v[135:136], v[133:134]
	v_add_f64 v[1:2], v[1:2], v[129:130]
	v_add_f64 v[3:4], v[3:4], v[131:132]
	s_andn2_b32 exec_lo, exec_lo, s5
	s_cbranch_execnz .LBB59_136
; %bb.137:
	s_or_b32 exec_lo, exec_lo, s5
.LBB59_138:
	s_or_b32 exec_lo, exec_lo, s8
	v_mov_b32_e32 v11, 0
	ds_read_b128 v[129:132], v11 offset:672
	s_waitcnt lgkmcnt(0)
	v_mul_f64 v[11:12], v[3:4], v[131:132]
	v_mul_f64 v[131:132], v[1:2], v[131:132]
	v_fma_f64 v[1:2], v[1:2], v[129:130], -v[11:12]
	v_fma_f64 v[3:4], v[3:4], v[129:130], v[131:132]
	buffer_store_dword v2, off, s[0:3], 0 offset:676
	buffer_store_dword v1, off, s[0:3], 0 offset:672
	;; [unrolled: 1-line block ×4, first 2 shown]
.LBB59_139:
	s_or_b32 exec_lo, exec_lo, s6
	v_mov_b32_e32 v4, s26
	v_cmp_lt_u32_e64 s5, 41, v0
	s_clause 0x3
	buffer_load_dword v1, v4, s[0:3], 0 offen
	buffer_load_dword v2, v4, s[0:3], 0 offen offset:4
	buffer_load_dword v3, v4, s[0:3], 0 offen offset:8
	buffer_load_dword v4, v4, s[0:3], 0 offen offset:12
	s_waitcnt vmcnt(0)
	ds_write_b128 v10, v[1:4]
	s_waitcnt lgkmcnt(0)
	s_waitcnt_vscnt null, 0x0
	s_barrier
	buffer_gl0_inv
	s_and_saveexec_b32 s6, s5
	s_cbranch_execz .LBB59_147
; %bb.140:
	ds_read_b128 v[1:4], v10
	s_andn2_b32 vcc_lo, exec_lo, s68
	s_cbranch_vccnz .LBB59_142
; %bb.141:
	s_clause 0x3
	buffer_load_dword v11, v9, s[0:3], 0 offen offset:8
	buffer_load_dword v12, v9, s[0:3], 0 offen offset:12
	buffer_load_dword v129, v9, s[0:3], 0 offen
	buffer_load_dword v130, v9, s[0:3], 0 offen offset:4
	s_waitcnt vmcnt(2) lgkmcnt(0)
	v_mul_f64 v[131:132], v[3:4], v[11:12]
	v_mul_f64 v[11:12], v[1:2], v[11:12]
	s_waitcnt vmcnt(0)
	v_fma_f64 v[1:2], v[1:2], v[129:130], -v[131:132]
	v_fma_f64 v[3:4], v[3:4], v[129:130], v[11:12]
.LBB59_142:
	s_and_saveexec_b32 s8, s4
	s_cbranch_execz .LBB59_146
; %bb.143:
	v_subrev_nc_u32_e32 v11, 42, v0
	s_movk_i32 s69, 0x660
	s_mov_b32 s4, 0
	s_mov_b32 s70, s25
	.p2align	6
.LBB59_144:                             ; =>This Inner Loop Header: Depth=1
	v_mov_b32_e32 v12, s70
	v_add_nc_u32_e32 v11, -1, v11
	s_add_i32 s70, s70, 16
	s_clause 0x3
	buffer_load_dword v133, v12, s[0:3], 0 offen offset:8
	buffer_load_dword v134, v12, s[0:3], 0 offen offset:12
	buffer_load_dword v135, v12, s[0:3], 0 offen
	buffer_load_dword v136, v12, s[0:3], 0 offen offset:4
	v_mov_b32_e32 v12, s69
	v_cmp_eq_u32_e32 vcc_lo, 0, v11
	s_add_i32 s69, s69, 16
	ds_read_b128 v[129:132], v12
	s_or_b32 s4, vcc_lo, s4
	s_waitcnt vmcnt(2) lgkmcnt(0)
	v_mul_f64 v[137:138], v[131:132], v[133:134]
	v_mul_f64 v[133:134], v[129:130], v[133:134]
	s_waitcnt vmcnt(0)
	v_fma_f64 v[129:130], v[129:130], v[135:136], -v[137:138]
	v_fma_f64 v[131:132], v[131:132], v[135:136], v[133:134]
	v_add_f64 v[1:2], v[1:2], v[129:130]
	v_add_f64 v[3:4], v[3:4], v[131:132]
	s_andn2_b32 exec_lo, exec_lo, s4
	s_cbranch_execnz .LBB59_144
; %bb.145:
	s_or_b32 exec_lo, exec_lo, s4
.LBB59_146:
	s_or_b32 exec_lo, exec_lo, s8
	v_mov_b32_e32 v11, 0
	ds_read_b128 v[129:132], v11 offset:656
	s_waitcnt lgkmcnt(0)
	v_mul_f64 v[11:12], v[3:4], v[131:132]
	v_mul_f64 v[131:132], v[1:2], v[131:132]
	v_fma_f64 v[1:2], v[1:2], v[129:130], -v[11:12]
	v_fma_f64 v[3:4], v[3:4], v[129:130], v[131:132]
	buffer_store_dword v2, off, s[0:3], 0 offset:660
	buffer_store_dword v1, off, s[0:3], 0 offset:656
	;; [unrolled: 1-line block ×4, first 2 shown]
.LBB59_147:
	s_or_b32 exec_lo, exec_lo, s6
	v_mov_b32_e32 v4, s27
	v_cmp_lt_u32_e64 s4, 40, v0
	s_clause 0x3
	buffer_load_dword v1, v4, s[0:3], 0 offen
	buffer_load_dword v2, v4, s[0:3], 0 offen offset:4
	buffer_load_dword v3, v4, s[0:3], 0 offen offset:8
	buffer_load_dword v4, v4, s[0:3], 0 offen offset:12
	s_waitcnt vmcnt(0)
	ds_write_b128 v10, v[1:4]
	s_waitcnt lgkmcnt(0)
	s_waitcnt_vscnt null, 0x0
	s_barrier
	buffer_gl0_inv
	s_and_saveexec_b32 s6, s4
	s_cbranch_execz .LBB59_155
; %bb.148:
	ds_read_b128 v[1:4], v10
	s_andn2_b32 vcc_lo, exec_lo, s68
	s_cbranch_vccnz .LBB59_150
; %bb.149:
	s_clause 0x3
	buffer_load_dword v11, v9, s[0:3], 0 offen offset:8
	buffer_load_dword v12, v9, s[0:3], 0 offen offset:12
	buffer_load_dword v129, v9, s[0:3], 0 offen
	buffer_load_dword v130, v9, s[0:3], 0 offen offset:4
	s_waitcnt vmcnt(2) lgkmcnt(0)
	v_mul_f64 v[131:132], v[3:4], v[11:12]
	v_mul_f64 v[11:12], v[1:2], v[11:12]
	s_waitcnt vmcnt(0)
	v_fma_f64 v[1:2], v[1:2], v[129:130], -v[131:132]
	v_fma_f64 v[3:4], v[3:4], v[129:130], v[11:12]
.LBB59_150:
	s_and_saveexec_b32 s8, s5
	s_cbranch_execz .LBB59_154
; %bb.151:
	v_subrev_nc_u32_e32 v11, 41, v0
	s_movk_i32 s69, 0x650
	s_mov_b32 s5, 0
	s_mov_b32 s70, s26
	.p2align	6
.LBB59_152:                             ; =>This Inner Loop Header: Depth=1
	v_mov_b32_e32 v12, s70
	v_add_nc_u32_e32 v11, -1, v11
	s_add_i32 s70, s70, 16
	s_clause 0x3
	buffer_load_dword v133, v12, s[0:3], 0 offen offset:8
	buffer_load_dword v134, v12, s[0:3], 0 offen offset:12
	buffer_load_dword v135, v12, s[0:3], 0 offen
	buffer_load_dword v136, v12, s[0:3], 0 offen offset:4
	v_mov_b32_e32 v12, s69
	v_cmp_eq_u32_e32 vcc_lo, 0, v11
	s_add_i32 s69, s69, 16
	ds_read_b128 v[129:132], v12
	s_or_b32 s5, vcc_lo, s5
	s_waitcnt vmcnt(2) lgkmcnt(0)
	v_mul_f64 v[137:138], v[131:132], v[133:134]
	v_mul_f64 v[133:134], v[129:130], v[133:134]
	s_waitcnt vmcnt(0)
	v_fma_f64 v[129:130], v[129:130], v[135:136], -v[137:138]
	v_fma_f64 v[131:132], v[131:132], v[135:136], v[133:134]
	v_add_f64 v[1:2], v[1:2], v[129:130]
	v_add_f64 v[3:4], v[3:4], v[131:132]
	s_andn2_b32 exec_lo, exec_lo, s5
	s_cbranch_execnz .LBB59_152
; %bb.153:
	s_or_b32 exec_lo, exec_lo, s5
.LBB59_154:
	s_or_b32 exec_lo, exec_lo, s8
	v_mov_b32_e32 v11, 0
	ds_read_b128 v[129:132], v11 offset:640
	s_waitcnt lgkmcnt(0)
	v_mul_f64 v[11:12], v[3:4], v[131:132]
	v_mul_f64 v[131:132], v[1:2], v[131:132]
	v_fma_f64 v[1:2], v[1:2], v[129:130], -v[11:12]
	v_fma_f64 v[3:4], v[3:4], v[129:130], v[131:132]
	buffer_store_dword v2, off, s[0:3], 0 offset:644
	buffer_store_dword v1, off, s[0:3], 0 offset:640
	;; [unrolled: 1-line block ×4, first 2 shown]
.LBB59_155:
	s_or_b32 exec_lo, exec_lo, s6
	v_mov_b32_e32 v4, s28
	v_cmp_lt_u32_e64 s5, 39, v0
	s_clause 0x3
	buffer_load_dword v1, v4, s[0:3], 0 offen
	buffer_load_dword v2, v4, s[0:3], 0 offen offset:4
	buffer_load_dword v3, v4, s[0:3], 0 offen offset:8
	;; [unrolled: 1-line block ×3, first 2 shown]
	s_waitcnt vmcnt(0)
	ds_write_b128 v10, v[1:4]
	s_waitcnt lgkmcnt(0)
	s_waitcnt_vscnt null, 0x0
	s_barrier
	buffer_gl0_inv
	s_and_saveexec_b32 s6, s5
	s_cbranch_execz .LBB59_163
; %bb.156:
	ds_read_b128 v[1:4], v10
	s_andn2_b32 vcc_lo, exec_lo, s68
	s_cbranch_vccnz .LBB59_158
; %bb.157:
	s_clause 0x3
	buffer_load_dword v11, v9, s[0:3], 0 offen offset:8
	buffer_load_dword v12, v9, s[0:3], 0 offen offset:12
	buffer_load_dword v129, v9, s[0:3], 0 offen
	buffer_load_dword v130, v9, s[0:3], 0 offen offset:4
	s_waitcnt vmcnt(2) lgkmcnt(0)
	v_mul_f64 v[131:132], v[3:4], v[11:12]
	v_mul_f64 v[11:12], v[1:2], v[11:12]
	s_waitcnt vmcnt(0)
	v_fma_f64 v[1:2], v[1:2], v[129:130], -v[131:132]
	v_fma_f64 v[3:4], v[3:4], v[129:130], v[11:12]
.LBB59_158:
	s_and_saveexec_b32 s8, s4
	s_cbranch_execz .LBB59_162
; %bb.159:
	v_subrev_nc_u32_e32 v11, 40, v0
	s_movk_i32 s69, 0x640
	s_mov_b32 s4, 0
	s_mov_b32 s70, s27
	.p2align	6
.LBB59_160:                             ; =>This Inner Loop Header: Depth=1
	v_mov_b32_e32 v12, s70
	v_add_nc_u32_e32 v11, -1, v11
	s_add_i32 s70, s70, 16
	s_clause 0x3
	buffer_load_dword v133, v12, s[0:3], 0 offen offset:8
	buffer_load_dword v134, v12, s[0:3], 0 offen offset:12
	buffer_load_dword v135, v12, s[0:3], 0 offen
	buffer_load_dword v136, v12, s[0:3], 0 offen offset:4
	v_mov_b32_e32 v12, s69
	v_cmp_eq_u32_e32 vcc_lo, 0, v11
	s_add_i32 s69, s69, 16
	ds_read_b128 v[129:132], v12
	s_or_b32 s4, vcc_lo, s4
	s_waitcnt vmcnt(2) lgkmcnt(0)
	v_mul_f64 v[137:138], v[131:132], v[133:134]
	v_mul_f64 v[133:134], v[129:130], v[133:134]
	s_waitcnt vmcnt(0)
	v_fma_f64 v[129:130], v[129:130], v[135:136], -v[137:138]
	v_fma_f64 v[131:132], v[131:132], v[135:136], v[133:134]
	v_add_f64 v[1:2], v[1:2], v[129:130]
	v_add_f64 v[3:4], v[3:4], v[131:132]
	s_andn2_b32 exec_lo, exec_lo, s4
	s_cbranch_execnz .LBB59_160
; %bb.161:
	s_or_b32 exec_lo, exec_lo, s4
.LBB59_162:
	s_or_b32 exec_lo, exec_lo, s8
	v_mov_b32_e32 v11, 0
	ds_read_b128 v[129:132], v11 offset:624
	s_waitcnt lgkmcnt(0)
	v_mul_f64 v[11:12], v[3:4], v[131:132]
	v_mul_f64 v[131:132], v[1:2], v[131:132]
	v_fma_f64 v[1:2], v[1:2], v[129:130], -v[11:12]
	v_fma_f64 v[3:4], v[3:4], v[129:130], v[131:132]
	buffer_store_dword v2, off, s[0:3], 0 offset:628
	buffer_store_dword v1, off, s[0:3], 0 offset:624
	;; [unrolled: 1-line block ×4, first 2 shown]
.LBB59_163:
	s_or_b32 exec_lo, exec_lo, s6
	v_mov_b32_e32 v4, s29
	v_cmp_lt_u32_e64 s4, 38, v0
	s_clause 0x3
	buffer_load_dword v1, v4, s[0:3], 0 offen
	buffer_load_dword v2, v4, s[0:3], 0 offen offset:4
	buffer_load_dword v3, v4, s[0:3], 0 offen offset:8
	;; [unrolled: 1-line block ×3, first 2 shown]
	s_waitcnt vmcnt(0)
	ds_write_b128 v10, v[1:4]
	s_waitcnt lgkmcnt(0)
	s_waitcnt_vscnt null, 0x0
	s_barrier
	buffer_gl0_inv
	s_and_saveexec_b32 s6, s4
	s_cbranch_execz .LBB59_171
; %bb.164:
	ds_read_b128 v[1:4], v10
	s_andn2_b32 vcc_lo, exec_lo, s68
	s_cbranch_vccnz .LBB59_166
; %bb.165:
	s_clause 0x3
	buffer_load_dword v11, v9, s[0:3], 0 offen offset:8
	buffer_load_dword v12, v9, s[0:3], 0 offen offset:12
	buffer_load_dword v129, v9, s[0:3], 0 offen
	buffer_load_dword v130, v9, s[0:3], 0 offen offset:4
	s_waitcnt vmcnt(2) lgkmcnt(0)
	v_mul_f64 v[131:132], v[3:4], v[11:12]
	v_mul_f64 v[11:12], v[1:2], v[11:12]
	s_waitcnt vmcnt(0)
	v_fma_f64 v[1:2], v[1:2], v[129:130], -v[131:132]
	v_fma_f64 v[3:4], v[3:4], v[129:130], v[11:12]
.LBB59_166:
	s_and_saveexec_b32 s8, s5
	s_cbranch_execz .LBB59_170
; %bb.167:
	v_subrev_nc_u32_e32 v11, 39, v0
	s_movk_i32 s69, 0x630
	s_mov_b32 s5, 0
	s_mov_b32 s70, s28
	.p2align	6
.LBB59_168:                             ; =>This Inner Loop Header: Depth=1
	v_mov_b32_e32 v12, s70
	v_add_nc_u32_e32 v11, -1, v11
	s_add_i32 s70, s70, 16
	s_clause 0x3
	buffer_load_dword v133, v12, s[0:3], 0 offen offset:8
	buffer_load_dword v134, v12, s[0:3], 0 offen offset:12
	buffer_load_dword v135, v12, s[0:3], 0 offen
	buffer_load_dword v136, v12, s[0:3], 0 offen offset:4
	v_mov_b32_e32 v12, s69
	v_cmp_eq_u32_e32 vcc_lo, 0, v11
	s_add_i32 s69, s69, 16
	ds_read_b128 v[129:132], v12
	s_or_b32 s5, vcc_lo, s5
	s_waitcnt vmcnt(2) lgkmcnt(0)
	v_mul_f64 v[137:138], v[131:132], v[133:134]
	v_mul_f64 v[133:134], v[129:130], v[133:134]
	s_waitcnt vmcnt(0)
	v_fma_f64 v[129:130], v[129:130], v[135:136], -v[137:138]
	v_fma_f64 v[131:132], v[131:132], v[135:136], v[133:134]
	v_add_f64 v[1:2], v[1:2], v[129:130]
	v_add_f64 v[3:4], v[3:4], v[131:132]
	s_andn2_b32 exec_lo, exec_lo, s5
	s_cbranch_execnz .LBB59_168
; %bb.169:
	s_or_b32 exec_lo, exec_lo, s5
.LBB59_170:
	s_or_b32 exec_lo, exec_lo, s8
	v_mov_b32_e32 v11, 0
	ds_read_b128 v[129:132], v11 offset:608
	s_waitcnt lgkmcnt(0)
	v_mul_f64 v[11:12], v[3:4], v[131:132]
	v_mul_f64 v[131:132], v[1:2], v[131:132]
	v_fma_f64 v[1:2], v[1:2], v[129:130], -v[11:12]
	v_fma_f64 v[3:4], v[3:4], v[129:130], v[131:132]
	buffer_store_dword v2, off, s[0:3], 0 offset:612
	buffer_store_dword v1, off, s[0:3], 0 offset:608
	buffer_store_dword v4, off, s[0:3], 0 offset:620
	buffer_store_dword v3, off, s[0:3], 0 offset:616
.LBB59_171:
	s_or_b32 exec_lo, exec_lo, s6
	v_mov_b32_e32 v4, s30
	v_cmp_lt_u32_e64 s5, 37, v0
	s_clause 0x3
	buffer_load_dword v1, v4, s[0:3], 0 offen
	buffer_load_dword v2, v4, s[0:3], 0 offen offset:4
	buffer_load_dword v3, v4, s[0:3], 0 offen offset:8
	;; [unrolled: 1-line block ×3, first 2 shown]
	s_waitcnt vmcnt(0)
	ds_write_b128 v10, v[1:4]
	s_waitcnt lgkmcnt(0)
	s_waitcnt_vscnt null, 0x0
	s_barrier
	buffer_gl0_inv
	s_and_saveexec_b32 s6, s5
	s_cbranch_execz .LBB59_179
; %bb.172:
	ds_read_b128 v[1:4], v10
	s_andn2_b32 vcc_lo, exec_lo, s68
	s_cbranch_vccnz .LBB59_174
; %bb.173:
	s_clause 0x3
	buffer_load_dword v11, v9, s[0:3], 0 offen offset:8
	buffer_load_dword v12, v9, s[0:3], 0 offen offset:12
	buffer_load_dword v129, v9, s[0:3], 0 offen
	buffer_load_dword v130, v9, s[0:3], 0 offen offset:4
	s_waitcnt vmcnt(2) lgkmcnt(0)
	v_mul_f64 v[131:132], v[3:4], v[11:12]
	v_mul_f64 v[11:12], v[1:2], v[11:12]
	s_waitcnt vmcnt(0)
	v_fma_f64 v[1:2], v[1:2], v[129:130], -v[131:132]
	v_fma_f64 v[3:4], v[3:4], v[129:130], v[11:12]
.LBB59_174:
	s_and_saveexec_b32 s8, s4
	s_cbranch_execz .LBB59_178
; %bb.175:
	v_subrev_nc_u32_e32 v11, 38, v0
	s_movk_i32 s69, 0x620
	s_mov_b32 s4, 0
	s_mov_b32 s70, s29
	.p2align	6
.LBB59_176:                             ; =>This Inner Loop Header: Depth=1
	v_mov_b32_e32 v12, s70
	v_add_nc_u32_e32 v11, -1, v11
	s_add_i32 s70, s70, 16
	s_clause 0x3
	buffer_load_dword v133, v12, s[0:3], 0 offen offset:8
	buffer_load_dword v134, v12, s[0:3], 0 offen offset:12
	buffer_load_dword v135, v12, s[0:3], 0 offen
	buffer_load_dword v136, v12, s[0:3], 0 offen offset:4
	v_mov_b32_e32 v12, s69
	v_cmp_eq_u32_e32 vcc_lo, 0, v11
	s_add_i32 s69, s69, 16
	ds_read_b128 v[129:132], v12
	s_or_b32 s4, vcc_lo, s4
	s_waitcnt vmcnt(2) lgkmcnt(0)
	v_mul_f64 v[137:138], v[131:132], v[133:134]
	v_mul_f64 v[133:134], v[129:130], v[133:134]
	s_waitcnt vmcnt(0)
	v_fma_f64 v[129:130], v[129:130], v[135:136], -v[137:138]
	v_fma_f64 v[131:132], v[131:132], v[135:136], v[133:134]
	v_add_f64 v[1:2], v[1:2], v[129:130]
	v_add_f64 v[3:4], v[3:4], v[131:132]
	s_andn2_b32 exec_lo, exec_lo, s4
	s_cbranch_execnz .LBB59_176
; %bb.177:
	s_or_b32 exec_lo, exec_lo, s4
.LBB59_178:
	s_or_b32 exec_lo, exec_lo, s8
	v_mov_b32_e32 v11, 0
	ds_read_b128 v[129:132], v11 offset:592
	s_waitcnt lgkmcnt(0)
	v_mul_f64 v[11:12], v[3:4], v[131:132]
	v_mul_f64 v[131:132], v[1:2], v[131:132]
	v_fma_f64 v[1:2], v[1:2], v[129:130], -v[11:12]
	v_fma_f64 v[3:4], v[3:4], v[129:130], v[131:132]
	buffer_store_dword v2, off, s[0:3], 0 offset:596
	buffer_store_dword v1, off, s[0:3], 0 offset:592
	buffer_store_dword v4, off, s[0:3], 0 offset:604
	buffer_store_dword v3, off, s[0:3], 0 offset:600
.LBB59_179:
	s_or_b32 exec_lo, exec_lo, s6
	v_mov_b32_e32 v4, s31
	v_cmp_lt_u32_e64 s4, 36, v0
	s_clause 0x3
	buffer_load_dword v1, v4, s[0:3], 0 offen
	buffer_load_dword v2, v4, s[0:3], 0 offen offset:4
	buffer_load_dword v3, v4, s[0:3], 0 offen offset:8
	;; [unrolled: 1-line block ×3, first 2 shown]
	s_waitcnt vmcnt(0)
	ds_write_b128 v10, v[1:4]
	s_waitcnt lgkmcnt(0)
	s_waitcnt_vscnt null, 0x0
	s_barrier
	buffer_gl0_inv
	s_and_saveexec_b32 s6, s4
	s_cbranch_execz .LBB59_187
; %bb.180:
	ds_read_b128 v[1:4], v10
	s_andn2_b32 vcc_lo, exec_lo, s68
	s_cbranch_vccnz .LBB59_182
; %bb.181:
	s_clause 0x3
	buffer_load_dword v11, v9, s[0:3], 0 offen offset:8
	buffer_load_dword v12, v9, s[0:3], 0 offen offset:12
	buffer_load_dword v129, v9, s[0:3], 0 offen
	buffer_load_dword v130, v9, s[0:3], 0 offen offset:4
	s_waitcnt vmcnt(2) lgkmcnt(0)
	v_mul_f64 v[131:132], v[3:4], v[11:12]
	v_mul_f64 v[11:12], v[1:2], v[11:12]
	s_waitcnt vmcnt(0)
	v_fma_f64 v[1:2], v[1:2], v[129:130], -v[131:132]
	v_fma_f64 v[3:4], v[3:4], v[129:130], v[11:12]
.LBB59_182:
	s_and_saveexec_b32 s8, s5
	s_cbranch_execz .LBB59_186
; %bb.183:
	v_subrev_nc_u32_e32 v11, 37, v0
	s_movk_i32 s69, 0x610
	s_mov_b32 s5, 0
	s_mov_b32 s70, s30
	.p2align	6
.LBB59_184:                             ; =>This Inner Loop Header: Depth=1
	v_mov_b32_e32 v12, s70
	v_add_nc_u32_e32 v11, -1, v11
	s_add_i32 s70, s70, 16
	s_clause 0x3
	buffer_load_dword v133, v12, s[0:3], 0 offen offset:8
	buffer_load_dword v134, v12, s[0:3], 0 offen offset:12
	buffer_load_dword v135, v12, s[0:3], 0 offen
	buffer_load_dword v136, v12, s[0:3], 0 offen offset:4
	v_mov_b32_e32 v12, s69
	v_cmp_eq_u32_e32 vcc_lo, 0, v11
	s_add_i32 s69, s69, 16
	ds_read_b128 v[129:132], v12
	s_or_b32 s5, vcc_lo, s5
	s_waitcnt vmcnt(2) lgkmcnt(0)
	v_mul_f64 v[137:138], v[131:132], v[133:134]
	v_mul_f64 v[133:134], v[129:130], v[133:134]
	s_waitcnt vmcnt(0)
	v_fma_f64 v[129:130], v[129:130], v[135:136], -v[137:138]
	v_fma_f64 v[131:132], v[131:132], v[135:136], v[133:134]
	v_add_f64 v[1:2], v[1:2], v[129:130]
	v_add_f64 v[3:4], v[3:4], v[131:132]
	s_andn2_b32 exec_lo, exec_lo, s5
	s_cbranch_execnz .LBB59_184
; %bb.185:
	s_or_b32 exec_lo, exec_lo, s5
.LBB59_186:
	s_or_b32 exec_lo, exec_lo, s8
	v_mov_b32_e32 v11, 0
	ds_read_b128 v[129:132], v11 offset:576
	s_waitcnt lgkmcnt(0)
	v_mul_f64 v[11:12], v[3:4], v[131:132]
	v_mul_f64 v[131:132], v[1:2], v[131:132]
	v_fma_f64 v[1:2], v[1:2], v[129:130], -v[11:12]
	v_fma_f64 v[3:4], v[3:4], v[129:130], v[131:132]
	buffer_store_dword v2, off, s[0:3], 0 offset:580
	buffer_store_dword v1, off, s[0:3], 0 offset:576
	;; [unrolled: 1-line block ×4, first 2 shown]
.LBB59_187:
	s_or_b32 exec_lo, exec_lo, s6
	v_mov_b32_e32 v4, s33
	v_cmp_lt_u32_e64 s5, 35, v0
	s_clause 0x3
	buffer_load_dword v1, v4, s[0:3], 0 offen
	buffer_load_dword v2, v4, s[0:3], 0 offen offset:4
	buffer_load_dword v3, v4, s[0:3], 0 offen offset:8
	;; [unrolled: 1-line block ×3, first 2 shown]
	s_waitcnt vmcnt(0)
	ds_write_b128 v10, v[1:4]
	s_waitcnt lgkmcnt(0)
	s_waitcnt_vscnt null, 0x0
	s_barrier
	buffer_gl0_inv
	s_and_saveexec_b32 s6, s5
	s_cbranch_execz .LBB59_195
; %bb.188:
	ds_read_b128 v[1:4], v10
	s_andn2_b32 vcc_lo, exec_lo, s68
	s_cbranch_vccnz .LBB59_190
; %bb.189:
	s_clause 0x3
	buffer_load_dword v11, v9, s[0:3], 0 offen offset:8
	buffer_load_dword v12, v9, s[0:3], 0 offen offset:12
	buffer_load_dword v129, v9, s[0:3], 0 offen
	buffer_load_dword v130, v9, s[0:3], 0 offen offset:4
	s_waitcnt vmcnt(2) lgkmcnt(0)
	v_mul_f64 v[131:132], v[3:4], v[11:12]
	v_mul_f64 v[11:12], v[1:2], v[11:12]
	s_waitcnt vmcnt(0)
	v_fma_f64 v[1:2], v[1:2], v[129:130], -v[131:132]
	v_fma_f64 v[3:4], v[3:4], v[129:130], v[11:12]
.LBB59_190:
	s_and_saveexec_b32 s8, s4
	s_cbranch_execz .LBB59_194
; %bb.191:
	v_subrev_nc_u32_e32 v11, 36, v0
	s_movk_i32 s69, 0x600
	s_mov_b32 s4, 0
	s_mov_b32 s70, s31
	.p2align	6
.LBB59_192:                             ; =>This Inner Loop Header: Depth=1
	v_mov_b32_e32 v12, s70
	v_add_nc_u32_e32 v11, -1, v11
	s_add_i32 s70, s70, 16
	s_clause 0x3
	buffer_load_dword v133, v12, s[0:3], 0 offen offset:8
	buffer_load_dword v134, v12, s[0:3], 0 offen offset:12
	buffer_load_dword v135, v12, s[0:3], 0 offen
	buffer_load_dword v136, v12, s[0:3], 0 offen offset:4
	v_mov_b32_e32 v12, s69
	v_cmp_eq_u32_e32 vcc_lo, 0, v11
	s_add_i32 s69, s69, 16
	ds_read_b128 v[129:132], v12
	s_or_b32 s4, vcc_lo, s4
	s_waitcnt vmcnt(2) lgkmcnt(0)
	v_mul_f64 v[137:138], v[131:132], v[133:134]
	v_mul_f64 v[133:134], v[129:130], v[133:134]
	s_waitcnt vmcnt(0)
	v_fma_f64 v[129:130], v[129:130], v[135:136], -v[137:138]
	v_fma_f64 v[131:132], v[131:132], v[135:136], v[133:134]
	v_add_f64 v[1:2], v[1:2], v[129:130]
	v_add_f64 v[3:4], v[3:4], v[131:132]
	s_andn2_b32 exec_lo, exec_lo, s4
	s_cbranch_execnz .LBB59_192
; %bb.193:
	s_or_b32 exec_lo, exec_lo, s4
.LBB59_194:
	s_or_b32 exec_lo, exec_lo, s8
	v_mov_b32_e32 v11, 0
	ds_read_b128 v[129:132], v11 offset:560
	s_waitcnt lgkmcnt(0)
	v_mul_f64 v[11:12], v[3:4], v[131:132]
	v_mul_f64 v[131:132], v[1:2], v[131:132]
	v_fma_f64 v[1:2], v[1:2], v[129:130], -v[11:12]
	v_fma_f64 v[3:4], v[3:4], v[129:130], v[131:132]
	buffer_store_dword v2, off, s[0:3], 0 offset:564
	buffer_store_dword v1, off, s[0:3], 0 offset:560
	;; [unrolled: 1-line block ×4, first 2 shown]
.LBB59_195:
	s_or_b32 exec_lo, exec_lo, s6
	v_mov_b32_e32 v4, s34
	v_cmp_lt_u32_e64 s4, 34, v0
	s_clause 0x3
	buffer_load_dword v1, v4, s[0:3], 0 offen
	buffer_load_dword v2, v4, s[0:3], 0 offen offset:4
	buffer_load_dword v3, v4, s[0:3], 0 offen offset:8
	;; [unrolled: 1-line block ×3, first 2 shown]
	s_waitcnt vmcnt(0)
	ds_write_b128 v10, v[1:4]
	s_waitcnt lgkmcnt(0)
	s_waitcnt_vscnt null, 0x0
	s_barrier
	buffer_gl0_inv
	s_and_saveexec_b32 s6, s4
	s_cbranch_execz .LBB59_203
; %bb.196:
	ds_read_b128 v[1:4], v10
	s_andn2_b32 vcc_lo, exec_lo, s68
	s_cbranch_vccnz .LBB59_198
; %bb.197:
	s_clause 0x3
	buffer_load_dword v11, v9, s[0:3], 0 offen offset:8
	buffer_load_dword v12, v9, s[0:3], 0 offen offset:12
	buffer_load_dword v129, v9, s[0:3], 0 offen
	buffer_load_dword v130, v9, s[0:3], 0 offen offset:4
	s_waitcnt vmcnt(2) lgkmcnt(0)
	v_mul_f64 v[131:132], v[3:4], v[11:12]
	v_mul_f64 v[11:12], v[1:2], v[11:12]
	s_waitcnt vmcnt(0)
	v_fma_f64 v[1:2], v[1:2], v[129:130], -v[131:132]
	v_fma_f64 v[3:4], v[3:4], v[129:130], v[11:12]
.LBB59_198:
	s_and_saveexec_b32 s8, s5
	s_cbranch_execz .LBB59_202
; %bb.199:
	v_subrev_nc_u32_e32 v11, 35, v0
	s_movk_i32 s69, 0x5f0
	s_mov_b32 s5, 0
	s_mov_b32 s70, s33
	.p2align	6
.LBB59_200:                             ; =>This Inner Loop Header: Depth=1
	v_mov_b32_e32 v12, s70
	v_add_nc_u32_e32 v11, -1, v11
	s_add_i32 s70, s70, 16
	s_clause 0x3
	buffer_load_dword v133, v12, s[0:3], 0 offen offset:8
	buffer_load_dword v134, v12, s[0:3], 0 offen offset:12
	buffer_load_dword v135, v12, s[0:3], 0 offen
	buffer_load_dword v136, v12, s[0:3], 0 offen offset:4
	v_mov_b32_e32 v12, s69
	v_cmp_eq_u32_e32 vcc_lo, 0, v11
	s_add_i32 s69, s69, 16
	ds_read_b128 v[129:132], v12
	s_or_b32 s5, vcc_lo, s5
	s_waitcnt vmcnt(2) lgkmcnt(0)
	v_mul_f64 v[137:138], v[131:132], v[133:134]
	v_mul_f64 v[133:134], v[129:130], v[133:134]
	s_waitcnt vmcnt(0)
	v_fma_f64 v[129:130], v[129:130], v[135:136], -v[137:138]
	v_fma_f64 v[131:132], v[131:132], v[135:136], v[133:134]
	v_add_f64 v[1:2], v[1:2], v[129:130]
	v_add_f64 v[3:4], v[3:4], v[131:132]
	s_andn2_b32 exec_lo, exec_lo, s5
	s_cbranch_execnz .LBB59_200
; %bb.201:
	s_or_b32 exec_lo, exec_lo, s5
.LBB59_202:
	s_or_b32 exec_lo, exec_lo, s8
	v_mov_b32_e32 v11, 0
	ds_read_b128 v[129:132], v11 offset:544
	s_waitcnt lgkmcnt(0)
	v_mul_f64 v[11:12], v[3:4], v[131:132]
	v_mul_f64 v[131:132], v[1:2], v[131:132]
	v_fma_f64 v[1:2], v[1:2], v[129:130], -v[11:12]
	v_fma_f64 v[3:4], v[3:4], v[129:130], v[131:132]
	buffer_store_dword v2, off, s[0:3], 0 offset:548
	buffer_store_dword v1, off, s[0:3], 0 offset:544
	;; [unrolled: 1-line block ×4, first 2 shown]
.LBB59_203:
	s_or_b32 exec_lo, exec_lo, s6
	v_mov_b32_e32 v4, s35
	v_cmp_lt_u32_e64 s5, 33, v0
	s_clause 0x3
	buffer_load_dword v1, v4, s[0:3], 0 offen
	buffer_load_dword v2, v4, s[0:3], 0 offen offset:4
	buffer_load_dword v3, v4, s[0:3], 0 offen offset:8
	;; [unrolled: 1-line block ×3, first 2 shown]
	s_waitcnt vmcnt(0)
	ds_write_b128 v10, v[1:4]
	s_waitcnt lgkmcnt(0)
	s_waitcnt_vscnt null, 0x0
	s_barrier
	buffer_gl0_inv
	s_and_saveexec_b32 s6, s5
	s_cbranch_execz .LBB59_211
; %bb.204:
	ds_read_b128 v[1:4], v10
	s_andn2_b32 vcc_lo, exec_lo, s68
	s_cbranch_vccnz .LBB59_206
; %bb.205:
	s_clause 0x3
	buffer_load_dword v11, v9, s[0:3], 0 offen offset:8
	buffer_load_dword v12, v9, s[0:3], 0 offen offset:12
	buffer_load_dword v129, v9, s[0:3], 0 offen
	buffer_load_dword v130, v9, s[0:3], 0 offen offset:4
	s_waitcnt vmcnt(2) lgkmcnt(0)
	v_mul_f64 v[131:132], v[3:4], v[11:12]
	v_mul_f64 v[11:12], v[1:2], v[11:12]
	s_waitcnt vmcnt(0)
	v_fma_f64 v[1:2], v[1:2], v[129:130], -v[131:132]
	v_fma_f64 v[3:4], v[3:4], v[129:130], v[11:12]
.LBB59_206:
	s_and_saveexec_b32 s8, s4
	s_cbranch_execz .LBB59_210
; %bb.207:
	v_subrev_nc_u32_e32 v11, 34, v0
	s_movk_i32 s69, 0x5e0
	s_mov_b32 s4, 0
	s_mov_b32 s70, s34
	.p2align	6
.LBB59_208:                             ; =>This Inner Loop Header: Depth=1
	v_mov_b32_e32 v12, s70
	v_add_nc_u32_e32 v11, -1, v11
	s_add_i32 s70, s70, 16
	s_clause 0x3
	buffer_load_dword v133, v12, s[0:3], 0 offen offset:8
	buffer_load_dword v134, v12, s[0:3], 0 offen offset:12
	buffer_load_dword v135, v12, s[0:3], 0 offen
	buffer_load_dword v136, v12, s[0:3], 0 offen offset:4
	v_mov_b32_e32 v12, s69
	v_cmp_eq_u32_e32 vcc_lo, 0, v11
	s_add_i32 s69, s69, 16
	ds_read_b128 v[129:132], v12
	s_or_b32 s4, vcc_lo, s4
	s_waitcnt vmcnt(2) lgkmcnt(0)
	v_mul_f64 v[137:138], v[131:132], v[133:134]
	v_mul_f64 v[133:134], v[129:130], v[133:134]
	s_waitcnt vmcnt(0)
	v_fma_f64 v[129:130], v[129:130], v[135:136], -v[137:138]
	v_fma_f64 v[131:132], v[131:132], v[135:136], v[133:134]
	v_add_f64 v[1:2], v[1:2], v[129:130]
	v_add_f64 v[3:4], v[3:4], v[131:132]
	s_andn2_b32 exec_lo, exec_lo, s4
	s_cbranch_execnz .LBB59_208
; %bb.209:
	s_or_b32 exec_lo, exec_lo, s4
.LBB59_210:
	s_or_b32 exec_lo, exec_lo, s8
	v_mov_b32_e32 v11, 0
	ds_read_b128 v[129:132], v11 offset:528
	s_waitcnt lgkmcnt(0)
	v_mul_f64 v[11:12], v[3:4], v[131:132]
	v_mul_f64 v[131:132], v[1:2], v[131:132]
	v_fma_f64 v[1:2], v[1:2], v[129:130], -v[11:12]
	v_fma_f64 v[3:4], v[3:4], v[129:130], v[131:132]
	buffer_store_dword v2, off, s[0:3], 0 offset:532
	buffer_store_dword v1, off, s[0:3], 0 offset:528
	;; [unrolled: 1-line block ×4, first 2 shown]
.LBB59_211:
	s_or_b32 exec_lo, exec_lo, s6
	v_mov_b32_e32 v4, s36
	v_cmp_lt_u32_e64 s4, 32, v0
	s_clause 0x3
	buffer_load_dword v1, v4, s[0:3], 0 offen
	buffer_load_dword v2, v4, s[0:3], 0 offen offset:4
	buffer_load_dword v3, v4, s[0:3], 0 offen offset:8
	;; [unrolled: 1-line block ×3, first 2 shown]
	s_waitcnt vmcnt(0)
	ds_write_b128 v10, v[1:4]
	s_waitcnt lgkmcnt(0)
	s_waitcnt_vscnt null, 0x0
	s_barrier
	buffer_gl0_inv
	s_and_saveexec_b32 s6, s4
	s_cbranch_execz .LBB59_219
; %bb.212:
	ds_read_b128 v[1:4], v10
	s_andn2_b32 vcc_lo, exec_lo, s68
	s_cbranch_vccnz .LBB59_214
; %bb.213:
	s_clause 0x3
	buffer_load_dword v11, v9, s[0:3], 0 offen offset:8
	buffer_load_dword v12, v9, s[0:3], 0 offen offset:12
	buffer_load_dword v129, v9, s[0:3], 0 offen
	buffer_load_dword v130, v9, s[0:3], 0 offen offset:4
	s_waitcnt vmcnt(2) lgkmcnt(0)
	v_mul_f64 v[131:132], v[3:4], v[11:12]
	v_mul_f64 v[11:12], v[1:2], v[11:12]
	s_waitcnt vmcnt(0)
	v_fma_f64 v[1:2], v[1:2], v[129:130], -v[131:132]
	v_fma_f64 v[3:4], v[3:4], v[129:130], v[11:12]
.LBB59_214:
	s_and_saveexec_b32 s8, s5
	s_cbranch_execz .LBB59_218
; %bb.215:
	v_subrev_nc_u32_e32 v11, 33, v0
	s_movk_i32 s69, 0x5d0
	s_mov_b32 s5, 0
	s_mov_b32 s70, s35
	.p2align	6
.LBB59_216:                             ; =>This Inner Loop Header: Depth=1
	v_mov_b32_e32 v12, s70
	v_add_nc_u32_e32 v11, -1, v11
	s_add_i32 s70, s70, 16
	s_clause 0x3
	buffer_load_dword v133, v12, s[0:3], 0 offen offset:8
	buffer_load_dword v134, v12, s[0:3], 0 offen offset:12
	buffer_load_dword v135, v12, s[0:3], 0 offen
	buffer_load_dword v136, v12, s[0:3], 0 offen offset:4
	v_mov_b32_e32 v12, s69
	v_cmp_eq_u32_e32 vcc_lo, 0, v11
	s_add_i32 s69, s69, 16
	ds_read_b128 v[129:132], v12
	s_or_b32 s5, vcc_lo, s5
	s_waitcnt vmcnt(2) lgkmcnt(0)
	v_mul_f64 v[137:138], v[131:132], v[133:134]
	v_mul_f64 v[133:134], v[129:130], v[133:134]
	s_waitcnt vmcnt(0)
	v_fma_f64 v[129:130], v[129:130], v[135:136], -v[137:138]
	v_fma_f64 v[131:132], v[131:132], v[135:136], v[133:134]
	v_add_f64 v[1:2], v[1:2], v[129:130]
	v_add_f64 v[3:4], v[3:4], v[131:132]
	s_andn2_b32 exec_lo, exec_lo, s5
	s_cbranch_execnz .LBB59_216
; %bb.217:
	s_or_b32 exec_lo, exec_lo, s5
.LBB59_218:
	s_or_b32 exec_lo, exec_lo, s8
	v_mov_b32_e32 v11, 0
	ds_read_b128 v[129:132], v11 offset:512
	s_waitcnt lgkmcnt(0)
	v_mul_f64 v[11:12], v[3:4], v[131:132]
	v_mul_f64 v[131:132], v[1:2], v[131:132]
	v_fma_f64 v[1:2], v[1:2], v[129:130], -v[11:12]
	v_fma_f64 v[3:4], v[3:4], v[129:130], v[131:132]
	buffer_store_dword v2, off, s[0:3], 0 offset:516
	buffer_store_dword v1, off, s[0:3], 0 offset:512
	buffer_store_dword v4, off, s[0:3], 0 offset:524
	buffer_store_dword v3, off, s[0:3], 0 offset:520
.LBB59_219:
	s_or_b32 exec_lo, exec_lo, s6
	v_mov_b32_e32 v4, s37
	v_cmp_lt_u32_e64 s5, 31, v0
	s_clause 0x3
	buffer_load_dword v1, v4, s[0:3], 0 offen
	buffer_load_dword v2, v4, s[0:3], 0 offen offset:4
	buffer_load_dword v3, v4, s[0:3], 0 offen offset:8
	;; [unrolled: 1-line block ×3, first 2 shown]
	s_waitcnt vmcnt(0)
	ds_write_b128 v10, v[1:4]
	s_waitcnt lgkmcnt(0)
	s_waitcnt_vscnt null, 0x0
	s_barrier
	buffer_gl0_inv
	s_and_saveexec_b32 s6, s5
	s_cbranch_execz .LBB59_227
; %bb.220:
	ds_read_b128 v[1:4], v10
	s_andn2_b32 vcc_lo, exec_lo, s68
	s_cbranch_vccnz .LBB59_222
; %bb.221:
	s_clause 0x3
	buffer_load_dword v11, v9, s[0:3], 0 offen offset:8
	buffer_load_dword v12, v9, s[0:3], 0 offen offset:12
	buffer_load_dword v129, v9, s[0:3], 0 offen
	buffer_load_dword v130, v9, s[0:3], 0 offen offset:4
	s_waitcnt vmcnt(2) lgkmcnt(0)
	v_mul_f64 v[131:132], v[3:4], v[11:12]
	v_mul_f64 v[11:12], v[1:2], v[11:12]
	s_waitcnt vmcnt(0)
	v_fma_f64 v[1:2], v[1:2], v[129:130], -v[131:132]
	v_fma_f64 v[3:4], v[3:4], v[129:130], v[11:12]
.LBB59_222:
	s_and_saveexec_b32 s8, s4
	s_cbranch_execz .LBB59_226
; %bb.223:
	v_subrev_nc_u32_e32 v11, 32, v0
	s_movk_i32 s69, 0x5c0
	s_mov_b32 s4, 0
	s_mov_b32 s70, s36
	.p2align	6
.LBB59_224:                             ; =>This Inner Loop Header: Depth=1
	v_mov_b32_e32 v12, s70
	v_add_nc_u32_e32 v11, -1, v11
	s_add_i32 s70, s70, 16
	s_clause 0x3
	buffer_load_dword v133, v12, s[0:3], 0 offen offset:8
	buffer_load_dword v134, v12, s[0:3], 0 offen offset:12
	buffer_load_dword v135, v12, s[0:3], 0 offen
	buffer_load_dword v136, v12, s[0:3], 0 offen offset:4
	v_mov_b32_e32 v12, s69
	v_cmp_eq_u32_e32 vcc_lo, 0, v11
	s_add_i32 s69, s69, 16
	ds_read_b128 v[129:132], v12
	s_or_b32 s4, vcc_lo, s4
	s_waitcnt vmcnt(2) lgkmcnt(0)
	v_mul_f64 v[137:138], v[131:132], v[133:134]
	v_mul_f64 v[133:134], v[129:130], v[133:134]
	s_waitcnt vmcnt(0)
	v_fma_f64 v[129:130], v[129:130], v[135:136], -v[137:138]
	v_fma_f64 v[131:132], v[131:132], v[135:136], v[133:134]
	v_add_f64 v[1:2], v[1:2], v[129:130]
	v_add_f64 v[3:4], v[3:4], v[131:132]
	s_andn2_b32 exec_lo, exec_lo, s4
	s_cbranch_execnz .LBB59_224
; %bb.225:
	s_or_b32 exec_lo, exec_lo, s4
.LBB59_226:
	s_or_b32 exec_lo, exec_lo, s8
	v_mov_b32_e32 v11, 0
	ds_read_b128 v[129:132], v11 offset:496
	s_waitcnt lgkmcnt(0)
	v_mul_f64 v[11:12], v[3:4], v[131:132]
	v_mul_f64 v[131:132], v[1:2], v[131:132]
	v_fma_f64 v[1:2], v[1:2], v[129:130], -v[11:12]
	v_fma_f64 v[3:4], v[3:4], v[129:130], v[131:132]
	buffer_store_dword v2, off, s[0:3], 0 offset:500
	buffer_store_dword v1, off, s[0:3], 0 offset:496
	buffer_store_dword v4, off, s[0:3], 0 offset:508
	buffer_store_dword v3, off, s[0:3], 0 offset:504
.LBB59_227:
	s_or_b32 exec_lo, exec_lo, s6
	v_mov_b32_e32 v4, s38
	v_cmp_lt_u32_e64 s4, 30, v0
	s_clause 0x3
	buffer_load_dword v1, v4, s[0:3], 0 offen
	buffer_load_dword v2, v4, s[0:3], 0 offen offset:4
	buffer_load_dword v3, v4, s[0:3], 0 offen offset:8
	;; [unrolled: 1-line block ×3, first 2 shown]
	s_waitcnt vmcnt(0)
	ds_write_b128 v10, v[1:4]
	s_waitcnt lgkmcnt(0)
	s_waitcnt_vscnt null, 0x0
	s_barrier
	buffer_gl0_inv
	s_and_saveexec_b32 s6, s4
	s_cbranch_execz .LBB59_235
; %bb.228:
	ds_read_b128 v[1:4], v10
	s_andn2_b32 vcc_lo, exec_lo, s68
	s_cbranch_vccnz .LBB59_230
; %bb.229:
	s_clause 0x3
	buffer_load_dword v11, v9, s[0:3], 0 offen offset:8
	buffer_load_dword v12, v9, s[0:3], 0 offen offset:12
	buffer_load_dword v129, v9, s[0:3], 0 offen
	buffer_load_dword v130, v9, s[0:3], 0 offen offset:4
	s_waitcnt vmcnt(2) lgkmcnt(0)
	v_mul_f64 v[131:132], v[3:4], v[11:12]
	v_mul_f64 v[11:12], v[1:2], v[11:12]
	s_waitcnt vmcnt(0)
	v_fma_f64 v[1:2], v[1:2], v[129:130], -v[131:132]
	v_fma_f64 v[3:4], v[3:4], v[129:130], v[11:12]
.LBB59_230:
	s_and_saveexec_b32 s8, s5
	s_cbranch_execz .LBB59_234
; %bb.231:
	v_subrev_nc_u32_e32 v11, 31, v0
	s_movk_i32 s69, 0x5b0
	s_mov_b32 s5, 0
	s_mov_b32 s70, s37
	.p2align	6
.LBB59_232:                             ; =>This Inner Loop Header: Depth=1
	v_mov_b32_e32 v12, s70
	v_add_nc_u32_e32 v11, -1, v11
	s_add_i32 s70, s70, 16
	s_clause 0x3
	buffer_load_dword v133, v12, s[0:3], 0 offen offset:8
	buffer_load_dword v134, v12, s[0:3], 0 offen offset:12
	buffer_load_dword v135, v12, s[0:3], 0 offen
	buffer_load_dword v136, v12, s[0:3], 0 offen offset:4
	v_mov_b32_e32 v12, s69
	v_cmp_eq_u32_e32 vcc_lo, 0, v11
	s_add_i32 s69, s69, 16
	ds_read_b128 v[129:132], v12
	s_or_b32 s5, vcc_lo, s5
	s_waitcnt vmcnt(2) lgkmcnt(0)
	v_mul_f64 v[137:138], v[131:132], v[133:134]
	v_mul_f64 v[133:134], v[129:130], v[133:134]
	s_waitcnt vmcnt(0)
	v_fma_f64 v[129:130], v[129:130], v[135:136], -v[137:138]
	v_fma_f64 v[131:132], v[131:132], v[135:136], v[133:134]
	v_add_f64 v[1:2], v[1:2], v[129:130]
	v_add_f64 v[3:4], v[3:4], v[131:132]
	s_andn2_b32 exec_lo, exec_lo, s5
	s_cbranch_execnz .LBB59_232
; %bb.233:
	s_or_b32 exec_lo, exec_lo, s5
.LBB59_234:
	s_or_b32 exec_lo, exec_lo, s8
	v_mov_b32_e32 v11, 0
	ds_read_b128 v[129:132], v11 offset:480
	s_waitcnt lgkmcnt(0)
	v_mul_f64 v[11:12], v[3:4], v[131:132]
	v_mul_f64 v[131:132], v[1:2], v[131:132]
	v_fma_f64 v[1:2], v[1:2], v[129:130], -v[11:12]
	v_fma_f64 v[3:4], v[3:4], v[129:130], v[131:132]
	buffer_store_dword v2, off, s[0:3], 0 offset:484
	buffer_store_dword v1, off, s[0:3], 0 offset:480
	;; [unrolled: 1-line block ×4, first 2 shown]
.LBB59_235:
	s_or_b32 exec_lo, exec_lo, s6
	v_mov_b32_e32 v4, s39
	v_cmp_lt_u32_e64 s5, 29, v0
	s_clause 0x3
	buffer_load_dword v1, v4, s[0:3], 0 offen
	buffer_load_dword v2, v4, s[0:3], 0 offen offset:4
	buffer_load_dword v3, v4, s[0:3], 0 offen offset:8
	;; [unrolled: 1-line block ×3, first 2 shown]
	s_waitcnt vmcnt(0)
	ds_write_b128 v10, v[1:4]
	s_waitcnt lgkmcnt(0)
	s_waitcnt_vscnt null, 0x0
	s_barrier
	buffer_gl0_inv
	s_and_saveexec_b32 s6, s5
	s_cbranch_execz .LBB59_243
; %bb.236:
	ds_read_b128 v[1:4], v10
	s_andn2_b32 vcc_lo, exec_lo, s68
	s_cbranch_vccnz .LBB59_238
; %bb.237:
	s_clause 0x3
	buffer_load_dword v11, v9, s[0:3], 0 offen offset:8
	buffer_load_dword v12, v9, s[0:3], 0 offen offset:12
	buffer_load_dword v129, v9, s[0:3], 0 offen
	buffer_load_dword v130, v9, s[0:3], 0 offen offset:4
	s_waitcnt vmcnt(2) lgkmcnt(0)
	v_mul_f64 v[131:132], v[3:4], v[11:12]
	v_mul_f64 v[11:12], v[1:2], v[11:12]
	s_waitcnt vmcnt(0)
	v_fma_f64 v[1:2], v[1:2], v[129:130], -v[131:132]
	v_fma_f64 v[3:4], v[3:4], v[129:130], v[11:12]
.LBB59_238:
	s_and_saveexec_b32 s8, s4
	s_cbranch_execz .LBB59_242
; %bb.239:
	v_subrev_nc_u32_e32 v11, 30, v0
	s_movk_i32 s69, 0x5a0
	s_mov_b32 s4, 0
	s_mov_b32 s70, s38
	.p2align	6
.LBB59_240:                             ; =>This Inner Loop Header: Depth=1
	v_mov_b32_e32 v12, s70
	v_add_nc_u32_e32 v11, -1, v11
	s_add_i32 s70, s70, 16
	s_clause 0x3
	buffer_load_dword v133, v12, s[0:3], 0 offen offset:8
	buffer_load_dword v134, v12, s[0:3], 0 offen offset:12
	buffer_load_dword v135, v12, s[0:3], 0 offen
	buffer_load_dword v136, v12, s[0:3], 0 offen offset:4
	v_mov_b32_e32 v12, s69
	v_cmp_eq_u32_e32 vcc_lo, 0, v11
	s_add_i32 s69, s69, 16
	ds_read_b128 v[129:132], v12
	s_or_b32 s4, vcc_lo, s4
	s_waitcnt vmcnt(2) lgkmcnt(0)
	v_mul_f64 v[137:138], v[131:132], v[133:134]
	v_mul_f64 v[133:134], v[129:130], v[133:134]
	s_waitcnt vmcnt(0)
	v_fma_f64 v[129:130], v[129:130], v[135:136], -v[137:138]
	v_fma_f64 v[131:132], v[131:132], v[135:136], v[133:134]
	v_add_f64 v[1:2], v[1:2], v[129:130]
	v_add_f64 v[3:4], v[3:4], v[131:132]
	s_andn2_b32 exec_lo, exec_lo, s4
	s_cbranch_execnz .LBB59_240
; %bb.241:
	s_or_b32 exec_lo, exec_lo, s4
.LBB59_242:
	s_or_b32 exec_lo, exec_lo, s8
	v_mov_b32_e32 v11, 0
	ds_read_b128 v[129:132], v11 offset:464
	s_waitcnt lgkmcnt(0)
	v_mul_f64 v[11:12], v[3:4], v[131:132]
	v_mul_f64 v[131:132], v[1:2], v[131:132]
	v_fma_f64 v[1:2], v[1:2], v[129:130], -v[11:12]
	v_fma_f64 v[3:4], v[3:4], v[129:130], v[131:132]
	buffer_store_dword v2, off, s[0:3], 0 offset:468
	buffer_store_dword v1, off, s[0:3], 0 offset:464
	;; [unrolled: 1-line block ×4, first 2 shown]
.LBB59_243:
	s_or_b32 exec_lo, exec_lo, s6
	v_mov_b32_e32 v4, s40
	v_cmp_lt_u32_e64 s4, 28, v0
	s_clause 0x3
	buffer_load_dword v1, v4, s[0:3], 0 offen
	buffer_load_dword v2, v4, s[0:3], 0 offen offset:4
	buffer_load_dword v3, v4, s[0:3], 0 offen offset:8
	;; [unrolled: 1-line block ×3, first 2 shown]
	s_waitcnt vmcnt(0)
	ds_write_b128 v10, v[1:4]
	s_waitcnt lgkmcnt(0)
	s_waitcnt_vscnt null, 0x0
	s_barrier
	buffer_gl0_inv
	s_and_saveexec_b32 s6, s4
	s_cbranch_execz .LBB59_251
; %bb.244:
	ds_read_b128 v[1:4], v10
	s_andn2_b32 vcc_lo, exec_lo, s68
	s_cbranch_vccnz .LBB59_246
; %bb.245:
	s_clause 0x3
	buffer_load_dword v11, v9, s[0:3], 0 offen offset:8
	buffer_load_dword v12, v9, s[0:3], 0 offen offset:12
	buffer_load_dword v129, v9, s[0:3], 0 offen
	buffer_load_dword v130, v9, s[0:3], 0 offen offset:4
	s_waitcnt vmcnt(2) lgkmcnt(0)
	v_mul_f64 v[131:132], v[3:4], v[11:12]
	v_mul_f64 v[11:12], v[1:2], v[11:12]
	s_waitcnt vmcnt(0)
	v_fma_f64 v[1:2], v[1:2], v[129:130], -v[131:132]
	v_fma_f64 v[3:4], v[3:4], v[129:130], v[11:12]
.LBB59_246:
	s_and_saveexec_b32 s8, s5
	s_cbranch_execz .LBB59_250
; %bb.247:
	v_subrev_nc_u32_e32 v11, 29, v0
	s_movk_i32 s69, 0x590
	s_mov_b32 s5, 0
	s_mov_b32 s70, s39
	.p2align	6
.LBB59_248:                             ; =>This Inner Loop Header: Depth=1
	v_mov_b32_e32 v12, s70
	v_add_nc_u32_e32 v11, -1, v11
	s_add_i32 s70, s70, 16
	s_clause 0x3
	buffer_load_dword v133, v12, s[0:3], 0 offen offset:8
	buffer_load_dword v134, v12, s[0:3], 0 offen offset:12
	buffer_load_dword v135, v12, s[0:3], 0 offen
	buffer_load_dword v136, v12, s[0:3], 0 offen offset:4
	v_mov_b32_e32 v12, s69
	v_cmp_eq_u32_e32 vcc_lo, 0, v11
	s_add_i32 s69, s69, 16
	ds_read_b128 v[129:132], v12
	s_or_b32 s5, vcc_lo, s5
	s_waitcnt vmcnt(2) lgkmcnt(0)
	v_mul_f64 v[137:138], v[131:132], v[133:134]
	v_mul_f64 v[133:134], v[129:130], v[133:134]
	s_waitcnt vmcnt(0)
	v_fma_f64 v[129:130], v[129:130], v[135:136], -v[137:138]
	v_fma_f64 v[131:132], v[131:132], v[135:136], v[133:134]
	v_add_f64 v[1:2], v[1:2], v[129:130]
	v_add_f64 v[3:4], v[3:4], v[131:132]
	s_andn2_b32 exec_lo, exec_lo, s5
	s_cbranch_execnz .LBB59_248
; %bb.249:
	s_or_b32 exec_lo, exec_lo, s5
.LBB59_250:
	s_or_b32 exec_lo, exec_lo, s8
	v_mov_b32_e32 v11, 0
	ds_read_b128 v[129:132], v11 offset:448
	s_waitcnt lgkmcnt(0)
	v_mul_f64 v[11:12], v[3:4], v[131:132]
	v_mul_f64 v[131:132], v[1:2], v[131:132]
	v_fma_f64 v[1:2], v[1:2], v[129:130], -v[11:12]
	v_fma_f64 v[3:4], v[3:4], v[129:130], v[131:132]
	buffer_store_dword v2, off, s[0:3], 0 offset:452
	buffer_store_dword v1, off, s[0:3], 0 offset:448
	;; [unrolled: 1-line block ×4, first 2 shown]
.LBB59_251:
	s_or_b32 exec_lo, exec_lo, s6
	v_mov_b32_e32 v4, s41
	v_cmp_lt_u32_e64 s5, 27, v0
	s_clause 0x3
	buffer_load_dword v1, v4, s[0:3], 0 offen
	buffer_load_dword v2, v4, s[0:3], 0 offen offset:4
	buffer_load_dword v3, v4, s[0:3], 0 offen offset:8
	;; [unrolled: 1-line block ×3, first 2 shown]
	s_waitcnt vmcnt(0)
	ds_write_b128 v10, v[1:4]
	s_waitcnt lgkmcnt(0)
	s_waitcnt_vscnt null, 0x0
	s_barrier
	buffer_gl0_inv
	s_and_saveexec_b32 s6, s5
	s_cbranch_execz .LBB59_259
; %bb.252:
	ds_read_b128 v[1:4], v10
	s_andn2_b32 vcc_lo, exec_lo, s68
	s_cbranch_vccnz .LBB59_254
; %bb.253:
	s_clause 0x3
	buffer_load_dword v11, v9, s[0:3], 0 offen offset:8
	buffer_load_dword v12, v9, s[0:3], 0 offen offset:12
	buffer_load_dword v129, v9, s[0:3], 0 offen
	buffer_load_dword v130, v9, s[0:3], 0 offen offset:4
	s_waitcnt vmcnt(2) lgkmcnt(0)
	v_mul_f64 v[131:132], v[3:4], v[11:12]
	v_mul_f64 v[11:12], v[1:2], v[11:12]
	s_waitcnt vmcnt(0)
	v_fma_f64 v[1:2], v[1:2], v[129:130], -v[131:132]
	v_fma_f64 v[3:4], v[3:4], v[129:130], v[11:12]
.LBB59_254:
	s_and_saveexec_b32 s8, s4
	s_cbranch_execz .LBB59_258
; %bb.255:
	v_subrev_nc_u32_e32 v11, 28, v0
	s_movk_i32 s69, 0x580
	s_mov_b32 s4, 0
	s_mov_b32 s70, s40
	.p2align	6
.LBB59_256:                             ; =>This Inner Loop Header: Depth=1
	v_mov_b32_e32 v12, s70
	v_add_nc_u32_e32 v11, -1, v11
	s_add_i32 s70, s70, 16
	s_clause 0x3
	buffer_load_dword v133, v12, s[0:3], 0 offen offset:8
	buffer_load_dword v134, v12, s[0:3], 0 offen offset:12
	buffer_load_dword v135, v12, s[0:3], 0 offen
	buffer_load_dword v136, v12, s[0:3], 0 offen offset:4
	v_mov_b32_e32 v12, s69
	v_cmp_eq_u32_e32 vcc_lo, 0, v11
	s_add_i32 s69, s69, 16
	ds_read_b128 v[129:132], v12
	s_or_b32 s4, vcc_lo, s4
	s_waitcnt vmcnt(2) lgkmcnt(0)
	v_mul_f64 v[137:138], v[131:132], v[133:134]
	v_mul_f64 v[133:134], v[129:130], v[133:134]
	s_waitcnt vmcnt(0)
	v_fma_f64 v[129:130], v[129:130], v[135:136], -v[137:138]
	v_fma_f64 v[131:132], v[131:132], v[135:136], v[133:134]
	v_add_f64 v[1:2], v[1:2], v[129:130]
	v_add_f64 v[3:4], v[3:4], v[131:132]
	s_andn2_b32 exec_lo, exec_lo, s4
	s_cbranch_execnz .LBB59_256
; %bb.257:
	s_or_b32 exec_lo, exec_lo, s4
.LBB59_258:
	s_or_b32 exec_lo, exec_lo, s8
	v_mov_b32_e32 v11, 0
	ds_read_b128 v[129:132], v11 offset:432
	s_waitcnt lgkmcnt(0)
	v_mul_f64 v[11:12], v[3:4], v[131:132]
	v_mul_f64 v[131:132], v[1:2], v[131:132]
	v_fma_f64 v[1:2], v[1:2], v[129:130], -v[11:12]
	v_fma_f64 v[3:4], v[3:4], v[129:130], v[131:132]
	buffer_store_dword v2, off, s[0:3], 0 offset:436
	buffer_store_dword v1, off, s[0:3], 0 offset:432
	;; [unrolled: 1-line block ×4, first 2 shown]
.LBB59_259:
	s_or_b32 exec_lo, exec_lo, s6
	v_mov_b32_e32 v4, s42
	v_cmp_lt_u32_e64 s4, 26, v0
	s_clause 0x3
	buffer_load_dword v1, v4, s[0:3], 0 offen
	buffer_load_dword v2, v4, s[0:3], 0 offen offset:4
	buffer_load_dword v3, v4, s[0:3], 0 offen offset:8
	;; [unrolled: 1-line block ×3, first 2 shown]
	s_waitcnt vmcnt(0)
	ds_write_b128 v10, v[1:4]
	s_waitcnt lgkmcnt(0)
	s_waitcnt_vscnt null, 0x0
	s_barrier
	buffer_gl0_inv
	s_and_saveexec_b32 s6, s4
	s_cbranch_execz .LBB59_267
; %bb.260:
	ds_read_b128 v[1:4], v10
	s_andn2_b32 vcc_lo, exec_lo, s68
	s_cbranch_vccnz .LBB59_262
; %bb.261:
	s_clause 0x3
	buffer_load_dword v11, v9, s[0:3], 0 offen offset:8
	buffer_load_dword v12, v9, s[0:3], 0 offen offset:12
	buffer_load_dword v129, v9, s[0:3], 0 offen
	buffer_load_dword v130, v9, s[0:3], 0 offen offset:4
	s_waitcnt vmcnt(2) lgkmcnt(0)
	v_mul_f64 v[131:132], v[3:4], v[11:12]
	v_mul_f64 v[11:12], v[1:2], v[11:12]
	s_waitcnt vmcnt(0)
	v_fma_f64 v[1:2], v[1:2], v[129:130], -v[131:132]
	v_fma_f64 v[3:4], v[3:4], v[129:130], v[11:12]
.LBB59_262:
	s_and_saveexec_b32 s8, s5
	s_cbranch_execz .LBB59_266
; %bb.263:
	v_subrev_nc_u32_e32 v11, 27, v0
	s_movk_i32 s69, 0x570
	s_mov_b32 s5, 0
	s_mov_b32 s70, s41
	.p2align	6
.LBB59_264:                             ; =>This Inner Loop Header: Depth=1
	v_mov_b32_e32 v12, s70
	v_add_nc_u32_e32 v11, -1, v11
	s_add_i32 s70, s70, 16
	s_clause 0x3
	buffer_load_dword v133, v12, s[0:3], 0 offen offset:8
	buffer_load_dword v134, v12, s[0:3], 0 offen offset:12
	buffer_load_dword v135, v12, s[0:3], 0 offen
	buffer_load_dword v136, v12, s[0:3], 0 offen offset:4
	v_mov_b32_e32 v12, s69
	v_cmp_eq_u32_e32 vcc_lo, 0, v11
	s_add_i32 s69, s69, 16
	ds_read_b128 v[129:132], v12
	s_or_b32 s5, vcc_lo, s5
	s_waitcnt vmcnt(2) lgkmcnt(0)
	v_mul_f64 v[137:138], v[131:132], v[133:134]
	v_mul_f64 v[133:134], v[129:130], v[133:134]
	s_waitcnt vmcnt(0)
	v_fma_f64 v[129:130], v[129:130], v[135:136], -v[137:138]
	v_fma_f64 v[131:132], v[131:132], v[135:136], v[133:134]
	v_add_f64 v[1:2], v[1:2], v[129:130]
	v_add_f64 v[3:4], v[3:4], v[131:132]
	s_andn2_b32 exec_lo, exec_lo, s5
	s_cbranch_execnz .LBB59_264
; %bb.265:
	s_or_b32 exec_lo, exec_lo, s5
.LBB59_266:
	s_or_b32 exec_lo, exec_lo, s8
	v_mov_b32_e32 v11, 0
	ds_read_b128 v[129:132], v11 offset:416
	s_waitcnt lgkmcnt(0)
	v_mul_f64 v[11:12], v[3:4], v[131:132]
	v_mul_f64 v[131:132], v[1:2], v[131:132]
	v_fma_f64 v[1:2], v[1:2], v[129:130], -v[11:12]
	v_fma_f64 v[3:4], v[3:4], v[129:130], v[131:132]
	buffer_store_dword v2, off, s[0:3], 0 offset:420
	buffer_store_dword v1, off, s[0:3], 0 offset:416
	;; [unrolled: 1-line block ×4, first 2 shown]
.LBB59_267:
	s_or_b32 exec_lo, exec_lo, s6
	v_mov_b32_e32 v4, s43
	v_cmp_lt_u32_e64 s5, 25, v0
	s_clause 0x3
	buffer_load_dword v1, v4, s[0:3], 0 offen
	buffer_load_dword v2, v4, s[0:3], 0 offen offset:4
	buffer_load_dword v3, v4, s[0:3], 0 offen offset:8
	;; [unrolled: 1-line block ×3, first 2 shown]
	s_waitcnt vmcnt(0)
	ds_write_b128 v10, v[1:4]
	s_waitcnt lgkmcnt(0)
	s_waitcnt_vscnt null, 0x0
	s_barrier
	buffer_gl0_inv
	s_and_saveexec_b32 s6, s5
	s_cbranch_execz .LBB59_275
; %bb.268:
	ds_read_b128 v[1:4], v10
	s_andn2_b32 vcc_lo, exec_lo, s68
	s_cbranch_vccnz .LBB59_270
; %bb.269:
	s_clause 0x3
	buffer_load_dword v11, v9, s[0:3], 0 offen offset:8
	buffer_load_dword v12, v9, s[0:3], 0 offen offset:12
	buffer_load_dword v129, v9, s[0:3], 0 offen
	buffer_load_dword v130, v9, s[0:3], 0 offen offset:4
	s_waitcnt vmcnt(2) lgkmcnt(0)
	v_mul_f64 v[131:132], v[3:4], v[11:12]
	v_mul_f64 v[11:12], v[1:2], v[11:12]
	s_waitcnt vmcnt(0)
	v_fma_f64 v[1:2], v[1:2], v[129:130], -v[131:132]
	v_fma_f64 v[3:4], v[3:4], v[129:130], v[11:12]
.LBB59_270:
	s_and_saveexec_b32 s8, s4
	s_cbranch_execz .LBB59_274
; %bb.271:
	v_subrev_nc_u32_e32 v11, 26, v0
	s_movk_i32 s69, 0x560
	s_mov_b32 s4, 0
	s_mov_b32 s70, s42
	.p2align	6
.LBB59_272:                             ; =>This Inner Loop Header: Depth=1
	v_mov_b32_e32 v12, s70
	v_add_nc_u32_e32 v11, -1, v11
	s_add_i32 s70, s70, 16
	s_clause 0x3
	buffer_load_dword v133, v12, s[0:3], 0 offen offset:8
	buffer_load_dword v134, v12, s[0:3], 0 offen offset:12
	buffer_load_dword v135, v12, s[0:3], 0 offen
	buffer_load_dword v136, v12, s[0:3], 0 offen offset:4
	v_mov_b32_e32 v12, s69
	v_cmp_eq_u32_e32 vcc_lo, 0, v11
	s_add_i32 s69, s69, 16
	ds_read_b128 v[129:132], v12
	s_or_b32 s4, vcc_lo, s4
	s_waitcnt vmcnt(2) lgkmcnt(0)
	v_mul_f64 v[137:138], v[131:132], v[133:134]
	v_mul_f64 v[133:134], v[129:130], v[133:134]
	s_waitcnt vmcnt(0)
	v_fma_f64 v[129:130], v[129:130], v[135:136], -v[137:138]
	v_fma_f64 v[131:132], v[131:132], v[135:136], v[133:134]
	v_add_f64 v[1:2], v[1:2], v[129:130]
	v_add_f64 v[3:4], v[3:4], v[131:132]
	s_andn2_b32 exec_lo, exec_lo, s4
	s_cbranch_execnz .LBB59_272
; %bb.273:
	s_or_b32 exec_lo, exec_lo, s4
.LBB59_274:
	s_or_b32 exec_lo, exec_lo, s8
	v_mov_b32_e32 v11, 0
	ds_read_b128 v[129:132], v11 offset:400
	s_waitcnt lgkmcnt(0)
	v_mul_f64 v[11:12], v[3:4], v[131:132]
	v_mul_f64 v[131:132], v[1:2], v[131:132]
	v_fma_f64 v[1:2], v[1:2], v[129:130], -v[11:12]
	v_fma_f64 v[3:4], v[3:4], v[129:130], v[131:132]
	buffer_store_dword v2, off, s[0:3], 0 offset:404
	buffer_store_dword v1, off, s[0:3], 0 offset:400
	;; [unrolled: 1-line block ×4, first 2 shown]
.LBB59_275:
	s_or_b32 exec_lo, exec_lo, s6
	v_mov_b32_e32 v4, s44
	v_cmp_lt_u32_e64 s4, 24, v0
	s_clause 0x3
	buffer_load_dword v1, v4, s[0:3], 0 offen
	buffer_load_dword v2, v4, s[0:3], 0 offen offset:4
	buffer_load_dword v3, v4, s[0:3], 0 offen offset:8
	;; [unrolled: 1-line block ×3, first 2 shown]
	s_waitcnt vmcnt(0)
	ds_write_b128 v10, v[1:4]
	s_waitcnt lgkmcnt(0)
	s_waitcnt_vscnt null, 0x0
	s_barrier
	buffer_gl0_inv
	s_and_saveexec_b32 s6, s4
	s_cbranch_execz .LBB59_283
; %bb.276:
	ds_read_b128 v[1:4], v10
	s_andn2_b32 vcc_lo, exec_lo, s68
	s_cbranch_vccnz .LBB59_278
; %bb.277:
	s_clause 0x3
	buffer_load_dword v11, v9, s[0:3], 0 offen offset:8
	buffer_load_dword v12, v9, s[0:3], 0 offen offset:12
	buffer_load_dword v129, v9, s[0:3], 0 offen
	buffer_load_dword v130, v9, s[0:3], 0 offen offset:4
	s_waitcnt vmcnt(2) lgkmcnt(0)
	v_mul_f64 v[131:132], v[3:4], v[11:12]
	v_mul_f64 v[11:12], v[1:2], v[11:12]
	s_waitcnt vmcnt(0)
	v_fma_f64 v[1:2], v[1:2], v[129:130], -v[131:132]
	v_fma_f64 v[3:4], v[3:4], v[129:130], v[11:12]
.LBB59_278:
	s_and_saveexec_b32 s8, s5
	s_cbranch_execz .LBB59_282
; %bb.279:
	v_subrev_nc_u32_e32 v11, 25, v0
	s_movk_i32 s69, 0x550
	s_mov_b32 s5, 0
	s_mov_b32 s70, s43
	.p2align	6
.LBB59_280:                             ; =>This Inner Loop Header: Depth=1
	v_mov_b32_e32 v12, s70
	v_add_nc_u32_e32 v11, -1, v11
	s_add_i32 s70, s70, 16
	s_clause 0x3
	buffer_load_dword v133, v12, s[0:3], 0 offen offset:8
	buffer_load_dword v134, v12, s[0:3], 0 offen offset:12
	buffer_load_dword v135, v12, s[0:3], 0 offen
	buffer_load_dword v136, v12, s[0:3], 0 offen offset:4
	v_mov_b32_e32 v12, s69
	v_cmp_eq_u32_e32 vcc_lo, 0, v11
	s_add_i32 s69, s69, 16
	ds_read_b128 v[129:132], v12
	s_or_b32 s5, vcc_lo, s5
	s_waitcnt vmcnt(2) lgkmcnt(0)
	v_mul_f64 v[137:138], v[131:132], v[133:134]
	v_mul_f64 v[133:134], v[129:130], v[133:134]
	s_waitcnt vmcnt(0)
	v_fma_f64 v[129:130], v[129:130], v[135:136], -v[137:138]
	v_fma_f64 v[131:132], v[131:132], v[135:136], v[133:134]
	v_add_f64 v[1:2], v[1:2], v[129:130]
	v_add_f64 v[3:4], v[3:4], v[131:132]
	s_andn2_b32 exec_lo, exec_lo, s5
	s_cbranch_execnz .LBB59_280
; %bb.281:
	s_or_b32 exec_lo, exec_lo, s5
.LBB59_282:
	s_or_b32 exec_lo, exec_lo, s8
	v_mov_b32_e32 v11, 0
	ds_read_b128 v[129:132], v11 offset:384
	s_waitcnt lgkmcnt(0)
	v_mul_f64 v[11:12], v[3:4], v[131:132]
	v_mul_f64 v[131:132], v[1:2], v[131:132]
	v_fma_f64 v[1:2], v[1:2], v[129:130], -v[11:12]
	v_fma_f64 v[3:4], v[3:4], v[129:130], v[131:132]
	buffer_store_dword v2, off, s[0:3], 0 offset:388
	buffer_store_dword v1, off, s[0:3], 0 offset:384
	;; [unrolled: 1-line block ×4, first 2 shown]
.LBB59_283:
	s_or_b32 exec_lo, exec_lo, s6
	v_mov_b32_e32 v4, s45
	v_cmp_lt_u32_e64 s5, 23, v0
	s_clause 0x3
	buffer_load_dword v1, v4, s[0:3], 0 offen
	buffer_load_dword v2, v4, s[0:3], 0 offen offset:4
	buffer_load_dword v3, v4, s[0:3], 0 offen offset:8
	;; [unrolled: 1-line block ×3, first 2 shown]
	s_waitcnt vmcnt(0)
	ds_write_b128 v10, v[1:4]
	s_waitcnt lgkmcnt(0)
	s_waitcnt_vscnt null, 0x0
	s_barrier
	buffer_gl0_inv
	s_and_saveexec_b32 s6, s5
	s_cbranch_execz .LBB59_291
; %bb.284:
	ds_read_b128 v[1:4], v10
	s_andn2_b32 vcc_lo, exec_lo, s68
	s_cbranch_vccnz .LBB59_286
; %bb.285:
	s_clause 0x3
	buffer_load_dword v11, v9, s[0:3], 0 offen offset:8
	buffer_load_dword v12, v9, s[0:3], 0 offen offset:12
	buffer_load_dword v129, v9, s[0:3], 0 offen
	buffer_load_dword v130, v9, s[0:3], 0 offen offset:4
	s_waitcnt vmcnt(2) lgkmcnt(0)
	v_mul_f64 v[131:132], v[3:4], v[11:12]
	v_mul_f64 v[11:12], v[1:2], v[11:12]
	s_waitcnt vmcnt(0)
	v_fma_f64 v[1:2], v[1:2], v[129:130], -v[131:132]
	v_fma_f64 v[3:4], v[3:4], v[129:130], v[11:12]
.LBB59_286:
	s_and_saveexec_b32 s8, s4
	s_cbranch_execz .LBB59_290
; %bb.287:
	v_subrev_nc_u32_e32 v11, 24, v0
	s_movk_i32 s69, 0x540
	s_mov_b32 s4, 0
	s_mov_b32 s70, s44
	.p2align	6
.LBB59_288:                             ; =>This Inner Loop Header: Depth=1
	v_mov_b32_e32 v12, s70
	v_add_nc_u32_e32 v11, -1, v11
	s_add_i32 s70, s70, 16
	s_clause 0x3
	buffer_load_dword v133, v12, s[0:3], 0 offen offset:8
	buffer_load_dword v134, v12, s[0:3], 0 offen offset:12
	buffer_load_dword v135, v12, s[0:3], 0 offen
	buffer_load_dword v136, v12, s[0:3], 0 offen offset:4
	v_mov_b32_e32 v12, s69
	v_cmp_eq_u32_e32 vcc_lo, 0, v11
	s_add_i32 s69, s69, 16
	ds_read_b128 v[129:132], v12
	s_or_b32 s4, vcc_lo, s4
	s_waitcnt vmcnt(2) lgkmcnt(0)
	v_mul_f64 v[137:138], v[131:132], v[133:134]
	v_mul_f64 v[133:134], v[129:130], v[133:134]
	s_waitcnt vmcnt(0)
	v_fma_f64 v[129:130], v[129:130], v[135:136], -v[137:138]
	v_fma_f64 v[131:132], v[131:132], v[135:136], v[133:134]
	v_add_f64 v[1:2], v[1:2], v[129:130]
	v_add_f64 v[3:4], v[3:4], v[131:132]
	s_andn2_b32 exec_lo, exec_lo, s4
	s_cbranch_execnz .LBB59_288
; %bb.289:
	s_or_b32 exec_lo, exec_lo, s4
.LBB59_290:
	s_or_b32 exec_lo, exec_lo, s8
	v_mov_b32_e32 v11, 0
	ds_read_b128 v[129:132], v11 offset:368
	s_waitcnt lgkmcnt(0)
	v_mul_f64 v[11:12], v[3:4], v[131:132]
	v_mul_f64 v[131:132], v[1:2], v[131:132]
	v_fma_f64 v[1:2], v[1:2], v[129:130], -v[11:12]
	v_fma_f64 v[3:4], v[3:4], v[129:130], v[131:132]
	buffer_store_dword v2, off, s[0:3], 0 offset:372
	buffer_store_dword v1, off, s[0:3], 0 offset:368
	;; [unrolled: 1-line block ×4, first 2 shown]
.LBB59_291:
	s_or_b32 exec_lo, exec_lo, s6
	v_mov_b32_e32 v4, s46
	v_cmp_lt_u32_e64 s4, 22, v0
	s_clause 0x3
	buffer_load_dword v1, v4, s[0:3], 0 offen
	buffer_load_dword v2, v4, s[0:3], 0 offen offset:4
	buffer_load_dword v3, v4, s[0:3], 0 offen offset:8
	;; [unrolled: 1-line block ×3, first 2 shown]
	s_waitcnt vmcnt(0)
	ds_write_b128 v10, v[1:4]
	s_waitcnt lgkmcnt(0)
	s_waitcnt_vscnt null, 0x0
	s_barrier
	buffer_gl0_inv
	s_and_saveexec_b32 s6, s4
	s_cbranch_execz .LBB59_299
; %bb.292:
	ds_read_b128 v[1:4], v10
	s_andn2_b32 vcc_lo, exec_lo, s68
	s_cbranch_vccnz .LBB59_294
; %bb.293:
	s_clause 0x3
	buffer_load_dword v11, v9, s[0:3], 0 offen offset:8
	buffer_load_dword v12, v9, s[0:3], 0 offen offset:12
	buffer_load_dword v129, v9, s[0:3], 0 offen
	buffer_load_dword v130, v9, s[0:3], 0 offen offset:4
	s_waitcnt vmcnt(2) lgkmcnt(0)
	v_mul_f64 v[131:132], v[3:4], v[11:12]
	v_mul_f64 v[11:12], v[1:2], v[11:12]
	s_waitcnt vmcnt(0)
	v_fma_f64 v[1:2], v[1:2], v[129:130], -v[131:132]
	v_fma_f64 v[3:4], v[3:4], v[129:130], v[11:12]
.LBB59_294:
	s_and_saveexec_b32 s8, s5
	s_cbranch_execz .LBB59_298
; %bb.295:
	v_subrev_nc_u32_e32 v11, 23, v0
	s_movk_i32 s69, 0x530
	s_mov_b32 s5, 0
	s_mov_b32 s70, s45
	.p2align	6
.LBB59_296:                             ; =>This Inner Loop Header: Depth=1
	v_mov_b32_e32 v12, s70
	v_add_nc_u32_e32 v11, -1, v11
	s_add_i32 s70, s70, 16
	s_clause 0x3
	buffer_load_dword v133, v12, s[0:3], 0 offen offset:8
	buffer_load_dword v134, v12, s[0:3], 0 offen offset:12
	buffer_load_dword v135, v12, s[0:3], 0 offen
	buffer_load_dword v136, v12, s[0:3], 0 offen offset:4
	v_mov_b32_e32 v12, s69
	v_cmp_eq_u32_e32 vcc_lo, 0, v11
	s_add_i32 s69, s69, 16
	ds_read_b128 v[129:132], v12
	s_or_b32 s5, vcc_lo, s5
	s_waitcnt vmcnt(2) lgkmcnt(0)
	v_mul_f64 v[137:138], v[131:132], v[133:134]
	v_mul_f64 v[133:134], v[129:130], v[133:134]
	s_waitcnt vmcnt(0)
	v_fma_f64 v[129:130], v[129:130], v[135:136], -v[137:138]
	v_fma_f64 v[131:132], v[131:132], v[135:136], v[133:134]
	v_add_f64 v[1:2], v[1:2], v[129:130]
	v_add_f64 v[3:4], v[3:4], v[131:132]
	s_andn2_b32 exec_lo, exec_lo, s5
	s_cbranch_execnz .LBB59_296
; %bb.297:
	s_or_b32 exec_lo, exec_lo, s5
.LBB59_298:
	s_or_b32 exec_lo, exec_lo, s8
	v_mov_b32_e32 v11, 0
	ds_read_b128 v[129:132], v11 offset:352
	s_waitcnt lgkmcnt(0)
	v_mul_f64 v[11:12], v[3:4], v[131:132]
	v_mul_f64 v[131:132], v[1:2], v[131:132]
	v_fma_f64 v[1:2], v[1:2], v[129:130], -v[11:12]
	v_fma_f64 v[3:4], v[3:4], v[129:130], v[131:132]
	buffer_store_dword v2, off, s[0:3], 0 offset:356
	buffer_store_dword v1, off, s[0:3], 0 offset:352
	;; [unrolled: 1-line block ×4, first 2 shown]
.LBB59_299:
	s_or_b32 exec_lo, exec_lo, s6
	v_mov_b32_e32 v4, s47
	v_cmp_lt_u32_e64 s5, 21, v0
	s_clause 0x3
	buffer_load_dword v1, v4, s[0:3], 0 offen
	buffer_load_dword v2, v4, s[0:3], 0 offen offset:4
	buffer_load_dword v3, v4, s[0:3], 0 offen offset:8
	;; [unrolled: 1-line block ×3, first 2 shown]
	s_waitcnt vmcnt(0)
	ds_write_b128 v10, v[1:4]
	s_waitcnt lgkmcnt(0)
	s_waitcnt_vscnt null, 0x0
	s_barrier
	buffer_gl0_inv
	s_and_saveexec_b32 s6, s5
	s_cbranch_execz .LBB59_307
; %bb.300:
	ds_read_b128 v[1:4], v10
	s_andn2_b32 vcc_lo, exec_lo, s68
	s_cbranch_vccnz .LBB59_302
; %bb.301:
	s_clause 0x3
	buffer_load_dword v11, v9, s[0:3], 0 offen offset:8
	buffer_load_dword v12, v9, s[0:3], 0 offen offset:12
	buffer_load_dword v129, v9, s[0:3], 0 offen
	buffer_load_dword v130, v9, s[0:3], 0 offen offset:4
	s_waitcnt vmcnt(2) lgkmcnt(0)
	v_mul_f64 v[131:132], v[3:4], v[11:12]
	v_mul_f64 v[11:12], v[1:2], v[11:12]
	s_waitcnt vmcnt(0)
	v_fma_f64 v[1:2], v[1:2], v[129:130], -v[131:132]
	v_fma_f64 v[3:4], v[3:4], v[129:130], v[11:12]
.LBB59_302:
	s_and_saveexec_b32 s8, s4
	s_cbranch_execz .LBB59_306
; %bb.303:
	v_subrev_nc_u32_e32 v11, 22, v0
	s_movk_i32 s69, 0x520
	s_mov_b32 s4, 0
	s_mov_b32 s70, s46
	.p2align	6
.LBB59_304:                             ; =>This Inner Loop Header: Depth=1
	v_mov_b32_e32 v12, s70
	v_add_nc_u32_e32 v11, -1, v11
	s_add_i32 s70, s70, 16
	s_clause 0x3
	buffer_load_dword v133, v12, s[0:3], 0 offen offset:8
	buffer_load_dword v134, v12, s[0:3], 0 offen offset:12
	buffer_load_dword v135, v12, s[0:3], 0 offen
	buffer_load_dword v136, v12, s[0:3], 0 offen offset:4
	v_mov_b32_e32 v12, s69
	v_cmp_eq_u32_e32 vcc_lo, 0, v11
	s_add_i32 s69, s69, 16
	ds_read_b128 v[129:132], v12
	s_or_b32 s4, vcc_lo, s4
	s_waitcnt vmcnt(2) lgkmcnt(0)
	v_mul_f64 v[137:138], v[131:132], v[133:134]
	v_mul_f64 v[133:134], v[129:130], v[133:134]
	s_waitcnt vmcnt(0)
	v_fma_f64 v[129:130], v[129:130], v[135:136], -v[137:138]
	v_fma_f64 v[131:132], v[131:132], v[135:136], v[133:134]
	v_add_f64 v[1:2], v[1:2], v[129:130]
	v_add_f64 v[3:4], v[3:4], v[131:132]
	s_andn2_b32 exec_lo, exec_lo, s4
	s_cbranch_execnz .LBB59_304
; %bb.305:
	s_or_b32 exec_lo, exec_lo, s4
.LBB59_306:
	s_or_b32 exec_lo, exec_lo, s8
	v_mov_b32_e32 v11, 0
	ds_read_b128 v[129:132], v11 offset:336
	s_waitcnt lgkmcnt(0)
	v_mul_f64 v[11:12], v[3:4], v[131:132]
	v_mul_f64 v[131:132], v[1:2], v[131:132]
	v_fma_f64 v[1:2], v[1:2], v[129:130], -v[11:12]
	v_fma_f64 v[3:4], v[3:4], v[129:130], v[131:132]
	buffer_store_dword v2, off, s[0:3], 0 offset:340
	buffer_store_dword v1, off, s[0:3], 0 offset:336
	;; [unrolled: 1-line block ×4, first 2 shown]
.LBB59_307:
	s_or_b32 exec_lo, exec_lo, s6
	v_mov_b32_e32 v4, s48
	v_cmp_lt_u32_e64 s4, 20, v0
	s_clause 0x3
	buffer_load_dword v1, v4, s[0:3], 0 offen
	buffer_load_dword v2, v4, s[0:3], 0 offen offset:4
	buffer_load_dword v3, v4, s[0:3], 0 offen offset:8
	;; [unrolled: 1-line block ×3, first 2 shown]
	s_waitcnt vmcnt(0)
	ds_write_b128 v10, v[1:4]
	s_waitcnt lgkmcnt(0)
	s_waitcnt_vscnt null, 0x0
	s_barrier
	buffer_gl0_inv
	s_and_saveexec_b32 s6, s4
	s_cbranch_execz .LBB59_315
; %bb.308:
	ds_read_b128 v[1:4], v10
	s_andn2_b32 vcc_lo, exec_lo, s68
	s_cbranch_vccnz .LBB59_310
; %bb.309:
	s_clause 0x3
	buffer_load_dword v11, v9, s[0:3], 0 offen offset:8
	buffer_load_dword v12, v9, s[0:3], 0 offen offset:12
	buffer_load_dword v129, v9, s[0:3], 0 offen
	buffer_load_dword v130, v9, s[0:3], 0 offen offset:4
	s_waitcnt vmcnt(2) lgkmcnt(0)
	v_mul_f64 v[131:132], v[3:4], v[11:12]
	v_mul_f64 v[11:12], v[1:2], v[11:12]
	s_waitcnt vmcnt(0)
	v_fma_f64 v[1:2], v[1:2], v[129:130], -v[131:132]
	v_fma_f64 v[3:4], v[3:4], v[129:130], v[11:12]
.LBB59_310:
	s_and_saveexec_b32 s8, s5
	s_cbranch_execz .LBB59_314
; %bb.311:
	v_subrev_nc_u32_e32 v11, 21, v0
	s_movk_i32 s69, 0x510
	s_mov_b32 s5, 0
	s_mov_b32 s70, s47
	.p2align	6
.LBB59_312:                             ; =>This Inner Loop Header: Depth=1
	v_mov_b32_e32 v12, s70
	v_add_nc_u32_e32 v11, -1, v11
	s_add_i32 s70, s70, 16
	s_clause 0x3
	buffer_load_dword v133, v12, s[0:3], 0 offen offset:8
	buffer_load_dword v134, v12, s[0:3], 0 offen offset:12
	buffer_load_dword v135, v12, s[0:3], 0 offen
	buffer_load_dword v136, v12, s[0:3], 0 offen offset:4
	v_mov_b32_e32 v12, s69
	v_cmp_eq_u32_e32 vcc_lo, 0, v11
	s_add_i32 s69, s69, 16
	ds_read_b128 v[129:132], v12
	s_or_b32 s5, vcc_lo, s5
	s_waitcnt vmcnt(2) lgkmcnt(0)
	v_mul_f64 v[137:138], v[131:132], v[133:134]
	v_mul_f64 v[133:134], v[129:130], v[133:134]
	s_waitcnt vmcnt(0)
	v_fma_f64 v[129:130], v[129:130], v[135:136], -v[137:138]
	v_fma_f64 v[131:132], v[131:132], v[135:136], v[133:134]
	v_add_f64 v[1:2], v[1:2], v[129:130]
	v_add_f64 v[3:4], v[3:4], v[131:132]
	s_andn2_b32 exec_lo, exec_lo, s5
	s_cbranch_execnz .LBB59_312
; %bb.313:
	s_or_b32 exec_lo, exec_lo, s5
.LBB59_314:
	s_or_b32 exec_lo, exec_lo, s8
	v_mov_b32_e32 v11, 0
	ds_read_b128 v[129:132], v11 offset:320
	s_waitcnt lgkmcnt(0)
	v_mul_f64 v[11:12], v[3:4], v[131:132]
	v_mul_f64 v[131:132], v[1:2], v[131:132]
	v_fma_f64 v[1:2], v[1:2], v[129:130], -v[11:12]
	v_fma_f64 v[3:4], v[3:4], v[129:130], v[131:132]
	buffer_store_dword v2, off, s[0:3], 0 offset:324
	buffer_store_dword v1, off, s[0:3], 0 offset:320
	;; [unrolled: 1-line block ×4, first 2 shown]
.LBB59_315:
	s_or_b32 exec_lo, exec_lo, s6
	v_mov_b32_e32 v4, s49
	v_cmp_lt_u32_e64 s5, 19, v0
	s_clause 0x3
	buffer_load_dword v1, v4, s[0:3], 0 offen
	buffer_load_dword v2, v4, s[0:3], 0 offen offset:4
	buffer_load_dword v3, v4, s[0:3], 0 offen offset:8
	buffer_load_dword v4, v4, s[0:3], 0 offen offset:12
	s_waitcnt vmcnt(0)
	ds_write_b128 v10, v[1:4]
	s_waitcnt lgkmcnt(0)
	s_waitcnt_vscnt null, 0x0
	s_barrier
	buffer_gl0_inv
	s_and_saveexec_b32 s6, s5
	s_cbranch_execz .LBB59_323
; %bb.316:
	ds_read_b128 v[1:4], v10
	s_andn2_b32 vcc_lo, exec_lo, s68
	s_cbranch_vccnz .LBB59_318
; %bb.317:
	s_clause 0x3
	buffer_load_dword v11, v9, s[0:3], 0 offen offset:8
	buffer_load_dword v12, v9, s[0:3], 0 offen offset:12
	buffer_load_dword v129, v9, s[0:3], 0 offen
	buffer_load_dword v130, v9, s[0:3], 0 offen offset:4
	s_waitcnt vmcnt(2) lgkmcnt(0)
	v_mul_f64 v[131:132], v[3:4], v[11:12]
	v_mul_f64 v[11:12], v[1:2], v[11:12]
	s_waitcnt vmcnt(0)
	v_fma_f64 v[1:2], v[1:2], v[129:130], -v[131:132]
	v_fma_f64 v[3:4], v[3:4], v[129:130], v[11:12]
.LBB59_318:
	s_and_saveexec_b32 s8, s4
	s_cbranch_execz .LBB59_322
; %bb.319:
	v_subrev_nc_u32_e32 v11, 20, v0
	s_movk_i32 s69, 0x500
	s_mov_b32 s4, 0
	s_mov_b32 s70, s48
	.p2align	6
.LBB59_320:                             ; =>This Inner Loop Header: Depth=1
	v_mov_b32_e32 v12, s70
	v_add_nc_u32_e32 v11, -1, v11
	s_add_i32 s70, s70, 16
	s_clause 0x3
	buffer_load_dword v133, v12, s[0:3], 0 offen offset:8
	buffer_load_dword v134, v12, s[0:3], 0 offen offset:12
	buffer_load_dword v135, v12, s[0:3], 0 offen
	buffer_load_dword v136, v12, s[0:3], 0 offen offset:4
	v_mov_b32_e32 v12, s69
	v_cmp_eq_u32_e32 vcc_lo, 0, v11
	s_add_i32 s69, s69, 16
	ds_read_b128 v[129:132], v12
	s_or_b32 s4, vcc_lo, s4
	s_waitcnt vmcnt(2) lgkmcnt(0)
	v_mul_f64 v[137:138], v[131:132], v[133:134]
	v_mul_f64 v[133:134], v[129:130], v[133:134]
	s_waitcnt vmcnt(0)
	v_fma_f64 v[129:130], v[129:130], v[135:136], -v[137:138]
	v_fma_f64 v[131:132], v[131:132], v[135:136], v[133:134]
	v_add_f64 v[1:2], v[1:2], v[129:130]
	v_add_f64 v[3:4], v[3:4], v[131:132]
	s_andn2_b32 exec_lo, exec_lo, s4
	s_cbranch_execnz .LBB59_320
; %bb.321:
	s_or_b32 exec_lo, exec_lo, s4
.LBB59_322:
	s_or_b32 exec_lo, exec_lo, s8
	v_mov_b32_e32 v11, 0
	ds_read_b128 v[129:132], v11 offset:304
	s_waitcnt lgkmcnt(0)
	v_mul_f64 v[11:12], v[3:4], v[131:132]
	v_mul_f64 v[131:132], v[1:2], v[131:132]
	v_fma_f64 v[1:2], v[1:2], v[129:130], -v[11:12]
	v_fma_f64 v[3:4], v[3:4], v[129:130], v[131:132]
	buffer_store_dword v2, off, s[0:3], 0 offset:308
	buffer_store_dword v1, off, s[0:3], 0 offset:304
	;; [unrolled: 1-line block ×4, first 2 shown]
.LBB59_323:
	s_or_b32 exec_lo, exec_lo, s6
	v_mov_b32_e32 v4, s50
	v_cmp_lt_u32_e64 s4, 18, v0
	s_clause 0x3
	buffer_load_dword v1, v4, s[0:3], 0 offen
	buffer_load_dword v2, v4, s[0:3], 0 offen offset:4
	buffer_load_dword v3, v4, s[0:3], 0 offen offset:8
	;; [unrolled: 1-line block ×3, first 2 shown]
	s_waitcnt vmcnt(0)
	ds_write_b128 v10, v[1:4]
	s_waitcnt lgkmcnt(0)
	s_waitcnt_vscnt null, 0x0
	s_barrier
	buffer_gl0_inv
	s_and_saveexec_b32 s6, s4
	s_cbranch_execz .LBB59_331
; %bb.324:
	ds_read_b128 v[1:4], v10
	s_andn2_b32 vcc_lo, exec_lo, s68
	s_cbranch_vccnz .LBB59_326
; %bb.325:
	s_clause 0x3
	buffer_load_dword v11, v9, s[0:3], 0 offen offset:8
	buffer_load_dword v12, v9, s[0:3], 0 offen offset:12
	buffer_load_dword v129, v9, s[0:3], 0 offen
	buffer_load_dword v130, v9, s[0:3], 0 offen offset:4
	s_waitcnt vmcnt(2) lgkmcnt(0)
	v_mul_f64 v[131:132], v[3:4], v[11:12]
	v_mul_f64 v[11:12], v[1:2], v[11:12]
	s_waitcnt vmcnt(0)
	v_fma_f64 v[1:2], v[1:2], v[129:130], -v[131:132]
	v_fma_f64 v[3:4], v[3:4], v[129:130], v[11:12]
.LBB59_326:
	s_and_saveexec_b32 s8, s5
	s_cbranch_execz .LBB59_330
; %bb.327:
	v_subrev_nc_u32_e32 v11, 19, v0
	s_movk_i32 s69, 0x4f0
	s_mov_b32 s5, 0
	s_mov_b32 s70, s49
	.p2align	6
.LBB59_328:                             ; =>This Inner Loop Header: Depth=1
	v_mov_b32_e32 v12, s70
	v_add_nc_u32_e32 v11, -1, v11
	s_add_i32 s70, s70, 16
	s_clause 0x3
	buffer_load_dword v133, v12, s[0:3], 0 offen offset:8
	buffer_load_dword v134, v12, s[0:3], 0 offen offset:12
	buffer_load_dword v135, v12, s[0:3], 0 offen
	buffer_load_dword v136, v12, s[0:3], 0 offen offset:4
	v_mov_b32_e32 v12, s69
	v_cmp_eq_u32_e32 vcc_lo, 0, v11
	s_add_i32 s69, s69, 16
	ds_read_b128 v[129:132], v12
	s_or_b32 s5, vcc_lo, s5
	s_waitcnt vmcnt(2) lgkmcnt(0)
	v_mul_f64 v[137:138], v[131:132], v[133:134]
	v_mul_f64 v[133:134], v[129:130], v[133:134]
	s_waitcnt vmcnt(0)
	v_fma_f64 v[129:130], v[129:130], v[135:136], -v[137:138]
	v_fma_f64 v[131:132], v[131:132], v[135:136], v[133:134]
	v_add_f64 v[1:2], v[1:2], v[129:130]
	v_add_f64 v[3:4], v[3:4], v[131:132]
	s_andn2_b32 exec_lo, exec_lo, s5
	s_cbranch_execnz .LBB59_328
; %bb.329:
	s_or_b32 exec_lo, exec_lo, s5
.LBB59_330:
	s_or_b32 exec_lo, exec_lo, s8
	v_mov_b32_e32 v11, 0
	ds_read_b128 v[129:132], v11 offset:288
	s_waitcnt lgkmcnt(0)
	v_mul_f64 v[11:12], v[3:4], v[131:132]
	v_mul_f64 v[131:132], v[1:2], v[131:132]
	v_fma_f64 v[1:2], v[1:2], v[129:130], -v[11:12]
	v_fma_f64 v[3:4], v[3:4], v[129:130], v[131:132]
	buffer_store_dword v2, off, s[0:3], 0 offset:292
	buffer_store_dword v1, off, s[0:3], 0 offset:288
	;; [unrolled: 1-line block ×4, first 2 shown]
.LBB59_331:
	s_or_b32 exec_lo, exec_lo, s6
	v_mov_b32_e32 v4, s51
	v_cmp_lt_u32_e64 s5, 17, v0
	s_clause 0x3
	buffer_load_dword v1, v4, s[0:3], 0 offen
	buffer_load_dword v2, v4, s[0:3], 0 offen offset:4
	buffer_load_dword v3, v4, s[0:3], 0 offen offset:8
	;; [unrolled: 1-line block ×3, first 2 shown]
	s_waitcnt vmcnt(0)
	ds_write_b128 v10, v[1:4]
	s_waitcnt lgkmcnt(0)
	s_waitcnt_vscnt null, 0x0
	s_barrier
	buffer_gl0_inv
	s_and_saveexec_b32 s6, s5
	s_cbranch_execz .LBB59_339
; %bb.332:
	ds_read_b128 v[1:4], v10
	s_andn2_b32 vcc_lo, exec_lo, s68
	s_cbranch_vccnz .LBB59_334
; %bb.333:
	s_clause 0x3
	buffer_load_dword v11, v9, s[0:3], 0 offen offset:8
	buffer_load_dword v12, v9, s[0:3], 0 offen offset:12
	buffer_load_dword v129, v9, s[0:3], 0 offen
	buffer_load_dword v130, v9, s[0:3], 0 offen offset:4
	s_waitcnt vmcnt(2) lgkmcnt(0)
	v_mul_f64 v[131:132], v[3:4], v[11:12]
	v_mul_f64 v[11:12], v[1:2], v[11:12]
	s_waitcnt vmcnt(0)
	v_fma_f64 v[1:2], v[1:2], v[129:130], -v[131:132]
	v_fma_f64 v[3:4], v[3:4], v[129:130], v[11:12]
.LBB59_334:
	s_and_saveexec_b32 s8, s4
	s_cbranch_execz .LBB59_338
; %bb.335:
	v_subrev_nc_u32_e32 v11, 18, v0
	s_movk_i32 s69, 0x4e0
	s_mov_b32 s4, 0
	s_mov_b32 s70, s50
	.p2align	6
.LBB59_336:                             ; =>This Inner Loop Header: Depth=1
	v_mov_b32_e32 v12, s70
	v_add_nc_u32_e32 v11, -1, v11
	s_add_i32 s70, s70, 16
	s_clause 0x3
	buffer_load_dword v133, v12, s[0:3], 0 offen offset:8
	buffer_load_dword v134, v12, s[0:3], 0 offen offset:12
	buffer_load_dword v135, v12, s[0:3], 0 offen
	buffer_load_dword v136, v12, s[0:3], 0 offen offset:4
	v_mov_b32_e32 v12, s69
	v_cmp_eq_u32_e32 vcc_lo, 0, v11
	s_add_i32 s69, s69, 16
	ds_read_b128 v[129:132], v12
	s_or_b32 s4, vcc_lo, s4
	s_waitcnt vmcnt(2) lgkmcnt(0)
	v_mul_f64 v[137:138], v[131:132], v[133:134]
	v_mul_f64 v[133:134], v[129:130], v[133:134]
	s_waitcnt vmcnt(0)
	v_fma_f64 v[129:130], v[129:130], v[135:136], -v[137:138]
	v_fma_f64 v[131:132], v[131:132], v[135:136], v[133:134]
	v_add_f64 v[1:2], v[1:2], v[129:130]
	v_add_f64 v[3:4], v[3:4], v[131:132]
	s_andn2_b32 exec_lo, exec_lo, s4
	s_cbranch_execnz .LBB59_336
; %bb.337:
	s_or_b32 exec_lo, exec_lo, s4
.LBB59_338:
	s_or_b32 exec_lo, exec_lo, s8
	v_mov_b32_e32 v11, 0
	ds_read_b128 v[129:132], v11 offset:272
	s_waitcnt lgkmcnt(0)
	v_mul_f64 v[11:12], v[3:4], v[131:132]
	v_mul_f64 v[131:132], v[1:2], v[131:132]
	v_fma_f64 v[1:2], v[1:2], v[129:130], -v[11:12]
	v_fma_f64 v[3:4], v[3:4], v[129:130], v[131:132]
	buffer_store_dword v2, off, s[0:3], 0 offset:276
	buffer_store_dword v1, off, s[0:3], 0 offset:272
	;; [unrolled: 1-line block ×4, first 2 shown]
.LBB59_339:
	s_or_b32 exec_lo, exec_lo, s6
	v_mov_b32_e32 v4, s52
	v_cmp_lt_u32_e64 s4, 16, v0
	s_clause 0x3
	buffer_load_dword v1, v4, s[0:3], 0 offen
	buffer_load_dword v2, v4, s[0:3], 0 offen offset:4
	buffer_load_dword v3, v4, s[0:3], 0 offen offset:8
	;; [unrolled: 1-line block ×3, first 2 shown]
	s_waitcnt vmcnt(0)
	ds_write_b128 v10, v[1:4]
	s_waitcnt lgkmcnt(0)
	s_waitcnt_vscnt null, 0x0
	s_barrier
	buffer_gl0_inv
	s_and_saveexec_b32 s6, s4
	s_cbranch_execz .LBB59_347
; %bb.340:
	ds_read_b128 v[1:4], v10
	s_andn2_b32 vcc_lo, exec_lo, s68
	s_cbranch_vccnz .LBB59_342
; %bb.341:
	s_clause 0x3
	buffer_load_dword v11, v9, s[0:3], 0 offen offset:8
	buffer_load_dword v12, v9, s[0:3], 0 offen offset:12
	buffer_load_dword v129, v9, s[0:3], 0 offen
	buffer_load_dword v130, v9, s[0:3], 0 offen offset:4
	s_waitcnt vmcnt(2) lgkmcnt(0)
	v_mul_f64 v[131:132], v[3:4], v[11:12]
	v_mul_f64 v[11:12], v[1:2], v[11:12]
	s_waitcnt vmcnt(0)
	v_fma_f64 v[1:2], v[1:2], v[129:130], -v[131:132]
	v_fma_f64 v[3:4], v[3:4], v[129:130], v[11:12]
.LBB59_342:
	s_and_saveexec_b32 s8, s5
	s_cbranch_execz .LBB59_346
; %bb.343:
	v_subrev_nc_u32_e32 v11, 17, v0
	s_movk_i32 s69, 0x4d0
	s_mov_b32 s5, 0
	s_mov_b32 s70, s51
	.p2align	6
.LBB59_344:                             ; =>This Inner Loop Header: Depth=1
	v_mov_b32_e32 v12, s70
	v_add_nc_u32_e32 v11, -1, v11
	s_add_i32 s70, s70, 16
	s_clause 0x3
	buffer_load_dword v133, v12, s[0:3], 0 offen offset:8
	buffer_load_dword v134, v12, s[0:3], 0 offen offset:12
	buffer_load_dword v135, v12, s[0:3], 0 offen
	buffer_load_dword v136, v12, s[0:3], 0 offen offset:4
	v_mov_b32_e32 v12, s69
	v_cmp_eq_u32_e32 vcc_lo, 0, v11
	s_add_i32 s69, s69, 16
	ds_read_b128 v[129:132], v12
	s_or_b32 s5, vcc_lo, s5
	s_waitcnt vmcnt(2) lgkmcnt(0)
	v_mul_f64 v[137:138], v[131:132], v[133:134]
	v_mul_f64 v[133:134], v[129:130], v[133:134]
	s_waitcnt vmcnt(0)
	v_fma_f64 v[129:130], v[129:130], v[135:136], -v[137:138]
	v_fma_f64 v[131:132], v[131:132], v[135:136], v[133:134]
	v_add_f64 v[1:2], v[1:2], v[129:130]
	v_add_f64 v[3:4], v[3:4], v[131:132]
	s_andn2_b32 exec_lo, exec_lo, s5
	s_cbranch_execnz .LBB59_344
; %bb.345:
	s_or_b32 exec_lo, exec_lo, s5
.LBB59_346:
	s_or_b32 exec_lo, exec_lo, s8
	v_mov_b32_e32 v11, 0
	ds_read_b128 v[129:132], v11 offset:256
	s_waitcnt lgkmcnt(0)
	v_mul_f64 v[11:12], v[3:4], v[131:132]
	v_mul_f64 v[131:132], v[1:2], v[131:132]
	v_fma_f64 v[1:2], v[1:2], v[129:130], -v[11:12]
	v_fma_f64 v[3:4], v[3:4], v[129:130], v[131:132]
	buffer_store_dword v2, off, s[0:3], 0 offset:260
	buffer_store_dword v1, off, s[0:3], 0 offset:256
	;; [unrolled: 1-line block ×4, first 2 shown]
.LBB59_347:
	s_or_b32 exec_lo, exec_lo, s6
	v_mov_b32_e32 v4, s53
	v_cmp_lt_u32_e64 s5, 15, v0
	s_clause 0x3
	buffer_load_dword v1, v4, s[0:3], 0 offen
	buffer_load_dword v2, v4, s[0:3], 0 offen offset:4
	buffer_load_dword v3, v4, s[0:3], 0 offen offset:8
	;; [unrolled: 1-line block ×3, first 2 shown]
	s_waitcnt vmcnt(0)
	ds_write_b128 v10, v[1:4]
	s_waitcnt lgkmcnt(0)
	s_waitcnt_vscnt null, 0x0
	s_barrier
	buffer_gl0_inv
	s_and_saveexec_b32 s6, s5
	s_cbranch_execz .LBB59_355
; %bb.348:
	ds_read_b128 v[1:4], v10
	s_andn2_b32 vcc_lo, exec_lo, s68
	s_cbranch_vccnz .LBB59_350
; %bb.349:
	s_clause 0x3
	buffer_load_dword v11, v9, s[0:3], 0 offen offset:8
	buffer_load_dword v12, v9, s[0:3], 0 offen offset:12
	buffer_load_dword v129, v9, s[0:3], 0 offen
	buffer_load_dword v130, v9, s[0:3], 0 offen offset:4
	s_waitcnt vmcnt(2) lgkmcnt(0)
	v_mul_f64 v[131:132], v[3:4], v[11:12]
	v_mul_f64 v[11:12], v[1:2], v[11:12]
	s_waitcnt vmcnt(0)
	v_fma_f64 v[1:2], v[1:2], v[129:130], -v[131:132]
	v_fma_f64 v[3:4], v[3:4], v[129:130], v[11:12]
.LBB59_350:
	s_and_saveexec_b32 s8, s4
	s_cbranch_execz .LBB59_354
; %bb.351:
	v_add_nc_u32_e32 v11, -16, v0
	s_movk_i32 s69, 0x4c0
	s_mov_b32 s4, 0
	s_mov_b32 s70, s52
	.p2align	6
.LBB59_352:                             ; =>This Inner Loop Header: Depth=1
	v_mov_b32_e32 v12, s70
	v_add_nc_u32_e32 v11, -1, v11
	s_add_i32 s70, s70, 16
	s_clause 0x3
	buffer_load_dword v133, v12, s[0:3], 0 offen offset:8
	buffer_load_dword v134, v12, s[0:3], 0 offen offset:12
	buffer_load_dword v135, v12, s[0:3], 0 offen
	buffer_load_dword v136, v12, s[0:3], 0 offen offset:4
	v_mov_b32_e32 v12, s69
	v_cmp_eq_u32_e32 vcc_lo, 0, v11
	s_add_i32 s69, s69, 16
	ds_read_b128 v[129:132], v12
	s_or_b32 s4, vcc_lo, s4
	s_waitcnt vmcnt(2) lgkmcnt(0)
	v_mul_f64 v[137:138], v[131:132], v[133:134]
	v_mul_f64 v[133:134], v[129:130], v[133:134]
	s_waitcnt vmcnt(0)
	v_fma_f64 v[129:130], v[129:130], v[135:136], -v[137:138]
	v_fma_f64 v[131:132], v[131:132], v[135:136], v[133:134]
	v_add_f64 v[1:2], v[1:2], v[129:130]
	v_add_f64 v[3:4], v[3:4], v[131:132]
	s_andn2_b32 exec_lo, exec_lo, s4
	s_cbranch_execnz .LBB59_352
; %bb.353:
	s_or_b32 exec_lo, exec_lo, s4
.LBB59_354:
	s_or_b32 exec_lo, exec_lo, s8
	v_mov_b32_e32 v11, 0
	ds_read_b128 v[129:132], v11 offset:240
	s_waitcnt lgkmcnt(0)
	v_mul_f64 v[11:12], v[3:4], v[131:132]
	v_mul_f64 v[131:132], v[1:2], v[131:132]
	v_fma_f64 v[1:2], v[1:2], v[129:130], -v[11:12]
	v_fma_f64 v[3:4], v[3:4], v[129:130], v[131:132]
	buffer_store_dword v2, off, s[0:3], 0 offset:244
	buffer_store_dword v1, off, s[0:3], 0 offset:240
	;; [unrolled: 1-line block ×4, first 2 shown]
.LBB59_355:
	s_or_b32 exec_lo, exec_lo, s6
	v_mov_b32_e32 v4, s54
	v_cmp_lt_u32_e64 s4, 14, v0
	s_clause 0x3
	buffer_load_dword v1, v4, s[0:3], 0 offen
	buffer_load_dword v2, v4, s[0:3], 0 offen offset:4
	buffer_load_dword v3, v4, s[0:3], 0 offen offset:8
	;; [unrolled: 1-line block ×3, first 2 shown]
	s_waitcnt vmcnt(0)
	ds_write_b128 v10, v[1:4]
	s_waitcnt lgkmcnt(0)
	s_waitcnt_vscnt null, 0x0
	s_barrier
	buffer_gl0_inv
	s_and_saveexec_b32 s6, s4
	s_cbranch_execz .LBB59_363
; %bb.356:
	ds_read_b128 v[1:4], v10
	s_andn2_b32 vcc_lo, exec_lo, s68
	s_cbranch_vccnz .LBB59_358
; %bb.357:
	s_clause 0x3
	buffer_load_dword v11, v9, s[0:3], 0 offen offset:8
	buffer_load_dword v12, v9, s[0:3], 0 offen offset:12
	buffer_load_dword v129, v9, s[0:3], 0 offen
	buffer_load_dword v130, v9, s[0:3], 0 offen offset:4
	s_waitcnt vmcnt(2) lgkmcnt(0)
	v_mul_f64 v[131:132], v[3:4], v[11:12]
	v_mul_f64 v[11:12], v[1:2], v[11:12]
	s_waitcnt vmcnt(0)
	v_fma_f64 v[1:2], v[1:2], v[129:130], -v[131:132]
	v_fma_f64 v[3:4], v[3:4], v[129:130], v[11:12]
.LBB59_358:
	s_and_saveexec_b32 s8, s5
	s_cbranch_execz .LBB59_362
; %bb.359:
	v_add_nc_u32_e32 v11, -15, v0
	s_movk_i32 s69, 0x4b0
	s_mov_b32 s5, 0
	s_mov_b32 s70, s53
	.p2align	6
.LBB59_360:                             ; =>This Inner Loop Header: Depth=1
	v_mov_b32_e32 v12, s70
	v_add_nc_u32_e32 v11, -1, v11
	s_add_i32 s70, s70, 16
	s_clause 0x3
	buffer_load_dword v133, v12, s[0:3], 0 offen offset:8
	buffer_load_dword v134, v12, s[0:3], 0 offen offset:12
	buffer_load_dword v135, v12, s[0:3], 0 offen
	buffer_load_dword v136, v12, s[0:3], 0 offen offset:4
	v_mov_b32_e32 v12, s69
	v_cmp_eq_u32_e32 vcc_lo, 0, v11
	s_add_i32 s69, s69, 16
	ds_read_b128 v[129:132], v12
	s_or_b32 s5, vcc_lo, s5
	s_waitcnt vmcnt(2) lgkmcnt(0)
	v_mul_f64 v[137:138], v[131:132], v[133:134]
	v_mul_f64 v[133:134], v[129:130], v[133:134]
	s_waitcnt vmcnt(0)
	v_fma_f64 v[129:130], v[129:130], v[135:136], -v[137:138]
	v_fma_f64 v[131:132], v[131:132], v[135:136], v[133:134]
	v_add_f64 v[1:2], v[1:2], v[129:130]
	v_add_f64 v[3:4], v[3:4], v[131:132]
	s_andn2_b32 exec_lo, exec_lo, s5
	s_cbranch_execnz .LBB59_360
; %bb.361:
	s_or_b32 exec_lo, exec_lo, s5
.LBB59_362:
	s_or_b32 exec_lo, exec_lo, s8
	v_mov_b32_e32 v11, 0
	ds_read_b128 v[129:132], v11 offset:224
	s_waitcnt lgkmcnt(0)
	v_mul_f64 v[11:12], v[3:4], v[131:132]
	v_mul_f64 v[131:132], v[1:2], v[131:132]
	v_fma_f64 v[1:2], v[1:2], v[129:130], -v[11:12]
	v_fma_f64 v[3:4], v[3:4], v[129:130], v[131:132]
	buffer_store_dword v2, off, s[0:3], 0 offset:228
	buffer_store_dword v1, off, s[0:3], 0 offset:224
	;; [unrolled: 1-line block ×4, first 2 shown]
.LBB59_363:
	s_or_b32 exec_lo, exec_lo, s6
	v_mov_b32_e32 v4, s55
	v_cmp_lt_u32_e64 s5, 13, v0
	s_clause 0x3
	buffer_load_dword v1, v4, s[0:3], 0 offen
	buffer_load_dword v2, v4, s[0:3], 0 offen offset:4
	buffer_load_dword v3, v4, s[0:3], 0 offen offset:8
	;; [unrolled: 1-line block ×3, first 2 shown]
	s_waitcnt vmcnt(0)
	ds_write_b128 v10, v[1:4]
	s_waitcnt lgkmcnt(0)
	s_waitcnt_vscnt null, 0x0
	s_barrier
	buffer_gl0_inv
	s_and_saveexec_b32 s6, s5
	s_cbranch_execz .LBB59_371
; %bb.364:
	ds_read_b128 v[1:4], v10
	s_andn2_b32 vcc_lo, exec_lo, s68
	s_cbranch_vccnz .LBB59_366
; %bb.365:
	s_clause 0x3
	buffer_load_dword v11, v9, s[0:3], 0 offen offset:8
	buffer_load_dword v12, v9, s[0:3], 0 offen offset:12
	buffer_load_dword v129, v9, s[0:3], 0 offen
	buffer_load_dword v130, v9, s[0:3], 0 offen offset:4
	s_waitcnt vmcnt(2) lgkmcnt(0)
	v_mul_f64 v[131:132], v[3:4], v[11:12]
	v_mul_f64 v[11:12], v[1:2], v[11:12]
	s_waitcnt vmcnt(0)
	v_fma_f64 v[1:2], v[1:2], v[129:130], -v[131:132]
	v_fma_f64 v[3:4], v[3:4], v[129:130], v[11:12]
.LBB59_366:
	s_and_saveexec_b32 s8, s4
	s_cbranch_execz .LBB59_370
; %bb.367:
	v_add_nc_u32_e32 v11, -14, v0
	s_movk_i32 s69, 0x4a0
	s_mov_b32 s4, 0
	s_mov_b32 s70, s54
	.p2align	6
.LBB59_368:                             ; =>This Inner Loop Header: Depth=1
	v_mov_b32_e32 v12, s70
	v_add_nc_u32_e32 v11, -1, v11
	s_add_i32 s70, s70, 16
	s_clause 0x3
	buffer_load_dword v133, v12, s[0:3], 0 offen offset:8
	buffer_load_dword v134, v12, s[0:3], 0 offen offset:12
	buffer_load_dword v135, v12, s[0:3], 0 offen
	buffer_load_dword v136, v12, s[0:3], 0 offen offset:4
	v_mov_b32_e32 v12, s69
	v_cmp_eq_u32_e32 vcc_lo, 0, v11
	s_add_i32 s69, s69, 16
	ds_read_b128 v[129:132], v12
	s_or_b32 s4, vcc_lo, s4
	s_waitcnt vmcnt(2) lgkmcnt(0)
	v_mul_f64 v[137:138], v[131:132], v[133:134]
	v_mul_f64 v[133:134], v[129:130], v[133:134]
	s_waitcnt vmcnt(0)
	v_fma_f64 v[129:130], v[129:130], v[135:136], -v[137:138]
	v_fma_f64 v[131:132], v[131:132], v[135:136], v[133:134]
	v_add_f64 v[1:2], v[1:2], v[129:130]
	v_add_f64 v[3:4], v[3:4], v[131:132]
	s_andn2_b32 exec_lo, exec_lo, s4
	s_cbranch_execnz .LBB59_368
; %bb.369:
	s_or_b32 exec_lo, exec_lo, s4
.LBB59_370:
	s_or_b32 exec_lo, exec_lo, s8
	v_mov_b32_e32 v11, 0
	ds_read_b128 v[129:132], v11 offset:208
	s_waitcnt lgkmcnt(0)
	v_mul_f64 v[11:12], v[3:4], v[131:132]
	v_mul_f64 v[131:132], v[1:2], v[131:132]
	v_fma_f64 v[1:2], v[1:2], v[129:130], -v[11:12]
	v_fma_f64 v[3:4], v[3:4], v[129:130], v[131:132]
	buffer_store_dword v2, off, s[0:3], 0 offset:212
	buffer_store_dword v1, off, s[0:3], 0 offset:208
	;; [unrolled: 1-line block ×4, first 2 shown]
.LBB59_371:
	s_or_b32 exec_lo, exec_lo, s6
	v_mov_b32_e32 v4, s56
	v_cmp_lt_u32_e64 s4, 12, v0
	s_clause 0x3
	buffer_load_dword v1, v4, s[0:3], 0 offen
	buffer_load_dword v2, v4, s[0:3], 0 offen offset:4
	buffer_load_dword v3, v4, s[0:3], 0 offen offset:8
	;; [unrolled: 1-line block ×3, first 2 shown]
	s_waitcnt vmcnt(0)
	ds_write_b128 v10, v[1:4]
	s_waitcnt lgkmcnt(0)
	s_waitcnt_vscnt null, 0x0
	s_barrier
	buffer_gl0_inv
	s_and_saveexec_b32 s6, s4
	s_cbranch_execz .LBB59_379
; %bb.372:
	ds_read_b128 v[1:4], v10
	s_andn2_b32 vcc_lo, exec_lo, s68
	s_cbranch_vccnz .LBB59_374
; %bb.373:
	s_clause 0x3
	buffer_load_dword v11, v9, s[0:3], 0 offen offset:8
	buffer_load_dword v12, v9, s[0:3], 0 offen offset:12
	buffer_load_dword v129, v9, s[0:3], 0 offen
	buffer_load_dword v130, v9, s[0:3], 0 offen offset:4
	s_waitcnt vmcnt(2) lgkmcnt(0)
	v_mul_f64 v[131:132], v[3:4], v[11:12]
	v_mul_f64 v[11:12], v[1:2], v[11:12]
	s_waitcnt vmcnt(0)
	v_fma_f64 v[1:2], v[1:2], v[129:130], -v[131:132]
	v_fma_f64 v[3:4], v[3:4], v[129:130], v[11:12]
.LBB59_374:
	s_and_saveexec_b32 s8, s5
	s_cbranch_execz .LBB59_378
; %bb.375:
	v_add_nc_u32_e32 v11, -13, v0
	s_movk_i32 s69, 0x490
	s_mov_b32 s5, 0
	s_mov_b32 s70, s55
	.p2align	6
.LBB59_376:                             ; =>This Inner Loop Header: Depth=1
	v_mov_b32_e32 v12, s70
	v_add_nc_u32_e32 v11, -1, v11
	s_add_i32 s70, s70, 16
	s_clause 0x3
	buffer_load_dword v133, v12, s[0:3], 0 offen offset:8
	buffer_load_dword v134, v12, s[0:3], 0 offen offset:12
	buffer_load_dword v135, v12, s[0:3], 0 offen
	buffer_load_dword v136, v12, s[0:3], 0 offen offset:4
	v_mov_b32_e32 v12, s69
	v_cmp_eq_u32_e32 vcc_lo, 0, v11
	s_add_i32 s69, s69, 16
	ds_read_b128 v[129:132], v12
	s_or_b32 s5, vcc_lo, s5
	s_waitcnt vmcnt(2) lgkmcnt(0)
	v_mul_f64 v[137:138], v[131:132], v[133:134]
	v_mul_f64 v[133:134], v[129:130], v[133:134]
	s_waitcnt vmcnt(0)
	v_fma_f64 v[129:130], v[129:130], v[135:136], -v[137:138]
	v_fma_f64 v[131:132], v[131:132], v[135:136], v[133:134]
	v_add_f64 v[1:2], v[1:2], v[129:130]
	v_add_f64 v[3:4], v[3:4], v[131:132]
	s_andn2_b32 exec_lo, exec_lo, s5
	s_cbranch_execnz .LBB59_376
; %bb.377:
	s_or_b32 exec_lo, exec_lo, s5
.LBB59_378:
	s_or_b32 exec_lo, exec_lo, s8
	v_mov_b32_e32 v11, 0
	ds_read_b128 v[129:132], v11 offset:192
	s_waitcnt lgkmcnt(0)
	v_mul_f64 v[11:12], v[3:4], v[131:132]
	v_mul_f64 v[131:132], v[1:2], v[131:132]
	v_fma_f64 v[1:2], v[1:2], v[129:130], -v[11:12]
	v_fma_f64 v[3:4], v[3:4], v[129:130], v[131:132]
	buffer_store_dword v2, off, s[0:3], 0 offset:196
	buffer_store_dword v1, off, s[0:3], 0 offset:192
	buffer_store_dword v4, off, s[0:3], 0 offset:204
	buffer_store_dword v3, off, s[0:3], 0 offset:200
.LBB59_379:
	s_or_b32 exec_lo, exec_lo, s6
	v_mov_b32_e32 v4, s57
	v_cmp_lt_u32_e64 s5, 11, v0
	s_clause 0x3
	buffer_load_dword v1, v4, s[0:3], 0 offen
	buffer_load_dword v2, v4, s[0:3], 0 offen offset:4
	buffer_load_dword v3, v4, s[0:3], 0 offen offset:8
	;; [unrolled: 1-line block ×3, first 2 shown]
	s_waitcnt vmcnt(0)
	ds_write_b128 v10, v[1:4]
	s_waitcnt lgkmcnt(0)
	s_waitcnt_vscnt null, 0x0
	s_barrier
	buffer_gl0_inv
	s_and_saveexec_b32 s6, s5
	s_cbranch_execz .LBB59_387
; %bb.380:
	ds_read_b128 v[1:4], v10
	s_andn2_b32 vcc_lo, exec_lo, s68
	s_cbranch_vccnz .LBB59_382
; %bb.381:
	s_clause 0x3
	buffer_load_dword v11, v9, s[0:3], 0 offen offset:8
	buffer_load_dword v12, v9, s[0:3], 0 offen offset:12
	buffer_load_dword v129, v9, s[0:3], 0 offen
	buffer_load_dword v130, v9, s[0:3], 0 offen offset:4
	s_waitcnt vmcnt(2) lgkmcnt(0)
	v_mul_f64 v[131:132], v[3:4], v[11:12]
	v_mul_f64 v[11:12], v[1:2], v[11:12]
	s_waitcnt vmcnt(0)
	v_fma_f64 v[1:2], v[1:2], v[129:130], -v[131:132]
	v_fma_f64 v[3:4], v[3:4], v[129:130], v[11:12]
.LBB59_382:
	s_and_saveexec_b32 s8, s4
	s_cbranch_execz .LBB59_386
; %bb.383:
	v_add_nc_u32_e32 v11, -12, v0
	s_movk_i32 s69, 0x480
	s_mov_b32 s4, 0
	s_mov_b32 s70, s56
	.p2align	6
.LBB59_384:                             ; =>This Inner Loop Header: Depth=1
	v_mov_b32_e32 v12, s70
	v_add_nc_u32_e32 v11, -1, v11
	s_add_i32 s70, s70, 16
	s_clause 0x3
	buffer_load_dword v133, v12, s[0:3], 0 offen offset:8
	buffer_load_dword v134, v12, s[0:3], 0 offen offset:12
	buffer_load_dword v135, v12, s[0:3], 0 offen
	buffer_load_dword v136, v12, s[0:3], 0 offen offset:4
	v_mov_b32_e32 v12, s69
	v_cmp_eq_u32_e32 vcc_lo, 0, v11
	s_add_i32 s69, s69, 16
	ds_read_b128 v[129:132], v12
	s_or_b32 s4, vcc_lo, s4
	s_waitcnt vmcnt(2) lgkmcnt(0)
	v_mul_f64 v[137:138], v[131:132], v[133:134]
	v_mul_f64 v[133:134], v[129:130], v[133:134]
	s_waitcnt vmcnt(0)
	v_fma_f64 v[129:130], v[129:130], v[135:136], -v[137:138]
	v_fma_f64 v[131:132], v[131:132], v[135:136], v[133:134]
	v_add_f64 v[1:2], v[1:2], v[129:130]
	v_add_f64 v[3:4], v[3:4], v[131:132]
	s_andn2_b32 exec_lo, exec_lo, s4
	s_cbranch_execnz .LBB59_384
; %bb.385:
	s_or_b32 exec_lo, exec_lo, s4
.LBB59_386:
	s_or_b32 exec_lo, exec_lo, s8
	v_mov_b32_e32 v11, 0
	ds_read_b128 v[129:132], v11 offset:176
	s_waitcnt lgkmcnt(0)
	v_mul_f64 v[11:12], v[3:4], v[131:132]
	v_mul_f64 v[131:132], v[1:2], v[131:132]
	v_fma_f64 v[1:2], v[1:2], v[129:130], -v[11:12]
	v_fma_f64 v[3:4], v[3:4], v[129:130], v[131:132]
	buffer_store_dword v2, off, s[0:3], 0 offset:180
	buffer_store_dword v1, off, s[0:3], 0 offset:176
	;; [unrolled: 1-line block ×4, first 2 shown]
.LBB59_387:
	s_or_b32 exec_lo, exec_lo, s6
	v_mov_b32_e32 v4, s58
	v_cmp_lt_u32_e64 s4, 10, v0
	s_clause 0x3
	buffer_load_dword v1, v4, s[0:3], 0 offen
	buffer_load_dword v2, v4, s[0:3], 0 offen offset:4
	buffer_load_dword v3, v4, s[0:3], 0 offen offset:8
	;; [unrolled: 1-line block ×3, first 2 shown]
	s_waitcnt vmcnt(0)
	ds_write_b128 v10, v[1:4]
	s_waitcnt lgkmcnt(0)
	s_waitcnt_vscnt null, 0x0
	s_barrier
	buffer_gl0_inv
	s_and_saveexec_b32 s6, s4
	s_cbranch_execz .LBB59_395
; %bb.388:
	ds_read_b128 v[1:4], v10
	s_andn2_b32 vcc_lo, exec_lo, s68
	s_cbranch_vccnz .LBB59_390
; %bb.389:
	s_clause 0x3
	buffer_load_dword v11, v9, s[0:3], 0 offen offset:8
	buffer_load_dword v12, v9, s[0:3], 0 offen offset:12
	buffer_load_dword v129, v9, s[0:3], 0 offen
	buffer_load_dword v130, v9, s[0:3], 0 offen offset:4
	s_waitcnt vmcnt(2) lgkmcnt(0)
	v_mul_f64 v[131:132], v[3:4], v[11:12]
	v_mul_f64 v[11:12], v[1:2], v[11:12]
	s_waitcnt vmcnt(0)
	v_fma_f64 v[1:2], v[1:2], v[129:130], -v[131:132]
	v_fma_f64 v[3:4], v[3:4], v[129:130], v[11:12]
.LBB59_390:
	s_and_saveexec_b32 s8, s5
	s_cbranch_execz .LBB59_394
; %bb.391:
	v_add_nc_u32_e32 v11, -11, v0
	s_movk_i32 s69, 0x470
	s_mov_b32 s5, 0
	s_mov_b32 s70, s57
	.p2align	6
.LBB59_392:                             ; =>This Inner Loop Header: Depth=1
	v_mov_b32_e32 v12, s70
	v_add_nc_u32_e32 v11, -1, v11
	s_add_i32 s70, s70, 16
	s_clause 0x3
	buffer_load_dword v133, v12, s[0:3], 0 offen offset:8
	buffer_load_dword v134, v12, s[0:3], 0 offen offset:12
	buffer_load_dword v135, v12, s[0:3], 0 offen
	buffer_load_dword v136, v12, s[0:3], 0 offen offset:4
	v_mov_b32_e32 v12, s69
	v_cmp_eq_u32_e32 vcc_lo, 0, v11
	s_add_i32 s69, s69, 16
	ds_read_b128 v[129:132], v12
	s_or_b32 s5, vcc_lo, s5
	s_waitcnt vmcnt(2) lgkmcnt(0)
	v_mul_f64 v[137:138], v[131:132], v[133:134]
	v_mul_f64 v[133:134], v[129:130], v[133:134]
	s_waitcnt vmcnt(0)
	v_fma_f64 v[129:130], v[129:130], v[135:136], -v[137:138]
	v_fma_f64 v[131:132], v[131:132], v[135:136], v[133:134]
	v_add_f64 v[1:2], v[1:2], v[129:130]
	v_add_f64 v[3:4], v[3:4], v[131:132]
	s_andn2_b32 exec_lo, exec_lo, s5
	s_cbranch_execnz .LBB59_392
; %bb.393:
	s_or_b32 exec_lo, exec_lo, s5
.LBB59_394:
	s_or_b32 exec_lo, exec_lo, s8
	v_mov_b32_e32 v11, 0
	ds_read_b128 v[129:132], v11 offset:160
	s_waitcnt lgkmcnt(0)
	v_mul_f64 v[11:12], v[3:4], v[131:132]
	v_mul_f64 v[131:132], v[1:2], v[131:132]
	v_fma_f64 v[1:2], v[1:2], v[129:130], -v[11:12]
	v_fma_f64 v[3:4], v[3:4], v[129:130], v[131:132]
	buffer_store_dword v2, off, s[0:3], 0 offset:164
	buffer_store_dword v1, off, s[0:3], 0 offset:160
	;; [unrolled: 1-line block ×4, first 2 shown]
.LBB59_395:
	s_or_b32 exec_lo, exec_lo, s6
	v_mov_b32_e32 v4, s59
	v_cmp_lt_u32_e64 s5, 9, v0
	s_clause 0x3
	buffer_load_dword v1, v4, s[0:3], 0 offen
	buffer_load_dword v2, v4, s[0:3], 0 offen offset:4
	buffer_load_dword v3, v4, s[0:3], 0 offen offset:8
	;; [unrolled: 1-line block ×3, first 2 shown]
	s_waitcnt vmcnt(0)
	ds_write_b128 v10, v[1:4]
	s_waitcnt lgkmcnt(0)
	s_waitcnt_vscnt null, 0x0
	s_barrier
	buffer_gl0_inv
	s_and_saveexec_b32 s6, s5
	s_cbranch_execz .LBB59_403
; %bb.396:
	ds_read_b128 v[1:4], v10
	s_andn2_b32 vcc_lo, exec_lo, s68
	s_cbranch_vccnz .LBB59_398
; %bb.397:
	s_clause 0x3
	buffer_load_dword v11, v9, s[0:3], 0 offen offset:8
	buffer_load_dword v12, v9, s[0:3], 0 offen offset:12
	buffer_load_dword v129, v9, s[0:3], 0 offen
	buffer_load_dword v130, v9, s[0:3], 0 offen offset:4
	s_waitcnt vmcnt(2) lgkmcnt(0)
	v_mul_f64 v[131:132], v[3:4], v[11:12]
	v_mul_f64 v[11:12], v[1:2], v[11:12]
	s_waitcnt vmcnt(0)
	v_fma_f64 v[1:2], v[1:2], v[129:130], -v[131:132]
	v_fma_f64 v[3:4], v[3:4], v[129:130], v[11:12]
.LBB59_398:
	s_and_saveexec_b32 s8, s4
	s_cbranch_execz .LBB59_402
; %bb.399:
	v_add_nc_u32_e32 v11, -10, v0
	s_movk_i32 s69, 0x460
	s_mov_b32 s4, 0
	s_mov_b32 s70, s58
	.p2align	6
.LBB59_400:                             ; =>This Inner Loop Header: Depth=1
	v_mov_b32_e32 v12, s70
	v_add_nc_u32_e32 v11, -1, v11
	s_add_i32 s70, s70, 16
	s_clause 0x3
	buffer_load_dword v133, v12, s[0:3], 0 offen offset:8
	buffer_load_dword v134, v12, s[0:3], 0 offen offset:12
	buffer_load_dword v135, v12, s[0:3], 0 offen
	buffer_load_dword v136, v12, s[0:3], 0 offen offset:4
	v_mov_b32_e32 v12, s69
	v_cmp_eq_u32_e32 vcc_lo, 0, v11
	s_add_i32 s69, s69, 16
	ds_read_b128 v[129:132], v12
	s_or_b32 s4, vcc_lo, s4
	s_waitcnt vmcnt(2) lgkmcnt(0)
	v_mul_f64 v[137:138], v[131:132], v[133:134]
	v_mul_f64 v[133:134], v[129:130], v[133:134]
	s_waitcnt vmcnt(0)
	v_fma_f64 v[129:130], v[129:130], v[135:136], -v[137:138]
	v_fma_f64 v[131:132], v[131:132], v[135:136], v[133:134]
	v_add_f64 v[1:2], v[1:2], v[129:130]
	v_add_f64 v[3:4], v[3:4], v[131:132]
	s_andn2_b32 exec_lo, exec_lo, s4
	s_cbranch_execnz .LBB59_400
; %bb.401:
	s_or_b32 exec_lo, exec_lo, s4
.LBB59_402:
	s_or_b32 exec_lo, exec_lo, s8
	v_mov_b32_e32 v11, 0
	ds_read_b128 v[129:132], v11 offset:144
	s_waitcnt lgkmcnt(0)
	v_mul_f64 v[11:12], v[3:4], v[131:132]
	v_mul_f64 v[131:132], v[1:2], v[131:132]
	v_fma_f64 v[1:2], v[1:2], v[129:130], -v[11:12]
	v_fma_f64 v[3:4], v[3:4], v[129:130], v[131:132]
	buffer_store_dword v2, off, s[0:3], 0 offset:148
	buffer_store_dword v1, off, s[0:3], 0 offset:144
	;; [unrolled: 1-line block ×4, first 2 shown]
.LBB59_403:
	s_or_b32 exec_lo, exec_lo, s6
	v_mov_b32_e32 v4, s60
	v_cmp_lt_u32_e64 s4, 8, v0
	s_clause 0x3
	buffer_load_dword v1, v4, s[0:3], 0 offen
	buffer_load_dword v2, v4, s[0:3], 0 offen offset:4
	buffer_load_dword v3, v4, s[0:3], 0 offen offset:8
	;; [unrolled: 1-line block ×3, first 2 shown]
	s_waitcnt vmcnt(0)
	ds_write_b128 v10, v[1:4]
	s_waitcnt lgkmcnt(0)
	s_waitcnt_vscnt null, 0x0
	s_barrier
	buffer_gl0_inv
	s_and_saveexec_b32 s6, s4
	s_cbranch_execz .LBB59_411
; %bb.404:
	ds_read_b128 v[1:4], v10
	s_andn2_b32 vcc_lo, exec_lo, s68
	s_cbranch_vccnz .LBB59_406
; %bb.405:
	s_clause 0x3
	buffer_load_dword v11, v9, s[0:3], 0 offen offset:8
	buffer_load_dword v12, v9, s[0:3], 0 offen offset:12
	buffer_load_dword v129, v9, s[0:3], 0 offen
	buffer_load_dword v130, v9, s[0:3], 0 offen offset:4
	s_waitcnt vmcnt(2) lgkmcnt(0)
	v_mul_f64 v[131:132], v[3:4], v[11:12]
	v_mul_f64 v[11:12], v[1:2], v[11:12]
	s_waitcnt vmcnt(0)
	v_fma_f64 v[1:2], v[1:2], v[129:130], -v[131:132]
	v_fma_f64 v[3:4], v[3:4], v[129:130], v[11:12]
.LBB59_406:
	s_and_saveexec_b32 s8, s5
	s_cbranch_execz .LBB59_410
; %bb.407:
	v_add_nc_u32_e32 v11, -9, v0
	s_movk_i32 s69, 0x450
	s_mov_b32 s5, 0
	s_mov_b32 s70, s59
	.p2align	6
.LBB59_408:                             ; =>This Inner Loop Header: Depth=1
	v_mov_b32_e32 v12, s70
	v_add_nc_u32_e32 v11, -1, v11
	s_add_i32 s70, s70, 16
	s_clause 0x3
	buffer_load_dword v133, v12, s[0:3], 0 offen offset:8
	buffer_load_dword v134, v12, s[0:3], 0 offen offset:12
	buffer_load_dword v135, v12, s[0:3], 0 offen
	buffer_load_dword v136, v12, s[0:3], 0 offen offset:4
	v_mov_b32_e32 v12, s69
	v_cmp_eq_u32_e32 vcc_lo, 0, v11
	s_add_i32 s69, s69, 16
	ds_read_b128 v[129:132], v12
	s_or_b32 s5, vcc_lo, s5
	s_waitcnt vmcnt(2) lgkmcnt(0)
	v_mul_f64 v[137:138], v[131:132], v[133:134]
	v_mul_f64 v[133:134], v[129:130], v[133:134]
	s_waitcnt vmcnt(0)
	v_fma_f64 v[129:130], v[129:130], v[135:136], -v[137:138]
	v_fma_f64 v[131:132], v[131:132], v[135:136], v[133:134]
	v_add_f64 v[1:2], v[1:2], v[129:130]
	v_add_f64 v[3:4], v[3:4], v[131:132]
	s_andn2_b32 exec_lo, exec_lo, s5
	s_cbranch_execnz .LBB59_408
; %bb.409:
	s_or_b32 exec_lo, exec_lo, s5
.LBB59_410:
	s_or_b32 exec_lo, exec_lo, s8
	v_mov_b32_e32 v11, 0
	ds_read_b128 v[129:132], v11 offset:128
	s_waitcnt lgkmcnt(0)
	v_mul_f64 v[11:12], v[3:4], v[131:132]
	v_mul_f64 v[131:132], v[1:2], v[131:132]
	v_fma_f64 v[1:2], v[1:2], v[129:130], -v[11:12]
	v_fma_f64 v[3:4], v[3:4], v[129:130], v[131:132]
	buffer_store_dword v2, off, s[0:3], 0 offset:132
	buffer_store_dword v1, off, s[0:3], 0 offset:128
	;; [unrolled: 1-line block ×4, first 2 shown]
.LBB59_411:
	s_or_b32 exec_lo, exec_lo, s6
	v_mov_b32_e32 v4, s61
	v_cmp_lt_u32_e64 s5, 7, v0
	s_clause 0x3
	buffer_load_dword v1, v4, s[0:3], 0 offen
	buffer_load_dword v2, v4, s[0:3], 0 offen offset:4
	buffer_load_dword v3, v4, s[0:3], 0 offen offset:8
	;; [unrolled: 1-line block ×3, first 2 shown]
	s_waitcnt vmcnt(0)
	ds_write_b128 v10, v[1:4]
	s_waitcnt lgkmcnt(0)
	s_waitcnt_vscnt null, 0x0
	s_barrier
	buffer_gl0_inv
	s_and_saveexec_b32 s6, s5
	s_cbranch_execz .LBB59_419
; %bb.412:
	ds_read_b128 v[1:4], v10
	s_andn2_b32 vcc_lo, exec_lo, s68
	s_cbranch_vccnz .LBB59_414
; %bb.413:
	s_clause 0x3
	buffer_load_dword v11, v9, s[0:3], 0 offen offset:8
	buffer_load_dword v12, v9, s[0:3], 0 offen offset:12
	buffer_load_dword v129, v9, s[0:3], 0 offen
	buffer_load_dword v130, v9, s[0:3], 0 offen offset:4
	s_waitcnt vmcnt(2) lgkmcnt(0)
	v_mul_f64 v[131:132], v[3:4], v[11:12]
	v_mul_f64 v[11:12], v[1:2], v[11:12]
	s_waitcnt vmcnt(0)
	v_fma_f64 v[1:2], v[1:2], v[129:130], -v[131:132]
	v_fma_f64 v[3:4], v[3:4], v[129:130], v[11:12]
.LBB59_414:
	s_and_saveexec_b32 s8, s4
	s_cbranch_execz .LBB59_418
; %bb.415:
	v_add_nc_u32_e32 v11, -8, v0
	s_movk_i32 s69, 0x440
	s_mov_b32 s4, 0
	s_mov_b32 s70, s60
	.p2align	6
.LBB59_416:                             ; =>This Inner Loop Header: Depth=1
	v_mov_b32_e32 v12, s70
	v_add_nc_u32_e32 v11, -1, v11
	s_add_i32 s70, s70, 16
	s_clause 0x3
	buffer_load_dword v133, v12, s[0:3], 0 offen offset:8
	buffer_load_dword v134, v12, s[0:3], 0 offen offset:12
	buffer_load_dword v135, v12, s[0:3], 0 offen
	buffer_load_dword v136, v12, s[0:3], 0 offen offset:4
	v_mov_b32_e32 v12, s69
	v_cmp_eq_u32_e32 vcc_lo, 0, v11
	s_add_i32 s69, s69, 16
	ds_read_b128 v[129:132], v12
	s_or_b32 s4, vcc_lo, s4
	s_waitcnt vmcnt(2) lgkmcnt(0)
	v_mul_f64 v[137:138], v[131:132], v[133:134]
	v_mul_f64 v[133:134], v[129:130], v[133:134]
	s_waitcnt vmcnt(0)
	v_fma_f64 v[129:130], v[129:130], v[135:136], -v[137:138]
	v_fma_f64 v[131:132], v[131:132], v[135:136], v[133:134]
	v_add_f64 v[1:2], v[1:2], v[129:130]
	v_add_f64 v[3:4], v[3:4], v[131:132]
	s_andn2_b32 exec_lo, exec_lo, s4
	s_cbranch_execnz .LBB59_416
; %bb.417:
	s_or_b32 exec_lo, exec_lo, s4
.LBB59_418:
	s_or_b32 exec_lo, exec_lo, s8
	v_mov_b32_e32 v11, 0
	ds_read_b128 v[129:132], v11 offset:112
	s_waitcnt lgkmcnt(0)
	v_mul_f64 v[11:12], v[3:4], v[131:132]
	v_mul_f64 v[131:132], v[1:2], v[131:132]
	v_fma_f64 v[1:2], v[1:2], v[129:130], -v[11:12]
	v_fma_f64 v[3:4], v[3:4], v[129:130], v[131:132]
	buffer_store_dword v2, off, s[0:3], 0 offset:116
	buffer_store_dword v1, off, s[0:3], 0 offset:112
	;; [unrolled: 1-line block ×4, first 2 shown]
.LBB59_419:
	s_or_b32 exec_lo, exec_lo, s6
	v_mov_b32_e32 v4, s62
	v_cmp_lt_u32_e64 s4, 6, v0
	s_clause 0x3
	buffer_load_dword v1, v4, s[0:3], 0 offen
	buffer_load_dword v2, v4, s[0:3], 0 offen offset:4
	buffer_load_dword v3, v4, s[0:3], 0 offen offset:8
	;; [unrolled: 1-line block ×3, first 2 shown]
	s_waitcnt vmcnt(0)
	ds_write_b128 v10, v[1:4]
	s_waitcnt lgkmcnt(0)
	s_waitcnt_vscnt null, 0x0
	s_barrier
	buffer_gl0_inv
	s_and_saveexec_b32 s6, s4
	s_cbranch_execz .LBB59_427
; %bb.420:
	ds_read_b128 v[1:4], v10
	s_andn2_b32 vcc_lo, exec_lo, s68
	s_cbranch_vccnz .LBB59_422
; %bb.421:
	s_clause 0x3
	buffer_load_dword v11, v9, s[0:3], 0 offen offset:8
	buffer_load_dword v12, v9, s[0:3], 0 offen offset:12
	buffer_load_dword v129, v9, s[0:3], 0 offen
	buffer_load_dword v130, v9, s[0:3], 0 offen offset:4
	s_waitcnt vmcnt(2) lgkmcnt(0)
	v_mul_f64 v[131:132], v[3:4], v[11:12]
	v_mul_f64 v[11:12], v[1:2], v[11:12]
	s_waitcnt vmcnt(0)
	v_fma_f64 v[1:2], v[1:2], v[129:130], -v[131:132]
	v_fma_f64 v[3:4], v[3:4], v[129:130], v[11:12]
.LBB59_422:
	s_and_saveexec_b32 s8, s5
	s_cbranch_execz .LBB59_426
; %bb.423:
	v_add_nc_u32_e32 v11, -7, v0
	s_movk_i32 s69, 0x430
	s_mov_b32 s5, 0
	s_mov_b32 s70, s61
	.p2align	6
.LBB59_424:                             ; =>This Inner Loop Header: Depth=1
	v_mov_b32_e32 v12, s70
	v_add_nc_u32_e32 v11, -1, v11
	s_add_i32 s70, s70, 16
	s_clause 0x3
	buffer_load_dword v133, v12, s[0:3], 0 offen offset:8
	buffer_load_dword v134, v12, s[0:3], 0 offen offset:12
	buffer_load_dword v135, v12, s[0:3], 0 offen
	buffer_load_dword v136, v12, s[0:3], 0 offen offset:4
	v_mov_b32_e32 v12, s69
	v_cmp_eq_u32_e32 vcc_lo, 0, v11
	s_add_i32 s69, s69, 16
	ds_read_b128 v[129:132], v12
	s_or_b32 s5, vcc_lo, s5
	s_waitcnt vmcnt(2) lgkmcnt(0)
	v_mul_f64 v[137:138], v[131:132], v[133:134]
	v_mul_f64 v[133:134], v[129:130], v[133:134]
	s_waitcnt vmcnt(0)
	v_fma_f64 v[129:130], v[129:130], v[135:136], -v[137:138]
	v_fma_f64 v[131:132], v[131:132], v[135:136], v[133:134]
	v_add_f64 v[1:2], v[1:2], v[129:130]
	v_add_f64 v[3:4], v[3:4], v[131:132]
	s_andn2_b32 exec_lo, exec_lo, s5
	s_cbranch_execnz .LBB59_424
; %bb.425:
	s_or_b32 exec_lo, exec_lo, s5
.LBB59_426:
	s_or_b32 exec_lo, exec_lo, s8
	v_mov_b32_e32 v11, 0
	ds_read_b128 v[129:132], v11 offset:96
	s_waitcnt lgkmcnt(0)
	v_mul_f64 v[11:12], v[3:4], v[131:132]
	v_mul_f64 v[131:132], v[1:2], v[131:132]
	v_fma_f64 v[1:2], v[1:2], v[129:130], -v[11:12]
	v_fma_f64 v[3:4], v[3:4], v[129:130], v[131:132]
	buffer_store_dword v2, off, s[0:3], 0 offset:100
	buffer_store_dword v1, off, s[0:3], 0 offset:96
	;; [unrolled: 1-line block ×4, first 2 shown]
.LBB59_427:
	s_or_b32 exec_lo, exec_lo, s6
	v_mov_b32_e32 v4, s63
	v_cmp_lt_u32_e64 s5, 5, v0
	s_clause 0x3
	buffer_load_dword v1, v4, s[0:3], 0 offen
	buffer_load_dword v2, v4, s[0:3], 0 offen offset:4
	buffer_load_dword v3, v4, s[0:3], 0 offen offset:8
	buffer_load_dword v4, v4, s[0:3], 0 offen offset:12
	s_waitcnt vmcnt(0)
	ds_write_b128 v10, v[1:4]
	s_waitcnt lgkmcnt(0)
	s_waitcnt_vscnt null, 0x0
	s_barrier
	buffer_gl0_inv
	s_and_saveexec_b32 s6, s5
	s_cbranch_execz .LBB59_435
; %bb.428:
	ds_read_b128 v[1:4], v10
	s_andn2_b32 vcc_lo, exec_lo, s68
	s_cbranch_vccnz .LBB59_430
; %bb.429:
	s_clause 0x3
	buffer_load_dword v11, v9, s[0:3], 0 offen offset:8
	buffer_load_dword v12, v9, s[0:3], 0 offen offset:12
	buffer_load_dword v129, v9, s[0:3], 0 offen
	buffer_load_dword v130, v9, s[0:3], 0 offen offset:4
	s_waitcnt vmcnt(2) lgkmcnt(0)
	v_mul_f64 v[131:132], v[3:4], v[11:12]
	v_mul_f64 v[11:12], v[1:2], v[11:12]
	s_waitcnt vmcnt(0)
	v_fma_f64 v[1:2], v[1:2], v[129:130], -v[131:132]
	v_fma_f64 v[3:4], v[3:4], v[129:130], v[11:12]
.LBB59_430:
	s_and_saveexec_b32 s8, s4
	s_cbranch_execz .LBB59_434
; %bb.431:
	v_add_nc_u32_e32 v11, -6, v0
	s_movk_i32 s69, 0x420
	s_mov_b32 s4, 0
	s_mov_b32 s70, s62
	.p2align	6
.LBB59_432:                             ; =>This Inner Loop Header: Depth=1
	v_mov_b32_e32 v12, s70
	v_add_nc_u32_e32 v11, -1, v11
	s_add_i32 s70, s70, 16
	s_clause 0x3
	buffer_load_dword v133, v12, s[0:3], 0 offen offset:8
	buffer_load_dword v134, v12, s[0:3], 0 offen offset:12
	buffer_load_dword v135, v12, s[0:3], 0 offen
	buffer_load_dword v136, v12, s[0:3], 0 offen offset:4
	v_mov_b32_e32 v12, s69
	v_cmp_eq_u32_e32 vcc_lo, 0, v11
	s_add_i32 s69, s69, 16
	ds_read_b128 v[129:132], v12
	s_or_b32 s4, vcc_lo, s4
	s_waitcnt vmcnt(2) lgkmcnt(0)
	v_mul_f64 v[137:138], v[131:132], v[133:134]
	v_mul_f64 v[133:134], v[129:130], v[133:134]
	s_waitcnt vmcnt(0)
	v_fma_f64 v[129:130], v[129:130], v[135:136], -v[137:138]
	v_fma_f64 v[131:132], v[131:132], v[135:136], v[133:134]
	v_add_f64 v[1:2], v[1:2], v[129:130]
	v_add_f64 v[3:4], v[3:4], v[131:132]
	s_andn2_b32 exec_lo, exec_lo, s4
	s_cbranch_execnz .LBB59_432
; %bb.433:
	s_or_b32 exec_lo, exec_lo, s4
.LBB59_434:
	s_or_b32 exec_lo, exec_lo, s8
	v_mov_b32_e32 v11, 0
	ds_read_b128 v[129:132], v11 offset:80
	s_waitcnt lgkmcnt(0)
	v_mul_f64 v[11:12], v[3:4], v[131:132]
	v_mul_f64 v[131:132], v[1:2], v[131:132]
	v_fma_f64 v[1:2], v[1:2], v[129:130], -v[11:12]
	v_fma_f64 v[3:4], v[3:4], v[129:130], v[131:132]
	buffer_store_dword v2, off, s[0:3], 0 offset:84
	buffer_store_dword v1, off, s[0:3], 0 offset:80
	buffer_store_dword v4, off, s[0:3], 0 offset:92
	buffer_store_dword v3, off, s[0:3], 0 offset:88
.LBB59_435:
	s_or_b32 exec_lo, exec_lo, s6
	v_mov_b32_e32 v4, s64
	v_cmp_lt_u32_e64 s4, 4, v0
	s_clause 0x3
	buffer_load_dword v1, v4, s[0:3], 0 offen
	buffer_load_dword v2, v4, s[0:3], 0 offen offset:4
	buffer_load_dword v3, v4, s[0:3], 0 offen offset:8
	;; [unrolled: 1-line block ×3, first 2 shown]
	s_waitcnt vmcnt(0)
	ds_write_b128 v10, v[1:4]
	s_waitcnt lgkmcnt(0)
	s_waitcnt_vscnt null, 0x0
	s_barrier
	buffer_gl0_inv
	s_and_saveexec_b32 s6, s4
	s_cbranch_execz .LBB59_443
; %bb.436:
	ds_read_b128 v[1:4], v10
	s_andn2_b32 vcc_lo, exec_lo, s68
	s_cbranch_vccnz .LBB59_438
; %bb.437:
	s_clause 0x3
	buffer_load_dword v11, v9, s[0:3], 0 offen offset:8
	buffer_load_dword v12, v9, s[0:3], 0 offen offset:12
	buffer_load_dword v129, v9, s[0:3], 0 offen
	buffer_load_dword v130, v9, s[0:3], 0 offen offset:4
	s_waitcnt vmcnt(2) lgkmcnt(0)
	v_mul_f64 v[131:132], v[3:4], v[11:12]
	v_mul_f64 v[11:12], v[1:2], v[11:12]
	s_waitcnt vmcnt(0)
	v_fma_f64 v[1:2], v[1:2], v[129:130], -v[131:132]
	v_fma_f64 v[3:4], v[3:4], v[129:130], v[11:12]
.LBB59_438:
	s_and_saveexec_b32 s8, s5
	s_cbranch_execz .LBB59_442
; %bb.439:
	v_add_nc_u32_e32 v11, -5, v0
	s_movk_i32 s69, 0x410
	s_mov_b32 s5, 0
	s_mov_b32 s70, s63
	.p2align	6
.LBB59_440:                             ; =>This Inner Loop Header: Depth=1
	v_mov_b32_e32 v12, s70
	v_add_nc_u32_e32 v11, -1, v11
	s_add_i32 s70, s70, 16
	s_clause 0x3
	buffer_load_dword v133, v12, s[0:3], 0 offen offset:8
	buffer_load_dword v134, v12, s[0:3], 0 offen offset:12
	buffer_load_dword v135, v12, s[0:3], 0 offen
	buffer_load_dword v136, v12, s[0:3], 0 offen offset:4
	v_mov_b32_e32 v12, s69
	v_cmp_eq_u32_e32 vcc_lo, 0, v11
	s_add_i32 s69, s69, 16
	ds_read_b128 v[129:132], v12
	s_or_b32 s5, vcc_lo, s5
	s_waitcnt vmcnt(2) lgkmcnt(0)
	v_mul_f64 v[137:138], v[131:132], v[133:134]
	v_mul_f64 v[133:134], v[129:130], v[133:134]
	s_waitcnt vmcnt(0)
	v_fma_f64 v[129:130], v[129:130], v[135:136], -v[137:138]
	v_fma_f64 v[131:132], v[131:132], v[135:136], v[133:134]
	v_add_f64 v[1:2], v[1:2], v[129:130]
	v_add_f64 v[3:4], v[3:4], v[131:132]
	s_andn2_b32 exec_lo, exec_lo, s5
	s_cbranch_execnz .LBB59_440
; %bb.441:
	s_or_b32 exec_lo, exec_lo, s5
.LBB59_442:
	s_or_b32 exec_lo, exec_lo, s8
	v_mov_b32_e32 v11, 0
	ds_read_b128 v[129:132], v11 offset:64
	s_waitcnt lgkmcnt(0)
	v_mul_f64 v[11:12], v[3:4], v[131:132]
	v_mul_f64 v[131:132], v[1:2], v[131:132]
	v_fma_f64 v[1:2], v[1:2], v[129:130], -v[11:12]
	v_fma_f64 v[3:4], v[3:4], v[129:130], v[131:132]
	buffer_store_dword v2, off, s[0:3], 0 offset:68
	buffer_store_dword v1, off, s[0:3], 0 offset:64
	;; [unrolled: 1-line block ×4, first 2 shown]
.LBB59_443:
	s_or_b32 exec_lo, exec_lo, s6
	v_mov_b32_e32 v4, s65
	v_cmp_lt_u32_e64 s5, 3, v0
	s_clause 0x3
	buffer_load_dword v1, v4, s[0:3], 0 offen
	buffer_load_dword v2, v4, s[0:3], 0 offen offset:4
	buffer_load_dword v3, v4, s[0:3], 0 offen offset:8
	buffer_load_dword v4, v4, s[0:3], 0 offen offset:12
	s_waitcnt vmcnt(0)
	ds_write_b128 v10, v[1:4]
	s_waitcnt lgkmcnt(0)
	s_waitcnt_vscnt null, 0x0
	s_barrier
	buffer_gl0_inv
	s_and_saveexec_b32 s6, s5
	s_cbranch_execz .LBB59_451
; %bb.444:
	ds_read_b128 v[1:4], v10
	s_andn2_b32 vcc_lo, exec_lo, s68
	s_cbranch_vccnz .LBB59_446
; %bb.445:
	s_clause 0x3
	buffer_load_dword v11, v9, s[0:3], 0 offen offset:8
	buffer_load_dword v12, v9, s[0:3], 0 offen offset:12
	buffer_load_dword v129, v9, s[0:3], 0 offen
	buffer_load_dword v130, v9, s[0:3], 0 offen offset:4
	s_waitcnt vmcnt(2) lgkmcnt(0)
	v_mul_f64 v[131:132], v[3:4], v[11:12]
	v_mul_f64 v[11:12], v[1:2], v[11:12]
	s_waitcnt vmcnt(0)
	v_fma_f64 v[1:2], v[1:2], v[129:130], -v[131:132]
	v_fma_f64 v[3:4], v[3:4], v[129:130], v[11:12]
.LBB59_446:
	s_and_saveexec_b32 s8, s4
	s_cbranch_execz .LBB59_450
; %bb.447:
	v_add_nc_u32_e32 v11, -4, v0
	s_movk_i32 s69, 0x400
	s_mov_b32 s4, 0
	s_mov_b32 s70, s64
	.p2align	6
.LBB59_448:                             ; =>This Inner Loop Header: Depth=1
	v_mov_b32_e32 v12, s70
	v_add_nc_u32_e32 v11, -1, v11
	s_add_i32 s70, s70, 16
	s_clause 0x3
	buffer_load_dword v133, v12, s[0:3], 0 offen offset:8
	buffer_load_dword v134, v12, s[0:3], 0 offen offset:12
	buffer_load_dword v135, v12, s[0:3], 0 offen
	buffer_load_dword v136, v12, s[0:3], 0 offen offset:4
	v_mov_b32_e32 v12, s69
	v_cmp_eq_u32_e32 vcc_lo, 0, v11
	s_add_i32 s69, s69, 16
	ds_read_b128 v[129:132], v12
	s_or_b32 s4, vcc_lo, s4
	s_waitcnt vmcnt(2) lgkmcnt(0)
	v_mul_f64 v[137:138], v[131:132], v[133:134]
	v_mul_f64 v[133:134], v[129:130], v[133:134]
	s_waitcnt vmcnt(0)
	v_fma_f64 v[129:130], v[129:130], v[135:136], -v[137:138]
	v_fma_f64 v[131:132], v[131:132], v[135:136], v[133:134]
	v_add_f64 v[1:2], v[1:2], v[129:130]
	v_add_f64 v[3:4], v[3:4], v[131:132]
	s_andn2_b32 exec_lo, exec_lo, s4
	s_cbranch_execnz .LBB59_448
; %bb.449:
	s_or_b32 exec_lo, exec_lo, s4
.LBB59_450:
	s_or_b32 exec_lo, exec_lo, s8
	v_mov_b32_e32 v11, 0
	ds_read_b128 v[129:132], v11 offset:48
	s_waitcnt lgkmcnt(0)
	v_mul_f64 v[11:12], v[3:4], v[131:132]
	v_mul_f64 v[131:132], v[1:2], v[131:132]
	v_fma_f64 v[1:2], v[1:2], v[129:130], -v[11:12]
	v_fma_f64 v[3:4], v[3:4], v[129:130], v[131:132]
	buffer_store_dword v2, off, s[0:3], 0 offset:52
	buffer_store_dword v1, off, s[0:3], 0 offset:48
	;; [unrolled: 1-line block ×4, first 2 shown]
.LBB59_451:
	s_or_b32 exec_lo, exec_lo, s6
	v_mov_b32_e32 v4, s67
	v_cmp_lt_u32_e64 s6, 2, v0
	s_clause 0x3
	buffer_load_dword v1, v4, s[0:3], 0 offen
	buffer_load_dword v2, v4, s[0:3], 0 offen offset:4
	buffer_load_dword v3, v4, s[0:3], 0 offen offset:8
	;; [unrolled: 1-line block ×3, first 2 shown]
	s_waitcnt vmcnt(0)
	ds_write_b128 v10, v[1:4]
	s_waitcnt lgkmcnt(0)
	s_waitcnt_vscnt null, 0x0
	s_barrier
	buffer_gl0_inv
	s_and_saveexec_b32 s4, s6
	s_cbranch_execz .LBB59_459
; %bb.452:
	ds_read_b128 v[1:4], v10
	s_andn2_b32 vcc_lo, exec_lo, s68
	s_cbranch_vccnz .LBB59_454
; %bb.453:
	s_clause 0x3
	buffer_load_dword v11, v9, s[0:3], 0 offen offset:8
	buffer_load_dword v12, v9, s[0:3], 0 offen offset:12
	buffer_load_dword v129, v9, s[0:3], 0 offen
	buffer_load_dword v130, v9, s[0:3], 0 offen offset:4
	s_waitcnt vmcnt(2) lgkmcnt(0)
	v_mul_f64 v[131:132], v[3:4], v[11:12]
	v_mul_f64 v[11:12], v[1:2], v[11:12]
	s_waitcnt vmcnt(0)
	v_fma_f64 v[1:2], v[1:2], v[129:130], -v[131:132]
	v_fma_f64 v[3:4], v[3:4], v[129:130], v[11:12]
.LBB59_454:
	s_and_saveexec_b32 s8, s5
	s_cbranch_execz .LBB59_458
; %bb.455:
	v_add_nc_u32_e32 v11, -3, v0
	s_movk_i32 s69, 0x3f0
	s_mov_b32 s5, 0
	s_mov_b32 s70, s65
	.p2align	6
.LBB59_456:                             ; =>This Inner Loop Header: Depth=1
	v_mov_b32_e32 v12, s70
	v_add_nc_u32_e32 v11, -1, v11
	s_add_i32 s70, s70, 16
	s_clause 0x3
	buffer_load_dword v133, v12, s[0:3], 0 offen offset:8
	buffer_load_dword v134, v12, s[0:3], 0 offen offset:12
	buffer_load_dword v135, v12, s[0:3], 0 offen
	buffer_load_dword v136, v12, s[0:3], 0 offen offset:4
	v_mov_b32_e32 v12, s69
	v_cmp_eq_u32_e32 vcc_lo, 0, v11
	s_add_i32 s69, s69, 16
	ds_read_b128 v[129:132], v12
	s_or_b32 s5, vcc_lo, s5
	s_waitcnt vmcnt(2) lgkmcnt(0)
	v_mul_f64 v[137:138], v[131:132], v[133:134]
	v_mul_f64 v[133:134], v[129:130], v[133:134]
	s_waitcnt vmcnt(0)
	v_fma_f64 v[129:130], v[129:130], v[135:136], -v[137:138]
	v_fma_f64 v[131:132], v[131:132], v[135:136], v[133:134]
	v_add_f64 v[1:2], v[1:2], v[129:130]
	v_add_f64 v[3:4], v[3:4], v[131:132]
	s_andn2_b32 exec_lo, exec_lo, s5
	s_cbranch_execnz .LBB59_456
; %bb.457:
	s_or_b32 exec_lo, exec_lo, s5
.LBB59_458:
	s_or_b32 exec_lo, exec_lo, s8
	v_mov_b32_e32 v11, 0
	ds_read_b128 v[129:132], v11 offset:32
	s_waitcnt lgkmcnt(0)
	v_mul_f64 v[11:12], v[3:4], v[131:132]
	v_mul_f64 v[131:132], v[1:2], v[131:132]
	v_fma_f64 v[1:2], v[1:2], v[129:130], -v[11:12]
	v_fma_f64 v[3:4], v[3:4], v[129:130], v[131:132]
	buffer_store_dword v2, off, s[0:3], 0 offset:36
	buffer_store_dword v1, off, s[0:3], 0 offset:32
	;; [unrolled: 1-line block ×4, first 2 shown]
.LBB59_459:
	s_or_b32 exec_lo, exec_lo, s4
	v_mov_b32_e32 v4, s66
	v_cmp_lt_u32_e64 s4, 1, v0
	s_clause 0x3
	buffer_load_dword v1, v4, s[0:3], 0 offen
	buffer_load_dword v2, v4, s[0:3], 0 offen offset:4
	buffer_load_dword v3, v4, s[0:3], 0 offen offset:8
	;; [unrolled: 1-line block ×3, first 2 shown]
	s_waitcnt vmcnt(0)
	ds_write_b128 v10, v[1:4]
	s_waitcnt lgkmcnt(0)
	s_waitcnt_vscnt null, 0x0
	s_barrier
	buffer_gl0_inv
	s_and_saveexec_b32 s5, s4
	s_cbranch_execz .LBB59_467
; %bb.460:
	ds_read_b128 v[1:4], v10
	s_andn2_b32 vcc_lo, exec_lo, s68
	s_cbranch_vccnz .LBB59_462
; %bb.461:
	s_clause 0x3
	buffer_load_dword v11, v9, s[0:3], 0 offen offset:8
	buffer_load_dword v12, v9, s[0:3], 0 offen offset:12
	buffer_load_dword v129, v9, s[0:3], 0 offen
	buffer_load_dword v130, v9, s[0:3], 0 offen offset:4
	s_waitcnt vmcnt(2) lgkmcnt(0)
	v_mul_f64 v[131:132], v[3:4], v[11:12]
	v_mul_f64 v[11:12], v[1:2], v[11:12]
	s_waitcnt vmcnt(0)
	v_fma_f64 v[1:2], v[1:2], v[129:130], -v[131:132]
	v_fma_f64 v[3:4], v[3:4], v[129:130], v[11:12]
.LBB59_462:
	s_and_saveexec_b32 s8, s6
	s_cbranch_execz .LBB59_466
; %bb.463:
	v_add_nc_u32_e32 v11, -2, v0
	s_movk_i32 s69, 0x3e0
	s_mov_b32 s6, 0
	s_mov_b32 s70, s67
	.p2align	6
.LBB59_464:                             ; =>This Inner Loop Header: Depth=1
	v_mov_b32_e32 v12, s70
	v_add_nc_u32_e32 v11, -1, v11
	s_add_i32 s70, s70, 16
	s_clause 0x3
	buffer_load_dword v133, v12, s[0:3], 0 offen offset:8
	buffer_load_dword v134, v12, s[0:3], 0 offen offset:12
	buffer_load_dword v135, v12, s[0:3], 0 offen
	buffer_load_dword v136, v12, s[0:3], 0 offen offset:4
	v_mov_b32_e32 v12, s69
	v_cmp_eq_u32_e32 vcc_lo, 0, v11
	s_add_i32 s69, s69, 16
	ds_read_b128 v[129:132], v12
	s_or_b32 s6, vcc_lo, s6
	s_waitcnt vmcnt(2) lgkmcnt(0)
	v_mul_f64 v[137:138], v[131:132], v[133:134]
	v_mul_f64 v[133:134], v[129:130], v[133:134]
	s_waitcnt vmcnt(0)
	v_fma_f64 v[129:130], v[129:130], v[135:136], -v[137:138]
	v_fma_f64 v[131:132], v[131:132], v[135:136], v[133:134]
	v_add_f64 v[1:2], v[1:2], v[129:130]
	v_add_f64 v[3:4], v[3:4], v[131:132]
	s_andn2_b32 exec_lo, exec_lo, s6
	s_cbranch_execnz .LBB59_464
; %bb.465:
	s_or_b32 exec_lo, exec_lo, s6
.LBB59_466:
	s_or_b32 exec_lo, exec_lo, s8
	v_mov_b32_e32 v11, 0
	ds_read_b128 v[129:132], v11 offset:16
	s_waitcnt lgkmcnt(0)
	v_mul_f64 v[11:12], v[3:4], v[131:132]
	v_mul_f64 v[131:132], v[1:2], v[131:132]
	v_fma_f64 v[1:2], v[1:2], v[129:130], -v[11:12]
	v_fma_f64 v[3:4], v[3:4], v[129:130], v[131:132]
	buffer_store_dword v2, off, s[0:3], 0 offset:20
	buffer_store_dword v1, off, s[0:3], 0 offset:16
	;; [unrolled: 1-line block ×4, first 2 shown]
.LBB59_467:
	s_or_b32 exec_lo, exec_lo, s5
	s_clause 0x3
	buffer_load_dword v1, off, s[0:3], 0
	buffer_load_dword v2, off, s[0:3], 0 offset:4
	buffer_load_dword v3, off, s[0:3], 0 offset:8
	;; [unrolled: 1-line block ×3, first 2 shown]
	s_mov_b32 s6, 0
	s_mov_b32 s5, 0
	s_mov_b32 s8, exec_lo
                                        ; implicit-def: $sgpr69
	s_waitcnt vmcnt(0)
	ds_write_b128 v10, v[1:4]
	s_waitcnt lgkmcnt(0)
	s_waitcnt_vscnt null, 0x0
	s_barrier
	buffer_gl0_inv
                                        ; implicit-def: $vgpr1_vgpr2
	v_cmpx_ne_u32_e32 0, v0
	s_cbranch_execz .LBB59_475
; %bb.468:
	ds_read_b128 v[1:4], v10
	s_andn2_b32 vcc_lo, exec_lo, s68
	s_cbranch_vccnz .LBB59_470
; %bb.469:
	s_clause 0x3
	buffer_load_dword v11, v9, s[0:3], 0 offen offset:8
	buffer_load_dword v12, v9, s[0:3], 0 offen offset:12
	buffer_load_dword v129, v9, s[0:3], 0 offen
	buffer_load_dword v130, v9, s[0:3], 0 offen offset:4
	s_waitcnt vmcnt(2) lgkmcnt(0)
	v_mul_f64 v[131:132], v[3:4], v[11:12]
	v_mul_f64 v[11:12], v[1:2], v[11:12]
	s_waitcnt vmcnt(0)
	v_fma_f64 v[1:2], v[1:2], v[129:130], -v[131:132]
	v_fma_f64 v[3:4], v[3:4], v[129:130], v[11:12]
.LBB59_470:
	s_and_saveexec_b32 s5, s4
	s_cbranch_execz .LBB59_474
; %bb.471:
	v_add_nc_u32_e32 v11, -1, v0
	s_movk_i32 s69, 0x3d0
	s_mov_b32 s4, 0
	s_mov_b32 s70, s66
	.p2align	6
.LBB59_472:                             ; =>This Inner Loop Header: Depth=1
	v_mov_b32_e32 v12, s70
	v_add_nc_u32_e32 v11, -1, v11
	s_add_i32 s70, s70, 16
	s_clause 0x3
	buffer_load_dword v133, v12, s[0:3], 0 offen offset:8
	buffer_load_dword v134, v12, s[0:3], 0 offen offset:12
	buffer_load_dword v135, v12, s[0:3], 0 offen
	buffer_load_dword v136, v12, s[0:3], 0 offen offset:4
	v_mov_b32_e32 v12, s69
	v_cmp_eq_u32_e32 vcc_lo, 0, v11
	s_add_i32 s69, s69, 16
	ds_read_b128 v[129:132], v12
	s_or_b32 s4, vcc_lo, s4
	s_waitcnt vmcnt(2) lgkmcnt(0)
	v_mul_f64 v[137:138], v[131:132], v[133:134]
	v_mul_f64 v[133:134], v[129:130], v[133:134]
	s_waitcnt vmcnt(0)
	v_fma_f64 v[129:130], v[129:130], v[135:136], -v[137:138]
	v_fma_f64 v[131:132], v[131:132], v[135:136], v[133:134]
	v_add_f64 v[1:2], v[1:2], v[129:130]
	v_add_f64 v[3:4], v[3:4], v[131:132]
	s_andn2_b32 exec_lo, exec_lo, s4
	s_cbranch_execnz .LBB59_472
; %bb.473:
	s_or_b32 exec_lo, exec_lo, s4
.LBB59_474:
	s_or_b32 exec_lo, exec_lo, s5
	v_mov_b32_e32 v11, 0
	s_mov_b32 s5, exec_lo
	s_or_b32 s69, 0, 8
	ds_read_b128 v[129:132], v11
	s_waitcnt lgkmcnt(0)
	v_mul_f64 v[11:12], v[3:4], v[131:132]
	v_mul_f64 v[131:132], v[1:2], v[131:132]
	v_fma_f64 v[11:12], v[1:2], v[129:130], -v[11:12]
	v_fma_f64 v[1:2], v[3:4], v[129:130], v[131:132]
	buffer_store_dword v12, off, s[0:3], 0 offset:4
	buffer_store_dword v11, off, s[0:3], 0
.LBB59_475:
	s_or_b32 exec_lo, exec_lo, s8
	s_and_b32 vcc_lo, exec_lo, s6
	s_cbranch_vccnz .LBB59_477
	s_branch .LBB59_944
.LBB59_476:
	s_mov_b32 s5, 0
                                        ; implicit-def: $vgpr1_vgpr2
                                        ; implicit-def: $sgpr69
	s_cbranch_execz .LBB59_944
.LBB59_477:
	v_mov_b32_e32 v4, s66
	v_cmp_eq_u32_e64 s4, 0, v0
	v_cndmask_b32_e64 v11, 0, 1, s68
	s_clause 0x3
	buffer_load_dword v1, v4, s[0:3], 0 offen
	buffer_load_dword v2, v4, s[0:3], 0 offen offset:4
	buffer_load_dword v3, v4, s[0:3], 0 offen offset:8
	;; [unrolled: 1-line block ×3, first 2 shown]
	s_waitcnt vmcnt(0)
	ds_write_b128 v10, v[1:4]
	s_waitcnt lgkmcnt(0)
	s_waitcnt_vscnt null, 0x0
	s_barrier
	buffer_gl0_inv
	s_and_saveexec_b32 s6, s4
	s_cbranch_execz .LBB59_481
; %bb.478:
	ds_read_b128 v[1:4], v10
	s_andn2_b32 vcc_lo, exec_lo, s68
	s_cbranch_vccnz .LBB59_480
; %bb.479:
	s_clause 0x3
	buffer_load_dword v129, v9, s[0:3], 0 offen offset:8
	buffer_load_dword v130, v9, s[0:3], 0 offen offset:12
	buffer_load_dword v131, v9, s[0:3], 0 offen
	buffer_load_dword v132, v9, s[0:3], 0 offen offset:4
	s_waitcnt vmcnt(2) lgkmcnt(0)
	v_mul_f64 v[133:134], v[3:4], v[129:130]
	v_mul_f64 v[129:130], v[1:2], v[129:130]
	s_waitcnt vmcnt(0)
	v_fma_f64 v[1:2], v[1:2], v[131:132], -v[133:134]
	v_fma_f64 v[3:4], v[3:4], v[131:132], v[129:130]
.LBB59_480:
	v_mov_b32_e32 v12, 0
	ds_read_b128 v[129:132], v12 offset:16
	s_waitcnt lgkmcnt(0)
	v_mul_f64 v[133:134], v[3:4], v[131:132]
	v_mul_f64 v[131:132], v[1:2], v[131:132]
	v_fma_f64 v[1:2], v[1:2], v[129:130], -v[133:134]
	v_fma_f64 v[3:4], v[3:4], v[129:130], v[131:132]
	buffer_store_dword v2, off, s[0:3], 0 offset:20
	buffer_store_dword v1, off, s[0:3], 0 offset:16
	;; [unrolled: 1-line block ×4, first 2 shown]
.LBB59_481:
	s_or_b32 exec_lo, exec_lo, s6
	v_mov_b32_e32 v4, s67
	s_mov_b32 s6, exec_lo
	s_clause 0x3
	buffer_load_dword v1, v4, s[0:3], 0 offen
	buffer_load_dword v2, v4, s[0:3], 0 offen offset:4
	buffer_load_dword v3, v4, s[0:3], 0 offen offset:8
	;; [unrolled: 1-line block ×3, first 2 shown]
	s_waitcnt vmcnt(0)
	ds_write_b128 v10, v[1:4]
	s_waitcnt lgkmcnt(0)
	s_waitcnt_vscnt null, 0x0
	s_barrier
	buffer_gl0_inv
	v_cmpx_gt_u32_e32 2, v0
	s_cbranch_execz .LBB59_487
; %bb.482:
	ds_read_b128 v[1:4], v10
	v_cmp_ne_u32_e32 vcc_lo, 1, v11
	s_cbranch_vccnz .LBB59_484
; %bb.483:
	s_clause 0x3
	buffer_load_dword v129, v9, s[0:3], 0 offen offset:8
	buffer_load_dword v130, v9, s[0:3], 0 offen offset:12
	buffer_load_dword v131, v9, s[0:3], 0 offen
	buffer_load_dword v132, v9, s[0:3], 0 offen offset:4
	s_waitcnt vmcnt(2) lgkmcnt(0)
	v_mul_f64 v[133:134], v[3:4], v[129:130]
	v_mul_f64 v[129:130], v[1:2], v[129:130]
	s_waitcnt vmcnt(0)
	v_fma_f64 v[1:2], v[1:2], v[131:132], -v[133:134]
	v_fma_f64 v[3:4], v[3:4], v[131:132], v[129:130]
.LBB59_484:
	s_and_saveexec_b32 s8, s4
	s_cbranch_execz .LBB59_486
; %bb.485:
	s_clause 0x3
	buffer_load_dword v133, off, s[0:3], 0 offset:24
	buffer_load_dword v134, off, s[0:3], 0 offset:28
	;; [unrolled: 1-line block ×4, first 2 shown]
	v_mov_b32_e32 v12, 0
	ds_read_b128 v[129:132], v12 offset:976
	s_waitcnt vmcnt(2) lgkmcnt(0)
	v_mul_f64 v[137:138], v[131:132], v[133:134]
	v_mul_f64 v[133:134], v[129:130], v[133:134]
	s_waitcnt vmcnt(0)
	v_fma_f64 v[129:130], v[129:130], v[135:136], -v[137:138]
	v_fma_f64 v[131:132], v[131:132], v[135:136], v[133:134]
	v_add_f64 v[1:2], v[1:2], v[129:130]
	v_add_f64 v[3:4], v[3:4], v[131:132]
.LBB59_486:
	s_or_b32 exec_lo, exec_lo, s8
	v_mov_b32_e32 v12, 0
	ds_read_b128 v[129:132], v12 offset:32
	s_waitcnt lgkmcnt(0)
	v_mul_f64 v[133:134], v[3:4], v[131:132]
	v_mul_f64 v[131:132], v[1:2], v[131:132]
	v_fma_f64 v[1:2], v[1:2], v[129:130], -v[133:134]
	v_fma_f64 v[3:4], v[3:4], v[129:130], v[131:132]
	buffer_store_dword v2, off, s[0:3], 0 offset:36
	buffer_store_dword v1, off, s[0:3], 0 offset:32
	;; [unrolled: 1-line block ×4, first 2 shown]
.LBB59_487:
	s_or_b32 exec_lo, exec_lo, s6
	v_mov_b32_e32 v4, s65
	s_mov_b32 s6, exec_lo
	s_clause 0x3
	buffer_load_dword v1, v4, s[0:3], 0 offen
	buffer_load_dword v2, v4, s[0:3], 0 offen offset:4
	buffer_load_dword v3, v4, s[0:3], 0 offen offset:8
	;; [unrolled: 1-line block ×3, first 2 shown]
	s_waitcnt vmcnt(0)
	ds_write_b128 v10, v[1:4]
	s_waitcnt lgkmcnt(0)
	s_waitcnt_vscnt null, 0x0
	s_barrier
	buffer_gl0_inv
	v_cmpx_gt_u32_e32 3, v0
	s_cbranch_execz .LBB59_495
; %bb.488:
	ds_read_b128 v[1:4], v10
	v_cmp_ne_u32_e32 vcc_lo, 1, v11
	s_cbranch_vccnz .LBB59_490
; %bb.489:
	s_clause 0x3
	buffer_load_dword v129, v9, s[0:3], 0 offen offset:8
	buffer_load_dword v130, v9, s[0:3], 0 offen offset:12
	buffer_load_dword v131, v9, s[0:3], 0 offen
	buffer_load_dword v132, v9, s[0:3], 0 offen offset:4
	s_waitcnt vmcnt(2) lgkmcnt(0)
	v_mul_f64 v[133:134], v[3:4], v[129:130]
	v_mul_f64 v[129:130], v[1:2], v[129:130]
	s_waitcnt vmcnt(0)
	v_fma_f64 v[1:2], v[1:2], v[131:132], -v[133:134]
	v_fma_f64 v[3:4], v[3:4], v[131:132], v[129:130]
.LBB59_490:
	s_mov_b32 s8, exec_lo
	v_cmpx_ne_u32_e32 2, v0
	s_cbranch_execz .LBB59_494
; %bb.491:
	s_clause 0x3
	buffer_load_dword v133, v9, s[0:3], 0 offen offset:24
	buffer_load_dword v134, v9, s[0:3], 0 offen offset:28
	;; [unrolled: 1-line block ×4, first 2 shown]
	ds_read_b128 v[129:132], v10 offset:16
	s_waitcnt vmcnt(2) lgkmcnt(0)
	v_mul_f64 v[137:138], v[131:132], v[133:134]
	v_mul_f64 v[133:134], v[129:130], v[133:134]
	s_waitcnt vmcnt(0)
	v_fma_f64 v[129:130], v[129:130], v[135:136], -v[137:138]
	v_fma_f64 v[131:132], v[131:132], v[135:136], v[133:134]
	v_add_f64 v[1:2], v[1:2], v[129:130]
	v_add_f64 v[3:4], v[3:4], v[131:132]
	s_and_saveexec_b32 s68, s4
	s_cbranch_execz .LBB59_493
; %bb.492:
	s_clause 0x3
	buffer_load_dword v133, off, s[0:3], 0 offset:40
	buffer_load_dword v134, off, s[0:3], 0 offset:44
	;; [unrolled: 1-line block ×4, first 2 shown]
	v_mov_b32_e32 v12, 0
	ds_read_b128 v[129:132], v12 offset:992
	s_waitcnt vmcnt(2) lgkmcnt(0)
	v_mul_f64 v[137:138], v[129:130], v[133:134]
	v_mul_f64 v[133:134], v[131:132], v[133:134]
	s_waitcnt vmcnt(0)
	v_fma_f64 v[131:132], v[131:132], v[135:136], v[137:138]
	v_fma_f64 v[129:130], v[129:130], v[135:136], -v[133:134]
	v_add_f64 v[3:4], v[3:4], v[131:132]
	v_add_f64 v[1:2], v[1:2], v[129:130]
.LBB59_493:
	s_or_b32 exec_lo, exec_lo, s68
.LBB59_494:
	s_or_b32 exec_lo, exec_lo, s8
	v_mov_b32_e32 v12, 0
	ds_read_b128 v[129:132], v12 offset:48
	s_waitcnt lgkmcnt(0)
	v_mul_f64 v[133:134], v[3:4], v[131:132]
	v_mul_f64 v[131:132], v[1:2], v[131:132]
	v_fma_f64 v[1:2], v[1:2], v[129:130], -v[133:134]
	v_fma_f64 v[3:4], v[3:4], v[129:130], v[131:132]
	buffer_store_dword v2, off, s[0:3], 0 offset:52
	buffer_store_dword v1, off, s[0:3], 0 offset:48
	;; [unrolled: 1-line block ×4, first 2 shown]
.LBB59_495:
	s_or_b32 exec_lo, exec_lo, s6
	v_mov_b32_e32 v4, s64
	s_mov_b32 s4, exec_lo
	s_clause 0x3
	buffer_load_dword v1, v4, s[0:3], 0 offen
	buffer_load_dword v2, v4, s[0:3], 0 offen offset:4
	buffer_load_dword v3, v4, s[0:3], 0 offen offset:8
	;; [unrolled: 1-line block ×3, first 2 shown]
	s_waitcnt vmcnt(0)
	ds_write_b128 v10, v[1:4]
	s_waitcnt lgkmcnt(0)
	s_waitcnt_vscnt null, 0x0
	s_barrier
	buffer_gl0_inv
	v_cmpx_gt_u32_e32 4, v0
	s_cbranch_execz .LBB59_503
; %bb.496:
	ds_read_b128 v[1:4], v10
	v_cmp_ne_u32_e32 vcc_lo, 1, v11
	s_cbranch_vccnz .LBB59_498
; %bb.497:
	s_clause 0x3
	buffer_load_dword v129, v9, s[0:3], 0 offen offset:8
	buffer_load_dword v130, v9, s[0:3], 0 offen offset:12
	buffer_load_dword v131, v9, s[0:3], 0 offen
	buffer_load_dword v132, v9, s[0:3], 0 offen offset:4
	s_waitcnt vmcnt(2) lgkmcnt(0)
	v_mul_f64 v[133:134], v[3:4], v[129:130]
	v_mul_f64 v[129:130], v[1:2], v[129:130]
	s_waitcnt vmcnt(0)
	v_fma_f64 v[1:2], v[1:2], v[131:132], -v[133:134]
	v_fma_f64 v[3:4], v[3:4], v[131:132], v[129:130]
.LBB59_498:
	s_mov_b32 s6, exec_lo
	v_cmpx_ne_u32_e32 3, v0
	s_cbranch_execz .LBB59_502
; %bb.499:
	v_add_nc_u32_e32 v12, 0x3d0, v173
	v_add3_u32 v129, 0, v173, 16
	v_mov_b32_e32 v130, v0
	s_mov_b32 s8, 0
	.p2align	6
.LBB59_500:                             ; =>This Inner Loop Header: Depth=1
	s_clause 0x3
	buffer_load_dword v135, v129, s[0:3], 0 offen offset:8
	buffer_load_dword v136, v129, s[0:3], 0 offen offset:12
	buffer_load_dword v137, v129, s[0:3], 0 offen
	buffer_load_dword v138, v129, s[0:3], 0 offen offset:4
	ds_read_b128 v[131:134], v12
	v_add_nc_u32_e32 v130, 1, v130
	v_add_nc_u32_e32 v12, 16, v12
	v_add_nc_u32_e32 v129, 16, v129
	v_cmp_lt_u32_e32 vcc_lo, 2, v130
	s_or_b32 s8, vcc_lo, s8
	s_waitcnt vmcnt(2) lgkmcnt(0)
	v_mul_f64 v[139:140], v[133:134], v[135:136]
	v_mul_f64 v[135:136], v[131:132], v[135:136]
	s_waitcnt vmcnt(0)
	v_fma_f64 v[131:132], v[131:132], v[137:138], -v[139:140]
	v_fma_f64 v[133:134], v[133:134], v[137:138], v[135:136]
	v_add_f64 v[1:2], v[1:2], v[131:132]
	v_add_f64 v[3:4], v[3:4], v[133:134]
	s_andn2_b32 exec_lo, exec_lo, s8
	s_cbranch_execnz .LBB59_500
; %bb.501:
	s_or_b32 exec_lo, exec_lo, s8
.LBB59_502:
	s_or_b32 exec_lo, exec_lo, s6
	v_mov_b32_e32 v12, 0
	ds_read_b128 v[129:132], v12 offset:64
	s_waitcnt lgkmcnt(0)
	v_mul_f64 v[133:134], v[3:4], v[131:132]
	v_mul_f64 v[131:132], v[1:2], v[131:132]
	v_fma_f64 v[1:2], v[1:2], v[129:130], -v[133:134]
	v_fma_f64 v[3:4], v[3:4], v[129:130], v[131:132]
	buffer_store_dword v2, off, s[0:3], 0 offset:68
	buffer_store_dword v1, off, s[0:3], 0 offset:64
	;; [unrolled: 1-line block ×4, first 2 shown]
.LBB59_503:
	s_or_b32 exec_lo, exec_lo, s4
	v_mov_b32_e32 v4, s63
	s_mov_b32 s4, exec_lo
	s_clause 0x3
	buffer_load_dword v1, v4, s[0:3], 0 offen
	buffer_load_dword v2, v4, s[0:3], 0 offen offset:4
	buffer_load_dword v3, v4, s[0:3], 0 offen offset:8
	;; [unrolled: 1-line block ×3, first 2 shown]
	s_waitcnt vmcnt(0)
	ds_write_b128 v10, v[1:4]
	s_waitcnt lgkmcnt(0)
	s_waitcnt_vscnt null, 0x0
	s_barrier
	buffer_gl0_inv
	v_cmpx_gt_u32_e32 5, v0
	s_cbranch_execz .LBB59_511
; %bb.504:
	ds_read_b128 v[1:4], v10
	v_cmp_ne_u32_e32 vcc_lo, 1, v11
	s_cbranch_vccnz .LBB59_506
; %bb.505:
	s_clause 0x3
	buffer_load_dword v129, v9, s[0:3], 0 offen offset:8
	buffer_load_dword v130, v9, s[0:3], 0 offen offset:12
	buffer_load_dword v131, v9, s[0:3], 0 offen
	buffer_load_dword v132, v9, s[0:3], 0 offen offset:4
	s_waitcnt vmcnt(2) lgkmcnt(0)
	v_mul_f64 v[133:134], v[3:4], v[129:130]
	v_mul_f64 v[129:130], v[1:2], v[129:130]
	s_waitcnt vmcnt(0)
	v_fma_f64 v[1:2], v[1:2], v[131:132], -v[133:134]
	v_fma_f64 v[3:4], v[3:4], v[131:132], v[129:130]
.LBB59_506:
	s_mov_b32 s6, exec_lo
	v_cmpx_ne_u32_e32 4, v0
	s_cbranch_execz .LBB59_510
; %bb.507:
	v_add_nc_u32_e32 v12, 0x3d0, v173
	v_add3_u32 v129, 0, v173, 16
	v_mov_b32_e32 v130, v0
	s_mov_b32 s8, 0
	.p2align	6
.LBB59_508:                             ; =>This Inner Loop Header: Depth=1
	s_clause 0x3
	buffer_load_dword v135, v129, s[0:3], 0 offen offset:8
	buffer_load_dword v136, v129, s[0:3], 0 offen offset:12
	buffer_load_dword v137, v129, s[0:3], 0 offen
	buffer_load_dword v138, v129, s[0:3], 0 offen offset:4
	ds_read_b128 v[131:134], v12
	v_add_nc_u32_e32 v130, 1, v130
	v_add_nc_u32_e32 v12, 16, v12
	;; [unrolled: 1-line block ×3, first 2 shown]
	v_cmp_lt_u32_e32 vcc_lo, 3, v130
	s_or_b32 s8, vcc_lo, s8
	s_waitcnt vmcnt(2) lgkmcnt(0)
	v_mul_f64 v[139:140], v[133:134], v[135:136]
	v_mul_f64 v[135:136], v[131:132], v[135:136]
	s_waitcnt vmcnt(0)
	v_fma_f64 v[131:132], v[131:132], v[137:138], -v[139:140]
	v_fma_f64 v[133:134], v[133:134], v[137:138], v[135:136]
	v_add_f64 v[1:2], v[1:2], v[131:132]
	v_add_f64 v[3:4], v[3:4], v[133:134]
	s_andn2_b32 exec_lo, exec_lo, s8
	s_cbranch_execnz .LBB59_508
; %bb.509:
	s_or_b32 exec_lo, exec_lo, s8
.LBB59_510:
	s_or_b32 exec_lo, exec_lo, s6
	v_mov_b32_e32 v12, 0
	ds_read_b128 v[129:132], v12 offset:80
	s_waitcnt lgkmcnt(0)
	v_mul_f64 v[133:134], v[3:4], v[131:132]
	v_mul_f64 v[131:132], v[1:2], v[131:132]
	v_fma_f64 v[1:2], v[1:2], v[129:130], -v[133:134]
	v_fma_f64 v[3:4], v[3:4], v[129:130], v[131:132]
	buffer_store_dword v2, off, s[0:3], 0 offset:84
	buffer_store_dword v1, off, s[0:3], 0 offset:80
	;; [unrolled: 1-line block ×4, first 2 shown]
.LBB59_511:
	s_or_b32 exec_lo, exec_lo, s4
	v_mov_b32_e32 v4, s62
	s_mov_b32 s4, exec_lo
	s_clause 0x3
	buffer_load_dword v1, v4, s[0:3], 0 offen
	buffer_load_dword v2, v4, s[0:3], 0 offen offset:4
	buffer_load_dword v3, v4, s[0:3], 0 offen offset:8
	;; [unrolled: 1-line block ×3, first 2 shown]
	s_waitcnt vmcnt(0)
	ds_write_b128 v10, v[1:4]
	s_waitcnt lgkmcnt(0)
	s_waitcnt_vscnt null, 0x0
	s_barrier
	buffer_gl0_inv
	v_cmpx_gt_u32_e32 6, v0
	s_cbranch_execz .LBB59_519
; %bb.512:
	ds_read_b128 v[1:4], v10
	v_cmp_ne_u32_e32 vcc_lo, 1, v11
	s_cbranch_vccnz .LBB59_514
; %bb.513:
	s_clause 0x3
	buffer_load_dword v129, v9, s[0:3], 0 offen offset:8
	buffer_load_dword v130, v9, s[0:3], 0 offen offset:12
	buffer_load_dword v131, v9, s[0:3], 0 offen
	buffer_load_dword v132, v9, s[0:3], 0 offen offset:4
	s_waitcnt vmcnt(2) lgkmcnt(0)
	v_mul_f64 v[133:134], v[3:4], v[129:130]
	v_mul_f64 v[129:130], v[1:2], v[129:130]
	s_waitcnt vmcnt(0)
	v_fma_f64 v[1:2], v[1:2], v[131:132], -v[133:134]
	v_fma_f64 v[3:4], v[3:4], v[131:132], v[129:130]
.LBB59_514:
	s_mov_b32 s6, exec_lo
	v_cmpx_ne_u32_e32 5, v0
	s_cbranch_execz .LBB59_518
; %bb.515:
	v_add_nc_u32_e32 v12, 0x3d0, v173
	v_add3_u32 v129, 0, v173, 16
	v_mov_b32_e32 v130, v0
	s_mov_b32 s8, 0
	.p2align	6
.LBB59_516:                             ; =>This Inner Loop Header: Depth=1
	s_clause 0x3
	buffer_load_dword v135, v129, s[0:3], 0 offen offset:8
	buffer_load_dword v136, v129, s[0:3], 0 offen offset:12
	buffer_load_dword v137, v129, s[0:3], 0 offen
	buffer_load_dword v138, v129, s[0:3], 0 offen offset:4
	ds_read_b128 v[131:134], v12
	v_add_nc_u32_e32 v130, 1, v130
	v_add_nc_u32_e32 v12, 16, v12
	;; [unrolled: 1-line block ×3, first 2 shown]
	v_cmp_lt_u32_e32 vcc_lo, 4, v130
	s_or_b32 s8, vcc_lo, s8
	s_waitcnt vmcnt(2) lgkmcnt(0)
	v_mul_f64 v[139:140], v[133:134], v[135:136]
	v_mul_f64 v[135:136], v[131:132], v[135:136]
	s_waitcnt vmcnt(0)
	v_fma_f64 v[131:132], v[131:132], v[137:138], -v[139:140]
	v_fma_f64 v[133:134], v[133:134], v[137:138], v[135:136]
	v_add_f64 v[1:2], v[1:2], v[131:132]
	v_add_f64 v[3:4], v[3:4], v[133:134]
	s_andn2_b32 exec_lo, exec_lo, s8
	s_cbranch_execnz .LBB59_516
; %bb.517:
	s_or_b32 exec_lo, exec_lo, s8
.LBB59_518:
	s_or_b32 exec_lo, exec_lo, s6
	v_mov_b32_e32 v12, 0
	ds_read_b128 v[129:132], v12 offset:96
	s_waitcnt lgkmcnt(0)
	v_mul_f64 v[133:134], v[3:4], v[131:132]
	v_mul_f64 v[131:132], v[1:2], v[131:132]
	v_fma_f64 v[1:2], v[1:2], v[129:130], -v[133:134]
	v_fma_f64 v[3:4], v[3:4], v[129:130], v[131:132]
	buffer_store_dword v2, off, s[0:3], 0 offset:100
	buffer_store_dword v1, off, s[0:3], 0 offset:96
	;; [unrolled: 1-line block ×4, first 2 shown]
.LBB59_519:
	s_or_b32 exec_lo, exec_lo, s4
	v_mov_b32_e32 v4, s61
	s_mov_b32 s4, exec_lo
	s_clause 0x3
	buffer_load_dword v1, v4, s[0:3], 0 offen
	buffer_load_dword v2, v4, s[0:3], 0 offen offset:4
	buffer_load_dword v3, v4, s[0:3], 0 offen offset:8
	;; [unrolled: 1-line block ×3, first 2 shown]
	s_waitcnt vmcnt(0)
	ds_write_b128 v10, v[1:4]
	s_waitcnt lgkmcnt(0)
	s_waitcnt_vscnt null, 0x0
	s_barrier
	buffer_gl0_inv
	v_cmpx_gt_u32_e32 7, v0
	s_cbranch_execz .LBB59_527
; %bb.520:
	ds_read_b128 v[1:4], v10
	v_cmp_ne_u32_e32 vcc_lo, 1, v11
	s_cbranch_vccnz .LBB59_522
; %bb.521:
	s_clause 0x3
	buffer_load_dword v129, v9, s[0:3], 0 offen offset:8
	buffer_load_dword v130, v9, s[0:3], 0 offen offset:12
	buffer_load_dword v131, v9, s[0:3], 0 offen
	buffer_load_dword v132, v9, s[0:3], 0 offen offset:4
	s_waitcnt vmcnt(2) lgkmcnt(0)
	v_mul_f64 v[133:134], v[3:4], v[129:130]
	v_mul_f64 v[129:130], v[1:2], v[129:130]
	s_waitcnt vmcnt(0)
	v_fma_f64 v[1:2], v[1:2], v[131:132], -v[133:134]
	v_fma_f64 v[3:4], v[3:4], v[131:132], v[129:130]
.LBB59_522:
	s_mov_b32 s6, exec_lo
	v_cmpx_ne_u32_e32 6, v0
	s_cbranch_execz .LBB59_526
; %bb.523:
	v_add_nc_u32_e32 v12, 0x3d0, v173
	v_add3_u32 v129, 0, v173, 16
	v_mov_b32_e32 v130, v0
	s_mov_b32 s8, 0
	.p2align	6
.LBB59_524:                             ; =>This Inner Loop Header: Depth=1
	s_clause 0x3
	buffer_load_dword v135, v129, s[0:3], 0 offen offset:8
	buffer_load_dword v136, v129, s[0:3], 0 offen offset:12
	buffer_load_dword v137, v129, s[0:3], 0 offen
	buffer_load_dword v138, v129, s[0:3], 0 offen offset:4
	ds_read_b128 v[131:134], v12
	v_add_nc_u32_e32 v130, 1, v130
	v_add_nc_u32_e32 v12, 16, v12
	;; [unrolled: 1-line block ×3, first 2 shown]
	v_cmp_lt_u32_e32 vcc_lo, 5, v130
	s_or_b32 s8, vcc_lo, s8
	s_waitcnt vmcnt(2) lgkmcnt(0)
	v_mul_f64 v[139:140], v[133:134], v[135:136]
	v_mul_f64 v[135:136], v[131:132], v[135:136]
	s_waitcnt vmcnt(0)
	v_fma_f64 v[131:132], v[131:132], v[137:138], -v[139:140]
	v_fma_f64 v[133:134], v[133:134], v[137:138], v[135:136]
	v_add_f64 v[1:2], v[1:2], v[131:132]
	v_add_f64 v[3:4], v[3:4], v[133:134]
	s_andn2_b32 exec_lo, exec_lo, s8
	s_cbranch_execnz .LBB59_524
; %bb.525:
	s_or_b32 exec_lo, exec_lo, s8
.LBB59_526:
	s_or_b32 exec_lo, exec_lo, s6
	v_mov_b32_e32 v12, 0
	ds_read_b128 v[129:132], v12 offset:112
	s_waitcnt lgkmcnt(0)
	v_mul_f64 v[133:134], v[3:4], v[131:132]
	v_mul_f64 v[131:132], v[1:2], v[131:132]
	v_fma_f64 v[1:2], v[1:2], v[129:130], -v[133:134]
	v_fma_f64 v[3:4], v[3:4], v[129:130], v[131:132]
	buffer_store_dword v2, off, s[0:3], 0 offset:116
	buffer_store_dword v1, off, s[0:3], 0 offset:112
	;; [unrolled: 1-line block ×4, first 2 shown]
.LBB59_527:
	s_or_b32 exec_lo, exec_lo, s4
	v_mov_b32_e32 v4, s60
	s_mov_b32 s4, exec_lo
	s_clause 0x3
	buffer_load_dword v1, v4, s[0:3], 0 offen
	buffer_load_dword v2, v4, s[0:3], 0 offen offset:4
	buffer_load_dword v3, v4, s[0:3], 0 offen offset:8
	;; [unrolled: 1-line block ×3, first 2 shown]
	s_waitcnt vmcnt(0)
	ds_write_b128 v10, v[1:4]
	s_waitcnt lgkmcnt(0)
	s_waitcnt_vscnt null, 0x0
	s_barrier
	buffer_gl0_inv
	v_cmpx_gt_u32_e32 8, v0
	s_cbranch_execz .LBB59_535
; %bb.528:
	ds_read_b128 v[1:4], v10
	v_cmp_ne_u32_e32 vcc_lo, 1, v11
	s_cbranch_vccnz .LBB59_530
; %bb.529:
	s_clause 0x3
	buffer_load_dword v129, v9, s[0:3], 0 offen offset:8
	buffer_load_dword v130, v9, s[0:3], 0 offen offset:12
	buffer_load_dword v131, v9, s[0:3], 0 offen
	buffer_load_dword v132, v9, s[0:3], 0 offen offset:4
	s_waitcnt vmcnt(2) lgkmcnt(0)
	v_mul_f64 v[133:134], v[3:4], v[129:130]
	v_mul_f64 v[129:130], v[1:2], v[129:130]
	s_waitcnt vmcnt(0)
	v_fma_f64 v[1:2], v[1:2], v[131:132], -v[133:134]
	v_fma_f64 v[3:4], v[3:4], v[131:132], v[129:130]
.LBB59_530:
	s_mov_b32 s6, exec_lo
	v_cmpx_ne_u32_e32 7, v0
	s_cbranch_execz .LBB59_534
; %bb.531:
	v_add_nc_u32_e32 v12, 0x3d0, v173
	v_add3_u32 v129, 0, v173, 16
	v_mov_b32_e32 v130, v0
	s_mov_b32 s8, 0
	.p2align	6
.LBB59_532:                             ; =>This Inner Loop Header: Depth=1
	s_clause 0x3
	buffer_load_dword v135, v129, s[0:3], 0 offen offset:8
	buffer_load_dword v136, v129, s[0:3], 0 offen offset:12
	buffer_load_dword v137, v129, s[0:3], 0 offen
	buffer_load_dword v138, v129, s[0:3], 0 offen offset:4
	ds_read_b128 v[131:134], v12
	v_add_nc_u32_e32 v130, 1, v130
	v_add_nc_u32_e32 v12, 16, v12
	;; [unrolled: 1-line block ×3, first 2 shown]
	v_cmp_lt_u32_e32 vcc_lo, 6, v130
	s_or_b32 s8, vcc_lo, s8
	s_waitcnt vmcnt(2) lgkmcnt(0)
	v_mul_f64 v[139:140], v[133:134], v[135:136]
	v_mul_f64 v[135:136], v[131:132], v[135:136]
	s_waitcnt vmcnt(0)
	v_fma_f64 v[131:132], v[131:132], v[137:138], -v[139:140]
	v_fma_f64 v[133:134], v[133:134], v[137:138], v[135:136]
	v_add_f64 v[1:2], v[1:2], v[131:132]
	v_add_f64 v[3:4], v[3:4], v[133:134]
	s_andn2_b32 exec_lo, exec_lo, s8
	s_cbranch_execnz .LBB59_532
; %bb.533:
	s_or_b32 exec_lo, exec_lo, s8
.LBB59_534:
	s_or_b32 exec_lo, exec_lo, s6
	v_mov_b32_e32 v12, 0
	ds_read_b128 v[129:132], v12 offset:128
	s_waitcnt lgkmcnt(0)
	v_mul_f64 v[133:134], v[3:4], v[131:132]
	v_mul_f64 v[131:132], v[1:2], v[131:132]
	v_fma_f64 v[1:2], v[1:2], v[129:130], -v[133:134]
	v_fma_f64 v[3:4], v[3:4], v[129:130], v[131:132]
	buffer_store_dword v2, off, s[0:3], 0 offset:132
	buffer_store_dword v1, off, s[0:3], 0 offset:128
	;; [unrolled: 1-line block ×4, first 2 shown]
.LBB59_535:
	s_or_b32 exec_lo, exec_lo, s4
	v_mov_b32_e32 v4, s59
	s_mov_b32 s4, exec_lo
	s_clause 0x3
	buffer_load_dword v1, v4, s[0:3], 0 offen
	buffer_load_dword v2, v4, s[0:3], 0 offen offset:4
	buffer_load_dword v3, v4, s[0:3], 0 offen offset:8
	;; [unrolled: 1-line block ×3, first 2 shown]
	s_waitcnt vmcnt(0)
	ds_write_b128 v10, v[1:4]
	s_waitcnt lgkmcnt(0)
	s_waitcnt_vscnt null, 0x0
	s_barrier
	buffer_gl0_inv
	v_cmpx_gt_u32_e32 9, v0
	s_cbranch_execz .LBB59_543
; %bb.536:
	ds_read_b128 v[1:4], v10
	v_cmp_ne_u32_e32 vcc_lo, 1, v11
	s_cbranch_vccnz .LBB59_538
; %bb.537:
	s_clause 0x3
	buffer_load_dword v129, v9, s[0:3], 0 offen offset:8
	buffer_load_dword v130, v9, s[0:3], 0 offen offset:12
	buffer_load_dword v131, v9, s[0:3], 0 offen
	buffer_load_dword v132, v9, s[0:3], 0 offen offset:4
	s_waitcnt vmcnt(2) lgkmcnt(0)
	v_mul_f64 v[133:134], v[3:4], v[129:130]
	v_mul_f64 v[129:130], v[1:2], v[129:130]
	s_waitcnt vmcnt(0)
	v_fma_f64 v[1:2], v[1:2], v[131:132], -v[133:134]
	v_fma_f64 v[3:4], v[3:4], v[131:132], v[129:130]
.LBB59_538:
	s_mov_b32 s6, exec_lo
	v_cmpx_ne_u32_e32 8, v0
	s_cbranch_execz .LBB59_542
; %bb.539:
	v_add_nc_u32_e32 v12, 0x3d0, v173
	v_add3_u32 v129, 0, v173, 16
	v_mov_b32_e32 v130, v0
	s_mov_b32 s8, 0
	.p2align	6
.LBB59_540:                             ; =>This Inner Loop Header: Depth=1
	s_clause 0x3
	buffer_load_dword v135, v129, s[0:3], 0 offen offset:8
	buffer_load_dword v136, v129, s[0:3], 0 offen offset:12
	buffer_load_dword v137, v129, s[0:3], 0 offen
	buffer_load_dword v138, v129, s[0:3], 0 offen offset:4
	ds_read_b128 v[131:134], v12
	v_add_nc_u32_e32 v130, 1, v130
	v_add_nc_u32_e32 v12, 16, v12
	;; [unrolled: 1-line block ×3, first 2 shown]
	v_cmp_lt_u32_e32 vcc_lo, 7, v130
	s_or_b32 s8, vcc_lo, s8
	s_waitcnt vmcnt(2) lgkmcnt(0)
	v_mul_f64 v[139:140], v[133:134], v[135:136]
	v_mul_f64 v[135:136], v[131:132], v[135:136]
	s_waitcnt vmcnt(0)
	v_fma_f64 v[131:132], v[131:132], v[137:138], -v[139:140]
	v_fma_f64 v[133:134], v[133:134], v[137:138], v[135:136]
	v_add_f64 v[1:2], v[1:2], v[131:132]
	v_add_f64 v[3:4], v[3:4], v[133:134]
	s_andn2_b32 exec_lo, exec_lo, s8
	s_cbranch_execnz .LBB59_540
; %bb.541:
	s_or_b32 exec_lo, exec_lo, s8
.LBB59_542:
	s_or_b32 exec_lo, exec_lo, s6
	v_mov_b32_e32 v12, 0
	ds_read_b128 v[129:132], v12 offset:144
	s_waitcnt lgkmcnt(0)
	v_mul_f64 v[133:134], v[3:4], v[131:132]
	v_mul_f64 v[131:132], v[1:2], v[131:132]
	v_fma_f64 v[1:2], v[1:2], v[129:130], -v[133:134]
	v_fma_f64 v[3:4], v[3:4], v[129:130], v[131:132]
	buffer_store_dword v2, off, s[0:3], 0 offset:148
	buffer_store_dword v1, off, s[0:3], 0 offset:144
	buffer_store_dword v4, off, s[0:3], 0 offset:156
	buffer_store_dword v3, off, s[0:3], 0 offset:152
.LBB59_543:
	s_or_b32 exec_lo, exec_lo, s4
	v_mov_b32_e32 v4, s58
	s_mov_b32 s4, exec_lo
	s_clause 0x3
	buffer_load_dword v1, v4, s[0:3], 0 offen
	buffer_load_dword v2, v4, s[0:3], 0 offen offset:4
	buffer_load_dword v3, v4, s[0:3], 0 offen offset:8
	;; [unrolled: 1-line block ×3, first 2 shown]
	s_waitcnt vmcnt(0)
	ds_write_b128 v10, v[1:4]
	s_waitcnt lgkmcnt(0)
	s_waitcnt_vscnt null, 0x0
	s_barrier
	buffer_gl0_inv
	v_cmpx_gt_u32_e32 10, v0
	s_cbranch_execz .LBB59_551
; %bb.544:
	ds_read_b128 v[1:4], v10
	v_cmp_ne_u32_e32 vcc_lo, 1, v11
	s_cbranch_vccnz .LBB59_546
; %bb.545:
	s_clause 0x3
	buffer_load_dword v129, v9, s[0:3], 0 offen offset:8
	buffer_load_dword v130, v9, s[0:3], 0 offen offset:12
	buffer_load_dword v131, v9, s[0:3], 0 offen
	buffer_load_dword v132, v9, s[0:3], 0 offen offset:4
	s_waitcnt vmcnt(2) lgkmcnt(0)
	v_mul_f64 v[133:134], v[3:4], v[129:130]
	v_mul_f64 v[129:130], v[1:2], v[129:130]
	s_waitcnt vmcnt(0)
	v_fma_f64 v[1:2], v[1:2], v[131:132], -v[133:134]
	v_fma_f64 v[3:4], v[3:4], v[131:132], v[129:130]
.LBB59_546:
	s_mov_b32 s6, exec_lo
	v_cmpx_ne_u32_e32 9, v0
	s_cbranch_execz .LBB59_550
; %bb.547:
	v_add_nc_u32_e32 v12, 0x3d0, v173
	v_add3_u32 v129, 0, v173, 16
	v_mov_b32_e32 v130, v0
	s_mov_b32 s8, 0
	.p2align	6
.LBB59_548:                             ; =>This Inner Loop Header: Depth=1
	s_clause 0x3
	buffer_load_dword v135, v129, s[0:3], 0 offen offset:8
	buffer_load_dword v136, v129, s[0:3], 0 offen offset:12
	buffer_load_dword v137, v129, s[0:3], 0 offen
	buffer_load_dword v138, v129, s[0:3], 0 offen offset:4
	ds_read_b128 v[131:134], v12
	v_add_nc_u32_e32 v130, 1, v130
	v_add_nc_u32_e32 v12, 16, v12
	;; [unrolled: 1-line block ×3, first 2 shown]
	v_cmp_lt_u32_e32 vcc_lo, 8, v130
	s_or_b32 s8, vcc_lo, s8
	s_waitcnt vmcnt(2) lgkmcnt(0)
	v_mul_f64 v[139:140], v[133:134], v[135:136]
	v_mul_f64 v[135:136], v[131:132], v[135:136]
	s_waitcnt vmcnt(0)
	v_fma_f64 v[131:132], v[131:132], v[137:138], -v[139:140]
	v_fma_f64 v[133:134], v[133:134], v[137:138], v[135:136]
	v_add_f64 v[1:2], v[1:2], v[131:132]
	v_add_f64 v[3:4], v[3:4], v[133:134]
	s_andn2_b32 exec_lo, exec_lo, s8
	s_cbranch_execnz .LBB59_548
; %bb.549:
	s_or_b32 exec_lo, exec_lo, s8
.LBB59_550:
	s_or_b32 exec_lo, exec_lo, s6
	v_mov_b32_e32 v12, 0
	ds_read_b128 v[129:132], v12 offset:160
	s_waitcnt lgkmcnt(0)
	v_mul_f64 v[133:134], v[3:4], v[131:132]
	v_mul_f64 v[131:132], v[1:2], v[131:132]
	v_fma_f64 v[1:2], v[1:2], v[129:130], -v[133:134]
	v_fma_f64 v[3:4], v[3:4], v[129:130], v[131:132]
	buffer_store_dword v2, off, s[0:3], 0 offset:164
	buffer_store_dword v1, off, s[0:3], 0 offset:160
	;; [unrolled: 1-line block ×4, first 2 shown]
.LBB59_551:
	s_or_b32 exec_lo, exec_lo, s4
	v_mov_b32_e32 v4, s57
	s_mov_b32 s4, exec_lo
	s_clause 0x3
	buffer_load_dword v1, v4, s[0:3], 0 offen
	buffer_load_dword v2, v4, s[0:3], 0 offen offset:4
	buffer_load_dword v3, v4, s[0:3], 0 offen offset:8
	;; [unrolled: 1-line block ×3, first 2 shown]
	s_waitcnt vmcnt(0)
	ds_write_b128 v10, v[1:4]
	s_waitcnt lgkmcnt(0)
	s_waitcnt_vscnt null, 0x0
	s_barrier
	buffer_gl0_inv
	v_cmpx_gt_u32_e32 11, v0
	s_cbranch_execz .LBB59_559
; %bb.552:
	ds_read_b128 v[1:4], v10
	v_cmp_ne_u32_e32 vcc_lo, 1, v11
	s_cbranch_vccnz .LBB59_554
; %bb.553:
	s_clause 0x3
	buffer_load_dword v129, v9, s[0:3], 0 offen offset:8
	buffer_load_dword v130, v9, s[0:3], 0 offen offset:12
	buffer_load_dword v131, v9, s[0:3], 0 offen
	buffer_load_dword v132, v9, s[0:3], 0 offen offset:4
	s_waitcnt vmcnt(2) lgkmcnt(0)
	v_mul_f64 v[133:134], v[3:4], v[129:130]
	v_mul_f64 v[129:130], v[1:2], v[129:130]
	s_waitcnt vmcnt(0)
	v_fma_f64 v[1:2], v[1:2], v[131:132], -v[133:134]
	v_fma_f64 v[3:4], v[3:4], v[131:132], v[129:130]
.LBB59_554:
	s_mov_b32 s6, exec_lo
	v_cmpx_ne_u32_e32 10, v0
	s_cbranch_execz .LBB59_558
; %bb.555:
	v_add_nc_u32_e32 v12, 0x3d0, v173
	v_add3_u32 v129, 0, v173, 16
	v_mov_b32_e32 v130, v0
	s_mov_b32 s8, 0
	.p2align	6
.LBB59_556:                             ; =>This Inner Loop Header: Depth=1
	s_clause 0x3
	buffer_load_dword v135, v129, s[0:3], 0 offen offset:8
	buffer_load_dword v136, v129, s[0:3], 0 offen offset:12
	buffer_load_dword v137, v129, s[0:3], 0 offen
	buffer_load_dword v138, v129, s[0:3], 0 offen offset:4
	ds_read_b128 v[131:134], v12
	v_add_nc_u32_e32 v130, 1, v130
	v_add_nc_u32_e32 v12, 16, v12
	;; [unrolled: 1-line block ×3, first 2 shown]
	v_cmp_lt_u32_e32 vcc_lo, 9, v130
	s_or_b32 s8, vcc_lo, s8
	s_waitcnt vmcnt(2) lgkmcnt(0)
	v_mul_f64 v[139:140], v[133:134], v[135:136]
	v_mul_f64 v[135:136], v[131:132], v[135:136]
	s_waitcnt vmcnt(0)
	v_fma_f64 v[131:132], v[131:132], v[137:138], -v[139:140]
	v_fma_f64 v[133:134], v[133:134], v[137:138], v[135:136]
	v_add_f64 v[1:2], v[1:2], v[131:132]
	v_add_f64 v[3:4], v[3:4], v[133:134]
	s_andn2_b32 exec_lo, exec_lo, s8
	s_cbranch_execnz .LBB59_556
; %bb.557:
	s_or_b32 exec_lo, exec_lo, s8
.LBB59_558:
	s_or_b32 exec_lo, exec_lo, s6
	v_mov_b32_e32 v12, 0
	ds_read_b128 v[129:132], v12 offset:176
	s_waitcnt lgkmcnt(0)
	v_mul_f64 v[133:134], v[3:4], v[131:132]
	v_mul_f64 v[131:132], v[1:2], v[131:132]
	v_fma_f64 v[1:2], v[1:2], v[129:130], -v[133:134]
	v_fma_f64 v[3:4], v[3:4], v[129:130], v[131:132]
	buffer_store_dword v2, off, s[0:3], 0 offset:180
	buffer_store_dword v1, off, s[0:3], 0 offset:176
	;; [unrolled: 1-line block ×4, first 2 shown]
.LBB59_559:
	s_or_b32 exec_lo, exec_lo, s4
	v_mov_b32_e32 v4, s56
	s_mov_b32 s4, exec_lo
	s_clause 0x3
	buffer_load_dword v1, v4, s[0:3], 0 offen
	buffer_load_dword v2, v4, s[0:3], 0 offen offset:4
	buffer_load_dword v3, v4, s[0:3], 0 offen offset:8
	;; [unrolled: 1-line block ×3, first 2 shown]
	s_waitcnt vmcnt(0)
	ds_write_b128 v10, v[1:4]
	s_waitcnt lgkmcnt(0)
	s_waitcnt_vscnt null, 0x0
	s_barrier
	buffer_gl0_inv
	v_cmpx_gt_u32_e32 12, v0
	s_cbranch_execz .LBB59_567
; %bb.560:
	ds_read_b128 v[1:4], v10
	v_cmp_ne_u32_e32 vcc_lo, 1, v11
	s_cbranch_vccnz .LBB59_562
; %bb.561:
	s_clause 0x3
	buffer_load_dword v129, v9, s[0:3], 0 offen offset:8
	buffer_load_dword v130, v9, s[0:3], 0 offen offset:12
	buffer_load_dword v131, v9, s[0:3], 0 offen
	buffer_load_dword v132, v9, s[0:3], 0 offen offset:4
	s_waitcnt vmcnt(2) lgkmcnt(0)
	v_mul_f64 v[133:134], v[3:4], v[129:130]
	v_mul_f64 v[129:130], v[1:2], v[129:130]
	s_waitcnt vmcnt(0)
	v_fma_f64 v[1:2], v[1:2], v[131:132], -v[133:134]
	v_fma_f64 v[3:4], v[3:4], v[131:132], v[129:130]
.LBB59_562:
	s_mov_b32 s6, exec_lo
	v_cmpx_ne_u32_e32 11, v0
	s_cbranch_execz .LBB59_566
; %bb.563:
	v_add_nc_u32_e32 v12, 0x3d0, v173
	v_add3_u32 v129, 0, v173, 16
	v_mov_b32_e32 v130, v0
	s_mov_b32 s8, 0
	.p2align	6
.LBB59_564:                             ; =>This Inner Loop Header: Depth=1
	s_clause 0x3
	buffer_load_dword v135, v129, s[0:3], 0 offen offset:8
	buffer_load_dword v136, v129, s[0:3], 0 offen offset:12
	buffer_load_dword v137, v129, s[0:3], 0 offen
	buffer_load_dword v138, v129, s[0:3], 0 offen offset:4
	ds_read_b128 v[131:134], v12
	v_add_nc_u32_e32 v130, 1, v130
	v_add_nc_u32_e32 v12, 16, v12
	;; [unrolled: 1-line block ×3, first 2 shown]
	v_cmp_lt_u32_e32 vcc_lo, 10, v130
	s_or_b32 s8, vcc_lo, s8
	s_waitcnt vmcnt(2) lgkmcnt(0)
	v_mul_f64 v[139:140], v[133:134], v[135:136]
	v_mul_f64 v[135:136], v[131:132], v[135:136]
	s_waitcnt vmcnt(0)
	v_fma_f64 v[131:132], v[131:132], v[137:138], -v[139:140]
	v_fma_f64 v[133:134], v[133:134], v[137:138], v[135:136]
	v_add_f64 v[1:2], v[1:2], v[131:132]
	v_add_f64 v[3:4], v[3:4], v[133:134]
	s_andn2_b32 exec_lo, exec_lo, s8
	s_cbranch_execnz .LBB59_564
; %bb.565:
	s_or_b32 exec_lo, exec_lo, s8
.LBB59_566:
	s_or_b32 exec_lo, exec_lo, s6
	v_mov_b32_e32 v12, 0
	ds_read_b128 v[129:132], v12 offset:192
	s_waitcnt lgkmcnt(0)
	v_mul_f64 v[133:134], v[3:4], v[131:132]
	v_mul_f64 v[131:132], v[1:2], v[131:132]
	v_fma_f64 v[1:2], v[1:2], v[129:130], -v[133:134]
	v_fma_f64 v[3:4], v[3:4], v[129:130], v[131:132]
	buffer_store_dword v2, off, s[0:3], 0 offset:196
	buffer_store_dword v1, off, s[0:3], 0 offset:192
	;; [unrolled: 1-line block ×4, first 2 shown]
.LBB59_567:
	s_or_b32 exec_lo, exec_lo, s4
	v_mov_b32_e32 v4, s55
	s_mov_b32 s4, exec_lo
	s_clause 0x3
	buffer_load_dword v1, v4, s[0:3], 0 offen
	buffer_load_dword v2, v4, s[0:3], 0 offen offset:4
	buffer_load_dword v3, v4, s[0:3], 0 offen offset:8
	;; [unrolled: 1-line block ×3, first 2 shown]
	s_waitcnt vmcnt(0)
	ds_write_b128 v10, v[1:4]
	s_waitcnt lgkmcnt(0)
	s_waitcnt_vscnt null, 0x0
	s_barrier
	buffer_gl0_inv
	v_cmpx_gt_u32_e32 13, v0
	s_cbranch_execz .LBB59_575
; %bb.568:
	ds_read_b128 v[1:4], v10
	v_cmp_ne_u32_e32 vcc_lo, 1, v11
	s_cbranch_vccnz .LBB59_570
; %bb.569:
	s_clause 0x3
	buffer_load_dword v129, v9, s[0:3], 0 offen offset:8
	buffer_load_dword v130, v9, s[0:3], 0 offen offset:12
	buffer_load_dword v131, v9, s[0:3], 0 offen
	buffer_load_dword v132, v9, s[0:3], 0 offen offset:4
	s_waitcnt vmcnt(2) lgkmcnt(0)
	v_mul_f64 v[133:134], v[3:4], v[129:130]
	v_mul_f64 v[129:130], v[1:2], v[129:130]
	s_waitcnt vmcnt(0)
	v_fma_f64 v[1:2], v[1:2], v[131:132], -v[133:134]
	v_fma_f64 v[3:4], v[3:4], v[131:132], v[129:130]
.LBB59_570:
	s_mov_b32 s6, exec_lo
	v_cmpx_ne_u32_e32 12, v0
	s_cbranch_execz .LBB59_574
; %bb.571:
	v_add_nc_u32_e32 v12, 0x3d0, v173
	v_add3_u32 v129, 0, v173, 16
	v_mov_b32_e32 v130, v0
	s_mov_b32 s8, 0
	.p2align	6
.LBB59_572:                             ; =>This Inner Loop Header: Depth=1
	s_clause 0x3
	buffer_load_dword v135, v129, s[0:3], 0 offen offset:8
	buffer_load_dword v136, v129, s[0:3], 0 offen offset:12
	buffer_load_dword v137, v129, s[0:3], 0 offen
	buffer_load_dword v138, v129, s[0:3], 0 offen offset:4
	ds_read_b128 v[131:134], v12
	v_add_nc_u32_e32 v130, 1, v130
	v_add_nc_u32_e32 v12, 16, v12
	;; [unrolled: 1-line block ×3, first 2 shown]
	v_cmp_lt_u32_e32 vcc_lo, 11, v130
	s_or_b32 s8, vcc_lo, s8
	s_waitcnt vmcnt(2) lgkmcnt(0)
	v_mul_f64 v[139:140], v[133:134], v[135:136]
	v_mul_f64 v[135:136], v[131:132], v[135:136]
	s_waitcnt vmcnt(0)
	v_fma_f64 v[131:132], v[131:132], v[137:138], -v[139:140]
	v_fma_f64 v[133:134], v[133:134], v[137:138], v[135:136]
	v_add_f64 v[1:2], v[1:2], v[131:132]
	v_add_f64 v[3:4], v[3:4], v[133:134]
	s_andn2_b32 exec_lo, exec_lo, s8
	s_cbranch_execnz .LBB59_572
; %bb.573:
	s_or_b32 exec_lo, exec_lo, s8
.LBB59_574:
	s_or_b32 exec_lo, exec_lo, s6
	v_mov_b32_e32 v12, 0
	ds_read_b128 v[129:132], v12 offset:208
	s_waitcnt lgkmcnt(0)
	v_mul_f64 v[133:134], v[3:4], v[131:132]
	v_mul_f64 v[131:132], v[1:2], v[131:132]
	v_fma_f64 v[1:2], v[1:2], v[129:130], -v[133:134]
	v_fma_f64 v[3:4], v[3:4], v[129:130], v[131:132]
	buffer_store_dword v2, off, s[0:3], 0 offset:212
	buffer_store_dword v1, off, s[0:3], 0 offset:208
	;; [unrolled: 1-line block ×4, first 2 shown]
.LBB59_575:
	s_or_b32 exec_lo, exec_lo, s4
	v_mov_b32_e32 v4, s54
	s_mov_b32 s4, exec_lo
	s_clause 0x3
	buffer_load_dword v1, v4, s[0:3], 0 offen
	buffer_load_dword v2, v4, s[0:3], 0 offen offset:4
	buffer_load_dword v3, v4, s[0:3], 0 offen offset:8
	;; [unrolled: 1-line block ×3, first 2 shown]
	s_waitcnt vmcnt(0)
	ds_write_b128 v10, v[1:4]
	s_waitcnt lgkmcnt(0)
	s_waitcnt_vscnt null, 0x0
	s_barrier
	buffer_gl0_inv
	v_cmpx_gt_u32_e32 14, v0
	s_cbranch_execz .LBB59_583
; %bb.576:
	ds_read_b128 v[1:4], v10
	v_cmp_ne_u32_e32 vcc_lo, 1, v11
	s_cbranch_vccnz .LBB59_578
; %bb.577:
	s_clause 0x3
	buffer_load_dword v129, v9, s[0:3], 0 offen offset:8
	buffer_load_dword v130, v9, s[0:3], 0 offen offset:12
	buffer_load_dword v131, v9, s[0:3], 0 offen
	buffer_load_dword v132, v9, s[0:3], 0 offen offset:4
	s_waitcnt vmcnt(2) lgkmcnt(0)
	v_mul_f64 v[133:134], v[3:4], v[129:130]
	v_mul_f64 v[129:130], v[1:2], v[129:130]
	s_waitcnt vmcnt(0)
	v_fma_f64 v[1:2], v[1:2], v[131:132], -v[133:134]
	v_fma_f64 v[3:4], v[3:4], v[131:132], v[129:130]
.LBB59_578:
	s_mov_b32 s6, exec_lo
	v_cmpx_ne_u32_e32 13, v0
	s_cbranch_execz .LBB59_582
; %bb.579:
	v_add_nc_u32_e32 v12, 0x3d0, v173
	v_add3_u32 v129, 0, v173, 16
	v_mov_b32_e32 v130, v0
	s_mov_b32 s8, 0
	.p2align	6
.LBB59_580:                             ; =>This Inner Loop Header: Depth=1
	s_clause 0x3
	buffer_load_dword v135, v129, s[0:3], 0 offen offset:8
	buffer_load_dword v136, v129, s[0:3], 0 offen offset:12
	buffer_load_dword v137, v129, s[0:3], 0 offen
	buffer_load_dword v138, v129, s[0:3], 0 offen offset:4
	ds_read_b128 v[131:134], v12
	v_add_nc_u32_e32 v130, 1, v130
	v_add_nc_u32_e32 v12, 16, v12
	;; [unrolled: 1-line block ×3, first 2 shown]
	v_cmp_lt_u32_e32 vcc_lo, 12, v130
	s_or_b32 s8, vcc_lo, s8
	s_waitcnt vmcnt(2) lgkmcnt(0)
	v_mul_f64 v[139:140], v[133:134], v[135:136]
	v_mul_f64 v[135:136], v[131:132], v[135:136]
	s_waitcnt vmcnt(0)
	v_fma_f64 v[131:132], v[131:132], v[137:138], -v[139:140]
	v_fma_f64 v[133:134], v[133:134], v[137:138], v[135:136]
	v_add_f64 v[1:2], v[1:2], v[131:132]
	v_add_f64 v[3:4], v[3:4], v[133:134]
	s_andn2_b32 exec_lo, exec_lo, s8
	s_cbranch_execnz .LBB59_580
; %bb.581:
	s_or_b32 exec_lo, exec_lo, s8
.LBB59_582:
	s_or_b32 exec_lo, exec_lo, s6
	v_mov_b32_e32 v12, 0
	ds_read_b128 v[129:132], v12 offset:224
	s_waitcnt lgkmcnt(0)
	v_mul_f64 v[133:134], v[3:4], v[131:132]
	v_mul_f64 v[131:132], v[1:2], v[131:132]
	v_fma_f64 v[1:2], v[1:2], v[129:130], -v[133:134]
	v_fma_f64 v[3:4], v[3:4], v[129:130], v[131:132]
	buffer_store_dword v2, off, s[0:3], 0 offset:228
	buffer_store_dword v1, off, s[0:3], 0 offset:224
	;; [unrolled: 1-line block ×4, first 2 shown]
.LBB59_583:
	s_or_b32 exec_lo, exec_lo, s4
	v_mov_b32_e32 v4, s53
	s_mov_b32 s4, exec_lo
	s_clause 0x3
	buffer_load_dword v1, v4, s[0:3], 0 offen
	buffer_load_dword v2, v4, s[0:3], 0 offen offset:4
	buffer_load_dword v3, v4, s[0:3], 0 offen offset:8
	;; [unrolled: 1-line block ×3, first 2 shown]
	s_waitcnt vmcnt(0)
	ds_write_b128 v10, v[1:4]
	s_waitcnt lgkmcnt(0)
	s_waitcnt_vscnt null, 0x0
	s_barrier
	buffer_gl0_inv
	v_cmpx_gt_u32_e32 15, v0
	s_cbranch_execz .LBB59_591
; %bb.584:
	ds_read_b128 v[1:4], v10
	v_cmp_ne_u32_e32 vcc_lo, 1, v11
	s_cbranch_vccnz .LBB59_586
; %bb.585:
	s_clause 0x3
	buffer_load_dword v129, v9, s[0:3], 0 offen offset:8
	buffer_load_dword v130, v9, s[0:3], 0 offen offset:12
	buffer_load_dword v131, v9, s[0:3], 0 offen
	buffer_load_dword v132, v9, s[0:3], 0 offen offset:4
	s_waitcnt vmcnt(2) lgkmcnt(0)
	v_mul_f64 v[133:134], v[3:4], v[129:130]
	v_mul_f64 v[129:130], v[1:2], v[129:130]
	s_waitcnt vmcnt(0)
	v_fma_f64 v[1:2], v[1:2], v[131:132], -v[133:134]
	v_fma_f64 v[3:4], v[3:4], v[131:132], v[129:130]
.LBB59_586:
	s_mov_b32 s6, exec_lo
	v_cmpx_ne_u32_e32 14, v0
	s_cbranch_execz .LBB59_590
; %bb.587:
	v_add_nc_u32_e32 v12, 0x3d0, v173
	v_add3_u32 v129, 0, v173, 16
	v_mov_b32_e32 v130, v0
	s_mov_b32 s8, 0
	.p2align	6
.LBB59_588:                             ; =>This Inner Loop Header: Depth=1
	s_clause 0x3
	buffer_load_dword v135, v129, s[0:3], 0 offen offset:8
	buffer_load_dword v136, v129, s[0:3], 0 offen offset:12
	buffer_load_dword v137, v129, s[0:3], 0 offen
	buffer_load_dword v138, v129, s[0:3], 0 offen offset:4
	ds_read_b128 v[131:134], v12
	v_add_nc_u32_e32 v130, 1, v130
	v_add_nc_u32_e32 v12, 16, v12
	;; [unrolled: 1-line block ×3, first 2 shown]
	v_cmp_lt_u32_e32 vcc_lo, 13, v130
	s_or_b32 s8, vcc_lo, s8
	s_waitcnt vmcnt(2) lgkmcnt(0)
	v_mul_f64 v[139:140], v[133:134], v[135:136]
	v_mul_f64 v[135:136], v[131:132], v[135:136]
	s_waitcnt vmcnt(0)
	v_fma_f64 v[131:132], v[131:132], v[137:138], -v[139:140]
	v_fma_f64 v[133:134], v[133:134], v[137:138], v[135:136]
	v_add_f64 v[1:2], v[1:2], v[131:132]
	v_add_f64 v[3:4], v[3:4], v[133:134]
	s_andn2_b32 exec_lo, exec_lo, s8
	s_cbranch_execnz .LBB59_588
; %bb.589:
	s_or_b32 exec_lo, exec_lo, s8
.LBB59_590:
	s_or_b32 exec_lo, exec_lo, s6
	v_mov_b32_e32 v12, 0
	ds_read_b128 v[129:132], v12 offset:240
	s_waitcnt lgkmcnt(0)
	v_mul_f64 v[133:134], v[3:4], v[131:132]
	v_mul_f64 v[131:132], v[1:2], v[131:132]
	v_fma_f64 v[1:2], v[1:2], v[129:130], -v[133:134]
	v_fma_f64 v[3:4], v[3:4], v[129:130], v[131:132]
	buffer_store_dword v2, off, s[0:3], 0 offset:244
	buffer_store_dword v1, off, s[0:3], 0 offset:240
	;; [unrolled: 1-line block ×4, first 2 shown]
.LBB59_591:
	s_or_b32 exec_lo, exec_lo, s4
	v_mov_b32_e32 v4, s52
	s_mov_b32 s4, exec_lo
	s_clause 0x3
	buffer_load_dword v1, v4, s[0:3], 0 offen
	buffer_load_dword v2, v4, s[0:3], 0 offen offset:4
	buffer_load_dword v3, v4, s[0:3], 0 offen offset:8
	;; [unrolled: 1-line block ×3, first 2 shown]
	s_waitcnt vmcnt(0)
	ds_write_b128 v10, v[1:4]
	s_waitcnt lgkmcnt(0)
	s_waitcnt_vscnt null, 0x0
	s_barrier
	buffer_gl0_inv
	v_cmpx_gt_u32_e32 16, v0
	s_cbranch_execz .LBB59_599
; %bb.592:
	ds_read_b128 v[1:4], v10
	v_cmp_ne_u32_e32 vcc_lo, 1, v11
	s_cbranch_vccnz .LBB59_594
; %bb.593:
	s_clause 0x3
	buffer_load_dword v129, v9, s[0:3], 0 offen offset:8
	buffer_load_dword v130, v9, s[0:3], 0 offen offset:12
	buffer_load_dword v131, v9, s[0:3], 0 offen
	buffer_load_dword v132, v9, s[0:3], 0 offen offset:4
	s_waitcnt vmcnt(2) lgkmcnt(0)
	v_mul_f64 v[133:134], v[3:4], v[129:130]
	v_mul_f64 v[129:130], v[1:2], v[129:130]
	s_waitcnt vmcnt(0)
	v_fma_f64 v[1:2], v[1:2], v[131:132], -v[133:134]
	v_fma_f64 v[3:4], v[3:4], v[131:132], v[129:130]
.LBB59_594:
	s_mov_b32 s6, exec_lo
	v_cmpx_ne_u32_e32 15, v0
	s_cbranch_execz .LBB59_598
; %bb.595:
	v_add_nc_u32_e32 v12, 0x3d0, v173
	v_add3_u32 v129, 0, v173, 16
	v_mov_b32_e32 v130, v0
	s_mov_b32 s8, 0
	.p2align	6
.LBB59_596:                             ; =>This Inner Loop Header: Depth=1
	s_clause 0x3
	buffer_load_dword v135, v129, s[0:3], 0 offen offset:8
	buffer_load_dword v136, v129, s[0:3], 0 offen offset:12
	buffer_load_dword v137, v129, s[0:3], 0 offen
	buffer_load_dword v138, v129, s[0:3], 0 offen offset:4
	ds_read_b128 v[131:134], v12
	v_add_nc_u32_e32 v130, 1, v130
	v_add_nc_u32_e32 v12, 16, v12
	;; [unrolled: 1-line block ×3, first 2 shown]
	v_cmp_lt_u32_e32 vcc_lo, 14, v130
	s_or_b32 s8, vcc_lo, s8
	s_waitcnt vmcnt(2) lgkmcnt(0)
	v_mul_f64 v[139:140], v[133:134], v[135:136]
	v_mul_f64 v[135:136], v[131:132], v[135:136]
	s_waitcnt vmcnt(0)
	v_fma_f64 v[131:132], v[131:132], v[137:138], -v[139:140]
	v_fma_f64 v[133:134], v[133:134], v[137:138], v[135:136]
	v_add_f64 v[1:2], v[1:2], v[131:132]
	v_add_f64 v[3:4], v[3:4], v[133:134]
	s_andn2_b32 exec_lo, exec_lo, s8
	s_cbranch_execnz .LBB59_596
; %bb.597:
	s_or_b32 exec_lo, exec_lo, s8
.LBB59_598:
	s_or_b32 exec_lo, exec_lo, s6
	v_mov_b32_e32 v12, 0
	ds_read_b128 v[129:132], v12 offset:256
	s_waitcnt lgkmcnt(0)
	v_mul_f64 v[133:134], v[3:4], v[131:132]
	v_mul_f64 v[131:132], v[1:2], v[131:132]
	v_fma_f64 v[1:2], v[1:2], v[129:130], -v[133:134]
	v_fma_f64 v[3:4], v[3:4], v[129:130], v[131:132]
	buffer_store_dword v2, off, s[0:3], 0 offset:260
	buffer_store_dword v1, off, s[0:3], 0 offset:256
	;; [unrolled: 1-line block ×4, first 2 shown]
.LBB59_599:
	s_or_b32 exec_lo, exec_lo, s4
	v_mov_b32_e32 v4, s51
	s_mov_b32 s4, exec_lo
	s_clause 0x3
	buffer_load_dword v1, v4, s[0:3], 0 offen
	buffer_load_dword v2, v4, s[0:3], 0 offen offset:4
	buffer_load_dword v3, v4, s[0:3], 0 offen offset:8
	;; [unrolled: 1-line block ×3, first 2 shown]
	s_waitcnt vmcnt(0)
	ds_write_b128 v10, v[1:4]
	s_waitcnt lgkmcnt(0)
	s_waitcnt_vscnt null, 0x0
	s_barrier
	buffer_gl0_inv
	v_cmpx_gt_u32_e32 17, v0
	s_cbranch_execz .LBB59_607
; %bb.600:
	ds_read_b128 v[1:4], v10
	v_cmp_ne_u32_e32 vcc_lo, 1, v11
	s_cbranch_vccnz .LBB59_602
; %bb.601:
	s_clause 0x3
	buffer_load_dword v129, v9, s[0:3], 0 offen offset:8
	buffer_load_dword v130, v9, s[0:3], 0 offen offset:12
	buffer_load_dword v131, v9, s[0:3], 0 offen
	buffer_load_dword v132, v9, s[0:3], 0 offen offset:4
	s_waitcnt vmcnt(2) lgkmcnt(0)
	v_mul_f64 v[133:134], v[3:4], v[129:130]
	v_mul_f64 v[129:130], v[1:2], v[129:130]
	s_waitcnt vmcnt(0)
	v_fma_f64 v[1:2], v[1:2], v[131:132], -v[133:134]
	v_fma_f64 v[3:4], v[3:4], v[131:132], v[129:130]
.LBB59_602:
	s_mov_b32 s6, exec_lo
	v_cmpx_ne_u32_e32 16, v0
	s_cbranch_execz .LBB59_606
; %bb.603:
	v_add_nc_u32_e32 v12, 0x3d0, v173
	v_add3_u32 v129, 0, v173, 16
	v_mov_b32_e32 v130, v0
	s_mov_b32 s8, 0
	.p2align	6
.LBB59_604:                             ; =>This Inner Loop Header: Depth=1
	s_clause 0x3
	buffer_load_dword v135, v129, s[0:3], 0 offen offset:8
	buffer_load_dword v136, v129, s[0:3], 0 offen offset:12
	buffer_load_dword v137, v129, s[0:3], 0 offen
	buffer_load_dword v138, v129, s[0:3], 0 offen offset:4
	ds_read_b128 v[131:134], v12
	v_add_nc_u32_e32 v130, 1, v130
	v_add_nc_u32_e32 v12, 16, v12
	;; [unrolled: 1-line block ×3, first 2 shown]
	v_cmp_lt_u32_e32 vcc_lo, 15, v130
	s_or_b32 s8, vcc_lo, s8
	s_waitcnt vmcnt(2) lgkmcnt(0)
	v_mul_f64 v[139:140], v[133:134], v[135:136]
	v_mul_f64 v[135:136], v[131:132], v[135:136]
	s_waitcnt vmcnt(0)
	v_fma_f64 v[131:132], v[131:132], v[137:138], -v[139:140]
	v_fma_f64 v[133:134], v[133:134], v[137:138], v[135:136]
	v_add_f64 v[1:2], v[1:2], v[131:132]
	v_add_f64 v[3:4], v[3:4], v[133:134]
	s_andn2_b32 exec_lo, exec_lo, s8
	s_cbranch_execnz .LBB59_604
; %bb.605:
	s_or_b32 exec_lo, exec_lo, s8
.LBB59_606:
	s_or_b32 exec_lo, exec_lo, s6
	v_mov_b32_e32 v12, 0
	ds_read_b128 v[129:132], v12 offset:272
	s_waitcnt lgkmcnt(0)
	v_mul_f64 v[133:134], v[3:4], v[131:132]
	v_mul_f64 v[131:132], v[1:2], v[131:132]
	v_fma_f64 v[1:2], v[1:2], v[129:130], -v[133:134]
	v_fma_f64 v[3:4], v[3:4], v[129:130], v[131:132]
	buffer_store_dword v2, off, s[0:3], 0 offset:276
	buffer_store_dword v1, off, s[0:3], 0 offset:272
	;; [unrolled: 1-line block ×4, first 2 shown]
.LBB59_607:
	s_or_b32 exec_lo, exec_lo, s4
	v_mov_b32_e32 v4, s50
	s_mov_b32 s4, exec_lo
	s_clause 0x3
	buffer_load_dword v1, v4, s[0:3], 0 offen
	buffer_load_dword v2, v4, s[0:3], 0 offen offset:4
	buffer_load_dword v3, v4, s[0:3], 0 offen offset:8
	;; [unrolled: 1-line block ×3, first 2 shown]
	s_waitcnt vmcnt(0)
	ds_write_b128 v10, v[1:4]
	s_waitcnt lgkmcnt(0)
	s_waitcnt_vscnt null, 0x0
	s_barrier
	buffer_gl0_inv
	v_cmpx_gt_u32_e32 18, v0
	s_cbranch_execz .LBB59_615
; %bb.608:
	ds_read_b128 v[1:4], v10
	v_cmp_ne_u32_e32 vcc_lo, 1, v11
	s_cbranch_vccnz .LBB59_610
; %bb.609:
	s_clause 0x3
	buffer_load_dword v129, v9, s[0:3], 0 offen offset:8
	buffer_load_dword v130, v9, s[0:3], 0 offen offset:12
	buffer_load_dword v131, v9, s[0:3], 0 offen
	buffer_load_dword v132, v9, s[0:3], 0 offen offset:4
	s_waitcnt vmcnt(2) lgkmcnt(0)
	v_mul_f64 v[133:134], v[3:4], v[129:130]
	v_mul_f64 v[129:130], v[1:2], v[129:130]
	s_waitcnt vmcnt(0)
	v_fma_f64 v[1:2], v[1:2], v[131:132], -v[133:134]
	v_fma_f64 v[3:4], v[3:4], v[131:132], v[129:130]
.LBB59_610:
	s_mov_b32 s6, exec_lo
	v_cmpx_ne_u32_e32 17, v0
	s_cbranch_execz .LBB59_614
; %bb.611:
	v_add_nc_u32_e32 v12, 0x3d0, v173
	v_add3_u32 v129, 0, v173, 16
	v_mov_b32_e32 v130, v0
	s_mov_b32 s8, 0
	.p2align	6
.LBB59_612:                             ; =>This Inner Loop Header: Depth=1
	s_clause 0x3
	buffer_load_dword v135, v129, s[0:3], 0 offen offset:8
	buffer_load_dword v136, v129, s[0:3], 0 offen offset:12
	buffer_load_dword v137, v129, s[0:3], 0 offen
	buffer_load_dword v138, v129, s[0:3], 0 offen offset:4
	ds_read_b128 v[131:134], v12
	v_add_nc_u32_e32 v130, 1, v130
	v_add_nc_u32_e32 v12, 16, v12
	;; [unrolled: 1-line block ×3, first 2 shown]
	v_cmp_lt_u32_e32 vcc_lo, 16, v130
	s_or_b32 s8, vcc_lo, s8
	s_waitcnt vmcnt(2) lgkmcnt(0)
	v_mul_f64 v[139:140], v[133:134], v[135:136]
	v_mul_f64 v[135:136], v[131:132], v[135:136]
	s_waitcnt vmcnt(0)
	v_fma_f64 v[131:132], v[131:132], v[137:138], -v[139:140]
	v_fma_f64 v[133:134], v[133:134], v[137:138], v[135:136]
	v_add_f64 v[1:2], v[1:2], v[131:132]
	v_add_f64 v[3:4], v[3:4], v[133:134]
	s_andn2_b32 exec_lo, exec_lo, s8
	s_cbranch_execnz .LBB59_612
; %bb.613:
	s_or_b32 exec_lo, exec_lo, s8
.LBB59_614:
	s_or_b32 exec_lo, exec_lo, s6
	v_mov_b32_e32 v12, 0
	ds_read_b128 v[129:132], v12 offset:288
	s_waitcnt lgkmcnt(0)
	v_mul_f64 v[133:134], v[3:4], v[131:132]
	v_mul_f64 v[131:132], v[1:2], v[131:132]
	v_fma_f64 v[1:2], v[1:2], v[129:130], -v[133:134]
	v_fma_f64 v[3:4], v[3:4], v[129:130], v[131:132]
	buffer_store_dword v2, off, s[0:3], 0 offset:292
	buffer_store_dword v1, off, s[0:3], 0 offset:288
	;; [unrolled: 1-line block ×4, first 2 shown]
.LBB59_615:
	s_or_b32 exec_lo, exec_lo, s4
	v_mov_b32_e32 v4, s49
	s_mov_b32 s4, exec_lo
	s_clause 0x3
	buffer_load_dword v1, v4, s[0:3], 0 offen
	buffer_load_dword v2, v4, s[0:3], 0 offen offset:4
	buffer_load_dword v3, v4, s[0:3], 0 offen offset:8
	;; [unrolled: 1-line block ×3, first 2 shown]
	s_waitcnt vmcnt(0)
	ds_write_b128 v10, v[1:4]
	s_waitcnt lgkmcnt(0)
	s_waitcnt_vscnt null, 0x0
	s_barrier
	buffer_gl0_inv
	v_cmpx_gt_u32_e32 19, v0
	s_cbranch_execz .LBB59_623
; %bb.616:
	ds_read_b128 v[1:4], v10
	v_cmp_ne_u32_e32 vcc_lo, 1, v11
	s_cbranch_vccnz .LBB59_618
; %bb.617:
	s_clause 0x3
	buffer_load_dword v129, v9, s[0:3], 0 offen offset:8
	buffer_load_dword v130, v9, s[0:3], 0 offen offset:12
	buffer_load_dword v131, v9, s[0:3], 0 offen
	buffer_load_dword v132, v9, s[0:3], 0 offen offset:4
	s_waitcnt vmcnt(2) lgkmcnt(0)
	v_mul_f64 v[133:134], v[3:4], v[129:130]
	v_mul_f64 v[129:130], v[1:2], v[129:130]
	s_waitcnt vmcnt(0)
	v_fma_f64 v[1:2], v[1:2], v[131:132], -v[133:134]
	v_fma_f64 v[3:4], v[3:4], v[131:132], v[129:130]
.LBB59_618:
	s_mov_b32 s6, exec_lo
	v_cmpx_ne_u32_e32 18, v0
	s_cbranch_execz .LBB59_622
; %bb.619:
	v_add_nc_u32_e32 v12, 0x3d0, v173
	v_add3_u32 v129, 0, v173, 16
	v_mov_b32_e32 v130, v0
	s_mov_b32 s8, 0
	.p2align	6
.LBB59_620:                             ; =>This Inner Loop Header: Depth=1
	s_clause 0x3
	buffer_load_dword v135, v129, s[0:3], 0 offen offset:8
	buffer_load_dword v136, v129, s[0:3], 0 offen offset:12
	buffer_load_dword v137, v129, s[0:3], 0 offen
	buffer_load_dword v138, v129, s[0:3], 0 offen offset:4
	ds_read_b128 v[131:134], v12
	v_add_nc_u32_e32 v130, 1, v130
	v_add_nc_u32_e32 v12, 16, v12
	;; [unrolled: 1-line block ×3, first 2 shown]
	v_cmp_lt_u32_e32 vcc_lo, 17, v130
	s_or_b32 s8, vcc_lo, s8
	s_waitcnt vmcnt(2) lgkmcnt(0)
	v_mul_f64 v[139:140], v[133:134], v[135:136]
	v_mul_f64 v[135:136], v[131:132], v[135:136]
	s_waitcnt vmcnt(0)
	v_fma_f64 v[131:132], v[131:132], v[137:138], -v[139:140]
	v_fma_f64 v[133:134], v[133:134], v[137:138], v[135:136]
	v_add_f64 v[1:2], v[1:2], v[131:132]
	v_add_f64 v[3:4], v[3:4], v[133:134]
	s_andn2_b32 exec_lo, exec_lo, s8
	s_cbranch_execnz .LBB59_620
; %bb.621:
	s_or_b32 exec_lo, exec_lo, s8
.LBB59_622:
	s_or_b32 exec_lo, exec_lo, s6
	v_mov_b32_e32 v12, 0
	ds_read_b128 v[129:132], v12 offset:304
	s_waitcnt lgkmcnt(0)
	v_mul_f64 v[133:134], v[3:4], v[131:132]
	v_mul_f64 v[131:132], v[1:2], v[131:132]
	v_fma_f64 v[1:2], v[1:2], v[129:130], -v[133:134]
	v_fma_f64 v[3:4], v[3:4], v[129:130], v[131:132]
	buffer_store_dword v2, off, s[0:3], 0 offset:308
	buffer_store_dword v1, off, s[0:3], 0 offset:304
	buffer_store_dword v4, off, s[0:3], 0 offset:316
	buffer_store_dword v3, off, s[0:3], 0 offset:312
.LBB59_623:
	s_or_b32 exec_lo, exec_lo, s4
	v_mov_b32_e32 v4, s48
	s_mov_b32 s4, exec_lo
	s_clause 0x3
	buffer_load_dword v1, v4, s[0:3], 0 offen
	buffer_load_dword v2, v4, s[0:3], 0 offen offset:4
	buffer_load_dword v3, v4, s[0:3], 0 offen offset:8
	;; [unrolled: 1-line block ×3, first 2 shown]
	s_waitcnt vmcnt(0)
	ds_write_b128 v10, v[1:4]
	s_waitcnt lgkmcnt(0)
	s_waitcnt_vscnt null, 0x0
	s_barrier
	buffer_gl0_inv
	v_cmpx_gt_u32_e32 20, v0
	s_cbranch_execz .LBB59_631
; %bb.624:
	ds_read_b128 v[1:4], v10
	v_cmp_ne_u32_e32 vcc_lo, 1, v11
	s_cbranch_vccnz .LBB59_626
; %bb.625:
	s_clause 0x3
	buffer_load_dword v129, v9, s[0:3], 0 offen offset:8
	buffer_load_dword v130, v9, s[0:3], 0 offen offset:12
	buffer_load_dword v131, v9, s[0:3], 0 offen
	buffer_load_dword v132, v9, s[0:3], 0 offen offset:4
	s_waitcnt vmcnt(2) lgkmcnt(0)
	v_mul_f64 v[133:134], v[3:4], v[129:130]
	v_mul_f64 v[129:130], v[1:2], v[129:130]
	s_waitcnt vmcnt(0)
	v_fma_f64 v[1:2], v[1:2], v[131:132], -v[133:134]
	v_fma_f64 v[3:4], v[3:4], v[131:132], v[129:130]
.LBB59_626:
	s_mov_b32 s6, exec_lo
	v_cmpx_ne_u32_e32 19, v0
	s_cbranch_execz .LBB59_630
; %bb.627:
	v_add_nc_u32_e32 v12, 0x3d0, v173
	v_add3_u32 v129, 0, v173, 16
	v_mov_b32_e32 v130, v0
	s_mov_b32 s8, 0
	.p2align	6
.LBB59_628:                             ; =>This Inner Loop Header: Depth=1
	s_clause 0x3
	buffer_load_dword v135, v129, s[0:3], 0 offen offset:8
	buffer_load_dword v136, v129, s[0:3], 0 offen offset:12
	buffer_load_dword v137, v129, s[0:3], 0 offen
	buffer_load_dword v138, v129, s[0:3], 0 offen offset:4
	ds_read_b128 v[131:134], v12
	v_add_nc_u32_e32 v130, 1, v130
	v_add_nc_u32_e32 v12, 16, v12
	;; [unrolled: 1-line block ×3, first 2 shown]
	v_cmp_lt_u32_e32 vcc_lo, 18, v130
	s_or_b32 s8, vcc_lo, s8
	s_waitcnt vmcnt(2) lgkmcnt(0)
	v_mul_f64 v[139:140], v[133:134], v[135:136]
	v_mul_f64 v[135:136], v[131:132], v[135:136]
	s_waitcnt vmcnt(0)
	v_fma_f64 v[131:132], v[131:132], v[137:138], -v[139:140]
	v_fma_f64 v[133:134], v[133:134], v[137:138], v[135:136]
	v_add_f64 v[1:2], v[1:2], v[131:132]
	v_add_f64 v[3:4], v[3:4], v[133:134]
	s_andn2_b32 exec_lo, exec_lo, s8
	s_cbranch_execnz .LBB59_628
; %bb.629:
	s_or_b32 exec_lo, exec_lo, s8
.LBB59_630:
	s_or_b32 exec_lo, exec_lo, s6
	v_mov_b32_e32 v12, 0
	ds_read_b128 v[129:132], v12 offset:320
	s_waitcnt lgkmcnt(0)
	v_mul_f64 v[133:134], v[3:4], v[131:132]
	v_mul_f64 v[131:132], v[1:2], v[131:132]
	v_fma_f64 v[1:2], v[1:2], v[129:130], -v[133:134]
	v_fma_f64 v[3:4], v[3:4], v[129:130], v[131:132]
	buffer_store_dword v2, off, s[0:3], 0 offset:324
	buffer_store_dword v1, off, s[0:3], 0 offset:320
	;; [unrolled: 1-line block ×4, first 2 shown]
.LBB59_631:
	s_or_b32 exec_lo, exec_lo, s4
	v_mov_b32_e32 v4, s47
	s_mov_b32 s4, exec_lo
	s_clause 0x3
	buffer_load_dword v1, v4, s[0:3], 0 offen
	buffer_load_dword v2, v4, s[0:3], 0 offen offset:4
	buffer_load_dword v3, v4, s[0:3], 0 offen offset:8
	;; [unrolled: 1-line block ×3, first 2 shown]
	s_waitcnt vmcnt(0)
	ds_write_b128 v10, v[1:4]
	s_waitcnt lgkmcnt(0)
	s_waitcnt_vscnt null, 0x0
	s_barrier
	buffer_gl0_inv
	v_cmpx_gt_u32_e32 21, v0
	s_cbranch_execz .LBB59_639
; %bb.632:
	ds_read_b128 v[1:4], v10
	v_cmp_ne_u32_e32 vcc_lo, 1, v11
	s_cbranch_vccnz .LBB59_634
; %bb.633:
	s_clause 0x3
	buffer_load_dword v129, v9, s[0:3], 0 offen offset:8
	buffer_load_dword v130, v9, s[0:3], 0 offen offset:12
	buffer_load_dword v131, v9, s[0:3], 0 offen
	buffer_load_dword v132, v9, s[0:3], 0 offen offset:4
	s_waitcnt vmcnt(2) lgkmcnt(0)
	v_mul_f64 v[133:134], v[3:4], v[129:130]
	v_mul_f64 v[129:130], v[1:2], v[129:130]
	s_waitcnt vmcnt(0)
	v_fma_f64 v[1:2], v[1:2], v[131:132], -v[133:134]
	v_fma_f64 v[3:4], v[3:4], v[131:132], v[129:130]
.LBB59_634:
	s_mov_b32 s6, exec_lo
	v_cmpx_ne_u32_e32 20, v0
	s_cbranch_execz .LBB59_638
; %bb.635:
	v_add_nc_u32_e32 v12, 0x3d0, v173
	v_add3_u32 v129, 0, v173, 16
	v_mov_b32_e32 v130, v0
	s_mov_b32 s8, 0
	.p2align	6
.LBB59_636:                             ; =>This Inner Loop Header: Depth=1
	s_clause 0x3
	buffer_load_dword v135, v129, s[0:3], 0 offen offset:8
	buffer_load_dword v136, v129, s[0:3], 0 offen offset:12
	buffer_load_dword v137, v129, s[0:3], 0 offen
	buffer_load_dword v138, v129, s[0:3], 0 offen offset:4
	ds_read_b128 v[131:134], v12
	v_add_nc_u32_e32 v130, 1, v130
	v_add_nc_u32_e32 v12, 16, v12
	v_add_nc_u32_e32 v129, 16, v129
	v_cmp_lt_u32_e32 vcc_lo, 19, v130
	s_or_b32 s8, vcc_lo, s8
	s_waitcnt vmcnt(2) lgkmcnt(0)
	v_mul_f64 v[139:140], v[133:134], v[135:136]
	v_mul_f64 v[135:136], v[131:132], v[135:136]
	s_waitcnt vmcnt(0)
	v_fma_f64 v[131:132], v[131:132], v[137:138], -v[139:140]
	v_fma_f64 v[133:134], v[133:134], v[137:138], v[135:136]
	v_add_f64 v[1:2], v[1:2], v[131:132]
	v_add_f64 v[3:4], v[3:4], v[133:134]
	s_andn2_b32 exec_lo, exec_lo, s8
	s_cbranch_execnz .LBB59_636
; %bb.637:
	s_or_b32 exec_lo, exec_lo, s8
.LBB59_638:
	s_or_b32 exec_lo, exec_lo, s6
	v_mov_b32_e32 v12, 0
	ds_read_b128 v[129:132], v12 offset:336
	s_waitcnt lgkmcnt(0)
	v_mul_f64 v[133:134], v[3:4], v[131:132]
	v_mul_f64 v[131:132], v[1:2], v[131:132]
	v_fma_f64 v[1:2], v[1:2], v[129:130], -v[133:134]
	v_fma_f64 v[3:4], v[3:4], v[129:130], v[131:132]
	buffer_store_dword v2, off, s[0:3], 0 offset:340
	buffer_store_dword v1, off, s[0:3], 0 offset:336
	;; [unrolled: 1-line block ×4, first 2 shown]
.LBB59_639:
	s_or_b32 exec_lo, exec_lo, s4
	v_mov_b32_e32 v4, s46
	s_mov_b32 s4, exec_lo
	s_clause 0x3
	buffer_load_dword v1, v4, s[0:3], 0 offen
	buffer_load_dword v2, v4, s[0:3], 0 offen offset:4
	buffer_load_dword v3, v4, s[0:3], 0 offen offset:8
	;; [unrolled: 1-line block ×3, first 2 shown]
	s_waitcnt vmcnt(0)
	ds_write_b128 v10, v[1:4]
	s_waitcnt lgkmcnt(0)
	s_waitcnt_vscnt null, 0x0
	s_barrier
	buffer_gl0_inv
	v_cmpx_gt_u32_e32 22, v0
	s_cbranch_execz .LBB59_647
; %bb.640:
	ds_read_b128 v[1:4], v10
	v_cmp_ne_u32_e32 vcc_lo, 1, v11
	s_cbranch_vccnz .LBB59_642
; %bb.641:
	s_clause 0x3
	buffer_load_dword v129, v9, s[0:3], 0 offen offset:8
	buffer_load_dword v130, v9, s[0:3], 0 offen offset:12
	buffer_load_dword v131, v9, s[0:3], 0 offen
	buffer_load_dword v132, v9, s[0:3], 0 offen offset:4
	s_waitcnt vmcnt(2) lgkmcnt(0)
	v_mul_f64 v[133:134], v[3:4], v[129:130]
	v_mul_f64 v[129:130], v[1:2], v[129:130]
	s_waitcnt vmcnt(0)
	v_fma_f64 v[1:2], v[1:2], v[131:132], -v[133:134]
	v_fma_f64 v[3:4], v[3:4], v[131:132], v[129:130]
.LBB59_642:
	s_mov_b32 s6, exec_lo
	v_cmpx_ne_u32_e32 21, v0
	s_cbranch_execz .LBB59_646
; %bb.643:
	v_add_nc_u32_e32 v12, 0x3d0, v173
	v_add3_u32 v129, 0, v173, 16
	v_mov_b32_e32 v130, v0
	s_mov_b32 s8, 0
	.p2align	6
.LBB59_644:                             ; =>This Inner Loop Header: Depth=1
	s_clause 0x3
	buffer_load_dword v135, v129, s[0:3], 0 offen offset:8
	buffer_load_dword v136, v129, s[0:3], 0 offen offset:12
	buffer_load_dword v137, v129, s[0:3], 0 offen
	buffer_load_dword v138, v129, s[0:3], 0 offen offset:4
	ds_read_b128 v[131:134], v12
	v_add_nc_u32_e32 v130, 1, v130
	v_add_nc_u32_e32 v12, 16, v12
	;; [unrolled: 1-line block ×3, first 2 shown]
	v_cmp_lt_u32_e32 vcc_lo, 20, v130
	s_or_b32 s8, vcc_lo, s8
	s_waitcnt vmcnt(2) lgkmcnt(0)
	v_mul_f64 v[139:140], v[133:134], v[135:136]
	v_mul_f64 v[135:136], v[131:132], v[135:136]
	s_waitcnt vmcnt(0)
	v_fma_f64 v[131:132], v[131:132], v[137:138], -v[139:140]
	v_fma_f64 v[133:134], v[133:134], v[137:138], v[135:136]
	v_add_f64 v[1:2], v[1:2], v[131:132]
	v_add_f64 v[3:4], v[3:4], v[133:134]
	s_andn2_b32 exec_lo, exec_lo, s8
	s_cbranch_execnz .LBB59_644
; %bb.645:
	s_or_b32 exec_lo, exec_lo, s8
.LBB59_646:
	s_or_b32 exec_lo, exec_lo, s6
	v_mov_b32_e32 v12, 0
	ds_read_b128 v[129:132], v12 offset:352
	s_waitcnt lgkmcnt(0)
	v_mul_f64 v[133:134], v[3:4], v[131:132]
	v_mul_f64 v[131:132], v[1:2], v[131:132]
	v_fma_f64 v[1:2], v[1:2], v[129:130], -v[133:134]
	v_fma_f64 v[3:4], v[3:4], v[129:130], v[131:132]
	buffer_store_dword v2, off, s[0:3], 0 offset:356
	buffer_store_dword v1, off, s[0:3], 0 offset:352
	buffer_store_dword v4, off, s[0:3], 0 offset:364
	buffer_store_dword v3, off, s[0:3], 0 offset:360
.LBB59_647:
	s_or_b32 exec_lo, exec_lo, s4
	v_mov_b32_e32 v4, s45
	s_mov_b32 s4, exec_lo
	s_clause 0x3
	buffer_load_dword v1, v4, s[0:3], 0 offen
	buffer_load_dword v2, v4, s[0:3], 0 offen offset:4
	buffer_load_dword v3, v4, s[0:3], 0 offen offset:8
	;; [unrolled: 1-line block ×3, first 2 shown]
	s_waitcnt vmcnt(0)
	ds_write_b128 v10, v[1:4]
	s_waitcnt lgkmcnt(0)
	s_waitcnt_vscnt null, 0x0
	s_barrier
	buffer_gl0_inv
	v_cmpx_gt_u32_e32 23, v0
	s_cbranch_execz .LBB59_655
; %bb.648:
	ds_read_b128 v[1:4], v10
	v_cmp_ne_u32_e32 vcc_lo, 1, v11
	s_cbranch_vccnz .LBB59_650
; %bb.649:
	s_clause 0x3
	buffer_load_dword v129, v9, s[0:3], 0 offen offset:8
	buffer_load_dword v130, v9, s[0:3], 0 offen offset:12
	buffer_load_dword v131, v9, s[0:3], 0 offen
	buffer_load_dword v132, v9, s[0:3], 0 offen offset:4
	s_waitcnt vmcnt(2) lgkmcnt(0)
	v_mul_f64 v[133:134], v[3:4], v[129:130]
	v_mul_f64 v[129:130], v[1:2], v[129:130]
	s_waitcnt vmcnt(0)
	v_fma_f64 v[1:2], v[1:2], v[131:132], -v[133:134]
	v_fma_f64 v[3:4], v[3:4], v[131:132], v[129:130]
.LBB59_650:
	s_mov_b32 s6, exec_lo
	v_cmpx_ne_u32_e32 22, v0
	s_cbranch_execz .LBB59_654
; %bb.651:
	v_add_nc_u32_e32 v12, 0x3d0, v173
	v_add3_u32 v129, 0, v173, 16
	v_mov_b32_e32 v130, v0
	s_mov_b32 s8, 0
	.p2align	6
.LBB59_652:                             ; =>This Inner Loop Header: Depth=1
	s_clause 0x3
	buffer_load_dword v135, v129, s[0:3], 0 offen offset:8
	buffer_load_dword v136, v129, s[0:3], 0 offen offset:12
	buffer_load_dword v137, v129, s[0:3], 0 offen
	buffer_load_dword v138, v129, s[0:3], 0 offen offset:4
	ds_read_b128 v[131:134], v12
	v_add_nc_u32_e32 v130, 1, v130
	v_add_nc_u32_e32 v12, 16, v12
	;; [unrolled: 1-line block ×3, first 2 shown]
	v_cmp_lt_u32_e32 vcc_lo, 21, v130
	s_or_b32 s8, vcc_lo, s8
	s_waitcnt vmcnt(2) lgkmcnt(0)
	v_mul_f64 v[139:140], v[133:134], v[135:136]
	v_mul_f64 v[135:136], v[131:132], v[135:136]
	s_waitcnt vmcnt(0)
	v_fma_f64 v[131:132], v[131:132], v[137:138], -v[139:140]
	v_fma_f64 v[133:134], v[133:134], v[137:138], v[135:136]
	v_add_f64 v[1:2], v[1:2], v[131:132]
	v_add_f64 v[3:4], v[3:4], v[133:134]
	s_andn2_b32 exec_lo, exec_lo, s8
	s_cbranch_execnz .LBB59_652
; %bb.653:
	s_or_b32 exec_lo, exec_lo, s8
.LBB59_654:
	s_or_b32 exec_lo, exec_lo, s6
	v_mov_b32_e32 v12, 0
	ds_read_b128 v[129:132], v12 offset:368
	s_waitcnt lgkmcnt(0)
	v_mul_f64 v[133:134], v[3:4], v[131:132]
	v_mul_f64 v[131:132], v[1:2], v[131:132]
	v_fma_f64 v[1:2], v[1:2], v[129:130], -v[133:134]
	v_fma_f64 v[3:4], v[3:4], v[129:130], v[131:132]
	buffer_store_dword v2, off, s[0:3], 0 offset:372
	buffer_store_dword v1, off, s[0:3], 0 offset:368
	buffer_store_dword v4, off, s[0:3], 0 offset:380
	buffer_store_dword v3, off, s[0:3], 0 offset:376
.LBB59_655:
	s_or_b32 exec_lo, exec_lo, s4
	v_mov_b32_e32 v4, s44
	s_mov_b32 s4, exec_lo
	s_clause 0x3
	buffer_load_dword v1, v4, s[0:3], 0 offen
	buffer_load_dword v2, v4, s[0:3], 0 offen offset:4
	buffer_load_dword v3, v4, s[0:3], 0 offen offset:8
	;; [unrolled: 1-line block ×3, first 2 shown]
	s_waitcnt vmcnt(0)
	ds_write_b128 v10, v[1:4]
	s_waitcnt lgkmcnt(0)
	s_waitcnt_vscnt null, 0x0
	s_barrier
	buffer_gl0_inv
	v_cmpx_gt_u32_e32 24, v0
	s_cbranch_execz .LBB59_663
; %bb.656:
	ds_read_b128 v[1:4], v10
	v_cmp_ne_u32_e32 vcc_lo, 1, v11
	s_cbranch_vccnz .LBB59_658
; %bb.657:
	s_clause 0x3
	buffer_load_dword v129, v9, s[0:3], 0 offen offset:8
	buffer_load_dword v130, v9, s[0:3], 0 offen offset:12
	buffer_load_dword v131, v9, s[0:3], 0 offen
	buffer_load_dword v132, v9, s[0:3], 0 offen offset:4
	s_waitcnt vmcnt(2) lgkmcnt(0)
	v_mul_f64 v[133:134], v[3:4], v[129:130]
	v_mul_f64 v[129:130], v[1:2], v[129:130]
	s_waitcnt vmcnt(0)
	v_fma_f64 v[1:2], v[1:2], v[131:132], -v[133:134]
	v_fma_f64 v[3:4], v[3:4], v[131:132], v[129:130]
.LBB59_658:
	s_mov_b32 s6, exec_lo
	v_cmpx_ne_u32_e32 23, v0
	s_cbranch_execz .LBB59_662
; %bb.659:
	v_add_nc_u32_e32 v12, 0x3d0, v173
	v_add3_u32 v129, 0, v173, 16
	v_mov_b32_e32 v130, v0
	s_mov_b32 s8, 0
	.p2align	6
.LBB59_660:                             ; =>This Inner Loop Header: Depth=1
	s_clause 0x3
	buffer_load_dword v135, v129, s[0:3], 0 offen offset:8
	buffer_load_dword v136, v129, s[0:3], 0 offen offset:12
	buffer_load_dword v137, v129, s[0:3], 0 offen
	buffer_load_dword v138, v129, s[0:3], 0 offen offset:4
	ds_read_b128 v[131:134], v12
	v_add_nc_u32_e32 v130, 1, v130
	v_add_nc_u32_e32 v12, 16, v12
	;; [unrolled: 1-line block ×3, first 2 shown]
	v_cmp_lt_u32_e32 vcc_lo, 22, v130
	s_or_b32 s8, vcc_lo, s8
	s_waitcnt vmcnt(2) lgkmcnt(0)
	v_mul_f64 v[139:140], v[133:134], v[135:136]
	v_mul_f64 v[135:136], v[131:132], v[135:136]
	s_waitcnt vmcnt(0)
	v_fma_f64 v[131:132], v[131:132], v[137:138], -v[139:140]
	v_fma_f64 v[133:134], v[133:134], v[137:138], v[135:136]
	v_add_f64 v[1:2], v[1:2], v[131:132]
	v_add_f64 v[3:4], v[3:4], v[133:134]
	s_andn2_b32 exec_lo, exec_lo, s8
	s_cbranch_execnz .LBB59_660
; %bb.661:
	s_or_b32 exec_lo, exec_lo, s8
.LBB59_662:
	s_or_b32 exec_lo, exec_lo, s6
	v_mov_b32_e32 v12, 0
	ds_read_b128 v[129:132], v12 offset:384
	s_waitcnt lgkmcnt(0)
	v_mul_f64 v[133:134], v[3:4], v[131:132]
	v_mul_f64 v[131:132], v[1:2], v[131:132]
	v_fma_f64 v[1:2], v[1:2], v[129:130], -v[133:134]
	v_fma_f64 v[3:4], v[3:4], v[129:130], v[131:132]
	buffer_store_dword v2, off, s[0:3], 0 offset:388
	buffer_store_dword v1, off, s[0:3], 0 offset:384
	;; [unrolled: 1-line block ×4, first 2 shown]
.LBB59_663:
	s_or_b32 exec_lo, exec_lo, s4
	v_mov_b32_e32 v4, s43
	s_mov_b32 s4, exec_lo
	s_clause 0x3
	buffer_load_dword v1, v4, s[0:3], 0 offen
	buffer_load_dword v2, v4, s[0:3], 0 offen offset:4
	buffer_load_dword v3, v4, s[0:3], 0 offen offset:8
	buffer_load_dword v4, v4, s[0:3], 0 offen offset:12
	s_waitcnt vmcnt(0)
	ds_write_b128 v10, v[1:4]
	s_waitcnt lgkmcnt(0)
	s_waitcnt_vscnt null, 0x0
	s_barrier
	buffer_gl0_inv
	v_cmpx_gt_u32_e32 25, v0
	s_cbranch_execz .LBB59_671
; %bb.664:
	ds_read_b128 v[1:4], v10
	v_cmp_ne_u32_e32 vcc_lo, 1, v11
	s_cbranch_vccnz .LBB59_666
; %bb.665:
	s_clause 0x3
	buffer_load_dword v129, v9, s[0:3], 0 offen offset:8
	buffer_load_dword v130, v9, s[0:3], 0 offen offset:12
	buffer_load_dword v131, v9, s[0:3], 0 offen
	buffer_load_dword v132, v9, s[0:3], 0 offen offset:4
	s_waitcnt vmcnt(2) lgkmcnt(0)
	v_mul_f64 v[133:134], v[3:4], v[129:130]
	v_mul_f64 v[129:130], v[1:2], v[129:130]
	s_waitcnt vmcnt(0)
	v_fma_f64 v[1:2], v[1:2], v[131:132], -v[133:134]
	v_fma_f64 v[3:4], v[3:4], v[131:132], v[129:130]
.LBB59_666:
	s_mov_b32 s6, exec_lo
	v_cmpx_ne_u32_e32 24, v0
	s_cbranch_execz .LBB59_670
; %bb.667:
	v_add_nc_u32_e32 v12, 0x3d0, v173
	v_add3_u32 v129, 0, v173, 16
	v_mov_b32_e32 v130, v0
	s_mov_b32 s8, 0
	.p2align	6
.LBB59_668:                             ; =>This Inner Loop Header: Depth=1
	s_clause 0x3
	buffer_load_dword v135, v129, s[0:3], 0 offen offset:8
	buffer_load_dword v136, v129, s[0:3], 0 offen offset:12
	buffer_load_dword v137, v129, s[0:3], 0 offen
	buffer_load_dword v138, v129, s[0:3], 0 offen offset:4
	ds_read_b128 v[131:134], v12
	v_add_nc_u32_e32 v130, 1, v130
	v_add_nc_u32_e32 v12, 16, v12
	;; [unrolled: 1-line block ×3, first 2 shown]
	v_cmp_lt_u32_e32 vcc_lo, 23, v130
	s_or_b32 s8, vcc_lo, s8
	s_waitcnt vmcnt(2) lgkmcnt(0)
	v_mul_f64 v[139:140], v[133:134], v[135:136]
	v_mul_f64 v[135:136], v[131:132], v[135:136]
	s_waitcnt vmcnt(0)
	v_fma_f64 v[131:132], v[131:132], v[137:138], -v[139:140]
	v_fma_f64 v[133:134], v[133:134], v[137:138], v[135:136]
	v_add_f64 v[1:2], v[1:2], v[131:132]
	v_add_f64 v[3:4], v[3:4], v[133:134]
	s_andn2_b32 exec_lo, exec_lo, s8
	s_cbranch_execnz .LBB59_668
; %bb.669:
	s_or_b32 exec_lo, exec_lo, s8
.LBB59_670:
	s_or_b32 exec_lo, exec_lo, s6
	v_mov_b32_e32 v12, 0
	ds_read_b128 v[129:132], v12 offset:400
	s_waitcnt lgkmcnt(0)
	v_mul_f64 v[133:134], v[3:4], v[131:132]
	v_mul_f64 v[131:132], v[1:2], v[131:132]
	v_fma_f64 v[1:2], v[1:2], v[129:130], -v[133:134]
	v_fma_f64 v[3:4], v[3:4], v[129:130], v[131:132]
	buffer_store_dword v2, off, s[0:3], 0 offset:404
	buffer_store_dword v1, off, s[0:3], 0 offset:400
	;; [unrolled: 1-line block ×4, first 2 shown]
.LBB59_671:
	s_or_b32 exec_lo, exec_lo, s4
	v_mov_b32_e32 v4, s42
	s_mov_b32 s4, exec_lo
	s_clause 0x3
	buffer_load_dword v1, v4, s[0:3], 0 offen
	buffer_load_dword v2, v4, s[0:3], 0 offen offset:4
	buffer_load_dword v3, v4, s[0:3], 0 offen offset:8
	;; [unrolled: 1-line block ×3, first 2 shown]
	s_waitcnt vmcnt(0)
	ds_write_b128 v10, v[1:4]
	s_waitcnt lgkmcnt(0)
	s_waitcnt_vscnt null, 0x0
	s_barrier
	buffer_gl0_inv
	v_cmpx_gt_u32_e32 26, v0
	s_cbranch_execz .LBB59_679
; %bb.672:
	ds_read_b128 v[1:4], v10
	v_cmp_ne_u32_e32 vcc_lo, 1, v11
	s_cbranch_vccnz .LBB59_674
; %bb.673:
	s_clause 0x3
	buffer_load_dword v129, v9, s[0:3], 0 offen offset:8
	buffer_load_dword v130, v9, s[0:3], 0 offen offset:12
	buffer_load_dword v131, v9, s[0:3], 0 offen
	buffer_load_dword v132, v9, s[0:3], 0 offen offset:4
	s_waitcnt vmcnt(2) lgkmcnt(0)
	v_mul_f64 v[133:134], v[3:4], v[129:130]
	v_mul_f64 v[129:130], v[1:2], v[129:130]
	s_waitcnt vmcnt(0)
	v_fma_f64 v[1:2], v[1:2], v[131:132], -v[133:134]
	v_fma_f64 v[3:4], v[3:4], v[131:132], v[129:130]
.LBB59_674:
	s_mov_b32 s6, exec_lo
	v_cmpx_ne_u32_e32 25, v0
	s_cbranch_execz .LBB59_678
; %bb.675:
	v_add_nc_u32_e32 v12, 0x3d0, v173
	v_add3_u32 v129, 0, v173, 16
	v_mov_b32_e32 v130, v0
	s_mov_b32 s8, 0
	.p2align	6
.LBB59_676:                             ; =>This Inner Loop Header: Depth=1
	s_clause 0x3
	buffer_load_dword v135, v129, s[0:3], 0 offen offset:8
	buffer_load_dword v136, v129, s[0:3], 0 offen offset:12
	buffer_load_dword v137, v129, s[0:3], 0 offen
	buffer_load_dword v138, v129, s[0:3], 0 offen offset:4
	ds_read_b128 v[131:134], v12
	v_add_nc_u32_e32 v130, 1, v130
	v_add_nc_u32_e32 v12, 16, v12
	v_add_nc_u32_e32 v129, 16, v129
	v_cmp_lt_u32_e32 vcc_lo, 24, v130
	s_or_b32 s8, vcc_lo, s8
	s_waitcnt vmcnt(2) lgkmcnt(0)
	v_mul_f64 v[139:140], v[133:134], v[135:136]
	v_mul_f64 v[135:136], v[131:132], v[135:136]
	s_waitcnt vmcnt(0)
	v_fma_f64 v[131:132], v[131:132], v[137:138], -v[139:140]
	v_fma_f64 v[133:134], v[133:134], v[137:138], v[135:136]
	v_add_f64 v[1:2], v[1:2], v[131:132]
	v_add_f64 v[3:4], v[3:4], v[133:134]
	s_andn2_b32 exec_lo, exec_lo, s8
	s_cbranch_execnz .LBB59_676
; %bb.677:
	s_or_b32 exec_lo, exec_lo, s8
.LBB59_678:
	s_or_b32 exec_lo, exec_lo, s6
	v_mov_b32_e32 v12, 0
	ds_read_b128 v[129:132], v12 offset:416
	s_waitcnt lgkmcnt(0)
	v_mul_f64 v[133:134], v[3:4], v[131:132]
	v_mul_f64 v[131:132], v[1:2], v[131:132]
	v_fma_f64 v[1:2], v[1:2], v[129:130], -v[133:134]
	v_fma_f64 v[3:4], v[3:4], v[129:130], v[131:132]
	buffer_store_dword v2, off, s[0:3], 0 offset:420
	buffer_store_dword v1, off, s[0:3], 0 offset:416
	;; [unrolled: 1-line block ×4, first 2 shown]
.LBB59_679:
	s_or_b32 exec_lo, exec_lo, s4
	v_mov_b32_e32 v4, s41
	s_mov_b32 s4, exec_lo
	s_clause 0x3
	buffer_load_dword v1, v4, s[0:3], 0 offen
	buffer_load_dword v2, v4, s[0:3], 0 offen offset:4
	buffer_load_dword v3, v4, s[0:3], 0 offen offset:8
	;; [unrolled: 1-line block ×3, first 2 shown]
	s_waitcnt vmcnt(0)
	ds_write_b128 v10, v[1:4]
	s_waitcnt lgkmcnt(0)
	s_waitcnt_vscnt null, 0x0
	s_barrier
	buffer_gl0_inv
	v_cmpx_gt_u32_e32 27, v0
	s_cbranch_execz .LBB59_687
; %bb.680:
	ds_read_b128 v[1:4], v10
	v_cmp_ne_u32_e32 vcc_lo, 1, v11
	s_cbranch_vccnz .LBB59_682
; %bb.681:
	s_clause 0x3
	buffer_load_dword v129, v9, s[0:3], 0 offen offset:8
	buffer_load_dword v130, v9, s[0:3], 0 offen offset:12
	buffer_load_dword v131, v9, s[0:3], 0 offen
	buffer_load_dword v132, v9, s[0:3], 0 offen offset:4
	s_waitcnt vmcnt(2) lgkmcnt(0)
	v_mul_f64 v[133:134], v[3:4], v[129:130]
	v_mul_f64 v[129:130], v[1:2], v[129:130]
	s_waitcnt vmcnt(0)
	v_fma_f64 v[1:2], v[1:2], v[131:132], -v[133:134]
	v_fma_f64 v[3:4], v[3:4], v[131:132], v[129:130]
.LBB59_682:
	s_mov_b32 s6, exec_lo
	v_cmpx_ne_u32_e32 26, v0
	s_cbranch_execz .LBB59_686
; %bb.683:
	v_add_nc_u32_e32 v12, 0x3d0, v173
	v_add3_u32 v129, 0, v173, 16
	v_mov_b32_e32 v130, v0
	s_mov_b32 s8, 0
	.p2align	6
.LBB59_684:                             ; =>This Inner Loop Header: Depth=1
	s_clause 0x3
	buffer_load_dword v135, v129, s[0:3], 0 offen offset:8
	buffer_load_dword v136, v129, s[0:3], 0 offen offset:12
	buffer_load_dword v137, v129, s[0:3], 0 offen
	buffer_load_dword v138, v129, s[0:3], 0 offen offset:4
	ds_read_b128 v[131:134], v12
	v_add_nc_u32_e32 v130, 1, v130
	v_add_nc_u32_e32 v12, 16, v12
	;; [unrolled: 1-line block ×3, first 2 shown]
	v_cmp_lt_u32_e32 vcc_lo, 25, v130
	s_or_b32 s8, vcc_lo, s8
	s_waitcnt vmcnt(2) lgkmcnt(0)
	v_mul_f64 v[139:140], v[133:134], v[135:136]
	v_mul_f64 v[135:136], v[131:132], v[135:136]
	s_waitcnt vmcnt(0)
	v_fma_f64 v[131:132], v[131:132], v[137:138], -v[139:140]
	v_fma_f64 v[133:134], v[133:134], v[137:138], v[135:136]
	v_add_f64 v[1:2], v[1:2], v[131:132]
	v_add_f64 v[3:4], v[3:4], v[133:134]
	s_andn2_b32 exec_lo, exec_lo, s8
	s_cbranch_execnz .LBB59_684
; %bb.685:
	s_or_b32 exec_lo, exec_lo, s8
.LBB59_686:
	s_or_b32 exec_lo, exec_lo, s6
	v_mov_b32_e32 v12, 0
	ds_read_b128 v[129:132], v12 offset:432
	s_waitcnt lgkmcnt(0)
	v_mul_f64 v[133:134], v[3:4], v[131:132]
	v_mul_f64 v[131:132], v[1:2], v[131:132]
	v_fma_f64 v[1:2], v[1:2], v[129:130], -v[133:134]
	v_fma_f64 v[3:4], v[3:4], v[129:130], v[131:132]
	buffer_store_dword v2, off, s[0:3], 0 offset:436
	buffer_store_dword v1, off, s[0:3], 0 offset:432
	;; [unrolled: 1-line block ×4, first 2 shown]
.LBB59_687:
	s_or_b32 exec_lo, exec_lo, s4
	v_mov_b32_e32 v4, s40
	s_mov_b32 s4, exec_lo
	s_clause 0x3
	buffer_load_dword v1, v4, s[0:3], 0 offen
	buffer_load_dword v2, v4, s[0:3], 0 offen offset:4
	buffer_load_dword v3, v4, s[0:3], 0 offen offset:8
	;; [unrolled: 1-line block ×3, first 2 shown]
	s_waitcnt vmcnt(0)
	ds_write_b128 v10, v[1:4]
	s_waitcnt lgkmcnt(0)
	s_waitcnt_vscnt null, 0x0
	s_barrier
	buffer_gl0_inv
	v_cmpx_gt_u32_e32 28, v0
	s_cbranch_execz .LBB59_695
; %bb.688:
	ds_read_b128 v[1:4], v10
	v_cmp_ne_u32_e32 vcc_lo, 1, v11
	s_cbranch_vccnz .LBB59_690
; %bb.689:
	s_clause 0x3
	buffer_load_dword v129, v9, s[0:3], 0 offen offset:8
	buffer_load_dword v130, v9, s[0:3], 0 offen offset:12
	buffer_load_dword v131, v9, s[0:3], 0 offen
	buffer_load_dword v132, v9, s[0:3], 0 offen offset:4
	s_waitcnt vmcnt(2) lgkmcnt(0)
	v_mul_f64 v[133:134], v[3:4], v[129:130]
	v_mul_f64 v[129:130], v[1:2], v[129:130]
	s_waitcnt vmcnt(0)
	v_fma_f64 v[1:2], v[1:2], v[131:132], -v[133:134]
	v_fma_f64 v[3:4], v[3:4], v[131:132], v[129:130]
.LBB59_690:
	s_mov_b32 s6, exec_lo
	v_cmpx_ne_u32_e32 27, v0
	s_cbranch_execz .LBB59_694
; %bb.691:
	v_add_nc_u32_e32 v12, 0x3d0, v173
	v_add3_u32 v129, 0, v173, 16
	v_mov_b32_e32 v130, v0
	s_mov_b32 s8, 0
	.p2align	6
.LBB59_692:                             ; =>This Inner Loop Header: Depth=1
	s_clause 0x3
	buffer_load_dword v135, v129, s[0:3], 0 offen offset:8
	buffer_load_dword v136, v129, s[0:3], 0 offen offset:12
	buffer_load_dword v137, v129, s[0:3], 0 offen
	buffer_load_dword v138, v129, s[0:3], 0 offen offset:4
	ds_read_b128 v[131:134], v12
	v_add_nc_u32_e32 v130, 1, v130
	v_add_nc_u32_e32 v12, 16, v12
	;; [unrolled: 1-line block ×3, first 2 shown]
	v_cmp_lt_u32_e32 vcc_lo, 26, v130
	s_or_b32 s8, vcc_lo, s8
	s_waitcnt vmcnt(2) lgkmcnt(0)
	v_mul_f64 v[139:140], v[133:134], v[135:136]
	v_mul_f64 v[135:136], v[131:132], v[135:136]
	s_waitcnt vmcnt(0)
	v_fma_f64 v[131:132], v[131:132], v[137:138], -v[139:140]
	v_fma_f64 v[133:134], v[133:134], v[137:138], v[135:136]
	v_add_f64 v[1:2], v[1:2], v[131:132]
	v_add_f64 v[3:4], v[3:4], v[133:134]
	s_andn2_b32 exec_lo, exec_lo, s8
	s_cbranch_execnz .LBB59_692
; %bb.693:
	s_or_b32 exec_lo, exec_lo, s8
.LBB59_694:
	s_or_b32 exec_lo, exec_lo, s6
	v_mov_b32_e32 v12, 0
	ds_read_b128 v[129:132], v12 offset:448
	s_waitcnt lgkmcnt(0)
	v_mul_f64 v[133:134], v[3:4], v[131:132]
	v_mul_f64 v[131:132], v[1:2], v[131:132]
	v_fma_f64 v[1:2], v[1:2], v[129:130], -v[133:134]
	v_fma_f64 v[3:4], v[3:4], v[129:130], v[131:132]
	buffer_store_dword v2, off, s[0:3], 0 offset:452
	buffer_store_dword v1, off, s[0:3], 0 offset:448
	;; [unrolled: 1-line block ×4, first 2 shown]
.LBB59_695:
	s_or_b32 exec_lo, exec_lo, s4
	v_mov_b32_e32 v4, s39
	s_mov_b32 s4, exec_lo
	s_clause 0x3
	buffer_load_dword v1, v4, s[0:3], 0 offen
	buffer_load_dword v2, v4, s[0:3], 0 offen offset:4
	buffer_load_dword v3, v4, s[0:3], 0 offen offset:8
	;; [unrolled: 1-line block ×3, first 2 shown]
	s_waitcnt vmcnt(0)
	ds_write_b128 v10, v[1:4]
	s_waitcnt lgkmcnt(0)
	s_waitcnt_vscnt null, 0x0
	s_barrier
	buffer_gl0_inv
	v_cmpx_gt_u32_e32 29, v0
	s_cbranch_execz .LBB59_703
; %bb.696:
	ds_read_b128 v[1:4], v10
	v_cmp_ne_u32_e32 vcc_lo, 1, v11
	s_cbranch_vccnz .LBB59_698
; %bb.697:
	s_clause 0x3
	buffer_load_dword v129, v9, s[0:3], 0 offen offset:8
	buffer_load_dword v130, v9, s[0:3], 0 offen offset:12
	buffer_load_dword v131, v9, s[0:3], 0 offen
	buffer_load_dword v132, v9, s[0:3], 0 offen offset:4
	s_waitcnt vmcnt(2) lgkmcnt(0)
	v_mul_f64 v[133:134], v[3:4], v[129:130]
	v_mul_f64 v[129:130], v[1:2], v[129:130]
	s_waitcnt vmcnt(0)
	v_fma_f64 v[1:2], v[1:2], v[131:132], -v[133:134]
	v_fma_f64 v[3:4], v[3:4], v[131:132], v[129:130]
.LBB59_698:
	s_mov_b32 s6, exec_lo
	v_cmpx_ne_u32_e32 28, v0
	s_cbranch_execz .LBB59_702
; %bb.699:
	v_add_nc_u32_e32 v12, 0x3d0, v173
	v_add3_u32 v129, 0, v173, 16
	v_mov_b32_e32 v130, v0
	s_mov_b32 s8, 0
	.p2align	6
.LBB59_700:                             ; =>This Inner Loop Header: Depth=1
	s_clause 0x3
	buffer_load_dword v135, v129, s[0:3], 0 offen offset:8
	buffer_load_dword v136, v129, s[0:3], 0 offen offset:12
	buffer_load_dword v137, v129, s[0:3], 0 offen
	buffer_load_dword v138, v129, s[0:3], 0 offen offset:4
	ds_read_b128 v[131:134], v12
	v_add_nc_u32_e32 v130, 1, v130
	v_add_nc_u32_e32 v12, 16, v12
	;; [unrolled: 1-line block ×3, first 2 shown]
	v_cmp_lt_u32_e32 vcc_lo, 27, v130
	s_or_b32 s8, vcc_lo, s8
	s_waitcnt vmcnt(2) lgkmcnt(0)
	v_mul_f64 v[139:140], v[133:134], v[135:136]
	v_mul_f64 v[135:136], v[131:132], v[135:136]
	s_waitcnt vmcnt(0)
	v_fma_f64 v[131:132], v[131:132], v[137:138], -v[139:140]
	v_fma_f64 v[133:134], v[133:134], v[137:138], v[135:136]
	v_add_f64 v[1:2], v[1:2], v[131:132]
	v_add_f64 v[3:4], v[3:4], v[133:134]
	s_andn2_b32 exec_lo, exec_lo, s8
	s_cbranch_execnz .LBB59_700
; %bb.701:
	s_or_b32 exec_lo, exec_lo, s8
.LBB59_702:
	s_or_b32 exec_lo, exec_lo, s6
	v_mov_b32_e32 v12, 0
	ds_read_b128 v[129:132], v12 offset:464
	s_waitcnt lgkmcnt(0)
	v_mul_f64 v[133:134], v[3:4], v[131:132]
	v_mul_f64 v[131:132], v[1:2], v[131:132]
	v_fma_f64 v[1:2], v[1:2], v[129:130], -v[133:134]
	v_fma_f64 v[3:4], v[3:4], v[129:130], v[131:132]
	buffer_store_dword v2, off, s[0:3], 0 offset:468
	buffer_store_dword v1, off, s[0:3], 0 offset:464
	;; [unrolled: 1-line block ×4, first 2 shown]
.LBB59_703:
	s_or_b32 exec_lo, exec_lo, s4
	v_mov_b32_e32 v4, s38
	s_mov_b32 s4, exec_lo
	s_clause 0x3
	buffer_load_dword v1, v4, s[0:3], 0 offen
	buffer_load_dword v2, v4, s[0:3], 0 offen offset:4
	buffer_load_dword v3, v4, s[0:3], 0 offen offset:8
	;; [unrolled: 1-line block ×3, first 2 shown]
	s_waitcnt vmcnt(0)
	ds_write_b128 v10, v[1:4]
	s_waitcnt lgkmcnt(0)
	s_waitcnt_vscnt null, 0x0
	s_barrier
	buffer_gl0_inv
	v_cmpx_gt_u32_e32 30, v0
	s_cbranch_execz .LBB59_711
; %bb.704:
	ds_read_b128 v[1:4], v10
	v_cmp_ne_u32_e32 vcc_lo, 1, v11
	s_cbranch_vccnz .LBB59_706
; %bb.705:
	s_clause 0x3
	buffer_load_dword v129, v9, s[0:3], 0 offen offset:8
	buffer_load_dword v130, v9, s[0:3], 0 offen offset:12
	buffer_load_dword v131, v9, s[0:3], 0 offen
	buffer_load_dword v132, v9, s[0:3], 0 offen offset:4
	s_waitcnt vmcnt(2) lgkmcnt(0)
	v_mul_f64 v[133:134], v[3:4], v[129:130]
	v_mul_f64 v[129:130], v[1:2], v[129:130]
	s_waitcnt vmcnt(0)
	v_fma_f64 v[1:2], v[1:2], v[131:132], -v[133:134]
	v_fma_f64 v[3:4], v[3:4], v[131:132], v[129:130]
.LBB59_706:
	s_mov_b32 s6, exec_lo
	v_cmpx_ne_u32_e32 29, v0
	s_cbranch_execz .LBB59_710
; %bb.707:
	v_add_nc_u32_e32 v12, 0x3d0, v173
	v_add3_u32 v129, 0, v173, 16
	v_mov_b32_e32 v130, v0
	s_mov_b32 s8, 0
	.p2align	6
.LBB59_708:                             ; =>This Inner Loop Header: Depth=1
	s_clause 0x3
	buffer_load_dword v135, v129, s[0:3], 0 offen offset:8
	buffer_load_dword v136, v129, s[0:3], 0 offen offset:12
	buffer_load_dword v137, v129, s[0:3], 0 offen
	buffer_load_dword v138, v129, s[0:3], 0 offen offset:4
	ds_read_b128 v[131:134], v12
	v_add_nc_u32_e32 v130, 1, v130
	v_add_nc_u32_e32 v12, 16, v12
	;; [unrolled: 1-line block ×3, first 2 shown]
	v_cmp_lt_u32_e32 vcc_lo, 28, v130
	s_or_b32 s8, vcc_lo, s8
	s_waitcnt vmcnt(2) lgkmcnt(0)
	v_mul_f64 v[139:140], v[133:134], v[135:136]
	v_mul_f64 v[135:136], v[131:132], v[135:136]
	s_waitcnt vmcnt(0)
	v_fma_f64 v[131:132], v[131:132], v[137:138], -v[139:140]
	v_fma_f64 v[133:134], v[133:134], v[137:138], v[135:136]
	v_add_f64 v[1:2], v[1:2], v[131:132]
	v_add_f64 v[3:4], v[3:4], v[133:134]
	s_andn2_b32 exec_lo, exec_lo, s8
	s_cbranch_execnz .LBB59_708
; %bb.709:
	s_or_b32 exec_lo, exec_lo, s8
.LBB59_710:
	s_or_b32 exec_lo, exec_lo, s6
	v_mov_b32_e32 v12, 0
	ds_read_b128 v[129:132], v12 offset:480
	s_waitcnt lgkmcnt(0)
	v_mul_f64 v[133:134], v[3:4], v[131:132]
	v_mul_f64 v[131:132], v[1:2], v[131:132]
	v_fma_f64 v[1:2], v[1:2], v[129:130], -v[133:134]
	v_fma_f64 v[3:4], v[3:4], v[129:130], v[131:132]
	buffer_store_dword v2, off, s[0:3], 0 offset:484
	buffer_store_dword v1, off, s[0:3], 0 offset:480
	;; [unrolled: 1-line block ×4, first 2 shown]
.LBB59_711:
	s_or_b32 exec_lo, exec_lo, s4
	v_mov_b32_e32 v4, s37
	s_mov_b32 s4, exec_lo
	s_clause 0x3
	buffer_load_dword v1, v4, s[0:3], 0 offen
	buffer_load_dword v2, v4, s[0:3], 0 offen offset:4
	buffer_load_dword v3, v4, s[0:3], 0 offen offset:8
	;; [unrolled: 1-line block ×3, first 2 shown]
	s_waitcnt vmcnt(0)
	ds_write_b128 v10, v[1:4]
	s_waitcnt lgkmcnt(0)
	s_waitcnt_vscnt null, 0x0
	s_barrier
	buffer_gl0_inv
	v_cmpx_gt_u32_e32 31, v0
	s_cbranch_execz .LBB59_719
; %bb.712:
	ds_read_b128 v[1:4], v10
	v_cmp_ne_u32_e32 vcc_lo, 1, v11
	s_cbranch_vccnz .LBB59_714
; %bb.713:
	s_clause 0x3
	buffer_load_dword v129, v9, s[0:3], 0 offen offset:8
	buffer_load_dword v130, v9, s[0:3], 0 offen offset:12
	buffer_load_dword v131, v9, s[0:3], 0 offen
	buffer_load_dword v132, v9, s[0:3], 0 offen offset:4
	s_waitcnt vmcnt(2) lgkmcnt(0)
	v_mul_f64 v[133:134], v[3:4], v[129:130]
	v_mul_f64 v[129:130], v[1:2], v[129:130]
	s_waitcnt vmcnt(0)
	v_fma_f64 v[1:2], v[1:2], v[131:132], -v[133:134]
	v_fma_f64 v[3:4], v[3:4], v[131:132], v[129:130]
.LBB59_714:
	s_mov_b32 s6, exec_lo
	v_cmpx_ne_u32_e32 30, v0
	s_cbranch_execz .LBB59_718
; %bb.715:
	v_add_nc_u32_e32 v12, 0x3d0, v173
	v_add3_u32 v129, 0, v173, 16
	v_mov_b32_e32 v130, v0
	s_mov_b32 s8, 0
	.p2align	6
.LBB59_716:                             ; =>This Inner Loop Header: Depth=1
	s_clause 0x3
	buffer_load_dword v135, v129, s[0:3], 0 offen offset:8
	buffer_load_dword v136, v129, s[0:3], 0 offen offset:12
	buffer_load_dword v137, v129, s[0:3], 0 offen
	buffer_load_dword v138, v129, s[0:3], 0 offen offset:4
	ds_read_b128 v[131:134], v12
	v_add_nc_u32_e32 v130, 1, v130
	v_add_nc_u32_e32 v12, 16, v12
	v_add_nc_u32_e32 v129, 16, v129
	v_cmp_lt_u32_e32 vcc_lo, 29, v130
	s_or_b32 s8, vcc_lo, s8
	s_waitcnt vmcnt(2) lgkmcnt(0)
	v_mul_f64 v[139:140], v[133:134], v[135:136]
	v_mul_f64 v[135:136], v[131:132], v[135:136]
	s_waitcnt vmcnt(0)
	v_fma_f64 v[131:132], v[131:132], v[137:138], -v[139:140]
	v_fma_f64 v[133:134], v[133:134], v[137:138], v[135:136]
	v_add_f64 v[1:2], v[1:2], v[131:132]
	v_add_f64 v[3:4], v[3:4], v[133:134]
	s_andn2_b32 exec_lo, exec_lo, s8
	s_cbranch_execnz .LBB59_716
; %bb.717:
	s_or_b32 exec_lo, exec_lo, s8
.LBB59_718:
	s_or_b32 exec_lo, exec_lo, s6
	v_mov_b32_e32 v12, 0
	ds_read_b128 v[129:132], v12 offset:496
	s_waitcnt lgkmcnt(0)
	v_mul_f64 v[133:134], v[3:4], v[131:132]
	v_mul_f64 v[131:132], v[1:2], v[131:132]
	v_fma_f64 v[1:2], v[1:2], v[129:130], -v[133:134]
	v_fma_f64 v[3:4], v[3:4], v[129:130], v[131:132]
	buffer_store_dword v2, off, s[0:3], 0 offset:500
	buffer_store_dword v1, off, s[0:3], 0 offset:496
	;; [unrolled: 1-line block ×4, first 2 shown]
.LBB59_719:
	s_or_b32 exec_lo, exec_lo, s4
	v_mov_b32_e32 v4, s36
	s_mov_b32 s4, exec_lo
	s_clause 0x3
	buffer_load_dword v1, v4, s[0:3], 0 offen
	buffer_load_dword v2, v4, s[0:3], 0 offen offset:4
	buffer_load_dword v3, v4, s[0:3], 0 offen offset:8
	;; [unrolled: 1-line block ×3, first 2 shown]
	s_waitcnt vmcnt(0)
	ds_write_b128 v10, v[1:4]
	s_waitcnt lgkmcnt(0)
	s_waitcnt_vscnt null, 0x0
	s_barrier
	buffer_gl0_inv
	v_cmpx_gt_u32_e32 32, v0
	s_cbranch_execz .LBB59_727
; %bb.720:
	ds_read_b128 v[1:4], v10
	v_cmp_ne_u32_e32 vcc_lo, 1, v11
	s_cbranch_vccnz .LBB59_722
; %bb.721:
	s_clause 0x3
	buffer_load_dword v129, v9, s[0:3], 0 offen offset:8
	buffer_load_dword v130, v9, s[0:3], 0 offen offset:12
	buffer_load_dword v131, v9, s[0:3], 0 offen
	buffer_load_dword v132, v9, s[0:3], 0 offen offset:4
	s_waitcnt vmcnt(2) lgkmcnt(0)
	v_mul_f64 v[133:134], v[3:4], v[129:130]
	v_mul_f64 v[129:130], v[1:2], v[129:130]
	s_waitcnt vmcnt(0)
	v_fma_f64 v[1:2], v[1:2], v[131:132], -v[133:134]
	v_fma_f64 v[3:4], v[3:4], v[131:132], v[129:130]
.LBB59_722:
	s_mov_b32 s6, exec_lo
	v_cmpx_ne_u32_e32 31, v0
	s_cbranch_execz .LBB59_726
; %bb.723:
	v_add_nc_u32_e32 v12, 0x3d0, v173
	v_add3_u32 v129, 0, v173, 16
	v_mov_b32_e32 v130, v0
	s_mov_b32 s8, 0
	.p2align	6
.LBB59_724:                             ; =>This Inner Loop Header: Depth=1
	s_clause 0x3
	buffer_load_dword v135, v129, s[0:3], 0 offen offset:8
	buffer_load_dword v136, v129, s[0:3], 0 offen offset:12
	buffer_load_dword v137, v129, s[0:3], 0 offen
	buffer_load_dword v138, v129, s[0:3], 0 offen offset:4
	ds_read_b128 v[131:134], v12
	v_add_nc_u32_e32 v130, 1, v130
	v_add_nc_u32_e32 v12, 16, v12
	;; [unrolled: 1-line block ×3, first 2 shown]
	v_cmp_lt_u32_e32 vcc_lo, 30, v130
	s_or_b32 s8, vcc_lo, s8
	s_waitcnt vmcnt(2) lgkmcnt(0)
	v_mul_f64 v[139:140], v[133:134], v[135:136]
	v_mul_f64 v[135:136], v[131:132], v[135:136]
	s_waitcnt vmcnt(0)
	v_fma_f64 v[131:132], v[131:132], v[137:138], -v[139:140]
	v_fma_f64 v[133:134], v[133:134], v[137:138], v[135:136]
	v_add_f64 v[1:2], v[1:2], v[131:132]
	v_add_f64 v[3:4], v[3:4], v[133:134]
	s_andn2_b32 exec_lo, exec_lo, s8
	s_cbranch_execnz .LBB59_724
; %bb.725:
	s_or_b32 exec_lo, exec_lo, s8
.LBB59_726:
	s_or_b32 exec_lo, exec_lo, s6
	v_mov_b32_e32 v12, 0
	ds_read_b128 v[129:132], v12 offset:512
	s_waitcnt lgkmcnt(0)
	v_mul_f64 v[133:134], v[3:4], v[131:132]
	v_mul_f64 v[131:132], v[1:2], v[131:132]
	v_fma_f64 v[1:2], v[1:2], v[129:130], -v[133:134]
	v_fma_f64 v[3:4], v[3:4], v[129:130], v[131:132]
	buffer_store_dword v2, off, s[0:3], 0 offset:516
	buffer_store_dword v1, off, s[0:3], 0 offset:512
	;; [unrolled: 1-line block ×4, first 2 shown]
.LBB59_727:
	s_or_b32 exec_lo, exec_lo, s4
	v_mov_b32_e32 v4, s35
	s_mov_b32 s4, exec_lo
	s_clause 0x3
	buffer_load_dword v1, v4, s[0:3], 0 offen
	buffer_load_dword v2, v4, s[0:3], 0 offen offset:4
	buffer_load_dword v3, v4, s[0:3], 0 offen offset:8
	;; [unrolled: 1-line block ×3, first 2 shown]
	s_waitcnt vmcnt(0)
	ds_write_b128 v10, v[1:4]
	s_waitcnt lgkmcnt(0)
	s_waitcnt_vscnt null, 0x0
	s_barrier
	buffer_gl0_inv
	v_cmpx_gt_u32_e32 33, v0
	s_cbranch_execz .LBB59_735
; %bb.728:
	ds_read_b128 v[1:4], v10
	v_cmp_ne_u32_e32 vcc_lo, 1, v11
	s_cbranch_vccnz .LBB59_730
; %bb.729:
	s_clause 0x3
	buffer_load_dword v129, v9, s[0:3], 0 offen offset:8
	buffer_load_dword v130, v9, s[0:3], 0 offen offset:12
	buffer_load_dword v131, v9, s[0:3], 0 offen
	buffer_load_dword v132, v9, s[0:3], 0 offen offset:4
	s_waitcnt vmcnt(2) lgkmcnt(0)
	v_mul_f64 v[133:134], v[3:4], v[129:130]
	v_mul_f64 v[129:130], v[1:2], v[129:130]
	s_waitcnt vmcnt(0)
	v_fma_f64 v[1:2], v[1:2], v[131:132], -v[133:134]
	v_fma_f64 v[3:4], v[3:4], v[131:132], v[129:130]
.LBB59_730:
	s_mov_b32 s6, exec_lo
	v_cmpx_ne_u32_e32 32, v0
	s_cbranch_execz .LBB59_734
; %bb.731:
	v_add_nc_u32_e32 v12, 0x3d0, v173
	v_add3_u32 v129, 0, v173, 16
	v_mov_b32_e32 v130, v0
	s_mov_b32 s8, 0
	.p2align	6
.LBB59_732:                             ; =>This Inner Loop Header: Depth=1
	s_clause 0x3
	buffer_load_dword v135, v129, s[0:3], 0 offen offset:8
	buffer_load_dword v136, v129, s[0:3], 0 offen offset:12
	buffer_load_dword v137, v129, s[0:3], 0 offen
	buffer_load_dword v138, v129, s[0:3], 0 offen offset:4
	ds_read_b128 v[131:134], v12
	v_add_nc_u32_e32 v130, 1, v130
	v_add_nc_u32_e32 v12, 16, v12
	;; [unrolled: 1-line block ×3, first 2 shown]
	v_cmp_lt_u32_e32 vcc_lo, 31, v130
	s_or_b32 s8, vcc_lo, s8
	s_waitcnt vmcnt(2) lgkmcnt(0)
	v_mul_f64 v[139:140], v[133:134], v[135:136]
	v_mul_f64 v[135:136], v[131:132], v[135:136]
	s_waitcnt vmcnt(0)
	v_fma_f64 v[131:132], v[131:132], v[137:138], -v[139:140]
	v_fma_f64 v[133:134], v[133:134], v[137:138], v[135:136]
	v_add_f64 v[1:2], v[1:2], v[131:132]
	v_add_f64 v[3:4], v[3:4], v[133:134]
	s_andn2_b32 exec_lo, exec_lo, s8
	s_cbranch_execnz .LBB59_732
; %bb.733:
	s_or_b32 exec_lo, exec_lo, s8
.LBB59_734:
	s_or_b32 exec_lo, exec_lo, s6
	v_mov_b32_e32 v12, 0
	ds_read_b128 v[129:132], v12 offset:528
	s_waitcnt lgkmcnt(0)
	v_mul_f64 v[133:134], v[3:4], v[131:132]
	v_mul_f64 v[131:132], v[1:2], v[131:132]
	v_fma_f64 v[1:2], v[1:2], v[129:130], -v[133:134]
	v_fma_f64 v[3:4], v[3:4], v[129:130], v[131:132]
	buffer_store_dword v2, off, s[0:3], 0 offset:532
	buffer_store_dword v1, off, s[0:3], 0 offset:528
	;; [unrolled: 1-line block ×4, first 2 shown]
.LBB59_735:
	s_or_b32 exec_lo, exec_lo, s4
	v_mov_b32_e32 v4, s34
	s_mov_b32 s4, exec_lo
	s_clause 0x3
	buffer_load_dword v1, v4, s[0:3], 0 offen
	buffer_load_dword v2, v4, s[0:3], 0 offen offset:4
	buffer_load_dword v3, v4, s[0:3], 0 offen offset:8
	buffer_load_dword v4, v4, s[0:3], 0 offen offset:12
	s_waitcnt vmcnt(0)
	ds_write_b128 v10, v[1:4]
	s_waitcnt lgkmcnt(0)
	s_waitcnt_vscnt null, 0x0
	s_barrier
	buffer_gl0_inv
	v_cmpx_gt_u32_e32 34, v0
	s_cbranch_execz .LBB59_743
; %bb.736:
	ds_read_b128 v[1:4], v10
	v_cmp_ne_u32_e32 vcc_lo, 1, v11
	s_cbranch_vccnz .LBB59_738
; %bb.737:
	s_clause 0x3
	buffer_load_dword v129, v9, s[0:3], 0 offen offset:8
	buffer_load_dword v130, v9, s[0:3], 0 offen offset:12
	buffer_load_dword v131, v9, s[0:3], 0 offen
	buffer_load_dword v132, v9, s[0:3], 0 offen offset:4
	s_waitcnt vmcnt(2) lgkmcnt(0)
	v_mul_f64 v[133:134], v[3:4], v[129:130]
	v_mul_f64 v[129:130], v[1:2], v[129:130]
	s_waitcnt vmcnt(0)
	v_fma_f64 v[1:2], v[1:2], v[131:132], -v[133:134]
	v_fma_f64 v[3:4], v[3:4], v[131:132], v[129:130]
.LBB59_738:
	s_mov_b32 s6, exec_lo
	v_cmpx_ne_u32_e32 33, v0
	s_cbranch_execz .LBB59_742
; %bb.739:
	v_add_nc_u32_e32 v12, 0x3d0, v173
	v_add3_u32 v129, 0, v173, 16
	v_mov_b32_e32 v130, v0
	s_mov_b32 s8, 0
	.p2align	6
.LBB59_740:                             ; =>This Inner Loop Header: Depth=1
	s_clause 0x3
	buffer_load_dword v135, v129, s[0:3], 0 offen offset:8
	buffer_load_dword v136, v129, s[0:3], 0 offen offset:12
	buffer_load_dword v137, v129, s[0:3], 0 offen
	buffer_load_dword v138, v129, s[0:3], 0 offen offset:4
	ds_read_b128 v[131:134], v12
	v_add_nc_u32_e32 v130, 1, v130
	v_add_nc_u32_e32 v12, 16, v12
	v_add_nc_u32_e32 v129, 16, v129
	v_cmp_lt_u32_e32 vcc_lo, 32, v130
	s_or_b32 s8, vcc_lo, s8
	s_waitcnt vmcnt(2) lgkmcnt(0)
	v_mul_f64 v[139:140], v[133:134], v[135:136]
	v_mul_f64 v[135:136], v[131:132], v[135:136]
	s_waitcnt vmcnt(0)
	v_fma_f64 v[131:132], v[131:132], v[137:138], -v[139:140]
	v_fma_f64 v[133:134], v[133:134], v[137:138], v[135:136]
	v_add_f64 v[1:2], v[1:2], v[131:132]
	v_add_f64 v[3:4], v[3:4], v[133:134]
	s_andn2_b32 exec_lo, exec_lo, s8
	s_cbranch_execnz .LBB59_740
; %bb.741:
	s_or_b32 exec_lo, exec_lo, s8
.LBB59_742:
	s_or_b32 exec_lo, exec_lo, s6
	v_mov_b32_e32 v12, 0
	ds_read_b128 v[129:132], v12 offset:544
	s_waitcnt lgkmcnt(0)
	v_mul_f64 v[133:134], v[3:4], v[131:132]
	v_mul_f64 v[131:132], v[1:2], v[131:132]
	v_fma_f64 v[1:2], v[1:2], v[129:130], -v[133:134]
	v_fma_f64 v[3:4], v[3:4], v[129:130], v[131:132]
	buffer_store_dword v2, off, s[0:3], 0 offset:548
	buffer_store_dword v1, off, s[0:3], 0 offset:544
	;; [unrolled: 1-line block ×4, first 2 shown]
.LBB59_743:
	s_or_b32 exec_lo, exec_lo, s4
	v_mov_b32_e32 v4, s33
	s_mov_b32 s4, exec_lo
	s_clause 0x3
	buffer_load_dword v1, v4, s[0:3], 0 offen
	buffer_load_dword v2, v4, s[0:3], 0 offen offset:4
	buffer_load_dword v3, v4, s[0:3], 0 offen offset:8
	;; [unrolled: 1-line block ×3, first 2 shown]
	s_waitcnt vmcnt(0)
	ds_write_b128 v10, v[1:4]
	s_waitcnt lgkmcnt(0)
	s_waitcnt_vscnt null, 0x0
	s_barrier
	buffer_gl0_inv
	v_cmpx_gt_u32_e32 35, v0
	s_cbranch_execz .LBB59_751
; %bb.744:
	ds_read_b128 v[1:4], v10
	v_cmp_ne_u32_e32 vcc_lo, 1, v11
	s_cbranch_vccnz .LBB59_746
; %bb.745:
	s_clause 0x3
	buffer_load_dword v129, v9, s[0:3], 0 offen offset:8
	buffer_load_dword v130, v9, s[0:3], 0 offen offset:12
	buffer_load_dword v131, v9, s[0:3], 0 offen
	buffer_load_dword v132, v9, s[0:3], 0 offen offset:4
	s_waitcnt vmcnt(2) lgkmcnt(0)
	v_mul_f64 v[133:134], v[3:4], v[129:130]
	v_mul_f64 v[129:130], v[1:2], v[129:130]
	s_waitcnt vmcnt(0)
	v_fma_f64 v[1:2], v[1:2], v[131:132], -v[133:134]
	v_fma_f64 v[3:4], v[3:4], v[131:132], v[129:130]
.LBB59_746:
	s_mov_b32 s6, exec_lo
	v_cmpx_ne_u32_e32 34, v0
	s_cbranch_execz .LBB59_750
; %bb.747:
	v_add_nc_u32_e32 v12, 0x3d0, v173
	v_add3_u32 v129, 0, v173, 16
	v_mov_b32_e32 v130, v0
	s_mov_b32 s8, 0
	.p2align	6
.LBB59_748:                             ; =>This Inner Loop Header: Depth=1
	s_clause 0x3
	buffer_load_dword v135, v129, s[0:3], 0 offen offset:8
	buffer_load_dword v136, v129, s[0:3], 0 offen offset:12
	buffer_load_dword v137, v129, s[0:3], 0 offen
	buffer_load_dword v138, v129, s[0:3], 0 offen offset:4
	ds_read_b128 v[131:134], v12
	v_add_nc_u32_e32 v130, 1, v130
	v_add_nc_u32_e32 v12, 16, v12
	;; [unrolled: 1-line block ×3, first 2 shown]
	v_cmp_lt_u32_e32 vcc_lo, 33, v130
	s_or_b32 s8, vcc_lo, s8
	s_waitcnt vmcnt(2) lgkmcnt(0)
	v_mul_f64 v[139:140], v[133:134], v[135:136]
	v_mul_f64 v[135:136], v[131:132], v[135:136]
	s_waitcnt vmcnt(0)
	v_fma_f64 v[131:132], v[131:132], v[137:138], -v[139:140]
	v_fma_f64 v[133:134], v[133:134], v[137:138], v[135:136]
	v_add_f64 v[1:2], v[1:2], v[131:132]
	v_add_f64 v[3:4], v[3:4], v[133:134]
	s_andn2_b32 exec_lo, exec_lo, s8
	s_cbranch_execnz .LBB59_748
; %bb.749:
	s_or_b32 exec_lo, exec_lo, s8
.LBB59_750:
	s_or_b32 exec_lo, exec_lo, s6
	v_mov_b32_e32 v12, 0
	ds_read_b128 v[129:132], v12 offset:560
	s_waitcnt lgkmcnt(0)
	v_mul_f64 v[133:134], v[3:4], v[131:132]
	v_mul_f64 v[131:132], v[1:2], v[131:132]
	v_fma_f64 v[1:2], v[1:2], v[129:130], -v[133:134]
	v_fma_f64 v[3:4], v[3:4], v[129:130], v[131:132]
	buffer_store_dword v2, off, s[0:3], 0 offset:564
	buffer_store_dword v1, off, s[0:3], 0 offset:560
	;; [unrolled: 1-line block ×4, first 2 shown]
.LBB59_751:
	s_or_b32 exec_lo, exec_lo, s4
	v_mov_b32_e32 v4, s31
	s_mov_b32 s4, exec_lo
	s_clause 0x3
	buffer_load_dword v1, v4, s[0:3], 0 offen
	buffer_load_dword v2, v4, s[0:3], 0 offen offset:4
	buffer_load_dword v3, v4, s[0:3], 0 offen offset:8
	;; [unrolled: 1-line block ×3, first 2 shown]
	s_waitcnt vmcnt(0)
	ds_write_b128 v10, v[1:4]
	s_waitcnt lgkmcnt(0)
	s_waitcnt_vscnt null, 0x0
	s_barrier
	buffer_gl0_inv
	v_cmpx_gt_u32_e32 36, v0
	s_cbranch_execz .LBB59_759
; %bb.752:
	ds_read_b128 v[1:4], v10
	v_cmp_ne_u32_e32 vcc_lo, 1, v11
	s_cbranch_vccnz .LBB59_754
; %bb.753:
	s_clause 0x3
	buffer_load_dword v129, v9, s[0:3], 0 offen offset:8
	buffer_load_dword v130, v9, s[0:3], 0 offen offset:12
	buffer_load_dword v131, v9, s[0:3], 0 offen
	buffer_load_dword v132, v9, s[0:3], 0 offen offset:4
	s_waitcnt vmcnt(2) lgkmcnt(0)
	v_mul_f64 v[133:134], v[3:4], v[129:130]
	v_mul_f64 v[129:130], v[1:2], v[129:130]
	s_waitcnt vmcnt(0)
	v_fma_f64 v[1:2], v[1:2], v[131:132], -v[133:134]
	v_fma_f64 v[3:4], v[3:4], v[131:132], v[129:130]
.LBB59_754:
	s_mov_b32 s6, exec_lo
	v_cmpx_ne_u32_e32 35, v0
	s_cbranch_execz .LBB59_758
; %bb.755:
	v_add_nc_u32_e32 v12, 0x3d0, v173
	v_add3_u32 v129, 0, v173, 16
	v_mov_b32_e32 v130, v0
	s_mov_b32 s8, 0
	.p2align	6
.LBB59_756:                             ; =>This Inner Loop Header: Depth=1
	s_clause 0x3
	buffer_load_dword v135, v129, s[0:3], 0 offen offset:8
	buffer_load_dword v136, v129, s[0:3], 0 offen offset:12
	buffer_load_dword v137, v129, s[0:3], 0 offen
	buffer_load_dword v138, v129, s[0:3], 0 offen offset:4
	ds_read_b128 v[131:134], v12
	v_add_nc_u32_e32 v130, 1, v130
	v_add_nc_u32_e32 v12, 16, v12
	v_add_nc_u32_e32 v129, 16, v129
	v_cmp_lt_u32_e32 vcc_lo, 34, v130
	s_or_b32 s8, vcc_lo, s8
	s_waitcnt vmcnt(2) lgkmcnt(0)
	v_mul_f64 v[139:140], v[133:134], v[135:136]
	v_mul_f64 v[135:136], v[131:132], v[135:136]
	s_waitcnt vmcnt(0)
	v_fma_f64 v[131:132], v[131:132], v[137:138], -v[139:140]
	v_fma_f64 v[133:134], v[133:134], v[137:138], v[135:136]
	v_add_f64 v[1:2], v[1:2], v[131:132]
	v_add_f64 v[3:4], v[3:4], v[133:134]
	s_andn2_b32 exec_lo, exec_lo, s8
	s_cbranch_execnz .LBB59_756
; %bb.757:
	s_or_b32 exec_lo, exec_lo, s8
.LBB59_758:
	s_or_b32 exec_lo, exec_lo, s6
	v_mov_b32_e32 v12, 0
	ds_read_b128 v[129:132], v12 offset:576
	s_waitcnt lgkmcnt(0)
	v_mul_f64 v[133:134], v[3:4], v[131:132]
	v_mul_f64 v[131:132], v[1:2], v[131:132]
	v_fma_f64 v[1:2], v[1:2], v[129:130], -v[133:134]
	v_fma_f64 v[3:4], v[3:4], v[129:130], v[131:132]
	buffer_store_dword v2, off, s[0:3], 0 offset:580
	buffer_store_dword v1, off, s[0:3], 0 offset:576
	;; [unrolled: 1-line block ×4, first 2 shown]
.LBB59_759:
	s_or_b32 exec_lo, exec_lo, s4
	v_mov_b32_e32 v4, s30
	s_mov_b32 s4, exec_lo
	s_clause 0x3
	buffer_load_dword v1, v4, s[0:3], 0 offen
	buffer_load_dword v2, v4, s[0:3], 0 offen offset:4
	buffer_load_dword v3, v4, s[0:3], 0 offen offset:8
	;; [unrolled: 1-line block ×3, first 2 shown]
	s_waitcnt vmcnt(0)
	ds_write_b128 v10, v[1:4]
	s_waitcnt lgkmcnt(0)
	s_waitcnt_vscnt null, 0x0
	s_barrier
	buffer_gl0_inv
	v_cmpx_gt_u32_e32 37, v0
	s_cbranch_execz .LBB59_767
; %bb.760:
	ds_read_b128 v[1:4], v10
	v_cmp_ne_u32_e32 vcc_lo, 1, v11
	s_cbranch_vccnz .LBB59_762
; %bb.761:
	s_clause 0x3
	buffer_load_dword v129, v9, s[0:3], 0 offen offset:8
	buffer_load_dword v130, v9, s[0:3], 0 offen offset:12
	buffer_load_dword v131, v9, s[0:3], 0 offen
	buffer_load_dword v132, v9, s[0:3], 0 offen offset:4
	s_waitcnt vmcnt(2) lgkmcnt(0)
	v_mul_f64 v[133:134], v[3:4], v[129:130]
	v_mul_f64 v[129:130], v[1:2], v[129:130]
	s_waitcnt vmcnt(0)
	v_fma_f64 v[1:2], v[1:2], v[131:132], -v[133:134]
	v_fma_f64 v[3:4], v[3:4], v[131:132], v[129:130]
.LBB59_762:
	s_mov_b32 s6, exec_lo
	v_cmpx_ne_u32_e32 36, v0
	s_cbranch_execz .LBB59_766
; %bb.763:
	v_add_nc_u32_e32 v12, 0x3d0, v173
	v_add3_u32 v129, 0, v173, 16
	v_mov_b32_e32 v130, v0
	s_mov_b32 s8, 0
	.p2align	6
.LBB59_764:                             ; =>This Inner Loop Header: Depth=1
	s_clause 0x3
	buffer_load_dword v135, v129, s[0:3], 0 offen offset:8
	buffer_load_dword v136, v129, s[0:3], 0 offen offset:12
	buffer_load_dword v137, v129, s[0:3], 0 offen
	buffer_load_dword v138, v129, s[0:3], 0 offen offset:4
	ds_read_b128 v[131:134], v12
	v_add_nc_u32_e32 v130, 1, v130
	v_add_nc_u32_e32 v12, 16, v12
	v_add_nc_u32_e32 v129, 16, v129
	v_cmp_lt_u32_e32 vcc_lo, 35, v130
	s_or_b32 s8, vcc_lo, s8
	s_waitcnt vmcnt(2) lgkmcnt(0)
	v_mul_f64 v[139:140], v[133:134], v[135:136]
	v_mul_f64 v[135:136], v[131:132], v[135:136]
	s_waitcnt vmcnt(0)
	v_fma_f64 v[131:132], v[131:132], v[137:138], -v[139:140]
	v_fma_f64 v[133:134], v[133:134], v[137:138], v[135:136]
	v_add_f64 v[1:2], v[1:2], v[131:132]
	v_add_f64 v[3:4], v[3:4], v[133:134]
	s_andn2_b32 exec_lo, exec_lo, s8
	s_cbranch_execnz .LBB59_764
; %bb.765:
	s_or_b32 exec_lo, exec_lo, s8
.LBB59_766:
	s_or_b32 exec_lo, exec_lo, s6
	v_mov_b32_e32 v12, 0
	ds_read_b128 v[129:132], v12 offset:592
	s_waitcnt lgkmcnt(0)
	v_mul_f64 v[133:134], v[3:4], v[131:132]
	v_mul_f64 v[131:132], v[1:2], v[131:132]
	v_fma_f64 v[1:2], v[1:2], v[129:130], -v[133:134]
	v_fma_f64 v[3:4], v[3:4], v[129:130], v[131:132]
	buffer_store_dword v2, off, s[0:3], 0 offset:596
	buffer_store_dword v1, off, s[0:3], 0 offset:592
	;; [unrolled: 1-line block ×4, first 2 shown]
.LBB59_767:
	s_or_b32 exec_lo, exec_lo, s4
	v_mov_b32_e32 v4, s29
	s_mov_b32 s4, exec_lo
	s_clause 0x3
	buffer_load_dword v1, v4, s[0:3], 0 offen
	buffer_load_dword v2, v4, s[0:3], 0 offen offset:4
	buffer_load_dword v3, v4, s[0:3], 0 offen offset:8
	;; [unrolled: 1-line block ×3, first 2 shown]
	s_waitcnt vmcnt(0)
	ds_write_b128 v10, v[1:4]
	s_waitcnt lgkmcnt(0)
	s_waitcnt_vscnt null, 0x0
	s_barrier
	buffer_gl0_inv
	v_cmpx_gt_u32_e32 38, v0
	s_cbranch_execz .LBB59_775
; %bb.768:
	ds_read_b128 v[1:4], v10
	v_cmp_ne_u32_e32 vcc_lo, 1, v11
	s_cbranch_vccnz .LBB59_770
; %bb.769:
	s_clause 0x3
	buffer_load_dword v129, v9, s[0:3], 0 offen offset:8
	buffer_load_dword v130, v9, s[0:3], 0 offen offset:12
	buffer_load_dword v131, v9, s[0:3], 0 offen
	buffer_load_dword v132, v9, s[0:3], 0 offen offset:4
	s_waitcnt vmcnt(2) lgkmcnt(0)
	v_mul_f64 v[133:134], v[3:4], v[129:130]
	v_mul_f64 v[129:130], v[1:2], v[129:130]
	s_waitcnt vmcnt(0)
	v_fma_f64 v[1:2], v[1:2], v[131:132], -v[133:134]
	v_fma_f64 v[3:4], v[3:4], v[131:132], v[129:130]
.LBB59_770:
	s_mov_b32 s6, exec_lo
	v_cmpx_ne_u32_e32 37, v0
	s_cbranch_execz .LBB59_774
; %bb.771:
	v_add_nc_u32_e32 v12, 0x3d0, v173
	v_add3_u32 v129, 0, v173, 16
	v_mov_b32_e32 v130, v0
	s_mov_b32 s8, 0
	.p2align	6
.LBB59_772:                             ; =>This Inner Loop Header: Depth=1
	s_clause 0x3
	buffer_load_dword v135, v129, s[0:3], 0 offen offset:8
	buffer_load_dword v136, v129, s[0:3], 0 offen offset:12
	buffer_load_dword v137, v129, s[0:3], 0 offen
	buffer_load_dword v138, v129, s[0:3], 0 offen offset:4
	ds_read_b128 v[131:134], v12
	v_add_nc_u32_e32 v130, 1, v130
	v_add_nc_u32_e32 v12, 16, v12
	;; [unrolled: 1-line block ×3, first 2 shown]
	v_cmp_lt_u32_e32 vcc_lo, 36, v130
	s_or_b32 s8, vcc_lo, s8
	s_waitcnt vmcnt(2) lgkmcnt(0)
	v_mul_f64 v[139:140], v[133:134], v[135:136]
	v_mul_f64 v[135:136], v[131:132], v[135:136]
	s_waitcnt vmcnt(0)
	v_fma_f64 v[131:132], v[131:132], v[137:138], -v[139:140]
	v_fma_f64 v[133:134], v[133:134], v[137:138], v[135:136]
	v_add_f64 v[1:2], v[1:2], v[131:132]
	v_add_f64 v[3:4], v[3:4], v[133:134]
	s_andn2_b32 exec_lo, exec_lo, s8
	s_cbranch_execnz .LBB59_772
; %bb.773:
	s_or_b32 exec_lo, exec_lo, s8
.LBB59_774:
	s_or_b32 exec_lo, exec_lo, s6
	v_mov_b32_e32 v12, 0
	ds_read_b128 v[129:132], v12 offset:608
	s_waitcnt lgkmcnt(0)
	v_mul_f64 v[133:134], v[3:4], v[131:132]
	v_mul_f64 v[131:132], v[1:2], v[131:132]
	v_fma_f64 v[1:2], v[1:2], v[129:130], -v[133:134]
	v_fma_f64 v[3:4], v[3:4], v[129:130], v[131:132]
	buffer_store_dword v2, off, s[0:3], 0 offset:612
	buffer_store_dword v1, off, s[0:3], 0 offset:608
	;; [unrolled: 1-line block ×4, first 2 shown]
.LBB59_775:
	s_or_b32 exec_lo, exec_lo, s4
	v_mov_b32_e32 v4, s28
	s_mov_b32 s4, exec_lo
	s_clause 0x3
	buffer_load_dword v1, v4, s[0:3], 0 offen
	buffer_load_dword v2, v4, s[0:3], 0 offen offset:4
	buffer_load_dword v3, v4, s[0:3], 0 offen offset:8
	;; [unrolled: 1-line block ×3, first 2 shown]
	s_waitcnt vmcnt(0)
	ds_write_b128 v10, v[1:4]
	s_waitcnt lgkmcnt(0)
	s_waitcnt_vscnt null, 0x0
	s_barrier
	buffer_gl0_inv
	v_cmpx_gt_u32_e32 39, v0
	s_cbranch_execz .LBB59_783
; %bb.776:
	ds_read_b128 v[1:4], v10
	v_cmp_ne_u32_e32 vcc_lo, 1, v11
	s_cbranch_vccnz .LBB59_778
; %bb.777:
	s_clause 0x3
	buffer_load_dword v129, v9, s[0:3], 0 offen offset:8
	buffer_load_dword v130, v9, s[0:3], 0 offen offset:12
	buffer_load_dword v131, v9, s[0:3], 0 offen
	buffer_load_dword v132, v9, s[0:3], 0 offen offset:4
	s_waitcnt vmcnt(2) lgkmcnt(0)
	v_mul_f64 v[133:134], v[3:4], v[129:130]
	v_mul_f64 v[129:130], v[1:2], v[129:130]
	s_waitcnt vmcnt(0)
	v_fma_f64 v[1:2], v[1:2], v[131:132], -v[133:134]
	v_fma_f64 v[3:4], v[3:4], v[131:132], v[129:130]
.LBB59_778:
	s_mov_b32 s6, exec_lo
	v_cmpx_ne_u32_e32 38, v0
	s_cbranch_execz .LBB59_782
; %bb.779:
	v_add_nc_u32_e32 v12, 0x3d0, v173
	v_add3_u32 v129, 0, v173, 16
	v_mov_b32_e32 v130, v0
	s_mov_b32 s8, 0
	.p2align	6
.LBB59_780:                             ; =>This Inner Loop Header: Depth=1
	s_clause 0x3
	buffer_load_dword v135, v129, s[0:3], 0 offen offset:8
	buffer_load_dword v136, v129, s[0:3], 0 offen offset:12
	buffer_load_dword v137, v129, s[0:3], 0 offen
	buffer_load_dword v138, v129, s[0:3], 0 offen offset:4
	ds_read_b128 v[131:134], v12
	v_add_nc_u32_e32 v130, 1, v130
	v_add_nc_u32_e32 v12, 16, v12
	;; [unrolled: 1-line block ×3, first 2 shown]
	v_cmp_lt_u32_e32 vcc_lo, 37, v130
	s_or_b32 s8, vcc_lo, s8
	s_waitcnt vmcnt(2) lgkmcnt(0)
	v_mul_f64 v[139:140], v[133:134], v[135:136]
	v_mul_f64 v[135:136], v[131:132], v[135:136]
	s_waitcnt vmcnt(0)
	v_fma_f64 v[131:132], v[131:132], v[137:138], -v[139:140]
	v_fma_f64 v[133:134], v[133:134], v[137:138], v[135:136]
	v_add_f64 v[1:2], v[1:2], v[131:132]
	v_add_f64 v[3:4], v[3:4], v[133:134]
	s_andn2_b32 exec_lo, exec_lo, s8
	s_cbranch_execnz .LBB59_780
; %bb.781:
	s_or_b32 exec_lo, exec_lo, s8
.LBB59_782:
	s_or_b32 exec_lo, exec_lo, s6
	v_mov_b32_e32 v12, 0
	ds_read_b128 v[129:132], v12 offset:624
	s_waitcnt lgkmcnt(0)
	v_mul_f64 v[133:134], v[3:4], v[131:132]
	v_mul_f64 v[131:132], v[1:2], v[131:132]
	v_fma_f64 v[1:2], v[1:2], v[129:130], -v[133:134]
	v_fma_f64 v[3:4], v[3:4], v[129:130], v[131:132]
	buffer_store_dword v2, off, s[0:3], 0 offset:628
	buffer_store_dword v1, off, s[0:3], 0 offset:624
	;; [unrolled: 1-line block ×4, first 2 shown]
.LBB59_783:
	s_or_b32 exec_lo, exec_lo, s4
	v_mov_b32_e32 v4, s27
	s_mov_b32 s4, exec_lo
	s_clause 0x3
	buffer_load_dword v1, v4, s[0:3], 0 offen
	buffer_load_dword v2, v4, s[0:3], 0 offen offset:4
	buffer_load_dword v3, v4, s[0:3], 0 offen offset:8
	;; [unrolled: 1-line block ×3, first 2 shown]
	s_waitcnt vmcnt(0)
	ds_write_b128 v10, v[1:4]
	s_waitcnt lgkmcnt(0)
	s_waitcnt_vscnt null, 0x0
	s_barrier
	buffer_gl0_inv
	v_cmpx_gt_u32_e32 40, v0
	s_cbranch_execz .LBB59_791
; %bb.784:
	ds_read_b128 v[1:4], v10
	v_cmp_ne_u32_e32 vcc_lo, 1, v11
	s_cbranch_vccnz .LBB59_786
; %bb.785:
	s_clause 0x3
	buffer_load_dword v129, v9, s[0:3], 0 offen offset:8
	buffer_load_dword v130, v9, s[0:3], 0 offen offset:12
	buffer_load_dword v131, v9, s[0:3], 0 offen
	buffer_load_dword v132, v9, s[0:3], 0 offen offset:4
	s_waitcnt vmcnt(2) lgkmcnt(0)
	v_mul_f64 v[133:134], v[3:4], v[129:130]
	v_mul_f64 v[129:130], v[1:2], v[129:130]
	s_waitcnt vmcnt(0)
	v_fma_f64 v[1:2], v[1:2], v[131:132], -v[133:134]
	v_fma_f64 v[3:4], v[3:4], v[131:132], v[129:130]
.LBB59_786:
	s_mov_b32 s6, exec_lo
	v_cmpx_ne_u32_e32 39, v0
	s_cbranch_execz .LBB59_790
; %bb.787:
	v_add_nc_u32_e32 v12, 0x3d0, v173
	v_add3_u32 v129, 0, v173, 16
	v_mov_b32_e32 v130, v0
	s_mov_b32 s8, 0
	.p2align	6
.LBB59_788:                             ; =>This Inner Loop Header: Depth=1
	s_clause 0x3
	buffer_load_dword v135, v129, s[0:3], 0 offen offset:8
	buffer_load_dword v136, v129, s[0:3], 0 offen offset:12
	buffer_load_dword v137, v129, s[0:3], 0 offen
	buffer_load_dword v138, v129, s[0:3], 0 offen offset:4
	ds_read_b128 v[131:134], v12
	v_add_nc_u32_e32 v130, 1, v130
	v_add_nc_u32_e32 v12, 16, v12
	;; [unrolled: 1-line block ×3, first 2 shown]
	v_cmp_lt_u32_e32 vcc_lo, 38, v130
	s_or_b32 s8, vcc_lo, s8
	s_waitcnt vmcnt(2) lgkmcnt(0)
	v_mul_f64 v[139:140], v[133:134], v[135:136]
	v_mul_f64 v[135:136], v[131:132], v[135:136]
	s_waitcnt vmcnt(0)
	v_fma_f64 v[131:132], v[131:132], v[137:138], -v[139:140]
	v_fma_f64 v[133:134], v[133:134], v[137:138], v[135:136]
	v_add_f64 v[1:2], v[1:2], v[131:132]
	v_add_f64 v[3:4], v[3:4], v[133:134]
	s_andn2_b32 exec_lo, exec_lo, s8
	s_cbranch_execnz .LBB59_788
; %bb.789:
	s_or_b32 exec_lo, exec_lo, s8
.LBB59_790:
	s_or_b32 exec_lo, exec_lo, s6
	v_mov_b32_e32 v12, 0
	ds_read_b128 v[129:132], v12 offset:640
	s_waitcnt lgkmcnt(0)
	v_mul_f64 v[133:134], v[3:4], v[131:132]
	v_mul_f64 v[131:132], v[1:2], v[131:132]
	v_fma_f64 v[1:2], v[1:2], v[129:130], -v[133:134]
	v_fma_f64 v[3:4], v[3:4], v[129:130], v[131:132]
	buffer_store_dword v2, off, s[0:3], 0 offset:644
	buffer_store_dword v1, off, s[0:3], 0 offset:640
	;; [unrolled: 1-line block ×4, first 2 shown]
.LBB59_791:
	s_or_b32 exec_lo, exec_lo, s4
	v_mov_b32_e32 v4, s26
	s_mov_b32 s4, exec_lo
	s_clause 0x3
	buffer_load_dword v1, v4, s[0:3], 0 offen
	buffer_load_dword v2, v4, s[0:3], 0 offen offset:4
	buffer_load_dword v3, v4, s[0:3], 0 offen offset:8
	;; [unrolled: 1-line block ×3, first 2 shown]
	s_waitcnt vmcnt(0)
	ds_write_b128 v10, v[1:4]
	s_waitcnt lgkmcnt(0)
	s_waitcnt_vscnt null, 0x0
	s_barrier
	buffer_gl0_inv
	v_cmpx_gt_u32_e32 41, v0
	s_cbranch_execz .LBB59_799
; %bb.792:
	ds_read_b128 v[1:4], v10
	v_cmp_ne_u32_e32 vcc_lo, 1, v11
	s_cbranch_vccnz .LBB59_794
; %bb.793:
	s_clause 0x3
	buffer_load_dword v129, v9, s[0:3], 0 offen offset:8
	buffer_load_dword v130, v9, s[0:3], 0 offen offset:12
	buffer_load_dword v131, v9, s[0:3], 0 offen
	buffer_load_dword v132, v9, s[0:3], 0 offen offset:4
	s_waitcnt vmcnt(2) lgkmcnt(0)
	v_mul_f64 v[133:134], v[3:4], v[129:130]
	v_mul_f64 v[129:130], v[1:2], v[129:130]
	s_waitcnt vmcnt(0)
	v_fma_f64 v[1:2], v[1:2], v[131:132], -v[133:134]
	v_fma_f64 v[3:4], v[3:4], v[131:132], v[129:130]
.LBB59_794:
	s_mov_b32 s6, exec_lo
	v_cmpx_ne_u32_e32 40, v0
	s_cbranch_execz .LBB59_798
; %bb.795:
	v_add_nc_u32_e32 v12, 0x3d0, v173
	v_add3_u32 v129, 0, v173, 16
	v_mov_b32_e32 v130, v0
	s_mov_b32 s8, 0
	.p2align	6
.LBB59_796:                             ; =>This Inner Loop Header: Depth=1
	s_clause 0x3
	buffer_load_dword v135, v129, s[0:3], 0 offen offset:8
	buffer_load_dword v136, v129, s[0:3], 0 offen offset:12
	buffer_load_dword v137, v129, s[0:3], 0 offen
	buffer_load_dword v138, v129, s[0:3], 0 offen offset:4
	ds_read_b128 v[131:134], v12
	v_add_nc_u32_e32 v130, 1, v130
	v_add_nc_u32_e32 v12, 16, v12
	;; [unrolled: 1-line block ×3, first 2 shown]
	v_cmp_lt_u32_e32 vcc_lo, 39, v130
	s_or_b32 s8, vcc_lo, s8
	s_waitcnt vmcnt(2) lgkmcnt(0)
	v_mul_f64 v[139:140], v[133:134], v[135:136]
	v_mul_f64 v[135:136], v[131:132], v[135:136]
	s_waitcnt vmcnt(0)
	v_fma_f64 v[131:132], v[131:132], v[137:138], -v[139:140]
	v_fma_f64 v[133:134], v[133:134], v[137:138], v[135:136]
	v_add_f64 v[1:2], v[1:2], v[131:132]
	v_add_f64 v[3:4], v[3:4], v[133:134]
	s_andn2_b32 exec_lo, exec_lo, s8
	s_cbranch_execnz .LBB59_796
; %bb.797:
	s_or_b32 exec_lo, exec_lo, s8
.LBB59_798:
	s_or_b32 exec_lo, exec_lo, s6
	v_mov_b32_e32 v12, 0
	ds_read_b128 v[129:132], v12 offset:656
	s_waitcnt lgkmcnt(0)
	v_mul_f64 v[133:134], v[3:4], v[131:132]
	v_mul_f64 v[131:132], v[1:2], v[131:132]
	v_fma_f64 v[1:2], v[1:2], v[129:130], -v[133:134]
	v_fma_f64 v[3:4], v[3:4], v[129:130], v[131:132]
	buffer_store_dword v2, off, s[0:3], 0 offset:660
	buffer_store_dword v1, off, s[0:3], 0 offset:656
	;; [unrolled: 1-line block ×4, first 2 shown]
.LBB59_799:
	s_or_b32 exec_lo, exec_lo, s4
	v_mov_b32_e32 v4, s25
	s_mov_b32 s4, exec_lo
	s_clause 0x3
	buffer_load_dword v1, v4, s[0:3], 0 offen
	buffer_load_dword v2, v4, s[0:3], 0 offen offset:4
	buffer_load_dword v3, v4, s[0:3], 0 offen offset:8
	;; [unrolled: 1-line block ×3, first 2 shown]
	s_waitcnt vmcnt(0)
	ds_write_b128 v10, v[1:4]
	s_waitcnt lgkmcnt(0)
	s_waitcnt_vscnt null, 0x0
	s_barrier
	buffer_gl0_inv
	v_cmpx_gt_u32_e32 42, v0
	s_cbranch_execz .LBB59_807
; %bb.800:
	ds_read_b128 v[1:4], v10
	v_cmp_ne_u32_e32 vcc_lo, 1, v11
	s_cbranch_vccnz .LBB59_802
; %bb.801:
	s_clause 0x3
	buffer_load_dword v129, v9, s[0:3], 0 offen offset:8
	buffer_load_dword v130, v9, s[0:3], 0 offen offset:12
	buffer_load_dword v131, v9, s[0:3], 0 offen
	buffer_load_dword v132, v9, s[0:3], 0 offen offset:4
	s_waitcnt vmcnt(2) lgkmcnt(0)
	v_mul_f64 v[133:134], v[3:4], v[129:130]
	v_mul_f64 v[129:130], v[1:2], v[129:130]
	s_waitcnt vmcnt(0)
	v_fma_f64 v[1:2], v[1:2], v[131:132], -v[133:134]
	v_fma_f64 v[3:4], v[3:4], v[131:132], v[129:130]
.LBB59_802:
	s_mov_b32 s6, exec_lo
	v_cmpx_ne_u32_e32 41, v0
	s_cbranch_execz .LBB59_806
; %bb.803:
	v_add_nc_u32_e32 v12, 0x3d0, v173
	v_add3_u32 v129, 0, v173, 16
	v_mov_b32_e32 v130, v0
	s_mov_b32 s8, 0
	.p2align	6
.LBB59_804:                             ; =>This Inner Loop Header: Depth=1
	s_clause 0x3
	buffer_load_dword v135, v129, s[0:3], 0 offen offset:8
	buffer_load_dword v136, v129, s[0:3], 0 offen offset:12
	buffer_load_dword v137, v129, s[0:3], 0 offen
	buffer_load_dword v138, v129, s[0:3], 0 offen offset:4
	ds_read_b128 v[131:134], v12
	v_add_nc_u32_e32 v130, 1, v130
	v_add_nc_u32_e32 v12, 16, v12
	v_add_nc_u32_e32 v129, 16, v129
	v_cmp_lt_u32_e32 vcc_lo, 40, v130
	s_or_b32 s8, vcc_lo, s8
	s_waitcnt vmcnt(2) lgkmcnt(0)
	v_mul_f64 v[139:140], v[133:134], v[135:136]
	v_mul_f64 v[135:136], v[131:132], v[135:136]
	s_waitcnt vmcnt(0)
	v_fma_f64 v[131:132], v[131:132], v[137:138], -v[139:140]
	v_fma_f64 v[133:134], v[133:134], v[137:138], v[135:136]
	v_add_f64 v[1:2], v[1:2], v[131:132]
	v_add_f64 v[3:4], v[3:4], v[133:134]
	s_andn2_b32 exec_lo, exec_lo, s8
	s_cbranch_execnz .LBB59_804
; %bb.805:
	s_or_b32 exec_lo, exec_lo, s8
.LBB59_806:
	s_or_b32 exec_lo, exec_lo, s6
	v_mov_b32_e32 v12, 0
	ds_read_b128 v[129:132], v12 offset:672
	s_waitcnt lgkmcnt(0)
	v_mul_f64 v[133:134], v[3:4], v[131:132]
	v_mul_f64 v[131:132], v[1:2], v[131:132]
	v_fma_f64 v[1:2], v[1:2], v[129:130], -v[133:134]
	v_fma_f64 v[3:4], v[3:4], v[129:130], v[131:132]
	buffer_store_dword v2, off, s[0:3], 0 offset:676
	buffer_store_dword v1, off, s[0:3], 0 offset:672
	;; [unrolled: 1-line block ×4, first 2 shown]
.LBB59_807:
	s_or_b32 exec_lo, exec_lo, s4
	v_mov_b32_e32 v4, s24
	s_mov_b32 s4, exec_lo
	s_clause 0x3
	buffer_load_dword v1, v4, s[0:3], 0 offen
	buffer_load_dword v2, v4, s[0:3], 0 offen offset:4
	buffer_load_dword v3, v4, s[0:3], 0 offen offset:8
	;; [unrolled: 1-line block ×3, first 2 shown]
	s_waitcnt vmcnt(0)
	ds_write_b128 v10, v[1:4]
	s_waitcnt lgkmcnt(0)
	s_waitcnt_vscnt null, 0x0
	s_barrier
	buffer_gl0_inv
	v_cmpx_gt_u32_e32 43, v0
	s_cbranch_execz .LBB59_815
; %bb.808:
	ds_read_b128 v[1:4], v10
	v_cmp_ne_u32_e32 vcc_lo, 1, v11
	s_cbranch_vccnz .LBB59_810
; %bb.809:
	s_clause 0x3
	buffer_load_dword v129, v9, s[0:3], 0 offen offset:8
	buffer_load_dword v130, v9, s[0:3], 0 offen offset:12
	buffer_load_dword v131, v9, s[0:3], 0 offen
	buffer_load_dword v132, v9, s[0:3], 0 offen offset:4
	s_waitcnt vmcnt(2) lgkmcnt(0)
	v_mul_f64 v[133:134], v[3:4], v[129:130]
	v_mul_f64 v[129:130], v[1:2], v[129:130]
	s_waitcnt vmcnt(0)
	v_fma_f64 v[1:2], v[1:2], v[131:132], -v[133:134]
	v_fma_f64 v[3:4], v[3:4], v[131:132], v[129:130]
.LBB59_810:
	s_mov_b32 s6, exec_lo
	v_cmpx_ne_u32_e32 42, v0
	s_cbranch_execz .LBB59_814
; %bb.811:
	v_add_nc_u32_e32 v12, 0x3d0, v173
	v_add3_u32 v129, 0, v173, 16
	v_mov_b32_e32 v130, v0
	s_mov_b32 s8, 0
	.p2align	6
.LBB59_812:                             ; =>This Inner Loop Header: Depth=1
	s_clause 0x3
	buffer_load_dword v135, v129, s[0:3], 0 offen offset:8
	buffer_load_dword v136, v129, s[0:3], 0 offen offset:12
	buffer_load_dword v137, v129, s[0:3], 0 offen
	buffer_load_dword v138, v129, s[0:3], 0 offen offset:4
	ds_read_b128 v[131:134], v12
	v_add_nc_u32_e32 v130, 1, v130
	v_add_nc_u32_e32 v12, 16, v12
	;; [unrolled: 1-line block ×3, first 2 shown]
	v_cmp_lt_u32_e32 vcc_lo, 41, v130
	s_or_b32 s8, vcc_lo, s8
	s_waitcnt vmcnt(2) lgkmcnt(0)
	v_mul_f64 v[139:140], v[133:134], v[135:136]
	v_mul_f64 v[135:136], v[131:132], v[135:136]
	s_waitcnt vmcnt(0)
	v_fma_f64 v[131:132], v[131:132], v[137:138], -v[139:140]
	v_fma_f64 v[133:134], v[133:134], v[137:138], v[135:136]
	v_add_f64 v[1:2], v[1:2], v[131:132]
	v_add_f64 v[3:4], v[3:4], v[133:134]
	s_andn2_b32 exec_lo, exec_lo, s8
	s_cbranch_execnz .LBB59_812
; %bb.813:
	s_or_b32 exec_lo, exec_lo, s8
.LBB59_814:
	s_or_b32 exec_lo, exec_lo, s6
	v_mov_b32_e32 v12, 0
	ds_read_b128 v[129:132], v12 offset:688
	s_waitcnt lgkmcnt(0)
	v_mul_f64 v[133:134], v[3:4], v[131:132]
	v_mul_f64 v[131:132], v[1:2], v[131:132]
	v_fma_f64 v[1:2], v[1:2], v[129:130], -v[133:134]
	v_fma_f64 v[3:4], v[3:4], v[129:130], v[131:132]
	buffer_store_dword v2, off, s[0:3], 0 offset:692
	buffer_store_dword v1, off, s[0:3], 0 offset:688
	;; [unrolled: 1-line block ×4, first 2 shown]
.LBB59_815:
	s_or_b32 exec_lo, exec_lo, s4
	v_mov_b32_e32 v4, s23
	s_mov_b32 s4, exec_lo
	s_clause 0x3
	buffer_load_dword v1, v4, s[0:3], 0 offen
	buffer_load_dword v2, v4, s[0:3], 0 offen offset:4
	buffer_load_dword v3, v4, s[0:3], 0 offen offset:8
	;; [unrolled: 1-line block ×3, first 2 shown]
	s_waitcnt vmcnt(0)
	ds_write_b128 v10, v[1:4]
	s_waitcnt lgkmcnt(0)
	s_waitcnt_vscnt null, 0x0
	s_barrier
	buffer_gl0_inv
	v_cmpx_gt_u32_e32 44, v0
	s_cbranch_execz .LBB59_823
; %bb.816:
	ds_read_b128 v[1:4], v10
	v_cmp_ne_u32_e32 vcc_lo, 1, v11
	s_cbranch_vccnz .LBB59_818
; %bb.817:
	s_clause 0x3
	buffer_load_dword v129, v9, s[0:3], 0 offen offset:8
	buffer_load_dword v130, v9, s[0:3], 0 offen offset:12
	buffer_load_dword v131, v9, s[0:3], 0 offen
	buffer_load_dword v132, v9, s[0:3], 0 offen offset:4
	s_waitcnt vmcnt(2) lgkmcnt(0)
	v_mul_f64 v[133:134], v[3:4], v[129:130]
	v_mul_f64 v[129:130], v[1:2], v[129:130]
	s_waitcnt vmcnt(0)
	v_fma_f64 v[1:2], v[1:2], v[131:132], -v[133:134]
	v_fma_f64 v[3:4], v[3:4], v[131:132], v[129:130]
.LBB59_818:
	s_mov_b32 s6, exec_lo
	v_cmpx_ne_u32_e32 43, v0
	s_cbranch_execz .LBB59_822
; %bb.819:
	v_add_nc_u32_e32 v12, 0x3d0, v173
	v_add3_u32 v129, 0, v173, 16
	v_mov_b32_e32 v130, v0
	s_mov_b32 s8, 0
	.p2align	6
.LBB59_820:                             ; =>This Inner Loop Header: Depth=1
	s_clause 0x3
	buffer_load_dword v135, v129, s[0:3], 0 offen offset:8
	buffer_load_dword v136, v129, s[0:3], 0 offen offset:12
	buffer_load_dword v137, v129, s[0:3], 0 offen
	buffer_load_dword v138, v129, s[0:3], 0 offen offset:4
	ds_read_b128 v[131:134], v12
	v_add_nc_u32_e32 v130, 1, v130
	v_add_nc_u32_e32 v12, 16, v12
	;; [unrolled: 1-line block ×3, first 2 shown]
	v_cmp_lt_u32_e32 vcc_lo, 42, v130
	s_or_b32 s8, vcc_lo, s8
	s_waitcnt vmcnt(2) lgkmcnt(0)
	v_mul_f64 v[139:140], v[133:134], v[135:136]
	v_mul_f64 v[135:136], v[131:132], v[135:136]
	s_waitcnt vmcnt(0)
	v_fma_f64 v[131:132], v[131:132], v[137:138], -v[139:140]
	v_fma_f64 v[133:134], v[133:134], v[137:138], v[135:136]
	v_add_f64 v[1:2], v[1:2], v[131:132]
	v_add_f64 v[3:4], v[3:4], v[133:134]
	s_andn2_b32 exec_lo, exec_lo, s8
	s_cbranch_execnz .LBB59_820
; %bb.821:
	s_or_b32 exec_lo, exec_lo, s8
.LBB59_822:
	s_or_b32 exec_lo, exec_lo, s6
	v_mov_b32_e32 v12, 0
	ds_read_b128 v[129:132], v12 offset:704
	s_waitcnt lgkmcnt(0)
	v_mul_f64 v[133:134], v[3:4], v[131:132]
	v_mul_f64 v[131:132], v[1:2], v[131:132]
	v_fma_f64 v[1:2], v[1:2], v[129:130], -v[133:134]
	v_fma_f64 v[3:4], v[3:4], v[129:130], v[131:132]
	buffer_store_dword v2, off, s[0:3], 0 offset:708
	buffer_store_dword v1, off, s[0:3], 0 offset:704
	;; [unrolled: 1-line block ×4, first 2 shown]
.LBB59_823:
	s_or_b32 exec_lo, exec_lo, s4
	v_mov_b32_e32 v4, s22
	s_mov_b32 s4, exec_lo
	s_clause 0x3
	buffer_load_dword v1, v4, s[0:3], 0 offen
	buffer_load_dword v2, v4, s[0:3], 0 offen offset:4
	buffer_load_dword v3, v4, s[0:3], 0 offen offset:8
	;; [unrolled: 1-line block ×3, first 2 shown]
	s_waitcnt vmcnt(0)
	ds_write_b128 v10, v[1:4]
	s_waitcnt lgkmcnt(0)
	s_waitcnt_vscnt null, 0x0
	s_barrier
	buffer_gl0_inv
	v_cmpx_gt_u32_e32 45, v0
	s_cbranch_execz .LBB59_831
; %bb.824:
	ds_read_b128 v[1:4], v10
	v_cmp_ne_u32_e32 vcc_lo, 1, v11
	s_cbranch_vccnz .LBB59_826
; %bb.825:
	s_clause 0x3
	buffer_load_dword v129, v9, s[0:3], 0 offen offset:8
	buffer_load_dword v130, v9, s[0:3], 0 offen offset:12
	buffer_load_dword v131, v9, s[0:3], 0 offen
	buffer_load_dword v132, v9, s[0:3], 0 offen offset:4
	s_waitcnt vmcnt(2) lgkmcnt(0)
	v_mul_f64 v[133:134], v[3:4], v[129:130]
	v_mul_f64 v[129:130], v[1:2], v[129:130]
	s_waitcnt vmcnt(0)
	v_fma_f64 v[1:2], v[1:2], v[131:132], -v[133:134]
	v_fma_f64 v[3:4], v[3:4], v[131:132], v[129:130]
.LBB59_826:
	s_mov_b32 s6, exec_lo
	v_cmpx_ne_u32_e32 44, v0
	s_cbranch_execz .LBB59_830
; %bb.827:
	v_add_nc_u32_e32 v12, 0x3d0, v173
	v_add3_u32 v129, 0, v173, 16
	v_mov_b32_e32 v130, v0
	s_mov_b32 s8, 0
	.p2align	6
.LBB59_828:                             ; =>This Inner Loop Header: Depth=1
	s_clause 0x3
	buffer_load_dword v135, v129, s[0:3], 0 offen offset:8
	buffer_load_dword v136, v129, s[0:3], 0 offen offset:12
	buffer_load_dword v137, v129, s[0:3], 0 offen
	buffer_load_dword v138, v129, s[0:3], 0 offen offset:4
	ds_read_b128 v[131:134], v12
	v_add_nc_u32_e32 v130, 1, v130
	v_add_nc_u32_e32 v12, 16, v12
	;; [unrolled: 1-line block ×3, first 2 shown]
	v_cmp_lt_u32_e32 vcc_lo, 43, v130
	s_or_b32 s8, vcc_lo, s8
	s_waitcnt vmcnt(2) lgkmcnt(0)
	v_mul_f64 v[139:140], v[133:134], v[135:136]
	v_mul_f64 v[135:136], v[131:132], v[135:136]
	s_waitcnt vmcnt(0)
	v_fma_f64 v[131:132], v[131:132], v[137:138], -v[139:140]
	v_fma_f64 v[133:134], v[133:134], v[137:138], v[135:136]
	v_add_f64 v[1:2], v[1:2], v[131:132]
	v_add_f64 v[3:4], v[3:4], v[133:134]
	s_andn2_b32 exec_lo, exec_lo, s8
	s_cbranch_execnz .LBB59_828
; %bb.829:
	s_or_b32 exec_lo, exec_lo, s8
.LBB59_830:
	s_or_b32 exec_lo, exec_lo, s6
	v_mov_b32_e32 v12, 0
	ds_read_b128 v[129:132], v12 offset:720
	s_waitcnt lgkmcnt(0)
	v_mul_f64 v[133:134], v[3:4], v[131:132]
	v_mul_f64 v[131:132], v[1:2], v[131:132]
	v_fma_f64 v[1:2], v[1:2], v[129:130], -v[133:134]
	v_fma_f64 v[3:4], v[3:4], v[129:130], v[131:132]
	buffer_store_dword v2, off, s[0:3], 0 offset:724
	buffer_store_dword v1, off, s[0:3], 0 offset:720
	;; [unrolled: 1-line block ×4, first 2 shown]
.LBB59_831:
	s_or_b32 exec_lo, exec_lo, s4
	v_mov_b32_e32 v4, s21
	s_mov_b32 s4, exec_lo
	s_clause 0x3
	buffer_load_dword v1, v4, s[0:3], 0 offen
	buffer_load_dword v2, v4, s[0:3], 0 offen offset:4
	buffer_load_dword v3, v4, s[0:3], 0 offen offset:8
	;; [unrolled: 1-line block ×3, first 2 shown]
	s_waitcnt vmcnt(0)
	ds_write_b128 v10, v[1:4]
	s_waitcnt lgkmcnt(0)
	s_waitcnt_vscnt null, 0x0
	s_barrier
	buffer_gl0_inv
	v_cmpx_gt_u32_e32 46, v0
	s_cbranch_execz .LBB59_839
; %bb.832:
	ds_read_b128 v[1:4], v10
	v_cmp_ne_u32_e32 vcc_lo, 1, v11
	s_cbranch_vccnz .LBB59_834
; %bb.833:
	s_clause 0x3
	buffer_load_dword v129, v9, s[0:3], 0 offen offset:8
	buffer_load_dword v130, v9, s[0:3], 0 offen offset:12
	buffer_load_dword v131, v9, s[0:3], 0 offen
	buffer_load_dword v132, v9, s[0:3], 0 offen offset:4
	s_waitcnt vmcnt(2) lgkmcnt(0)
	v_mul_f64 v[133:134], v[3:4], v[129:130]
	v_mul_f64 v[129:130], v[1:2], v[129:130]
	s_waitcnt vmcnt(0)
	v_fma_f64 v[1:2], v[1:2], v[131:132], -v[133:134]
	v_fma_f64 v[3:4], v[3:4], v[131:132], v[129:130]
.LBB59_834:
	s_mov_b32 s6, exec_lo
	v_cmpx_ne_u32_e32 45, v0
	s_cbranch_execz .LBB59_838
; %bb.835:
	v_add_nc_u32_e32 v12, 0x3d0, v173
	v_add3_u32 v129, 0, v173, 16
	v_mov_b32_e32 v130, v0
	s_mov_b32 s8, 0
	.p2align	6
.LBB59_836:                             ; =>This Inner Loop Header: Depth=1
	s_clause 0x3
	buffer_load_dword v135, v129, s[0:3], 0 offen offset:8
	buffer_load_dword v136, v129, s[0:3], 0 offen offset:12
	buffer_load_dword v137, v129, s[0:3], 0 offen
	buffer_load_dword v138, v129, s[0:3], 0 offen offset:4
	ds_read_b128 v[131:134], v12
	v_add_nc_u32_e32 v130, 1, v130
	v_add_nc_u32_e32 v12, 16, v12
	;; [unrolled: 1-line block ×3, first 2 shown]
	v_cmp_lt_u32_e32 vcc_lo, 44, v130
	s_or_b32 s8, vcc_lo, s8
	s_waitcnt vmcnt(2) lgkmcnt(0)
	v_mul_f64 v[139:140], v[133:134], v[135:136]
	v_mul_f64 v[135:136], v[131:132], v[135:136]
	s_waitcnt vmcnt(0)
	v_fma_f64 v[131:132], v[131:132], v[137:138], -v[139:140]
	v_fma_f64 v[133:134], v[133:134], v[137:138], v[135:136]
	v_add_f64 v[1:2], v[1:2], v[131:132]
	v_add_f64 v[3:4], v[3:4], v[133:134]
	s_andn2_b32 exec_lo, exec_lo, s8
	s_cbranch_execnz .LBB59_836
; %bb.837:
	s_or_b32 exec_lo, exec_lo, s8
.LBB59_838:
	s_or_b32 exec_lo, exec_lo, s6
	v_mov_b32_e32 v12, 0
	ds_read_b128 v[129:132], v12 offset:736
	s_waitcnt lgkmcnt(0)
	v_mul_f64 v[133:134], v[3:4], v[131:132]
	v_mul_f64 v[131:132], v[1:2], v[131:132]
	v_fma_f64 v[1:2], v[1:2], v[129:130], -v[133:134]
	v_fma_f64 v[3:4], v[3:4], v[129:130], v[131:132]
	buffer_store_dword v2, off, s[0:3], 0 offset:740
	buffer_store_dword v1, off, s[0:3], 0 offset:736
	;; [unrolled: 1-line block ×4, first 2 shown]
.LBB59_839:
	s_or_b32 exec_lo, exec_lo, s4
	v_mov_b32_e32 v4, s20
	s_mov_b32 s4, exec_lo
	s_clause 0x3
	buffer_load_dword v1, v4, s[0:3], 0 offen
	buffer_load_dword v2, v4, s[0:3], 0 offen offset:4
	buffer_load_dword v3, v4, s[0:3], 0 offen offset:8
	;; [unrolled: 1-line block ×3, first 2 shown]
	s_waitcnt vmcnt(0)
	ds_write_b128 v10, v[1:4]
	s_waitcnt lgkmcnt(0)
	s_waitcnt_vscnt null, 0x0
	s_barrier
	buffer_gl0_inv
	v_cmpx_gt_u32_e32 47, v0
	s_cbranch_execz .LBB59_847
; %bb.840:
	ds_read_b128 v[1:4], v10
	v_cmp_ne_u32_e32 vcc_lo, 1, v11
	s_cbranch_vccnz .LBB59_842
; %bb.841:
	s_clause 0x3
	buffer_load_dword v129, v9, s[0:3], 0 offen offset:8
	buffer_load_dword v130, v9, s[0:3], 0 offen offset:12
	buffer_load_dword v131, v9, s[0:3], 0 offen
	buffer_load_dword v132, v9, s[0:3], 0 offen offset:4
	s_waitcnt vmcnt(2) lgkmcnt(0)
	v_mul_f64 v[133:134], v[3:4], v[129:130]
	v_mul_f64 v[129:130], v[1:2], v[129:130]
	s_waitcnt vmcnt(0)
	v_fma_f64 v[1:2], v[1:2], v[131:132], -v[133:134]
	v_fma_f64 v[3:4], v[3:4], v[131:132], v[129:130]
.LBB59_842:
	s_mov_b32 s6, exec_lo
	v_cmpx_ne_u32_e32 46, v0
	s_cbranch_execz .LBB59_846
; %bb.843:
	v_add_nc_u32_e32 v12, 0x3d0, v173
	v_add3_u32 v129, 0, v173, 16
	v_mov_b32_e32 v130, v0
	s_mov_b32 s8, 0
	.p2align	6
.LBB59_844:                             ; =>This Inner Loop Header: Depth=1
	s_clause 0x3
	buffer_load_dword v135, v129, s[0:3], 0 offen offset:8
	buffer_load_dword v136, v129, s[0:3], 0 offen offset:12
	buffer_load_dword v137, v129, s[0:3], 0 offen
	buffer_load_dword v138, v129, s[0:3], 0 offen offset:4
	ds_read_b128 v[131:134], v12
	v_add_nc_u32_e32 v130, 1, v130
	v_add_nc_u32_e32 v12, 16, v12
	;; [unrolled: 1-line block ×3, first 2 shown]
	v_cmp_lt_u32_e32 vcc_lo, 45, v130
	s_or_b32 s8, vcc_lo, s8
	s_waitcnt vmcnt(2) lgkmcnt(0)
	v_mul_f64 v[139:140], v[133:134], v[135:136]
	v_mul_f64 v[135:136], v[131:132], v[135:136]
	s_waitcnt vmcnt(0)
	v_fma_f64 v[131:132], v[131:132], v[137:138], -v[139:140]
	v_fma_f64 v[133:134], v[133:134], v[137:138], v[135:136]
	v_add_f64 v[1:2], v[1:2], v[131:132]
	v_add_f64 v[3:4], v[3:4], v[133:134]
	s_andn2_b32 exec_lo, exec_lo, s8
	s_cbranch_execnz .LBB59_844
; %bb.845:
	s_or_b32 exec_lo, exec_lo, s8
.LBB59_846:
	s_or_b32 exec_lo, exec_lo, s6
	v_mov_b32_e32 v12, 0
	ds_read_b128 v[129:132], v12 offset:752
	s_waitcnt lgkmcnt(0)
	v_mul_f64 v[133:134], v[3:4], v[131:132]
	v_mul_f64 v[131:132], v[1:2], v[131:132]
	v_fma_f64 v[1:2], v[1:2], v[129:130], -v[133:134]
	v_fma_f64 v[3:4], v[3:4], v[129:130], v[131:132]
	buffer_store_dword v2, off, s[0:3], 0 offset:756
	buffer_store_dword v1, off, s[0:3], 0 offset:752
	;; [unrolled: 1-line block ×4, first 2 shown]
.LBB59_847:
	s_or_b32 exec_lo, exec_lo, s4
	v_mov_b32_e32 v4, s19
	s_mov_b32 s4, exec_lo
	s_clause 0x3
	buffer_load_dword v1, v4, s[0:3], 0 offen
	buffer_load_dword v2, v4, s[0:3], 0 offen offset:4
	buffer_load_dword v3, v4, s[0:3], 0 offen offset:8
	;; [unrolled: 1-line block ×3, first 2 shown]
	s_waitcnt vmcnt(0)
	ds_write_b128 v10, v[1:4]
	s_waitcnt lgkmcnt(0)
	s_waitcnt_vscnt null, 0x0
	s_barrier
	buffer_gl0_inv
	v_cmpx_gt_u32_e32 48, v0
	s_cbranch_execz .LBB59_855
; %bb.848:
	ds_read_b128 v[1:4], v10
	v_cmp_ne_u32_e32 vcc_lo, 1, v11
	s_cbranch_vccnz .LBB59_850
; %bb.849:
	s_clause 0x3
	buffer_load_dword v129, v9, s[0:3], 0 offen offset:8
	buffer_load_dword v130, v9, s[0:3], 0 offen offset:12
	buffer_load_dword v131, v9, s[0:3], 0 offen
	buffer_load_dword v132, v9, s[0:3], 0 offen offset:4
	s_waitcnt vmcnt(2) lgkmcnt(0)
	v_mul_f64 v[133:134], v[3:4], v[129:130]
	v_mul_f64 v[129:130], v[1:2], v[129:130]
	s_waitcnt vmcnt(0)
	v_fma_f64 v[1:2], v[1:2], v[131:132], -v[133:134]
	v_fma_f64 v[3:4], v[3:4], v[131:132], v[129:130]
.LBB59_850:
	s_mov_b32 s6, exec_lo
	v_cmpx_ne_u32_e32 47, v0
	s_cbranch_execz .LBB59_854
; %bb.851:
	v_add_nc_u32_e32 v12, 0x3d0, v173
	v_add3_u32 v129, 0, v173, 16
	v_mov_b32_e32 v130, v0
	s_mov_b32 s8, 0
	.p2align	6
.LBB59_852:                             ; =>This Inner Loop Header: Depth=1
	s_clause 0x3
	buffer_load_dword v135, v129, s[0:3], 0 offen offset:8
	buffer_load_dword v136, v129, s[0:3], 0 offen offset:12
	buffer_load_dword v137, v129, s[0:3], 0 offen
	buffer_load_dword v138, v129, s[0:3], 0 offen offset:4
	ds_read_b128 v[131:134], v12
	v_add_nc_u32_e32 v130, 1, v130
	v_add_nc_u32_e32 v12, 16, v12
	;; [unrolled: 1-line block ×3, first 2 shown]
	v_cmp_lt_u32_e32 vcc_lo, 46, v130
	s_or_b32 s8, vcc_lo, s8
	s_waitcnt vmcnt(2) lgkmcnt(0)
	v_mul_f64 v[139:140], v[133:134], v[135:136]
	v_mul_f64 v[135:136], v[131:132], v[135:136]
	s_waitcnt vmcnt(0)
	v_fma_f64 v[131:132], v[131:132], v[137:138], -v[139:140]
	v_fma_f64 v[133:134], v[133:134], v[137:138], v[135:136]
	v_add_f64 v[1:2], v[1:2], v[131:132]
	v_add_f64 v[3:4], v[3:4], v[133:134]
	s_andn2_b32 exec_lo, exec_lo, s8
	s_cbranch_execnz .LBB59_852
; %bb.853:
	s_or_b32 exec_lo, exec_lo, s8
.LBB59_854:
	s_or_b32 exec_lo, exec_lo, s6
	v_mov_b32_e32 v12, 0
	ds_read_b128 v[129:132], v12 offset:768
	s_waitcnt lgkmcnt(0)
	v_mul_f64 v[133:134], v[3:4], v[131:132]
	v_mul_f64 v[131:132], v[1:2], v[131:132]
	v_fma_f64 v[1:2], v[1:2], v[129:130], -v[133:134]
	v_fma_f64 v[3:4], v[3:4], v[129:130], v[131:132]
	buffer_store_dword v2, off, s[0:3], 0 offset:772
	buffer_store_dword v1, off, s[0:3], 0 offset:768
	;; [unrolled: 1-line block ×4, first 2 shown]
.LBB59_855:
	s_or_b32 exec_lo, exec_lo, s4
	v_mov_b32_e32 v4, s18
	s_mov_b32 s4, exec_lo
	s_clause 0x3
	buffer_load_dword v1, v4, s[0:3], 0 offen
	buffer_load_dword v2, v4, s[0:3], 0 offen offset:4
	buffer_load_dword v3, v4, s[0:3], 0 offen offset:8
	;; [unrolled: 1-line block ×3, first 2 shown]
	s_waitcnt vmcnt(0)
	ds_write_b128 v10, v[1:4]
	s_waitcnt lgkmcnt(0)
	s_waitcnt_vscnt null, 0x0
	s_barrier
	buffer_gl0_inv
	v_cmpx_gt_u32_e32 49, v0
	s_cbranch_execz .LBB59_863
; %bb.856:
	ds_read_b128 v[1:4], v10
	v_cmp_ne_u32_e32 vcc_lo, 1, v11
	s_cbranch_vccnz .LBB59_858
; %bb.857:
	s_clause 0x3
	buffer_load_dword v129, v9, s[0:3], 0 offen offset:8
	buffer_load_dword v130, v9, s[0:3], 0 offen offset:12
	buffer_load_dword v131, v9, s[0:3], 0 offen
	buffer_load_dword v132, v9, s[0:3], 0 offen offset:4
	s_waitcnt vmcnt(2) lgkmcnt(0)
	v_mul_f64 v[133:134], v[3:4], v[129:130]
	v_mul_f64 v[129:130], v[1:2], v[129:130]
	s_waitcnt vmcnt(0)
	v_fma_f64 v[1:2], v[1:2], v[131:132], -v[133:134]
	v_fma_f64 v[3:4], v[3:4], v[131:132], v[129:130]
.LBB59_858:
	s_mov_b32 s6, exec_lo
	v_cmpx_ne_u32_e32 48, v0
	s_cbranch_execz .LBB59_862
; %bb.859:
	v_add_nc_u32_e32 v12, 0x3d0, v173
	v_add3_u32 v129, 0, v173, 16
	v_mov_b32_e32 v130, v0
	s_mov_b32 s8, 0
	.p2align	6
.LBB59_860:                             ; =>This Inner Loop Header: Depth=1
	s_clause 0x3
	buffer_load_dword v135, v129, s[0:3], 0 offen offset:8
	buffer_load_dword v136, v129, s[0:3], 0 offen offset:12
	buffer_load_dword v137, v129, s[0:3], 0 offen
	buffer_load_dword v138, v129, s[0:3], 0 offen offset:4
	ds_read_b128 v[131:134], v12
	v_add_nc_u32_e32 v130, 1, v130
	v_add_nc_u32_e32 v12, 16, v12
	;; [unrolled: 1-line block ×3, first 2 shown]
	v_cmp_lt_u32_e32 vcc_lo, 47, v130
	s_or_b32 s8, vcc_lo, s8
	s_waitcnt vmcnt(2) lgkmcnt(0)
	v_mul_f64 v[139:140], v[133:134], v[135:136]
	v_mul_f64 v[135:136], v[131:132], v[135:136]
	s_waitcnt vmcnt(0)
	v_fma_f64 v[131:132], v[131:132], v[137:138], -v[139:140]
	v_fma_f64 v[133:134], v[133:134], v[137:138], v[135:136]
	v_add_f64 v[1:2], v[1:2], v[131:132]
	v_add_f64 v[3:4], v[3:4], v[133:134]
	s_andn2_b32 exec_lo, exec_lo, s8
	s_cbranch_execnz .LBB59_860
; %bb.861:
	s_or_b32 exec_lo, exec_lo, s8
.LBB59_862:
	s_or_b32 exec_lo, exec_lo, s6
	v_mov_b32_e32 v12, 0
	ds_read_b128 v[129:132], v12 offset:784
	s_waitcnt lgkmcnt(0)
	v_mul_f64 v[133:134], v[3:4], v[131:132]
	v_mul_f64 v[131:132], v[1:2], v[131:132]
	v_fma_f64 v[1:2], v[1:2], v[129:130], -v[133:134]
	v_fma_f64 v[3:4], v[3:4], v[129:130], v[131:132]
	buffer_store_dword v2, off, s[0:3], 0 offset:788
	buffer_store_dword v1, off, s[0:3], 0 offset:784
	buffer_store_dword v4, off, s[0:3], 0 offset:796
	buffer_store_dword v3, off, s[0:3], 0 offset:792
.LBB59_863:
	s_or_b32 exec_lo, exec_lo, s4
	v_mov_b32_e32 v4, s17
	s_mov_b32 s4, exec_lo
	s_clause 0x3
	buffer_load_dword v1, v4, s[0:3], 0 offen
	buffer_load_dword v2, v4, s[0:3], 0 offen offset:4
	buffer_load_dword v3, v4, s[0:3], 0 offen offset:8
	;; [unrolled: 1-line block ×3, first 2 shown]
	s_waitcnt vmcnt(0)
	ds_write_b128 v10, v[1:4]
	s_waitcnt lgkmcnt(0)
	s_waitcnt_vscnt null, 0x0
	s_barrier
	buffer_gl0_inv
	v_cmpx_gt_u32_e32 50, v0
	s_cbranch_execz .LBB59_871
; %bb.864:
	ds_read_b128 v[1:4], v10
	v_cmp_ne_u32_e32 vcc_lo, 1, v11
	s_cbranch_vccnz .LBB59_866
; %bb.865:
	s_clause 0x3
	buffer_load_dword v129, v9, s[0:3], 0 offen offset:8
	buffer_load_dword v130, v9, s[0:3], 0 offen offset:12
	buffer_load_dword v131, v9, s[0:3], 0 offen
	buffer_load_dword v132, v9, s[0:3], 0 offen offset:4
	s_waitcnt vmcnt(2) lgkmcnt(0)
	v_mul_f64 v[133:134], v[3:4], v[129:130]
	v_mul_f64 v[129:130], v[1:2], v[129:130]
	s_waitcnt vmcnt(0)
	v_fma_f64 v[1:2], v[1:2], v[131:132], -v[133:134]
	v_fma_f64 v[3:4], v[3:4], v[131:132], v[129:130]
.LBB59_866:
	s_mov_b32 s6, exec_lo
	v_cmpx_ne_u32_e32 49, v0
	s_cbranch_execz .LBB59_870
; %bb.867:
	v_add_nc_u32_e32 v12, 0x3d0, v173
	v_add3_u32 v129, 0, v173, 16
	v_mov_b32_e32 v130, v0
	s_mov_b32 s8, 0
	.p2align	6
.LBB59_868:                             ; =>This Inner Loop Header: Depth=1
	s_clause 0x3
	buffer_load_dword v135, v129, s[0:3], 0 offen offset:8
	buffer_load_dword v136, v129, s[0:3], 0 offen offset:12
	buffer_load_dword v137, v129, s[0:3], 0 offen
	buffer_load_dword v138, v129, s[0:3], 0 offen offset:4
	ds_read_b128 v[131:134], v12
	v_add_nc_u32_e32 v130, 1, v130
	v_add_nc_u32_e32 v12, 16, v12
	;; [unrolled: 1-line block ×3, first 2 shown]
	v_cmp_lt_u32_e32 vcc_lo, 48, v130
	s_or_b32 s8, vcc_lo, s8
	s_waitcnt vmcnt(2) lgkmcnt(0)
	v_mul_f64 v[139:140], v[133:134], v[135:136]
	v_mul_f64 v[135:136], v[131:132], v[135:136]
	s_waitcnt vmcnt(0)
	v_fma_f64 v[131:132], v[131:132], v[137:138], -v[139:140]
	v_fma_f64 v[133:134], v[133:134], v[137:138], v[135:136]
	v_add_f64 v[1:2], v[1:2], v[131:132]
	v_add_f64 v[3:4], v[3:4], v[133:134]
	s_andn2_b32 exec_lo, exec_lo, s8
	s_cbranch_execnz .LBB59_868
; %bb.869:
	s_or_b32 exec_lo, exec_lo, s8
.LBB59_870:
	s_or_b32 exec_lo, exec_lo, s6
	v_mov_b32_e32 v12, 0
	ds_read_b128 v[129:132], v12 offset:800
	s_waitcnt lgkmcnt(0)
	v_mul_f64 v[133:134], v[3:4], v[131:132]
	v_mul_f64 v[131:132], v[1:2], v[131:132]
	v_fma_f64 v[1:2], v[1:2], v[129:130], -v[133:134]
	v_fma_f64 v[3:4], v[3:4], v[129:130], v[131:132]
	buffer_store_dword v2, off, s[0:3], 0 offset:804
	buffer_store_dword v1, off, s[0:3], 0 offset:800
	;; [unrolled: 1-line block ×4, first 2 shown]
.LBB59_871:
	s_or_b32 exec_lo, exec_lo, s4
	v_mov_b32_e32 v4, s16
	s_mov_b32 s4, exec_lo
	s_clause 0x3
	buffer_load_dword v1, v4, s[0:3], 0 offen
	buffer_load_dword v2, v4, s[0:3], 0 offen offset:4
	buffer_load_dword v3, v4, s[0:3], 0 offen offset:8
	buffer_load_dword v4, v4, s[0:3], 0 offen offset:12
	s_waitcnt vmcnt(0)
	ds_write_b128 v10, v[1:4]
	s_waitcnt lgkmcnt(0)
	s_waitcnt_vscnt null, 0x0
	s_barrier
	buffer_gl0_inv
	v_cmpx_gt_u32_e32 51, v0
	s_cbranch_execz .LBB59_879
; %bb.872:
	ds_read_b128 v[1:4], v10
	v_cmp_ne_u32_e32 vcc_lo, 1, v11
	s_cbranch_vccnz .LBB59_874
; %bb.873:
	s_clause 0x3
	buffer_load_dword v129, v9, s[0:3], 0 offen offset:8
	buffer_load_dword v130, v9, s[0:3], 0 offen offset:12
	buffer_load_dword v131, v9, s[0:3], 0 offen
	buffer_load_dword v132, v9, s[0:3], 0 offen offset:4
	s_waitcnt vmcnt(2) lgkmcnt(0)
	v_mul_f64 v[133:134], v[3:4], v[129:130]
	v_mul_f64 v[129:130], v[1:2], v[129:130]
	s_waitcnt vmcnt(0)
	v_fma_f64 v[1:2], v[1:2], v[131:132], -v[133:134]
	v_fma_f64 v[3:4], v[3:4], v[131:132], v[129:130]
.LBB59_874:
	s_mov_b32 s6, exec_lo
	v_cmpx_ne_u32_e32 50, v0
	s_cbranch_execz .LBB59_878
; %bb.875:
	v_add_nc_u32_e32 v12, 0x3d0, v173
	v_add3_u32 v129, 0, v173, 16
	v_mov_b32_e32 v130, v0
	s_mov_b32 s8, 0
	.p2align	6
.LBB59_876:                             ; =>This Inner Loop Header: Depth=1
	s_clause 0x3
	buffer_load_dword v135, v129, s[0:3], 0 offen offset:8
	buffer_load_dword v136, v129, s[0:3], 0 offen offset:12
	buffer_load_dword v137, v129, s[0:3], 0 offen
	buffer_load_dword v138, v129, s[0:3], 0 offen offset:4
	ds_read_b128 v[131:134], v12
	v_add_nc_u32_e32 v130, 1, v130
	v_add_nc_u32_e32 v12, 16, v12
	;; [unrolled: 1-line block ×3, first 2 shown]
	v_cmp_lt_u32_e32 vcc_lo, 49, v130
	s_or_b32 s8, vcc_lo, s8
	s_waitcnt vmcnt(2) lgkmcnt(0)
	v_mul_f64 v[139:140], v[133:134], v[135:136]
	v_mul_f64 v[135:136], v[131:132], v[135:136]
	s_waitcnt vmcnt(0)
	v_fma_f64 v[131:132], v[131:132], v[137:138], -v[139:140]
	v_fma_f64 v[133:134], v[133:134], v[137:138], v[135:136]
	v_add_f64 v[1:2], v[1:2], v[131:132]
	v_add_f64 v[3:4], v[3:4], v[133:134]
	s_andn2_b32 exec_lo, exec_lo, s8
	s_cbranch_execnz .LBB59_876
; %bb.877:
	s_or_b32 exec_lo, exec_lo, s8
.LBB59_878:
	s_or_b32 exec_lo, exec_lo, s6
	v_mov_b32_e32 v12, 0
	ds_read_b128 v[129:132], v12 offset:816
	s_waitcnt lgkmcnt(0)
	v_mul_f64 v[133:134], v[3:4], v[131:132]
	v_mul_f64 v[131:132], v[1:2], v[131:132]
	v_fma_f64 v[1:2], v[1:2], v[129:130], -v[133:134]
	v_fma_f64 v[3:4], v[3:4], v[129:130], v[131:132]
	buffer_store_dword v2, off, s[0:3], 0 offset:820
	buffer_store_dword v1, off, s[0:3], 0 offset:816
	;; [unrolled: 1-line block ×4, first 2 shown]
.LBB59_879:
	s_or_b32 exec_lo, exec_lo, s4
	v_mov_b32_e32 v4, s15
	s_mov_b32 s4, exec_lo
	s_clause 0x3
	buffer_load_dword v1, v4, s[0:3], 0 offen
	buffer_load_dword v2, v4, s[0:3], 0 offen offset:4
	buffer_load_dword v3, v4, s[0:3], 0 offen offset:8
	buffer_load_dword v4, v4, s[0:3], 0 offen offset:12
	s_waitcnt vmcnt(0)
	ds_write_b128 v10, v[1:4]
	s_waitcnt lgkmcnt(0)
	s_waitcnt_vscnt null, 0x0
	s_barrier
	buffer_gl0_inv
	v_cmpx_gt_u32_e32 52, v0
	s_cbranch_execz .LBB59_887
; %bb.880:
	ds_read_b128 v[1:4], v10
	v_cmp_ne_u32_e32 vcc_lo, 1, v11
	s_cbranch_vccnz .LBB59_882
; %bb.881:
	s_clause 0x3
	buffer_load_dword v129, v9, s[0:3], 0 offen offset:8
	buffer_load_dword v130, v9, s[0:3], 0 offen offset:12
	buffer_load_dword v131, v9, s[0:3], 0 offen
	buffer_load_dword v132, v9, s[0:3], 0 offen offset:4
	s_waitcnt vmcnt(2) lgkmcnt(0)
	v_mul_f64 v[133:134], v[3:4], v[129:130]
	v_mul_f64 v[129:130], v[1:2], v[129:130]
	s_waitcnt vmcnt(0)
	v_fma_f64 v[1:2], v[1:2], v[131:132], -v[133:134]
	v_fma_f64 v[3:4], v[3:4], v[131:132], v[129:130]
.LBB59_882:
	s_mov_b32 s6, exec_lo
	v_cmpx_ne_u32_e32 51, v0
	s_cbranch_execz .LBB59_886
; %bb.883:
	v_add_nc_u32_e32 v12, 0x3d0, v173
	v_add3_u32 v129, 0, v173, 16
	v_mov_b32_e32 v130, v0
	s_mov_b32 s8, 0
	.p2align	6
.LBB59_884:                             ; =>This Inner Loop Header: Depth=1
	s_clause 0x3
	buffer_load_dword v135, v129, s[0:3], 0 offen offset:8
	buffer_load_dword v136, v129, s[0:3], 0 offen offset:12
	buffer_load_dword v137, v129, s[0:3], 0 offen
	buffer_load_dword v138, v129, s[0:3], 0 offen offset:4
	ds_read_b128 v[131:134], v12
	v_add_nc_u32_e32 v130, 1, v130
	v_add_nc_u32_e32 v12, 16, v12
	;; [unrolled: 1-line block ×3, first 2 shown]
	v_cmp_lt_u32_e32 vcc_lo, 50, v130
	s_or_b32 s8, vcc_lo, s8
	s_waitcnt vmcnt(2) lgkmcnt(0)
	v_mul_f64 v[139:140], v[133:134], v[135:136]
	v_mul_f64 v[135:136], v[131:132], v[135:136]
	s_waitcnt vmcnt(0)
	v_fma_f64 v[131:132], v[131:132], v[137:138], -v[139:140]
	v_fma_f64 v[133:134], v[133:134], v[137:138], v[135:136]
	v_add_f64 v[1:2], v[1:2], v[131:132]
	v_add_f64 v[3:4], v[3:4], v[133:134]
	s_andn2_b32 exec_lo, exec_lo, s8
	s_cbranch_execnz .LBB59_884
; %bb.885:
	s_or_b32 exec_lo, exec_lo, s8
.LBB59_886:
	s_or_b32 exec_lo, exec_lo, s6
	v_mov_b32_e32 v12, 0
	ds_read_b128 v[129:132], v12 offset:832
	s_waitcnt lgkmcnt(0)
	v_mul_f64 v[133:134], v[3:4], v[131:132]
	v_mul_f64 v[131:132], v[1:2], v[131:132]
	v_fma_f64 v[1:2], v[1:2], v[129:130], -v[133:134]
	v_fma_f64 v[3:4], v[3:4], v[129:130], v[131:132]
	buffer_store_dword v2, off, s[0:3], 0 offset:836
	buffer_store_dword v1, off, s[0:3], 0 offset:832
	;; [unrolled: 1-line block ×4, first 2 shown]
.LBB59_887:
	s_or_b32 exec_lo, exec_lo, s4
	v_mov_b32_e32 v4, s14
	s_mov_b32 s4, exec_lo
	s_clause 0x3
	buffer_load_dword v1, v4, s[0:3], 0 offen
	buffer_load_dword v2, v4, s[0:3], 0 offen offset:4
	buffer_load_dword v3, v4, s[0:3], 0 offen offset:8
	;; [unrolled: 1-line block ×3, first 2 shown]
	s_waitcnt vmcnt(0)
	ds_write_b128 v10, v[1:4]
	s_waitcnt lgkmcnt(0)
	s_waitcnt_vscnt null, 0x0
	s_barrier
	buffer_gl0_inv
	v_cmpx_gt_u32_e32 53, v0
	s_cbranch_execz .LBB59_895
; %bb.888:
	ds_read_b128 v[1:4], v10
	v_cmp_ne_u32_e32 vcc_lo, 1, v11
	s_cbranch_vccnz .LBB59_890
; %bb.889:
	s_clause 0x3
	buffer_load_dword v129, v9, s[0:3], 0 offen offset:8
	buffer_load_dword v130, v9, s[0:3], 0 offen offset:12
	buffer_load_dword v131, v9, s[0:3], 0 offen
	buffer_load_dword v132, v9, s[0:3], 0 offen offset:4
	s_waitcnt vmcnt(2) lgkmcnt(0)
	v_mul_f64 v[133:134], v[3:4], v[129:130]
	v_mul_f64 v[129:130], v[1:2], v[129:130]
	s_waitcnt vmcnt(0)
	v_fma_f64 v[1:2], v[1:2], v[131:132], -v[133:134]
	v_fma_f64 v[3:4], v[3:4], v[131:132], v[129:130]
.LBB59_890:
	s_mov_b32 s6, exec_lo
	v_cmpx_ne_u32_e32 52, v0
	s_cbranch_execz .LBB59_894
; %bb.891:
	v_add_nc_u32_e32 v12, 0x3d0, v173
	v_add3_u32 v129, 0, v173, 16
	v_mov_b32_e32 v130, v0
	s_mov_b32 s8, 0
	.p2align	6
.LBB59_892:                             ; =>This Inner Loop Header: Depth=1
	s_clause 0x3
	buffer_load_dword v135, v129, s[0:3], 0 offen offset:8
	buffer_load_dword v136, v129, s[0:3], 0 offen offset:12
	buffer_load_dword v137, v129, s[0:3], 0 offen
	buffer_load_dword v138, v129, s[0:3], 0 offen offset:4
	ds_read_b128 v[131:134], v12
	v_add_nc_u32_e32 v130, 1, v130
	v_add_nc_u32_e32 v12, 16, v12
	;; [unrolled: 1-line block ×3, first 2 shown]
	v_cmp_lt_u32_e32 vcc_lo, 51, v130
	s_or_b32 s8, vcc_lo, s8
	s_waitcnt vmcnt(2) lgkmcnt(0)
	v_mul_f64 v[139:140], v[133:134], v[135:136]
	v_mul_f64 v[135:136], v[131:132], v[135:136]
	s_waitcnt vmcnt(0)
	v_fma_f64 v[131:132], v[131:132], v[137:138], -v[139:140]
	v_fma_f64 v[133:134], v[133:134], v[137:138], v[135:136]
	v_add_f64 v[1:2], v[1:2], v[131:132]
	v_add_f64 v[3:4], v[3:4], v[133:134]
	s_andn2_b32 exec_lo, exec_lo, s8
	s_cbranch_execnz .LBB59_892
; %bb.893:
	s_or_b32 exec_lo, exec_lo, s8
.LBB59_894:
	s_or_b32 exec_lo, exec_lo, s6
	v_mov_b32_e32 v12, 0
	ds_read_b128 v[129:132], v12 offset:848
	s_waitcnt lgkmcnt(0)
	v_mul_f64 v[133:134], v[3:4], v[131:132]
	v_mul_f64 v[131:132], v[1:2], v[131:132]
	v_fma_f64 v[1:2], v[1:2], v[129:130], -v[133:134]
	v_fma_f64 v[3:4], v[3:4], v[129:130], v[131:132]
	buffer_store_dword v2, off, s[0:3], 0 offset:852
	buffer_store_dword v1, off, s[0:3], 0 offset:848
	;; [unrolled: 1-line block ×4, first 2 shown]
.LBB59_895:
	s_or_b32 exec_lo, exec_lo, s4
	v_mov_b32_e32 v4, s13
	s_mov_b32 s4, exec_lo
	s_clause 0x3
	buffer_load_dword v1, v4, s[0:3], 0 offen
	buffer_load_dword v2, v4, s[0:3], 0 offen offset:4
	buffer_load_dword v3, v4, s[0:3], 0 offen offset:8
	;; [unrolled: 1-line block ×3, first 2 shown]
	s_waitcnt vmcnt(0)
	ds_write_b128 v10, v[1:4]
	s_waitcnt lgkmcnt(0)
	s_waitcnt_vscnt null, 0x0
	s_barrier
	buffer_gl0_inv
	v_cmpx_gt_u32_e32 54, v0
	s_cbranch_execz .LBB59_903
; %bb.896:
	ds_read_b128 v[1:4], v10
	v_cmp_ne_u32_e32 vcc_lo, 1, v11
	s_cbranch_vccnz .LBB59_898
; %bb.897:
	s_clause 0x3
	buffer_load_dword v129, v9, s[0:3], 0 offen offset:8
	buffer_load_dword v130, v9, s[0:3], 0 offen offset:12
	buffer_load_dword v131, v9, s[0:3], 0 offen
	buffer_load_dword v132, v9, s[0:3], 0 offen offset:4
	s_waitcnt vmcnt(2) lgkmcnt(0)
	v_mul_f64 v[133:134], v[3:4], v[129:130]
	v_mul_f64 v[129:130], v[1:2], v[129:130]
	s_waitcnt vmcnt(0)
	v_fma_f64 v[1:2], v[1:2], v[131:132], -v[133:134]
	v_fma_f64 v[3:4], v[3:4], v[131:132], v[129:130]
.LBB59_898:
	s_mov_b32 s6, exec_lo
	v_cmpx_ne_u32_e32 53, v0
	s_cbranch_execz .LBB59_902
; %bb.899:
	v_add_nc_u32_e32 v12, 0x3d0, v173
	v_add3_u32 v129, 0, v173, 16
	v_mov_b32_e32 v130, v0
	s_mov_b32 s8, 0
	.p2align	6
.LBB59_900:                             ; =>This Inner Loop Header: Depth=1
	s_clause 0x3
	buffer_load_dword v135, v129, s[0:3], 0 offen offset:8
	buffer_load_dword v136, v129, s[0:3], 0 offen offset:12
	buffer_load_dword v137, v129, s[0:3], 0 offen
	buffer_load_dword v138, v129, s[0:3], 0 offen offset:4
	ds_read_b128 v[131:134], v12
	v_add_nc_u32_e32 v130, 1, v130
	v_add_nc_u32_e32 v12, 16, v12
	v_add_nc_u32_e32 v129, 16, v129
	v_cmp_lt_u32_e32 vcc_lo, 52, v130
	s_or_b32 s8, vcc_lo, s8
	s_waitcnt vmcnt(2) lgkmcnt(0)
	v_mul_f64 v[139:140], v[133:134], v[135:136]
	v_mul_f64 v[135:136], v[131:132], v[135:136]
	s_waitcnt vmcnt(0)
	v_fma_f64 v[131:132], v[131:132], v[137:138], -v[139:140]
	v_fma_f64 v[133:134], v[133:134], v[137:138], v[135:136]
	v_add_f64 v[1:2], v[1:2], v[131:132]
	v_add_f64 v[3:4], v[3:4], v[133:134]
	s_andn2_b32 exec_lo, exec_lo, s8
	s_cbranch_execnz .LBB59_900
; %bb.901:
	s_or_b32 exec_lo, exec_lo, s8
.LBB59_902:
	s_or_b32 exec_lo, exec_lo, s6
	v_mov_b32_e32 v12, 0
	ds_read_b128 v[129:132], v12 offset:864
	s_waitcnt lgkmcnt(0)
	v_mul_f64 v[133:134], v[3:4], v[131:132]
	v_mul_f64 v[131:132], v[1:2], v[131:132]
	v_fma_f64 v[1:2], v[1:2], v[129:130], -v[133:134]
	v_fma_f64 v[3:4], v[3:4], v[129:130], v[131:132]
	buffer_store_dword v2, off, s[0:3], 0 offset:868
	buffer_store_dword v1, off, s[0:3], 0 offset:864
	buffer_store_dword v4, off, s[0:3], 0 offset:876
	buffer_store_dword v3, off, s[0:3], 0 offset:872
.LBB59_903:
	s_or_b32 exec_lo, exec_lo, s4
	v_mov_b32_e32 v4, s12
	s_mov_b32 s4, exec_lo
	s_clause 0x3
	buffer_load_dword v1, v4, s[0:3], 0 offen
	buffer_load_dword v2, v4, s[0:3], 0 offen offset:4
	buffer_load_dword v3, v4, s[0:3], 0 offen offset:8
	;; [unrolled: 1-line block ×3, first 2 shown]
	s_waitcnt vmcnt(0)
	ds_write_b128 v10, v[1:4]
	s_waitcnt lgkmcnt(0)
	s_waitcnt_vscnt null, 0x0
	s_barrier
	buffer_gl0_inv
	v_cmpx_gt_u32_e32 55, v0
	s_cbranch_execz .LBB59_911
; %bb.904:
	ds_read_b128 v[1:4], v10
	v_cmp_ne_u32_e32 vcc_lo, 1, v11
	s_cbranch_vccnz .LBB59_906
; %bb.905:
	s_clause 0x3
	buffer_load_dword v129, v9, s[0:3], 0 offen offset:8
	buffer_load_dword v130, v9, s[0:3], 0 offen offset:12
	buffer_load_dword v131, v9, s[0:3], 0 offen
	buffer_load_dword v132, v9, s[0:3], 0 offen offset:4
	s_waitcnt vmcnt(2) lgkmcnt(0)
	v_mul_f64 v[133:134], v[3:4], v[129:130]
	v_mul_f64 v[129:130], v[1:2], v[129:130]
	s_waitcnt vmcnt(0)
	v_fma_f64 v[1:2], v[1:2], v[131:132], -v[133:134]
	v_fma_f64 v[3:4], v[3:4], v[131:132], v[129:130]
.LBB59_906:
	s_mov_b32 s6, exec_lo
	v_cmpx_ne_u32_e32 54, v0
	s_cbranch_execz .LBB59_910
; %bb.907:
	v_add_nc_u32_e32 v12, 0x3d0, v173
	v_add3_u32 v129, 0, v173, 16
	v_mov_b32_e32 v130, v0
	s_mov_b32 s8, 0
	.p2align	6
.LBB59_908:                             ; =>This Inner Loop Header: Depth=1
	s_clause 0x3
	buffer_load_dword v135, v129, s[0:3], 0 offen offset:8
	buffer_load_dword v136, v129, s[0:3], 0 offen offset:12
	buffer_load_dword v137, v129, s[0:3], 0 offen
	buffer_load_dword v138, v129, s[0:3], 0 offen offset:4
	ds_read_b128 v[131:134], v12
	v_add_nc_u32_e32 v130, 1, v130
	v_add_nc_u32_e32 v12, 16, v12
	;; [unrolled: 1-line block ×3, first 2 shown]
	v_cmp_lt_u32_e32 vcc_lo, 53, v130
	s_or_b32 s8, vcc_lo, s8
	s_waitcnt vmcnt(2) lgkmcnt(0)
	v_mul_f64 v[139:140], v[133:134], v[135:136]
	v_mul_f64 v[135:136], v[131:132], v[135:136]
	s_waitcnt vmcnt(0)
	v_fma_f64 v[131:132], v[131:132], v[137:138], -v[139:140]
	v_fma_f64 v[133:134], v[133:134], v[137:138], v[135:136]
	v_add_f64 v[1:2], v[1:2], v[131:132]
	v_add_f64 v[3:4], v[3:4], v[133:134]
	s_andn2_b32 exec_lo, exec_lo, s8
	s_cbranch_execnz .LBB59_908
; %bb.909:
	s_or_b32 exec_lo, exec_lo, s8
.LBB59_910:
	s_or_b32 exec_lo, exec_lo, s6
	v_mov_b32_e32 v12, 0
	ds_read_b128 v[129:132], v12 offset:880
	s_waitcnt lgkmcnt(0)
	v_mul_f64 v[133:134], v[3:4], v[131:132]
	v_mul_f64 v[131:132], v[1:2], v[131:132]
	v_fma_f64 v[1:2], v[1:2], v[129:130], -v[133:134]
	v_fma_f64 v[3:4], v[3:4], v[129:130], v[131:132]
	buffer_store_dword v2, off, s[0:3], 0 offset:884
	buffer_store_dword v1, off, s[0:3], 0 offset:880
	;; [unrolled: 1-line block ×4, first 2 shown]
.LBB59_911:
	s_or_b32 exec_lo, exec_lo, s4
	v_mov_b32_e32 v4, s11
	s_mov_b32 s4, exec_lo
	s_clause 0x3
	buffer_load_dword v1, v4, s[0:3], 0 offen
	buffer_load_dword v2, v4, s[0:3], 0 offen offset:4
	buffer_load_dword v3, v4, s[0:3], 0 offen offset:8
	;; [unrolled: 1-line block ×3, first 2 shown]
	s_waitcnt vmcnt(0)
	ds_write_b128 v10, v[1:4]
	s_waitcnt lgkmcnt(0)
	s_waitcnt_vscnt null, 0x0
	s_barrier
	buffer_gl0_inv
	v_cmpx_gt_u32_e32 56, v0
	s_cbranch_execz .LBB59_919
; %bb.912:
	ds_read_b128 v[1:4], v10
	v_cmp_ne_u32_e32 vcc_lo, 1, v11
	s_cbranch_vccnz .LBB59_914
; %bb.913:
	s_clause 0x3
	buffer_load_dword v129, v9, s[0:3], 0 offen offset:8
	buffer_load_dword v130, v9, s[0:3], 0 offen offset:12
	buffer_load_dword v131, v9, s[0:3], 0 offen
	buffer_load_dword v132, v9, s[0:3], 0 offen offset:4
	s_waitcnt vmcnt(2) lgkmcnt(0)
	v_mul_f64 v[133:134], v[3:4], v[129:130]
	v_mul_f64 v[129:130], v[1:2], v[129:130]
	s_waitcnt vmcnt(0)
	v_fma_f64 v[1:2], v[1:2], v[131:132], -v[133:134]
	v_fma_f64 v[3:4], v[3:4], v[131:132], v[129:130]
.LBB59_914:
	s_mov_b32 s6, exec_lo
	v_cmpx_ne_u32_e32 55, v0
	s_cbranch_execz .LBB59_918
; %bb.915:
	v_add_nc_u32_e32 v12, 0x3d0, v173
	v_add3_u32 v129, 0, v173, 16
	v_mov_b32_e32 v130, v0
	s_mov_b32 s8, 0
	.p2align	6
.LBB59_916:                             ; =>This Inner Loop Header: Depth=1
	s_clause 0x3
	buffer_load_dword v135, v129, s[0:3], 0 offen offset:8
	buffer_load_dword v136, v129, s[0:3], 0 offen offset:12
	buffer_load_dword v137, v129, s[0:3], 0 offen
	buffer_load_dword v138, v129, s[0:3], 0 offen offset:4
	ds_read_b128 v[131:134], v12
	v_add_nc_u32_e32 v130, 1, v130
	v_add_nc_u32_e32 v12, 16, v12
	;; [unrolled: 1-line block ×3, first 2 shown]
	v_cmp_lt_u32_e32 vcc_lo, 54, v130
	s_or_b32 s8, vcc_lo, s8
	s_waitcnt vmcnt(2) lgkmcnt(0)
	v_mul_f64 v[139:140], v[133:134], v[135:136]
	v_mul_f64 v[135:136], v[131:132], v[135:136]
	s_waitcnt vmcnt(0)
	v_fma_f64 v[131:132], v[131:132], v[137:138], -v[139:140]
	v_fma_f64 v[133:134], v[133:134], v[137:138], v[135:136]
	v_add_f64 v[1:2], v[1:2], v[131:132]
	v_add_f64 v[3:4], v[3:4], v[133:134]
	s_andn2_b32 exec_lo, exec_lo, s8
	s_cbranch_execnz .LBB59_916
; %bb.917:
	s_or_b32 exec_lo, exec_lo, s8
.LBB59_918:
	s_or_b32 exec_lo, exec_lo, s6
	v_mov_b32_e32 v12, 0
	ds_read_b128 v[129:132], v12 offset:896
	s_waitcnt lgkmcnt(0)
	v_mul_f64 v[133:134], v[3:4], v[131:132]
	v_mul_f64 v[131:132], v[1:2], v[131:132]
	v_fma_f64 v[1:2], v[1:2], v[129:130], -v[133:134]
	v_fma_f64 v[3:4], v[3:4], v[129:130], v[131:132]
	buffer_store_dword v2, off, s[0:3], 0 offset:900
	buffer_store_dword v1, off, s[0:3], 0 offset:896
	;; [unrolled: 1-line block ×4, first 2 shown]
.LBB59_919:
	s_or_b32 exec_lo, exec_lo, s4
	v_mov_b32_e32 v4, s10
	s_mov_b32 s4, exec_lo
	s_clause 0x3
	buffer_load_dword v1, v4, s[0:3], 0 offen
	buffer_load_dword v2, v4, s[0:3], 0 offen offset:4
	buffer_load_dword v3, v4, s[0:3], 0 offen offset:8
	buffer_load_dword v4, v4, s[0:3], 0 offen offset:12
	s_waitcnt vmcnt(0)
	ds_write_b128 v10, v[1:4]
	s_waitcnt lgkmcnt(0)
	s_waitcnt_vscnt null, 0x0
	s_barrier
	buffer_gl0_inv
	v_cmpx_gt_u32_e32 57, v0
	s_cbranch_execz .LBB59_927
; %bb.920:
	ds_read_b128 v[1:4], v10
	v_cmp_ne_u32_e32 vcc_lo, 1, v11
	s_cbranch_vccnz .LBB59_922
; %bb.921:
	s_clause 0x3
	buffer_load_dword v129, v9, s[0:3], 0 offen offset:8
	buffer_load_dword v130, v9, s[0:3], 0 offen offset:12
	buffer_load_dword v131, v9, s[0:3], 0 offen
	buffer_load_dword v132, v9, s[0:3], 0 offen offset:4
	s_waitcnt vmcnt(2) lgkmcnt(0)
	v_mul_f64 v[133:134], v[3:4], v[129:130]
	v_mul_f64 v[129:130], v[1:2], v[129:130]
	s_waitcnt vmcnt(0)
	v_fma_f64 v[1:2], v[1:2], v[131:132], -v[133:134]
	v_fma_f64 v[3:4], v[3:4], v[131:132], v[129:130]
.LBB59_922:
	s_mov_b32 s6, exec_lo
	v_cmpx_ne_u32_e32 56, v0
	s_cbranch_execz .LBB59_926
; %bb.923:
	v_add_nc_u32_e32 v12, 0x3d0, v173
	v_add3_u32 v129, 0, v173, 16
	v_mov_b32_e32 v130, v0
	s_mov_b32 s8, 0
	.p2align	6
.LBB59_924:                             ; =>This Inner Loop Header: Depth=1
	s_clause 0x3
	buffer_load_dword v135, v129, s[0:3], 0 offen offset:8
	buffer_load_dword v136, v129, s[0:3], 0 offen offset:12
	buffer_load_dword v137, v129, s[0:3], 0 offen
	buffer_load_dword v138, v129, s[0:3], 0 offen offset:4
	ds_read_b128 v[131:134], v12
	v_add_nc_u32_e32 v130, 1, v130
	v_add_nc_u32_e32 v12, 16, v12
	;; [unrolled: 1-line block ×3, first 2 shown]
	v_cmp_lt_u32_e32 vcc_lo, 55, v130
	s_or_b32 s8, vcc_lo, s8
	s_waitcnt vmcnt(2) lgkmcnt(0)
	v_mul_f64 v[139:140], v[133:134], v[135:136]
	v_mul_f64 v[135:136], v[131:132], v[135:136]
	s_waitcnt vmcnt(0)
	v_fma_f64 v[131:132], v[131:132], v[137:138], -v[139:140]
	v_fma_f64 v[133:134], v[133:134], v[137:138], v[135:136]
	v_add_f64 v[1:2], v[1:2], v[131:132]
	v_add_f64 v[3:4], v[3:4], v[133:134]
	s_andn2_b32 exec_lo, exec_lo, s8
	s_cbranch_execnz .LBB59_924
; %bb.925:
	s_or_b32 exec_lo, exec_lo, s8
.LBB59_926:
	s_or_b32 exec_lo, exec_lo, s6
	v_mov_b32_e32 v12, 0
	ds_read_b128 v[129:132], v12 offset:912
	s_waitcnt lgkmcnt(0)
	v_mul_f64 v[133:134], v[3:4], v[131:132]
	v_mul_f64 v[131:132], v[1:2], v[131:132]
	v_fma_f64 v[1:2], v[1:2], v[129:130], -v[133:134]
	v_fma_f64 v[3:4], v[3:4], v[129:130], v[131:132]
	buffer_store_dword v2, off, s[0:3], 0 offset:916
	buffer_store_dword v1, off, s[0:3], 0 offset:912
	;; [unrolled: 1-line block ×4, first 2 shown]
.LBB59_927:
	s_or_b32 exec_lo, exec_lo, s4
	v_mov_b32_e32 v4, s9
	v_cmp_gt_u32_e64 s4, 58, v0
	s_clause 0x3
	buffer_load_dword v1, v4, s[0:3], 0 offen
	buffer_load_dword v2, v4, s[0:3], 0 offen offset:4
	buffer_load_dword v3, v4, s[0:3], 0 offen offset:8
	;; [unrolled: 1-line block ×3, first 2 shown]
	s_waitcnt vmcnt(0)
	ds_write_b128 v10, v[1:4]
	s_waitcnt lgkmcnt(0)
	s_waitcnt_vscnt null, 0x0
	s_barrier
	buffer_gl0_inv
	s_and_saveexec_b32 s6, s4
	s_cbranch_execz .LBB59_935
; %bb.928:
	ds_read_b128 v[1:4], v10
	v_cmp_ne_u32_e32 vcc_lo, 1, v11
	s_cbranch_vccnz .LBB59_930
; %bb.929:
	s_clause 0x3
	buffer_load_dword v129, v9, s[0:3], 0 offen offset:8
	buffer_load_dword v130, v9, s[0:3], 0 offen offset:12
	buffer_load_dword v131, v9, s[0:3], 0 offen
	buffer_load_dword v132, v9, s[0:3], 0 offen offset:4
	s_waitcnt vmcnt(2) lgkmcnt(0)
	v_mul_f64 v[133:134], v[3:4], v[129:130]
	v_mul_f64 v[129:130], v[1:2], v[129:130]
	s_waitcnt vmcnt(0)
	v_fma_f64 v[1:2], v[1:2], v[131:132], -v[133:134]
	v_fma_f64 v[3:4], v[3:4], v[131:132], v[129:130]
.LBB59_930:
	s_mov_b32 s8, exec_lo
	v_cmpx_ne_u32_e32 57, v0
	s_cbranch_execz .LBB59_934
; %bb.931:
	v_add_nc_u32_e32 v12, 0x3d0, v173
	v_add3_u32 v129, 0, v173, 16
	v_mov_b32_e32 v130, v0
	s_mov_b32 s68, 0
	.p2align	6
.LBB59_932:                             ; =>This Inner Loop Header: Depth=1
	s_clause 0x3
	buffer_load_dword v135, v129, s[0:3], 0 offen offset:8
	buffer_load_dword v136, v129, s[0:3], 0 offen offset:12
	buffer_load_dword v137, v129, s[0:3], 0 offen
	buffer_load_dword v138, v129, s[0:3], 0 offen offset:4
	ds_read_b128 v[131:134], v12
	v_add_nc_u32_e32 v130, 1, v130
	v_add_nc_u32_e32 v12, 16, v12
	;; [unrolled: 1-line block ×3, first 2 shown]
	v_cmp_lt_u32_e32 vcc_lo, 56, v130
	s_or_b32 s68, vcc_lo, s68
	s_waitcnt vmcnt(2) lgkmcnt(0)
	v_mul_f64 v[139:140], v[133:134], v[135:136]
	v_mul_f64 v[135:136], v[131:132], v[135:136]
	s_waitcnt vmcnt(0)
	v_fma_f64 v[131:132], v[131:132], v[137:138], -v[139:140]
	v_fma_f64 v[133:134], v[133:134], v[137:138], v[135:136]
	v_add_f64 v[1:2], v[1:2], v[131:132]
	v_add_f64 v[3:4], v[3:4], v[133:134]
	s_andn2_b32 exec_lo, exec_lo, s68
	s_cbranch_execnz .LBB59_932
; %bb.933:
	s_or_b32 exec_lo, exec_lo, s68
.LBB59_934:
	s_or_b32 exec_lo, exec_lo, s8
	v_mov_b32_e32 v12, 0
	ds_read_b128 v[129:132], v12 offset:928
	s_waitcnt lgkmcnt(0)
	v_mul_f64 v[133:134], v[3:4], v[131:132]
	v_mul_f64 v[131:132], v[1:2], v[131:132]
	v_fma_f64 v[1:2], v[1:2], v[129:130], -v[133:134]
	v_fma_f64 v[3:4], v[3:4], v[129:130], v[131:132]
	buffer_store_dword v2, off, s[0:3], 0 offset:932
	buffer_store_dword v1, off, s[0:3], 0 offset:928
	;; [unrolled: 1-line block ×4, first 2 shown]
.LBB59_935:
	s_or_b32 exec_lo, exec_lo, s6
	v_mov_b32_e32 v4, s7
	s_mov_b32 s6, exec_lo
                                        ; implicit-def: $sgpr69
	s_clause 0x3
	buffer_load_dword v1, v4, s[0:3], 0 offen
	buffer_load_dword v2, v4, s[0:3], 0 offen offset:4
	buffer_load_dword v3, v4, s[0:3], 0 offen offset:8
	;; [unrolled: 1-line block ×3, first 2 shown]
	s_waitcnt vmcnt(0)
	ds_write_b128 v10, v[1:4]
	s_waitcnt lgkmcnt(0)
	s_waitcnt_vscnt null, 0x0
	s_barrier
	buffer_gl0_inv
                                        ; implicit-def: $vgpr1_vgpr2
	v_cmpx_ne_u32_e32 59, v0
	s_cbranch_execz .LBB59_943
; %bb.936:
	ds_read_b128 v[1:4], v10
	v_cmp_ne_u32_e32 vcc_lo, 1, v11
	s_cbranch_vccnz .LBB59_938
; %bb.937:
	s_clause 0x3
	buffer_load_dword v10, v9, s[0:3], 0 offen offset:8
	buffer_load_dword v11, v9, s[0:3], 0 offen offset:12
	buffer_load_dword v129, v9, s[0:3], 0 offen
	buffer_load_dword v130, v9, s[0:3], 0 offen offset:4
	s_waitcnt vmcnt(2) lgkmcnt(0)
	v_mul_f64 v[131:132], v[3:4], v[10:11]
	v_mul_f64 v[9:10], v[1:2], v[10:11]
	s_waitcnt vmcnt(0)
	v_fma_f64 v[1:2], v[1:2], v[129:130], -v[131:132]
	v_fma_f64 v[3:4], v[3:4], v[129:130], v[9:10]
.LBB59_938:
	s_and_saveexec_b32 s8, s4
	s_cbranch_execz .LBB59_942
; %bb.939:
	v_add_nc_u32_e32 v9, 0x3d0, v173
	v_add3_u32 v10, 0, v173, 16
	s_mov_b32 s4, 0
	.p2align	6
.LBB59_940:                             ; =>This Inner Loop Header: Depth=1
	s_clause 0x3
	buffer_load_dword v11, v10, s[0:3], 0 offen offset:8
	buffer_load_dword v12, v10, s[0:3], 0 offen offset:12
	buffer_load_dword v133, v10, s[0:3], 0 offen
	buffer_load_dword v134, v10, s[0:3], 0 offen offset:4
	ds_read_b128 v[129:132], v9
	v_add_nc_u32_e32 v0, 1, v0
	v_add_nc_u32_e32 v9, 16, v9
	;; [unrolled: 1-line block ×3, first 2 shown]
	v_cmp_lt_u32_e32 vcc_lo, 57, v0
	s_or_b32 s4, vcc_lo, s4
	s_waitcnt vmcnt(2) lgkmcnt(0)
	v_mul_f64 v[135:136], v[131:132], v[11:12]
	v_mul_f64 v[11:12], v[129:130], v[11:12]
	s_waitcnt vmcnt(0)
	v_fma_f64 v[129:130], v[129:130], v[133:134], -v[135:136]
	v_fma_f64 v[11:12], v[131:132], v[133:134], v[11:12]
	v_add_f64 v[1:2], v[1:2], v[129:130]
	v_add_f64 v[3:4], v[3:4], v[11:12]
	s_andn2_b32 exec_lo, exec_lo, s4
	s_cbranch_execnz .LBB59_940
; %bb.941:
	s_or_b32 exec_lo, exec_lo, s4
.LBB59_942:
	s_or_b32 exec_lo, exec_lo, s8
	v_mov_b32_e32 v0, 0
	s_movk_i32 s69, 0x3b8
	s_or_b32 s5, s5, exec_lo
	ds_read_b128 v[9:12], v0 offset:944
	s_waitcnt lgkmcnt(0)
	v_mul_f64 v[129:130], v[3:4], v[11:12]
	v_mul_f64 v[11:12], v[1:2], v[11:12]
	v_fma_f64 v[129:130], v[1:2], v[9:10], -v[129:130]
	v_fma_f64 v[1:2], v[3:4], v[9:10], v[11:12]
	buffer_store_dword v130, off, s[0:3], 0 offset:948
	buffer_store_dword v129, off, s[0:3], 0 offset:944
.LBB59_943:
	s_or_b32 exec_lo, exec_lo, s6
.LBB59_944:
	s_and_saveexec_b32 s4, s5
	s_cbranch_execz .LBB59_946
; %bb.945:
	v_mov_b32_e32 v0, s69
	buffer_store_dword v2, v0, s[0:3], 0 offen offset:4
	buffer_store_dword v1, v0, s[0:3], 0 offen
.LBB59_946:
	s_or_b32 exec_lo, exec_lo, s4
	v_mov_b32_e32 v3, s67
	v_mov_b32_e32 v12, s65
	;; [unrolled: 1-line block ×5, first 2 shown]
	s_clause 0x13
	buffer_load_dword v0, v3, s[0:3], 0 offen
	buffer_load_dword v1, v3, s[0:3], 0 offen offset:4
	buffer_load_dword v2, v3, s[0:3], 0 offen offset:8
	buffer_load_dword v3, v3, s[0:3], 0 offen offset:12
	buffer_load_dword v9, v12, s[0:3], 0 offen
	buffer_load_dword v10, v12, s[0:3], 0 offen offset:4
	buffer_load_dword v11, v12, s[0:3], 0 offen offset:8
	buffer_load_dword v12, v12, s[0:3], 0 offen offset:12
	;; [unrolled: 4-line block ×4, first 2 shown]
	buffer_load_dword v137, off, s[0:3], 0
	buffer_load_dword v138, off, s[0:3], 0 offset:4
	buffer_load_dword v139, off, s[0:3], 0 offset:8
	buffer_load_dword v140, off, s[0:3], 0 offset:12
	v_mov_b32_e32 v4, s63
	v_mov_b32_e32 v151, s17
	;; [unrolled: 1-line block ×9, first 2 shown]
	s_waitcnt vmcnt(0)
	global_store_dwordx4 v[15:16], v[137:140], off
	s_clause 0x3
	buffer_load_dword v137, v4, s[0:3], 0 offen
	buffer_load_dword v138, v4, s[0:3], 0 offen offset:4
	buffer_load_dword v139, v4, s[0:3], 0 offen offset:8
	;; [unrolled: 1-line block ×3, first 2 shown]
	v_mov_b32_e32 v4, s62
	global_store_dwordx4 v[13:14], v[133:136], off
	s_clause 0x3
	buffer_load_dword v13, v4, s[0:3], 0 offen
	buffer_load_dword v14, v4, s[0:3], 0 offen offset:4
	buffer_load_dword v15, v4, s[0:3], 0 offen offset:8
	;; [unrolled: 1-line block ×3, first 2 shown]
	v_mov_b32_e32 v4, s61
	s_clause 0x3
	buffer_load_dword v133, v4, s[0:3], 0 offen
	buffer_load_dword v134, v4, s[0:3], 0 offen offset:4
	buffer_load_dword v135, v4, s[0:3], 0 offen offset:8
	buffer_load_dword v136, v4, s[0:3], 0 offen offset:12
	global_store_dwordx4 v[123:124], v[0:3], off
	v_mov_b32_e32 v3, s60
	s_clause 0x3
	buffer_load_dword v0, v3, s[0:3], 0 offen
	buffer_load_dword v1, v3, s[0:3], 0 offen offset:4
	buffer_load_dword v2, v3, s[0:3], 0 offen offset:8
	;; [unrolled: 1-line block ×3, first 2 shown]
	v_mov_b32_e32 v4, s59
	global_store_dwordx4 v[125:126], v[9:12], off
	s_clause 0x3
	buffer_load_dword v9, v4, s[0:3], 0 offen
	buffer_load_dword v10, v4, s[0:3], 0 offen offset:4
	buffer_load_dword v11, v4, s[0:3], 0 offen offset:8
	;; [unrolled: 1-line block ×3, first 2 shown]
	v_mov_b32_e32 v4, s58
	s_clause 0x3
	buffer_load_dword v123, v4, s[0:3], 0 offen
	buffer_load_dword v124, v4, s[0:3], 0 offen offset:4
	buffer_load_dword v125, v4, s[0:3], 0 offen offset:8
	;; [unrolled: 1-line block ×3, first 2 shown]
	v_mov_b32_e32 v4, s57
	global_store_dwordx4 v[127:128], v[129:132], off
	s_clause 0x3
	buffer_load_dword v127, v4, s[0:3], 0 offen
	buffer_load_dword v128, v4, s[0:3], 0 offen offset:4
	buffer_load_dword v129, v4, s[0:3], 0 offen offset:8
	;; [unrolled: 1-line block ×3, first 2 shown]
	v_mov_b32_e32 v4, s56
	s_waitcnt vmcnt(24)
	global_store_dwordx4 v[121:122], v[137:140], off
	s_clause 0x3
	buffer_load_dword v137, v4, s[0:3], 0 offen
	buffer_load_dword v138, v4, s[0:3], 0 offen offset:4
	buffer_load_dword v139, v4, s[0:3], 0 offen offset:8
	;; [unrolled: 1-line block ×3, first 2 shown]
	v_mov_b32_e32 v4, s55
	v_mov_b32_e32 v122, s54
	s_waitcnt vmcnt(24)
	global_store_dwordx4 v[119:120], v[13:16], off
	s_clause 0x7
	buffer_load_dword v13, v4, s[0:3], 0 offen
	buffer_load_dword v14, v4, s[0:3], 0 offen offset:4
	buffer_load_dword v15, v4, s[0:3], 0 offen offset:8
	;; [unrolled: 1-line block ×3, first 2 shown]
	buffer_load_dword v119, v122, s[0:3], 0 offen
	buffer_load_dword v120, v122, s[0:3], 0 offen offset:4
	buffer_load_dword v121, v122, s[0:3], 0 offen offset:8
	;; [unrolled: 1-line block ×3, first 2 shown]
	v_mov_b32_e32 v4, s53
	s_waitcnt vmcnt(28)
	global_store_dwordx4 v[117:118], v[133:136], off
	s_clause 0x3
	buffer_load_dword v131, v4, s[0:3], 0 offen
	buffer_load_dword v132, v4, s[0:3], 0 offen offset:4
	buffer_load_dword v133, v4, s[0:3], 0 offen offset:8
	;; [unrolled: 1-line block ×3, first 2 shown]
	v_mov_b32_e32 v4, s52
	v_mov_b32_e32 v117, s45
	s_clause 0x3
	buffer_load_dword v141, v4, s[0:3], 0 offen
	buffer_load_dword v142, v4, s[0:3], 0 offen offset:4
	buffer_load_dword v143, v4, s[0:3], 0 offen offset:8
	buffer_load_dword v144, v4, s[0:3], 0 offen offset:12
	s_waitcnt vmcnt(32)
	global_store_dwordx4 v[115:116], v[0:3], off
	v_mov_b32_e32 v3, s51
	s_clause 0x3
	buffer_load_dword v0, v3, s[0:3], 0 offen
	buffer_load_dword v1, v3, s[0:3], 0 offen offset:4
	buffer_load_dword v2, v3, s[0:3], 0 offen offset:8
	;; [unrolled: 1-line block ×3, first 2 shown]
	v_mov_b32_e32 v4, s50
	s_waitcnt vmcnt(32)
	global_store_dwordx4 v[113:114], v[9:12], off
	s_clause 0x3
	buffer_load_dword v9, v4, s[0:3], 0 offen
	buffer_load_dword v10, v4, s[0:3], 0 offen offset:4
	buffer_load_dword v11, v4, s[0:3], 0 offen offset:8
	;; [unrolled: 1-line block ×3, first 2 shown]
	v_mov_b32_e32 v4, s49
	s_clause 0x3
	buffer_load_dword v113, v4, s[0:3], 0 offen
	buffer_load_dword v114, v4, s[0:3], 0 offen offset:4
	buffer_load_dword v115, v4, s[0:3], 0 offen offset:8
	buffer_load_dword v116, v4, s[0:3], 0 offen offset:12
	v_mov_b32_e32 v4, s48
	s_waitcnt vmcnt(36)
	global_store_dwordx4 v[111:112], v[123:126], off
	s_clause 0x3
	buffer_load_dword v123, v4, s[0:3], 0 offen
	buffer_load_dword v124, v4, s[0:3], 0 offen offset:4
	buffer_load_dword v125, v4, s[0:3], 0 offen offset:8
	buffer_load_dword v126, v4, s[0:3], 0 offen offset:12
	v_mov_b32_e32 v4, s47
	s_waitcnt vmcnt(36)
	global_store_dwordx4 v[109:110], v[127:130], off
	;; [unrolled: 8-line block ×3, first 2 shown]
	s_clause 0x3
	buffer_load_dword v127, v4, s[0:3], 0 offen
	buffer_load_dword v128, v4, s[0:3], 0 offen offset:4
	buffer_load_dword v129, v4, s[0:3], 0 offen offset:8
	;; [unrolled: 1-line block ×3, first 2 shown]
	v_mov_b32_e32 v4, s44
	v_mov_b32_e32 v107, s43
	s_clause 0x3
	buffer_load_dword v135, v117, s[0:3], 0 offen
	buffer_load_dword v136, v117, s[0:3], 0 offen offset:4
	buffer_load_dword v137, v117, s[0:3], 0 offen offset:8
	;; [unrolled: 1-line block ×3, first 2 shown]
	s_waitcnt vmcnt(40)
	global_store_dwordx4 v[105:106], v[13:16], off
	s_clause 0x3
	buffer_load_dword v13, v4, s[0:3], 0 offen
	buffer_load_dword v14, v4, s[0:3], 0 offen offset:4
	buffer_load_dword v15, v4, s[0:3], 0 offen offset:8
	;; [unrolled: 1-line block ×3, first 2 shown]
	v_mov_b32_e32 v4, s42
	s_waitcnt vmcnt(40)
	global_store_dwordx4 v[103:104], v[119:122], off
	s_clause 0x7
	buffer_load_dword v103, v107, s[0:3], 0 offen
	buffer_load_dword v104, v107, s[0:3], 0 offen offset:4
	buffer_load_dword v105, v107, s[0:3], 0 offen offset:8
	;; [unrolled: 1-line block ×3, first 2 shown]
	buffer_load_dword v117, v4, s[0:3], 0 offen
	buffer_load_dword v118, v4, s[0:3], 0 offen offset:4
	buffer_load_dword v119, v4, s[0:3], 0 offen offset:8
	;; [unrolled: 1-line block ×3, first 2 shown]
	v_mov_b32_e32 v4, s41
	v_mov_b32_e32 v107, s40
	s_waitcnt vmcnt(44)
	global_store_dwordx4 v[99:100], v[131:134], off
	s_clause 0x7
	buffer_load_dword v131, v4, s[0:3], 0 offen
	buffer_load_dword v132, v4, s[0:3], 0 offen offset:4
	buffer_load_dword v133, v4, s[0:3], 0 offen offset:8
	;; [unrolled: 1-line block ×3, first 2 shown]
	buffer_load_dword v145, v107, s[0:3], 0 offen
	buffer_load_dword v146, v107, s[0:3], 0 offen offset:4
	buffer_load_dword v147, v107, s[0:3], 0 offen offset:8
	;; [unrolled: 1-line block ×3, first 2 shown]
	v_mov_b32_e32 v4, s39
	s_waitcnt vmcnt(48)
	global_store_dwordx4 v[101:102], v[141:144], off
	s_clause 0x3
	buffer_load_dword v99, v4, s[0:3], 0 offen
	buffer_load_dword v100, v4, s[0:3], 0 offen offset:4
	buffer_load_dword v101, v4, s[0:3], 0 offen offset:8
	;; [unrolled: 1-line block ×3, first 2 shown]
	v_mov_b32_e32 v4, s38
	v_mov_b32_e32 v107, s37
	s_waitcnt vmcnt(48)
	global_store_dwordx4 v[95:96], v[0:3], off
	s_clause 0x7
	buffer_load_dword v0, v4, s[0:3], 0 offen
	buffer_load_dword v1, v4, s[0:3], 0 offen offset:4
	buffer_load_dword v2, v4, s[0:3], 0 offen offset:8
	;; [unrolled: 1-line block ×3, first 2 shown]
	buffer_load_dword v139, v107, s[0:3], 0 offen
	buffer_load_dword v140, v107, s[0:3], 0 offen offset:4
	buffer_load_dword v141, v107, s[0:3], 0 offen offset:8
	buffer_load_dword v142, v107, s[0:3], 0 offen offset:12
	v_mov_b32_e32 v4, s36
	v_mov_b32_e32 v143, s23
	s_waitcnt vmcnt(52)
	global_store_dwordx4 v[97:98], v[9:12], off
	s_clause 0x3
	buffer_load_dword v9, v4, s[0:3], 0 offen
	buffer_load_dword v10, v4, s[0:3], 0 offen offset:4
	buffer_load_dword v11, v4, s[0:3], 0 offen offset:8
	buffer_load_dword v12, v4, s[0:3], 0 offen offset:12
	v_mov_b32_e32 v4, s35
	v_mov_b32_e32 v97, s33
	s_waitcnt vmcnt(52)
	global_store_dwordx4 v[93:94], v[113:116], off
	s_clause 0x3
	;; [unrolled: 9-line block ×3, first 2 shown]
	buffer_load_dword v113, v4, s[0:3], 0 offen
	buffer_load_dword v114, v4, s[0:3], 0 offen offset:4
	buffer_load_dword v115, v4, s[0:3], 0 offen offset:8
	;; [unrolled: 1-line block ×3, first 2 shown]
	v_mov_b32_e32 v4, s31
	s_clause 0x3
	buffer_load_dword v121, v97, s[0:3], 0 offen
	buffer_load_dword v122, v97, s[0:3], 0 offen offset:4
	buffer_load_dword v123, v97, s[0:3], 0 offen offset:8
	;; [unrolled: 1-line block ×3, first 2 shown]
	s_waitcnt vmcnt(56)
	global_store_dwordx4 v[89:90], v[109:112], off
	s_clause 0x3
	buffer_load_dword v89, v4, s[0:3], 0 offen
	buffer_load_dword v90, v4, s[0:3], 0 offen offset:4
	buffer_load_dword v91, v4, s[0:3], 0 offen offset:8
	;; [unrolled: 1-line block ×3, first 2 shown]
	v_mov_b32_e32 v4, s30
	v_mov_b32_e32 v97, s29
	;; [unrolled: 1-line block ×5, first 2 shown]
	s_waitcnt vmcnt(56)
	global_store_dwordx4 v[83:84], v[127:130], off
	v_mov_b32_e32 v84, s25
	v_mov_b32_e32 v83, s26
	s_waitcnt vmcnt(52)
	global_store_dwordx4 v[69:70], v[135:138], off
	v_mov_b32_e32 v70, s19
	v_mov_b32_e32 v69, s20
	s_waitcnt vmcnt(48)
	global_store_dwordx4 v[55:56], v[13:16], off
	s_waitcnt vmcnt(44)
	global_store_dwordx4 v[7:8], v[103:106], off
	s_clause 0x3
	buffer_load_dword v13, v4, s[0:3], 0 offen
	buffer_load_dword v14, v4, s[0:3], 0 offen offset:4
	buffer_load_dword v15, v4, s[0:3], 0 offen offset:8
	;; [unrolled: 1-line block ×3, first 2 shown]
	s_waitcnt vmcnt(44)
	global_store_dwordx4 v[21:22], v[117:120], off
	s_clause 0x7
	buffer_load_dword v103, v97, s[0:3], 0 offen
	buffer_load_dword v104, v97, s[0:3], 0 offen offset:4
	buffer_load_dword v105, v97, s[0:3], 0 offen offset:8
	;; [unrolled: 1-line block ×3, first 2 shown]
	buffer_load_dword v107, v98, s[0:3], 0 offen
	buffer_load_dword v108, v98, s[0:3], 0 offen offset:4
	buffer_load_dword v109, v98, s[0:3], 0 offen offset:8
	;; [unrolled: 1-line block ×3, first 2 shown]
	s_waitcnt vmcnt(48)
	global_store_dwordx4 v[23:24], v[131:134], off
	s_clause 0x7
	buffer_load_dword v21, v111, s[0:3], 0 offen
	buffer_load_dword v22, v111, s[0:3], 0 offen offset:4
	buffer_load_dword v23, v111, s[0:3], 0 offen offset:8
	;; [unrolled: 1-line block ×3, first 2 shown]
	buffer_load_dword v117, v83, s[0:3], 0 offen
	buffer_load_dword v118, v83, s[0:3], 0 offen offset:4
	buffer_load_dword v119, v83, s[0:3], 0 offen offset:8
	;; [unrolled: 1-line block ×3, first 2 shown]
	v_mov_b32_e32 v56, s13
	v_mov_b32_e32 v55, s14
	s_waitcnt vmcnt(52)
	global_store_dwordx4 v[25:26], v[145:148], off
	s_clause 0x7
	buffer_load_dword v125, v84, s[0:3], 0 offen
	buffer_load_dword v126, v84, s[0:3], 0 offen offset:4
	buffer_load_dword v127, v84, s[0:3], 0 offen offset:8
	;; [unrolled: 1-line block ×3, first 2 shown]
	buffer_load_dword v129, v112, s[0:3], 0 offen
	buffer_load_dword v130, v112, s[0:3], 0 offen offset:4
	buffer_load_dword v131, v112, s[0:3], 0 offen offset:8
	;; [unrolled: 1-line block ×3, first 2 shown]
	v_mov_b32_e32 v4, s7
	s_waitcnt vmcnt(56)
	global_store_dwordx4 v[27:28], v[99:102], off
	s_clause 0x7
	buffer_load_dword v25, v143, s[0:3], 0 offen
	buffer_load_dword v26, v143, s[0:3], 0 offen offset:4
	buffer_load_dword v27, v143, s[0:3], 0 offen offset:8
	buffer_load_dword v28, v143, s[0:3], 0 offen offset:12
	buffer_load_dword v97, v144, s[0:3], 0 offen
	buffer_load_dword v98, v144, s[0:3], 0 offen offset:4
	buffer_load_dword v99, v144, s[0:3], 0 offen offset:8
	buffer_load_dword v100, v144, s[0:3], 0 offen offset:12
	s_waitcnt vmcnt(60)
	global_store_dwordx4 v[29:30], v[0:3], off
	s_clause 0x7
	buffer_load_dword v0, v149, s[0:3], 0 offen
	buffer_load_dword v1, v149, s[0:3], 0 offen offset:4
	buffer_load_dword v2, v149, s[0:3], 0 offen offset:8
	buffer_load_dword v3, v149, s[0:3], 0 offen offset:12
	buffer_load_dword v133, v69, s[0:3], 0 offen
	buffer_load_dword v134, v69, s[0:3], 0 offen offset:4
	buffer_load_dword v135, v69, s[0:3], 0 offen offset:8
	buffer_load_dword v136, v69, s[0:3], 0 offen offset:12
	;; [unrolled: 11-line block ×4, first 2 shown]
	global_store_dwordx4 v[35:36], v[93:96], off
	s_clause 0x7
	buffer_load_dword v33, v153, s[0:3], 0 offen
	buffer_load_dword v34, v153, s[0:3], 0 offen offset:4
	buffer_load_dword v35, v153, s[0:3], 0 offen offset:8
	buffer_load_dword v36, v153, s[0:3], 0 offen offset:12
	buffer_load_dword v93, v55, s[0:3], 0 offen
	buffer_load_dword v94, v55, s[0:3], 0 offen offset:4
	buffer_load_dword v95, v55, s[0:3], 0 offen offset:8
	;; [unrolled: 1-line block ×3, first 2 shown]
	s_waitcnt vmcnt(62)
	global_store_dwordx4 v[37:38], v[113:116], off
	s_clause 0x7
	buffer_load_dword v111, v56, s[0:3], 0 offen
	buffer_load_dword v112, v56, s[0:3], 0 offen offset:4
	buffer_load_dword v113, v56, s[0:3], 0 offen offset:8
	;; [unrolled: 1-line block ×3, first 2 shown]
	buffer_load_dword v145, v154, s[0:3], 0 offen
	buffer_load_dword v146, v154, s[0:3], 0 offen offset:4
	buffer_load_dword v147, v154, s[0:3], 0 offen offset:8
	;; [unrolled: 1-line block ×3, first 2 shown]
	global_store_dwordx4 v[39:40], v[121:124], off
	global_store_dwordx4 v[43:44], v[89:92], off
	s_clause 0xf
	buffer_load_dword v37, v155, s[0:3], 0 offen
	buffer_load_dword v38, v155, s[0:3], 0 offen offset:4
	buffer_load_dword v39, v155, s[0:3], 0 offen offset:8
	buffer_load_dword v40, v155, s[0:3], 0 offen offset:12
	buffer_load_dword v89, v156, s[0:3], 0 offen
	buffer_load_dword v90, v156, s[0:3], 0 offen offset:4
	buffer_load_dword v91, v156, s[0:3], 0 offen offset:8
	buffer_load_dword v92, v156, s[0:3], 0 offen offset:12
	;; [unrolled: 4-line block ×4, first 2 shown]
	global_store_dwordx4 v[5:6], v[13:16], off
	s_waitcnt vmcnt(62)
	global_store_dwordx4 v[19:20], v[103:106], off
	global_store_dwordx4 v[41:42], v[107:110], off
	;; [unrolled: 1-line block ×6, first 2 shown]
	s_waitcnt vmcnt(60)
	global_store_dwordx4 v[53:54], v[25:28], off
	s_waitcnt vmcnt(56)
	global_store_dwordx4 v[57:58], v[97:100], off
	;; [unrolled: 2-line block ×16, first 2 shown]
.LBB59_947:
	s_endpgm
	.section	.rodata,"a",@progbits
	.p2align	6, 0x0
	.amdhsa_kernel _ZN9rocsolver6v33100L18trti2_kernel_smallILi60E19rocblas_complex_numIdEPS3_EEv13rocblas_fill_17rocblas_diagonal_T1_iil
		.amdhsa_group_segment_fixed_size 1920
		.amdhsa_private_segment_fixed_size 976
		.amdhsa_kernarg_size 32
		.amdhsa_user_sgpr_count 6
		.amdhsa_user_sgpr_private_segment_buffer 1
		.amdhsa_user_sgpr_dispatch_ptr 0
		.amdhsa_user_sgpr_queue_ptr 0
		.amdhsa_user_sgpr_kernarg_segment_ptr 1
		.amdhsa_user_sgpr_dispatch_id 0
		.amdhsa_user_sgpr_flat_scratch_init 0
		.amdhsa_user_sgpr_private_segment_size 0
		.amdhsa_wavefront_size32 1
		.amdhsa_uses_dynamic_stack 0
		.amdhsa_system_sgpr_private_segment_wavefront_offset 1
		.amdhsa_system_sgpr_workgroup_id_x 1
		.amdhsa_system_sgpr_workgroup_id_y 0
		.amdhsa_system_sgpr_workgroup_id_z 0
		.amdhsa_system_sgpr_workgroup_info 0
		.amdhsa_system_vgpr_workitem_id 0
		.amdhsa_next_free_vgpr 174
		.amdhsa_next_free_sgpr 93
		.amdhsa_reserve_vcc 1
		.amdhsa_reserve_flat_scratch 0
		.amdhsa_float_round_mode_32 0
		.amdhsa_float_round_mode_16_64 0
		.amdhsa_float_denorm_mode_32 3
		.amdhsa_float_denorm_mode_16_64 3
		.amdhsa_dx10_clamp 1
		.amdhsa_ieee_mode 1
		.amdhsa_fp16_overflow 0
		.amdhsa_workgroup_processor_mode 1
		.amdhsa_memory_ordered 1
		.amdhsa_forward_progress 1
		.amdhsa_shared_vgpr_count 0
		.amdhsa_exception_fp_ieee_invalid_op 0
		.amdhsa_exception_fp_denorm_src 0
		.amdhsa_exception_fp_ieee_div_zero 0
		.amdhsa_exception_fp_ieee_overflow 0
		.amdhsa_exception_fp_ieee_underflow 0
		.amdhsa_exception_fp_ieee_inexact 0
		.amdhsa_exception_int_div_zero 0
	.end_amdhsa_kernel
	.section	.text._ZN9rocsolver6v33100L18trti2_kernel_smallILi60E19rocblas_complex_numIdEPS3_EEv13rocblas_fill_17rocblas_diagonal_T1_iil,"axG",@progbits,_ZN9rocsolver6v33100L18trti2_kernel_smallILi60E19rocblas_complex_numIdEPS3_EEv13rocblas_fill_17rocblas_diagonal_T1_iil,comdat
.Lfunc_end59:
	.size	_ZN9rocsolver6v33100L18trti2_kernel_smallILi60E19rocblas_complex_numIdEPS3_EEv13rocblas_fill_17rocblas_diagonal_T1_iil, .Lfunc_end59-_ZN9rocsolver6v33100L18trti2_kernel_smallILi60E19rocblas_complex_numIdEPS3_EEv13rocblas_fill_17rocblas_diagonal_T1_iil
                                        ; -- End function
	.set _ZN9rocsolver6v33100L18trti2_kernel_smallILi60E19rocblas_complex_numIdEPS3_EEv13rocblas_fill_17rocblas_diagonal_T1_iil.num_vgpr, 174
	.set _ZN9rocsolver6v33100L18trti2_kernel_smallILi60E19rocblas_complex_numIdEPS3_EEv13rocblas_fill_17rocblas_diagonal_T1_iil.num_agpr, 0
	.set _ZN9rocsolver6v33100L18trti2_kernel_smallILi60E19rocblas_complex_numIdEPS3_EEv13rocblas_fill_17rocblas_diagonal_T1_iil.numbered_sgpr, 93
	.set _ZN9rocsolver6v33100L18trti2_kernel_smallILi60E19rocblas_complex_numIdEPS3_EEv13rocblas_fill_17rocblas_diagonal_T1_iil.num_named_barrier, 0
	.set _ZN9rocsolver6v33100L18trti2_kernel_smallILi60E19rocblas_complex_numIdEPS3_EEv13rocblas_fill_17rocblas_diagonal_T1_iil.private_seg_size, 976
	.set _ZN9rocsolver6v33100L18trti2_kernel_smallILi60E19rocblas_complex_numIdEPS3_EEv13rocblas_fill_17rocblas_diagonal_T1_iil.uses_vcc, 1
	.set _ZN9rocsolver6v33100L18trti2_kernel_smallILi60E19rocblas_complex_numIdEPS3_EEv13rocblas_fill_17rocblas_diagonal_T1_iil.uses_flat_scratch, 0
	.set _ZN9rocsolver6v33100L18trti2_kernel_smallILi60E19rocblas_complex_numIdEPS3_EEv13rocblas_fill_17rocblas_diagonal_T1_iil.has_dyn_sized_stack, 0
	.set _ZN9rocsolver6v33100L18trti2_kernel_smallILi60E19rocblas_complex_numIdEPS3_EEv13rocblas_fill_17rocblas_diagonal_T1_iil.has_recursion, 0
	.set _ZN9rocsolver6v33100L18trti2_kernel_smallILi60E19rocblas_complex_numIdEPS3_EEv13rocblas_fill_17rocblas_diagonal_T1_iil.has_indirect_call, 0
	.section	.AMDGPU.csdata,"",@progbits
; Kernel info:
; codeLenInByte = 61152
; TotalNumSgprs: 95
; NumVgprs: 174
; ScratchSize: 976
; MemoryBound: 0
; FloatMode: 240
; IeeeMode: 1
; LDSByteSize: 1920 bytes/workgroup (compile time only)
; SGPRBlocks: 0
; VGPRBlocks: 21
; NumSGPRsForWavesPerEU: 95
; NumVGPRsForWavesPerEU: 174
; Occupancy: 5
; WaveLimiterHint : 0
; COMPUTE_PGM_RSRC2:SCRATCH_EN: 1
; COMPUTE_PGM_RSRC2:USER_SGPR: 6
; COMPUTE_PGM_RSRC2:TRAP_HANDLER: 0
; COMPUTE_PGM_RSRC2:TGID_X_EN: 1
; COMPUTE_PGM_RSRC2:TGID_Y_EN: 0
; COMPUTE_PGM_RSRC2:TGID_Z_EN: 0
; COMPUTE_PGM_RSRC2:TIDIG_COMP_CNT: 0
	.section	.text._ZN9rocsolver6v33100L18trti2_kernel_smallILi61E19rocblas_complex_numIdEPS3_EEv13rocblas_fill_17rocblas_diagonal_T1_iil,"axG",@progbits,_ZN9rocsolver6v33100L18trti2_kernel_smallILi61E19rocblas_complex_numIdEPS3_EEv13rocblas_fill_17rocblas_diagonal_T1_iil,comdat
	.globl	_ZN9rocsolver6v33100L18trti2_kernel_smallILi61E19rocblas_complex_numIdEPS3_EEv13rocblas_fill_17rocblas_diagonal_T1_iil ; -- Begin function _ZN9rocsolver6v33100L18trti2_kernel_smallILi61E19rocblas_complex_numIdEPS3_EEv13rocblas_fill_17rocblas_diagonal_T1_iil
	.p2align	8
	.type	_ZN9rocsolver6v33100L18trti2_kernel_smallILi61E19rocblas_complex_numIdEPS3_EEv13rocblas_fill_17rocblas_diagonal_T1_iil,@function
_ZN9rocsolver6v33100L18trti2_kernel_smallILi61E19rocblas_complex_numIdEPS3_EEv13rocblas_fill_17rocblas_diagonal_T1_iil: ; @_ZN9rocsolver6v33100L18trti2_kernel_smallILi61E19rocblas_complex_numIdEPS3_EEv13rocblas_fill_17rocblas_diagonal_T1_iil
; %bb.0:
	s_add_u32 s0, s0, s7
	s_addc_u32 s1, s1, 0
	s_mov_b32 s7, exec_lo
	v_cmpx_gt_u32_e32 61, v0
	s_cbranch_execz .LBB60_1323
; %bb.1:
	s_load_dwordx8 s[8:15], s[4:5], 0x0
	s_ashr_i32 s7, s6, 31
	v_lshlrev_b32_e32 v181, 4, v0
	s_movk_i32 s16, 0xe0
	s_movk_i32 s17, 0xf0
	;; [unrolled: 1-line block ×17, first 2 shown]
	s_waitcnt lgkmcnt(0)
	v_add3_u32 v1, s13, s13, v0
	s_ashr_i32 s5, s12, 31
	s_mov_b32 s4, s12
	s_mul_hi_u32 s12, s14, s6
	s_mul_i32 s7, s14, s7
	v_add_nc_u32_e32 v5, s13, v1
	s_mul_i32 s15, s15, s6
	s_add_i32 s7, s12, s7
	s_mul_i32 s6, s14, s6
	s_add_i32 s7, s7, s15
	v_add_nc_u32_e32 v9, s13, v5
	s_lshl_b64 s[6:7], s[6:7], 4
	v_ashrrev_i32_e32 v2, 31, v1
	s_add_u32 s6, s10, s6
	s_addc_u32 s7, s11, s7
	v_add_nc_u32_e32 v15, s13, v9
	s_lshl_b64 s[4:5], s[4:5], 4
	v_ashrrev_i32_e32 v6, 31, v5
	s_add_u32 s4, s6, s4
	s_addc_u32 s5, s7, s5
	v_add_nc_u32_e32 v21, s13, v15
	v_add_co_u32 v115, s6, s4, v181
	v_ashrrev_i32_e32 v10, 31, v9
	s_mov_b32 s14, s13
	v_lshlrev_b64 v[7:8], 4, v[1:2]
	s_ashr_i32 s15, s13, 31
	v_add_co_ci_u32_e64 v116, null, s5, 0, s6
	v_ashrrev_i32_e32 v16, 31, v15
	s_lshl_b64 s[6:7], s[14:15], 4
	v_lshlrev_b64 v[13:14], 4, v[5:6]
	v_add_nc_u32_e32 v23, s13, v21
	v_add_co_u32 v117, vcc_lo, v115, s6
	v_lshlrev_b64 v[17:18], 4, v[9:10]
	v_add_co_ci_u32_e64 v118, null, s7, v116, vcc_lo
	v_add_co_u32 v101, vcc_lo, s4, v7
	v_lshlrev_b64 v[25:26], 4, v[15:16]
	v_add_nc_u32_e32 v27, s13, v23
	v_add_co_ci_u32_e64 v102, null, s5, v8, vcc_lo
	v_add_co_u32 v111, vcc_lo, s4, v13
	v_add_co_ci_u32_e64 v112, null, s5, v14, vcc_lo
	v_add_co_u32 v113, vcc_lo, s4, v17
	;; [unrolled: 2-line block ×3, first 2 shown]
	v_add_nc_u32_e32 v25, s13, v27
	v_ashrrev_i32_e32 v22, 31, v21
	v_ashrrev_i32_e32 v24, 31, v23
	;; [unrolled: 1-line block ×3, first 2 shown]
	v_add_co_ci_u32_e64 v128, null, s5, v26, vcc_lo
	v_add_nc_u32_e32 v37, s13, v25
	v_lshlrev_b64 v[21:22], 4, v[21:22]
	v_ashrrev_i32_e32 v26, 31, v25
	v_lshlrev_b64 v[23:24], 4, v[23:24]
	global_load_dwordx4 v[1:4], v181, s[4:5]
	v_ashrrev_i32_e32 v38, 31, v37
	s_clause 0x1
	global_load_dwordx4 v[9:12], v[117:118], off
	global_load_dwordx4 v[5:8], v[101:102], off
	v_add_co_u32 v121, vcc_lo, s4, v21
	v_add_co_ci_u32_e64 v122, null, s5, v22, vcc_lo
	v_lshlrev_b64 v[41:42], 4, v[37:38]
	v_add_nc_u32_e32 v37, s13, v37
	v_lshlrev_b64 v[21:22], 4, v[27:28]
	v_lshlrev_b64 v[39:40], 4, v[25:26]
	v_add_co_u32 v123, vcc_lo, s4, v23
	v_ashrrev_i32_e32 v38, 31, v37
	v_add_nc_u32_e32 v45, s13, v37
	v_add_co_ci_u32_e64 v124, null, s5, v24, vcc_lo
	v_add_co_u32 v129, vcc_lo, s4, v21
	v_lshlrev_b64 v[49:50], 4, v[37:38]
	v_add_co_ci_u32_e64 v130, null, s5, v22, vcc_lo
	v_add_co_u32 v131, vcc_lo, s4, v39
	v_add_nc_u32_e32 v47, s13, v45
	v_add_co_ci_u32_e64 v132, null, s5, v40, vcc_lo
	v_add_co_u32 v125, vcc_lo, s4, v41
	v_add_co_ci_u32_e64 v126, null, s5, v42, vcc_lo
	v_add_co_u32 v119, vcc_lo, s4, v49
	v_add_co_ci_u32_e64 v120, null, s5, v50, vcc_lo
	v_add_nc_u32_e32 v50, s13, v47
	v_ashrrev_i32_e32 v46, 31, v45
	v_ashrrev_i32_e32 v48, 31, v47
	s_clause 0x3
	global_load_dwordx4 v[17:20], v[111:112], off
	global_load_dwordx4 v[13:16], v[113:114], off
	;; [unrolled: 1-line block ×4, first 2 shown]
	v_add_nc_u32_e32 v57, s13, v50
	v_ashrrev_i32_e32 v51, 31, v50
	v_lshlrev_b64 v[45:46], 4, v[45:46]
	v_lshlrev_b64 v[48:49], 4, v[47:48]
	s_clause 0x1
	global_load_dwordx4 v[25:28], v[123:124], off
	global_load_dwordx4 v[21:24], v[129:130], off
	v_add_nc_u32_e32 v61, s13, v57
	v_lshlrev_b64 v[59:60], 4, v[50:51]
	v_ashrrev_i32_e32 v58, 31, v57
	v_add_co_u32 v105, vcc_lo, s4, v45
	v_ashrrev_i32_e32 v62, 31, v61
	v_add_co_ci_u32_e64 v106, null, s5, v46, vcc_lo
	v_add_co_u32 v97, vcc_lo, s4, v48
	v_add_co_ci_u32_e64 v98, null, s5, v49, vcc_lo
	v_lshlrev_b64 v[57:58], 4, v[57:58]
	v_add_co_u32 v93, vcc_lo, s4, v59
	v_add_co_ci_u32_e64 v94, null, s5, v60, vcc_lo
	v_lshlrev_b64 v[59:60], 4, v[61:62]
	v_add_nc_u32_e32 v61, s13, v61
	v_add_co_u32 v95, vcc_lo, s4, v57
	v_add_co_ci_u32_e64 v96, null, s5, v58, vcc_lo
	v_add_co_u32 v99, vcc_lo, s4, v59
	v_ashrrev_i32_e32 v62, 31, v61
	v_add_co_ci_u32_e64 v100, null, s5, v60, vcc_lo
	s_clause 0x4
	global_load_dwordx4 v[41:44], v[131:132], off
	global_load_dwordx4 v[37:40], v[125:126], off
	;; [unrolled: 1-line block ×5, first 2 shown]
	v_add_nc_u32_e32 v69, s13, v61
	global_load_dwordx4 v[65:68], v[93:94], off
	v_lshlrev_b64 v[71:72], 4, v[61:62]
	s_clause 0x1
	global_load_dwordx4 v[61:64], v[95:96], off
	global_load_dwordx4 v[57:60], v[99:100], off
	s_cmpk_lg_i32 s9, 0x84
	v_add_nc_u32_e32 v81, s13, v69
	v_ashrrev_i32_e32 v70, 31, v69
	s_movk_i32 s6, 0x70
	v_add_co_u32 v109, vcc_lo, s4, v71
	v_ashrrev_i32_e32 v82, 31, v81
	v_lshlrev_b64 v[73:74], 4, v[69:70]
	v_add_co_ci_u32_e64 v110, null, s5, v72, vcc_lo
	s_movk_i32 s10, 0x80
	v_lshlrev_b64 v[69:70], 4, v[81:82]
	v_add_nc_u32_e32 v81, s13, v81
	v_add_co_u32 v107, vcc_lo, s4, v73
	v_add_co_ci_u32_e64 v108, null, s5, v74, vcc_lo
	v_add_nc_u32_e32 v83, s13, v81
	v_ashrrev_i32_e32 v82, 31, v81
	v_add_co_u32 v103, vcc_lo, s4, v69
	s_clause 0x1
	global_load_dwordx4 v[77:80], v[109:110], off
	global_load_dwordx4 v[73:76], v[107:108], off
	v_add_nc_u32_e32 v85, s13, v83
	v_ashrrev_i32_e32 v84, 31, v83
	v_lshlrev_b64 v[81:82], 4, v[81:82]
	v_add_co_ci_u32_e64 v104, null, s5, v70, vcc_lo
	v_ashrrev_i32_e32 v86, 31, v85
	v_add_nc_u32_e32 v87, s13, v85
	v_lshlrev_b64 v[89:90], 4, v[83:84]
	v_add_co_u32 v133, vcc_lo, s4, v81
	v_lshlrev_b64 v[85:86], 4, v[85:86]
	v_add_nc_u32_e32 v91, s13, v87
	v_add_co_ci_u32_e64 v134, null, s5, v82, vcc_lo
	v_add_co_u32 v135, vcc_lo, s4, v89
	v_add_co_ci_u32_e64 v136, null, s5, v90, vcc_lo
	v_add_co_u32 v137, vcc_lo, s4, v85
	v_ashrrev_i32_e32 v88, 31, v87
	v_ashrrev_i32_e32 v92, 31, v91
	s_clause 0x1
	global_load_dwordx4 v[69:72], v[103:104], off
	global_load_dwordx4 v[81:84], v[133:134], off
	v_add_co_ci_u32_e64 v138, null, s5, v86, vcc_lo
	v_lshlrev_b64 v[139:140], 4, v[87:88]
	v_add_nc_u32_e32 v141, s13, v91
	v_lshlrev_b64 v[143:144], 4, v[91:92]
	s_clause 0x1
	global_load_dwordx4 v[89:92], v[135:136], off
	global_load_dwordx4 v[85:88], v[137:138], off
	s_movk_i32 s11, 0x90
	s_movk_i32 s12, 0xa0
	v_add_nc_u32_e32 v145, s13, v141
	v_ashrrev_i32_e32 v142, 31, v141
	v_add_co_u32 v139, vcc_lo, s4, v139
	v_add_co_ci_u32_e64 v140, null, s5, v140, vcc_lo
	v_add_nc_u32_e32 v149, s13, v145
	v_lshlrev_b64 v[147:148], 4, v[141:142]
	v_add_co_u32 v141, vcc_lo, s4, v143
	v_add_co_ci_u32_e64 v142, null, s5, v144, vcc_lo
	v_ashrrev_i32_e32 v150, 31, v149
	v_add_nc_u32_e32 v151, s13, v149
	v_add_co_u32 v143, vcc_lo, s4, v147
	v_add_co_ci_u32_e64 v144, null, s5, v148, vcc_lo
	v_lshlrev_b64 v[147:148], 4, v[149:150]
	v_add_nc_u32_e32 v149, s13, v151
	v_ashrrev_i32_e32 v146, 31, v145
	v_ashrrev_i32_e32 v152, 31, v151
	s_movk_i32 s14, 0xc0
	s_movk_i32 s15, 0xd0
	v_add_nc_u32_e32 v153, s13, v149
	v_lshlrev_b64 v[145:146], 4, v[145:146]
	v_ashrrev_i32_e32 v150, 31, v149
	v_lshlrev_b64 v[151:152], 4, v[151:152]
	s_movk_i32 s34, 0x1f0
	v_add_nc_u32_e32 v157, s13, v153
	v_ashrrev_i32_e32 v154, 31, v153
	v_add_co_u32 v145, vcc_lo, s4, v145
	v_lshlrev_b64 v[155:156], 4, v[149:150]
	v_add_co_ci_u32_e64 v146, null, s5, v146, vcc_lo
	v_add_co_u32 v147, vcc_lo, s4, v147
	v_ashrrev_i32_e32 v158, 31, v157
	v_add_nc_u32_e32 v159, s13, v157
	v_add_co_ci_u32_e64 v148, null, s5, v148, vcc_lo
	v_add_co_u32 v149, vcc_lo, s4, v151
	v_add_co_ci_u32_e64 v150, null, s5, v152, vcc_lo
	v_add_co_u32 v151, vcc_lo, s4, v155
	v_add_co_ci_u32_e64 v152, null, s5, v156, vcc_lo
	v_lshlrev_b64 v[155:156], 4, v[157:158]
	v_add_nc_u32_e32 v157, s13, v159
	v_ashrrev_i32_e32 v160, 31, v159
	v_lshlrev_b64 v[153:154], 4, v[153:154]
	s_movk_i32 s35, 0x200
	s_movk_i32 s36, 0x210
	v_add_nc_u32_e32 v161, s13, v157
	v_ashrrev_i32_e32 v158, 31, v157
	v_lshlrev_b64 v[159:160], 4, v[159:160]
	v_add_co_u32 v153, vcc_lo, s4, v153
	v_add_nc_u32_e32 v165, s13, v161
	v_lshlrev_b64 v[163:164], 4, v[157:158]
	v_add_co_ci_u32_e64 v154, null, s5, v154, vcc_lo
	v_add_co_u32 v155, vcc_lo, s4, v155
	v_ashrrev_i32_e32 v166, 31, v165
	v_add_nc_u32_e32 v167, s13, v165
	v_add_co_ci_u32_e64 v156, null, s5, v156, vcc_lo
	v_add_co_u32 v157, vcc_lo, s4, v159
	v_add_co_ci_u32_e64 v158, null, s5, v160, vcc_lo
	v_add_co_u32 v159, vcc_lo, s4, v163
	v_add_co_ci_u32_e64 v160, null, s5, v164, vcc_lo
	v_lshlrev_b64 v[163:164], 4, v[165:166]
	v_add_nc_u32_e32 v165, s13, v167
	v_ashrrev_i32_e32 v162, 31, v161
	v_ashrrev_i32_e32 v168, 31, v167
	s_movk_i32 s70, 0x220
	s_movk_i32 s71, 0x230
	v_add_nc_u32_e32 v169, s13, v165
	v_lshlrev_b64 v[161:162], 4, v[161:162]
	v_ashrrev_i32_e32 v166, 31, v165
	v_lshlrev_b64 v[167:168], 4, v[167:168]
	s_movk_i32 s72, 0x240
	v_add_nc_u32_e32 v173, s13, v169
	v_ashrrev_i32_e32 v170, 31, v169
	v_add_co_u32 v161, vcc_lo, s4, v161
	v_lshlrev_b64 v[171:172], 4, v[165:166]
	v_add_co_ci_u32_e64 v162, null, s5, v162, vcc_lo
	v_add_co_u32 v163, vcc_lo, s4, v163
	v_add_nc_u32_e32 v175, s13, v173
	v_ashrrev_i32_e32 v174, 31, v173
	v_add_co_ci_u32_e64 v164, null, s5, v164, vcc_lo
	v_add_co_u32 v165, vcc_lo, s4, v167
	v_add_co_ci_u32_e64 v166, null, s5, v168, vcc_lo
	v_add_co_u32 v167, vcc_lo, s4, v171
	v_ashrrev_i32_e32 v176, 31, v175
	v_lshlrev_b64 v[169:170], 4, v[169:170]
	v_add_co_ci_u32_e64 v168, null, s5, v172, vcc_lo
	v_lshlrev_b64 v[171:172], 4, v[173:174]
	v_add_nc_u32_e32 v173, s13, v175
	v_lshlrev_b64 v[175:176], 4, v[175:176]
	v_add_co_u32 v169, vcc_lo, s4, v169
	v_add_co_ci_u32_e64 v170, null, s5, v170, vcc_lo
	v_ashrrev_i32_e32 v174, 31, v173
	v_add_co_u32 v171, vcc_lo, s4, v171
	v_add_nc_u32_e32 v177, s13, v173
	v_add_co_ci_u32_e64 v172, null, s5, v172, vcc_lo
	v_lshlrev_b64 v[179:180], 4, v[173:174]
	v_add_co_u32 v173, vcc_lo, s4, v175
	v_add_co_ci_u32_e64 v174, null, s5, v176, vcc_lo
	v_add_nc_u32_e32 v194, s13, v177
	v_ashrrev_i32_e32 v178, 31, v177
	v_add_co_u32 v175, vcc_lo, s4, v179
	v_add_co_ci_u32_e64 v176, null, s5, v180, vcc_lo
	s_waitcnt vmcnt(22)
	buffer_store_dword v4, off, s[0:3], 0 offset:12
	buffer_store_dword v3, off, s[0:3], 0 offset:8
	;; [unrolled: 1-line block ×3, first 2 shown]
	buffer_store_dword v1, off, s[0:3], 0
	s_clause 0x1
	global_load_dwordx4 v[1:4], v[139:140], off
	global_load_dwordx4 v[182:185], v[141:142], off
	s_waitcnt vmcnt(23)
	buffer_store_dword v12, off, s[0:3], 0 offset:28
	buffer_store_dword v11, off, s[0:3], 0 offset:24
	buffer_store_dword v10, off, s[0:3], 0 offset:20
	buffer_store_dword v9, off, s[0:3], 0 offset:16
	s_waitcnt vmcnt(22)
	buffer_store_dword v8, off, s[0:3], 0 offset:44
	buffer_store_dword v7, off, s[0:3], 0 offset:40
	buffer_store_dword v6, off, s[0:3], 0 offset:36
	buffer_store_dword v5, off, s[0:3], 0 offset:32
	s_clause 0x1
	global_load_dwordx4 v[186:189], v[143:144], off
	global_load_dwordx4 v[190:193], v[145:146], off
	s_waitcnt vmcnt(23)
	buffer_store_dword v20, off, s[0:3], 0 offset:60
	buffer_store_dword v19, off, s[0:3], 0 offset:56
	buffer_store_dword v18, off, s[0:3], 0 offset:52
	buffer_store_dword v17, off, s[0:3], 0 offset:48
	s_waitcnt vmcnt(22)
	buffer_store_dword v16, off, s[0:3], 0 offset:76
	buffer_store_dword v15, off, s[0:3], 0 offset:72
	buffer_store_dword v14, off, s[0:3], 0 offset:68
	buffer_store_dword v13, off, s[0:3], 0 offset:64
	;; [unrolled: 13-line block ×8, first 2 shown]
	s_clause 0x1
	global_load_dwordx4 v[57:60], v[171:172], off
	global_load_dwordx4 v[61:64], v[173:174], off
	v_add_nc_u32_e32 v7, s13, v194
	v_ashrrev_i32_e32 v195, 31, v194
	v_lshlrev_b64 v[177:178], 4, v[177:178]
	s_waitcnt vmcnt(23)
	buffer_store_dword v80, off, s[0:3], 0 offset:284
	buffer_store_dword v79, off, s[0:3], 0 offset:280
	;; [unrolled: 1-line block ×4, first 2 shown]
	v_ashrrev_i32_e32 v8, 31, v7
	v_lshlrev_b64 v[179:180], 4, v[194:195]
	v_add_co_u32 v177, vcc_lo, s4, v177
	v_add_co_ci_u32_e64 v178, null, s5, v178, vcc_lo
	v_lshlrev_b64 v[5:6], 4, v[7:8]
	global_load_dwordx4 v[77:80], v[175:176], off
	v_add_co_u32 v179, vcc_lo, s4, v179
	v_add_co_ci_u32_e64 v180, null, s5, v180, vcc_lo
	s_waitcnt vmcnt(23)
	buffer_store_dword v76, off, s[0:3], 0 offset:300
	buffer_store_dword v75, off, s[0:3], 0 offset:296
	;; [unrolled: 1-line block ×4, first 2 shown]
	global_load_dwordx4 v[73:76], v[177:178], off
	v_add_co_u32 v5, vcc_lo, s4, v5
	v_add_co_ci_u32_e64 v6, null, s5, v6, vcc_lo
	s_waitcnt vmcnt(23)
	buffer_store_dword v72, off, s[0:3], 0 offset:316
	buffer_store_dword v71, off, s[0:3], 0 offset:312
	;; [unrolled: 1-line block ×4, first 2 shown]
	global_load_dwordx4 v[69:72], v[179:180], off
	s_waitcnt vmcnt(23)
	buffer_store_dword v84, off, s[0:3], 0 offset:332
	buffer_store_dword v83, off, s[0:3], 0 offset:328
	;; [unrolled: 1-line block ×4, first 2 shown]
	s_waitcnt vmcnt(22)
	buffer_store_dword v92, off, s[0:3], 0 offset:348
	buffer_store_dword v91, off, s[0:3], 0 offset:344
	;; [unrolled: 1-line block ×4, first 2 shown]
	global_load_dwordx4 v[81:84], v[5:6], off
	v_add_nc_u32_e32 v7, s13, v7
	s_waitcnt vmcnt(22)
	buffer_store_dword v88, off, s[0:3], 0 offset:364
	buffer_store_dword v87, off, s[0:3], 0 offset:360
	;; [unrolled: 1-line block ×4, first 2 shown]
	s_movk_i32 s73, 0x250
	s_movk_i32 s74, 0x260
	v_add_nc_u32_e32 v9, s13, v7
	v_ashrrev_i32_e32 v8, 31, v7
	s_movk_i32 s75, 0x270
	s_movk_i32 s76, 0x280
	;; [unrolled: 1-line block ×3, first 2 shown]
	v_ashrrev_i32_e32 v10, 31, v9
	v_lshlrev_b64 v[7:8], 4, v[7:8]
	v_add_nc_u32_e32 v85, s13, v9
	s_movk_i32 s78, 0x2a0
	s_movk_i32 s79, 0x2b0
	v_lshlrev_b64 v[27:28], 4, v[9:10]
	s_movk_i32 s80, 0x2c0
	v_add_co_u32 v7, vcc_lo, s4, v7
	v_add_co_ci_u32_e64 v8, null, s5, v8, vcc_lo
	v_add_co_u32 v9, vcc_lo, s4, v27
	v_add_nc_u32_e32 v27, s13, v85
	v_ashrrev_i32_e32 v86, 31, v85
	v_add_co_ci_u32_e64 v10, null, s5, v28, vcc_lo
	s_movk_i32 s81, 0x2d0
	v_ashrrev_i32_e32 v28, 31, v27
	s_movk_i32 s82, 0x2e0
	s_movk_i32 s83, 0x2f0
	;; [unrolled: 1-line block ×15, first 2 shown]
	s_cselect_b32 s7, -1, 0
	s_cmpk_eq_i32 s9, 0x84
	s_waitcnt vmcnt(21)
	buffer_store_dword v4, off, s[0:3], 0 offset:380
	buffer_store_dword v3, off, s[0:3], 0 offset:376
	buffer_store_dword v2, off, s[0:3], 0 offset:372
	buffer_store_dword v1, off, s[0:3], 0 offset:368
	s_waitcnt vmcnt(20)
	buffer_store_dword v185, off, s[0:3], 0 offset:396
	buffer_store_dword v184, off, s[0:3], 0 offset:392
	buffer_store_dword v183, off, s[0:3], 0 offset:388
	buffer_store_dword v182, off, s[0:3], 0 offset:384
	;; [unrolled: 5-line block ×20, first 2 shown]
	s_waitcnt vmcnt(1)
	buffer_store_dword v72, off, s[0:3], 0 offset:700
	buffer_store_dword v71, off, s[0:3], 0 offset:696
	;; [unrolled: 1-line block ×3, first 2 shown]
	v_add_nc_u32_e32 v13, s13, v27
	v_lshlrev_b64 v[11:12], 4, v[85:86]
	v_lshlrev_b64 v[15:16], 4, v[27:28]
	s_clause 0x1
	global_load_dwordx4 v[1:4], v[7:8], off
	global_load_dwordx4 v[39:42], v[9:10], off
	v_ashrrev_i32_e32 v14, 31, v13
	v_add_nc_u32_e32 v17, s13, v13
	v_add_co_u32 v11, vcc_lo, s4, v11
	v_add_co_ci_u32_e64 v12, null, s5, v12, vcc_lo
	v_lshlrev_b64 v[19:20], 4, v[13:14]
	v_add_nc_u32_e32 v23, s13, v17
	v_ashrrev_i32_e32 v18, 31, v17
	v_add_co_u32 v13, vcc_lo, s4, v15
	v_add_co_ci_u32_e64 v14, null, s5, v16, vcc_lo
	v_add_co_u32 v15, vcc_lo, s4, v19
	v_add_nc_u32_e32 v19, s13, v23
	v_lshlrev_b64 v[21:22], 4, v[17:18]
	v_ashrrev_i32_e32 v24, 31, v23
	v_add_co_ci_u32_e64 v16, null, s5, v20, vcc_lo
	v_add_nc_u32_e32 v25, s13, v19
	v_ashrrev_i32_e32 v20, 31, v19
	v_add_co_u32 v17, vcc_lo, s4, v21
	v_add_co_ci_u32_e64 v18, null, s5, v22, vcc_lo
	v_lshlrev_b64 v[21:22], 4, v[23:24]
	v_add_nc_u32_e32 v27, s13, v25
	v_lshlrev_b64 v[23:24], 4, v[19:20]
	v_ashrrev_i32_e32 v26, 31, v25
	s_clause 0x3
	global_load_dwordx4 v[43:46], v[11:12], off
	global_load_dwordx4 v[47:50], v[13:14], off
	;; [unrolled: 1-line block ×4, first 2 shown]
	v_ashrrev_i32_e32 v28, 31, v27
	v_add_nc_u32_e32 v29, s13, v27
	v_add_co_u32 v19, vcc_lo, s4, v21
	v_add_co_ci_u32_e64 v20, null, s5, v22, vcc_lo
	v_add_co_u32 v21, vcc_lo, s4, v23
	v_add_co_ci_u32_e64 v22, null, s5, v24, vcc_lo
	v_lshlrev_b64 v[23:24], 4, v[25:26]
	v_lshlrev_b64 v[25:26], 4, v[27:28]
	v_add_nc_u32_e32 v27, s13, v29
	v_ashrrev_i32_e32 v30, 31, v29
	s_clause 0x1
	global_load_dwordx4 v[59:62], v[19:20], off
	global_load_dwordx4 v[63:66], v[21:22], off
	v_add_co_u32 v23, vcc_lo, s4, v23
	v_add_nc_u32_e32 v33, s13, v27
	v_ashrrev_i32_e32 v28, 31, v27
	v_lshlrev_b64 v[29:30], 4, v[29:30]
	v_add_co_ci_u32_e64 v24, null, s5, v24, vcc_lo
	v_add_nc_u32_e32 v35, s13, v33
	v_lshlrev_b64 v[31:32], 4, v[27:28]
	v_add_co_u32 v25, vcc_lo, s4, v25
	v_ashrrev_i32_e32 v34, 31, v33
	v_ashrrev_i32_e32 v36, 31, v35
	v_add_co_ci_u32_e64 v26, null, s5, v26, vcc_lo
	v_add_co_u32 v27, vcc_lo, s4, v29
	v_add_co_ci_u32_e64 v28, null, s5, v30, vcc_lo
	v_add_co_u32 v29, vcc_lo, s4, v31
	v_add_co_ci_u32_e64 v30, null, s5, v32, vcc_lo
	v_lshlrev_b64 v[31:32], 4, v[33:34]
	v_lshlrev_b64 v[33:34], 4, v[35:36]
	v_add_nc_u32_e32 v35, s13, v35
	s_clause 0x3
	global_load_dwordx4 v[70:73], v[23:24], off
	global_load_dwordx4 v[74:77], v[25:26], off
	;; [unrolled: 1-line block ×4, first 2 shown]
	buffer_store_dword v69, off, s[0:3], 0 offset:688
	v_add_co_u32 v31, vcc_lo, s4, v31
	v_add_nc_u32_e32 v37, s13, v35
	v_ashrrev_i32_e32 v36, 31, v35
	v_add_co_ci_u32_e64 v32, null, s5, v32, vcc_lo
	v_add_co_u32 v33, vcc_lo, s4, v33
	v_ashrrev_i32_e32 v38, 31, v37
	v_lshlrev_b64 v[35:36], 4, v[35:36]
	v_add_co_ci_u32_e64 v34, null, s5, v34, vcc_lo
	s_clause 0x1
	global_load_dwordx4 v[182:185], v[31:32], off
	global_load_dwordx4 v[186:189], v[33:34], off
	v_lshlrev_b64 v[67:68], 4, v[37:38]
	v_add_co_u32 v37, vcc_lo, s4, v35
	v_add_co_ci_u32_e64 v38, null, s5, v36, vcc_lo
	s_movk_i32 s13, 0xb0
	v_add_co_u32 v35, vcc_lo, s4, v67
	v_add_co_ci_u32_e64 v36, null, s5, v68, vcc_lo
	global_load_dwordx4 v[190:193], v[37:38], off
	s_waitcnt vmcnt(15)
	buffer_store_dword v84, off, s[0:3], 0 offset:716
	buffer_store_dword v83, off, s[0:3], 0 offset:712
	buffer_store_dword v82, off, s[0:3], 0 offset:708
	buffer_store_dword v81, off, s[0:3], 0 offset:704
	s_movk_i32 s4, 0x50
	global_load_dwordx4 v[78:81], v[35:36], off
	s_movk_i32 s5, 0x60
	s_waitcnt vmcnt(15)
	buffer_store_dword v4, off, s[0:3], 0 offset:732
	buffer_store_dword v3, off, s[0:3], 0 offset:728
	buffer_store_dword v2, off, s[0:3], 0 offset:724
	buffer_store_dword v1, off, s[0:3], 0 offset:720
	s_waitcnt vmcnt(14)
	buffer_store_dword v42, off, s[0:3], 0 offset:748
	buffer_store_dword v41, off, s[0:3], 0 offset:744
	buffer_store_dword v40, off, s[0:3], 0 offset:740
	buffer_store_dword v39, off, s[0:3], 0 offset:736
	;; [unrolled: 5-line block ×16, first 2 shown]
	s_cbranch_scc1 .LBB60_7
; %bb.2:
	v_lshl_add_u32 v45, v0, 4, 0
                                        ; implicit-def: $vgpr41_vgpr42
                                        ; implicit-def: $vgpr3_vgpr4
	s_clause 0x3
	buffer_load_dword v39, v45, s[0:3], 0 offen
	buffer_load_dword v40, v45, s[0:3], 0 offen offset:4
	buffer_load_dword v43, v45, s[0:3], 0 offen offset:8
	;; [unrolled: 1-line block ×3, first 2 shown]
	s_waitcnt vmcnt(0)
	v_cmp_ngt_f64_e64 s9, |v[39:40]|, |v[43:44]|
	s_and_saveexec_b32 s37, s9
	s_xor_b32 s9, exec_lo, s37
	s_cbranch_execz .LBB60_4
; %bb.3:
	v_div_scale_f64 v[1:2], null, v[43:44], v[43:44], v[39:40]
	v_div_scale_f64 v[46:47], vcc_lo, v[39:40], v[43:44], v[39:40]
	v_rcp_f64_e32 v[3:4], v[1:2]
	v_fma_f64 v[41:42], -v[1:2], v[3:4], 1.0
	v_fma_f64 v[3:4], v[3:4], v[41:42], v[3:4]
	v_fma_f64 v[41:42], -v[1:2], v[3:4], 1.0
	v_fma_f64 v[3:4], v[3:4], v[41:42], v[3:4]
	v_mul_f64 v[41:42], v[46:47], v[3:4]
	v_fma_f64 v[1:2], -v[1:2], v[41:42], v[46:47]
	v_div_fmas_f64 v[1:2], v[1:2], v[3:4], v[41:42]
	v_div_fixup_f64 v[1:2], v[1:2], v[43:44], v[39:40]
	v_fma_f64 v[3:4], v[39:40], v[1:2], v[43:44]
	v_div_scale_f64 v[39:40], null, v[3:4], v[3:4], 1.0
	v_div_scale_f64 v[46:47], vcc_lo, 1.0, v[3:4], 1.0
	v_rcp_f64_e32 v[41:42], v[39:40]
	v_fma_f64 v[43:44], -v[39:40], v[41:42], 1.0
	v_fma_f64 v[41:42], v[41:42], v[43:44], v[41:42]
	v_fma_f64 v[43:44], -v[39:40], v[41:42], 1.0
	v_fma_f64 v[41:42], v[41:42], v[43:44], v[41:42]
	v_mul_f64 v[43:44], v[46:47], v[41:42]
	v_fma_f64 v[39:40], -v[39:40], v[43:44], v[46:47]
	v_div_fmas_f64 v[39:40], v[39:40], v[41:42], v[43:44]
                                        ; implicit-def: $vgpr43_vgpr44
	v_div_fixup_f64 v[3:4], v[39:40], v[3:4], 1.0
                                        ; implicit-def: $vgpr39_vgpr40
	v_mul_f64 v[41:42], v[1:2], v[3:4]
	v_xor_b32_e32 v4, 0x80000000, v4
	v_xor_b32_e32 v2, 0x80000000, v42
	v_mov_b32_e32 v1, v41
.LBB60_4:
	s_andn2_saveexec_b32 s9, s9
	s_cbranch_execz .LBB60_6
; %bb.5:
	v_div_scale_f64 v[1:2], null, v[39:40], v[39:40], v[43:44]
	v_div_scale_f64 v[46:47], vcc_lo, v[43:44], v[39:40], v[43:44]
	v_rcp_f64_e32 v[3:4], v[1:2]
	v_fma_f64 v[41:42], -v[1:2], v[3:4], 1.0
	v_fma_f64 v[3:4], v[3:4], v[41:42], v[3:4]
	v_fma_f64 v[41:42], -v[1:2], v[3:4], 1.0
	v_fma_f64 v[3:4], v[3:4], v[41:42], v[3:4]
	v_mul_f64 v[41:42], v[46:47], v[3:4]
	v_fma_f64 v[1:2], -v[1:2], v[41:42], v[46:47]
	v_div_fmas_f64 v[1:2], v[1:2], v[3:4], v[41:42]
	v_div_fixup_f64 v[1:2], v[1:2], v[39:40], v[43:44]
	v_fma_f64 v[3:4], v[43:44], v[1:2], v[39:40]
	v_div_scale_f64 v[39:40], null, v[3:4], v[3:4], 1.0
	v_rcp_f64_e32 v[41:42], v[39:40]
	v_fma_f64 v[43:44], -v[39:40], v[41:42], 1.0
	v_fma_f64 v[41:42], v[41:42], v[43:44], v[41:42]
	v_fma_f64 v[43:44], -v[39:40], v[41:42], 1.0
	v_fma_f64 v[41:42], v[41:42], v[43:44], v[41:42]
	v_div_scale_f64 v[43:44], vcc_lo, 1.0, v[3:4], 1.0
	v_mul_f64 v[46:47], v[43:44], v[41:42]
	v_fma_f64 v[39:40], -v[39:40], v[46:47], v[43:44]
	v_div_fmas_f64 v[39:40], v[39:40], v[41:42], v[46:47]
	v_div_fixup_f64 v[41:42], v[39:40], v[3:4], 1.0
	v_mul_f64 v[3:4], v[1:2], -v[41:42]
	v_xor_b32_e32 v2, 0x80000000, v42
	v_mov_b32_e32 v1, v41
.LBB60_6:
	s_or_b32 exec_lo, exec_lo, s9
	buffer_store_dword v4, v45, s[0:3], 0 offen offset:12
	v_xor_b32_e32 v4, 0x80000000, v4
	buffer_store_dword v42, v45, s[0:3], 0 offen offset:4
	buffer_store_dword v41, v45, s[0:3], 0 offen
	buffer_store_dword v3, v45, s[0:3], 0 offen offset:8
	s_branch .LBB60_8
.LBB60_7:
	v_mov_b32_e32 v1, 0
	v_mov_b32_e32 v3, 0
	;; [unrolled: 1-line block ×4, first 2 shown]
.LBB60_8:
	v_add_nc_u32_e32 v40, 0x3d0, v181
	v_mov_b32_e32 v39, v181
	s_mov_b32 s69, 16
	s_mov_b32 s68, 32
	;; [unrolled: 1-line block ×60, first 2 shown]
	s_cmpk_eq_i32 s8, 0x79
	ds_write_b128 v181, v[1:4]
	s_cbranch_scc1 .LBB60_832
; %bb.9:
	v_mov_b32_e32 v4, s10
	v_cmp_eq_u32_e64 s4, 60, v0
	s_clause 0x3
	buffer_load_dword v1, v4, s[0:3], 0 offen
	buffer_load_dword v2, v4, s[0:3], 0 offen offset:4
	buffer_load_dword v3, v4, s[0:3], 0 offen offset:8
	;; [unrolled: 1-line block ×3, first 2 shown]
	s_waitcnt vmcnt(0)
	ds_write_b128 v40, v[1:4]
	s_waitcnt lgkmcnt(0)
	s_waitcnt_vscnt null, 0x0
	s_barrier
	buffer_gl0_inv
	s_and_saveexec_b32 s5, s4
	s_cbranch_execz .LBB60_13
; %bb.10:
	ds_read_b128 v[1:4], v40
	s_andn2_b32 vcc_lo, exec_lo, s7
	s_cbranch_vccnz .LBB60_12
; %bb.11:
	s_clause 0x3
	buffer_load_dword v41, v39, s[0:3], 0 offen offset:8
	buffer_load_dword v42, v39, s[0:3], 0 offen offset:12
	buffer_load_dword v43, v39, s[0:3], 0 offen
	buffer_load_dword v44, v39, s[0:3], 0 offen offset:4
	s_waitcnt vmcnt(2) lgkmcnt(0)
	v_mul_f64 v[45:46], v[3:4], v[41:42]
	v_mul_f64 v[41:42], v[1:2], v[41:42]
	s_waitcnt vmcnt(0)
	v_fma_f64 v[1:2], v[1:2], v[43:44], -v[45:46]
	v_fma_f64 v[3:4], v[3:4], v[43:44], v[41:42]
.LBB60_12:
	v_mov_b32_e32 v41, 0
	ds_read_b128 v[41:44], v41 offset:944
	s_waitcnt lgkmcnt(0)
	v_mul_f64 v[45:46], v[3:4], v[43:44]
	v_mul_f64 v[43:44], v[1:2], v[43:44]
	v_fma_f64 v[1:2], v[1:2], v[41:42], -v[45:46]
	v_fma_f64 v[3:4], v[3:4], v[41:42], v[43:44]
	buffer_store_dword v2, off, s[0:3], 0 offset:948
	buffer_store_dword v1, off, s[0:3], 0 offset:944
	;; [unrolled: 1-line block ×4, first 2 shown]
.LBB60_13:
	s_or_b32 exec_lo, exec_lo, s5
	v_mov_b32_e32 v4, s11
	v_cmp_lt_u32_e64 s5, 58, v0
	s_clause 0x3
	buffer_load_dword v1, v4, s[0:3], 0 offen
	buffer_load_dword v2, v4, s[0:3], 0 offen offset:4
	buffer_load_dword v3, v4, s[0:3], 0 offen offset:8
	buffer_load_dword v4, v4, s[0:3], 0 offen offset:12
	s_waitcnt vmcnt(0)
	ds_write_b128 v40, v[1:4]
	s_waitcnt lgkmcnt(0)
	s_waitcnt_vscnt null, 0x0
	s_barrier
	buffer_gl0_inv
	s_and_saveexec_b32 s6, s5
	s_cbranch_execz .LBB60_19
; %bb.14:
	ds_read_b128 v[1:4], v40
	s_andn2_b32 vcc_lo, exec_lo, s7
	s_cbranch_vccnz .LBB60_16
; %bb.15:
	s_clause 0x3
	buffer_load_dword v41, v39, s[0:3], 0 offen offset:8
	buffer_load_dword v42, v39, s[0:3], 0 offen offset:12
	buffer_load_dword v43, v39, s[0:3], 0 offen
	buffer_load_dword v44, v39, s[0:3], 0 offen offset:4
	s_waitcnt vmcnt(2) lgkmcnt(0)
	v_mul_f64 v[45:46], v[3:4], v[41:42]
	v_mul_f64 v[41:42], v[1:2], v[41:42]
	s_waitcnt vmcnt(0)
	v_fma_f64 v[1:2], v[1:2], v[43:44], -v[45:46]
	v_fma_f64 v[3:4], v[3:4], v[43:44], v[41:42]
.LBB60_16:
	s_and_saveexec_b32 s8, s4
	s_cbranch_execz .LBB60_18
; %bb.17:
	s_clause 0x3
	buffer_load_dword v45, off, s[0:3], 0 offset:952
	buffer_load_dword v46, off, s[0:3], 0 offset:956
	;; [unrolled: 1-line block ×4, first 2 shown]
	v_mov_b32_e32 v41, 0
	ds_read_b128 v[41:44], v41 offset:1920
	s_waitcnt vmcnt(2) lgkmcnt(0)
	v_mul_f64 v[49:50], v[41:42], v[45:46]
	v_mul_f64 v[45:46], v[43:44], v[45:46]
	s_waitcnt vmcnt(0)
	v_fma_f64 v[43:44], v[43:44], v[47:48], v[49:50]
	v_fma_f64 v[41:42], v[41:42], v[47:48], -v[45:46]
	v_add_f64 v[3:4], v[3:4], v[43:44]
	v_add_f64 v[1:2], v[1:2], v[41:42]
.LBB60_18:
	s_or_b32 exec_lo, exec_lo, s8
	v_mov_b32_e32 v41, 0
	ds_read_b128 v[41:44], v41 offset:928
	s_waitcnt lgkmcnt(0)
	v_mul_f64 v[45:46], v[3:4], v[43:44]
	v_mul_f64 v[43:44], v[1:2], v[43:44]
	v_fma_f64 v[1:2], v[1:2], v[41:42], -v[45:46]
	v_fma_f64 v[3:4], v[3:4], v[41:42], v[43:44]
	buffer_store_dword v2, off, s[0:3], 0 offset:932
	buffer_store_dword v1, off, s[0:3], 0 offset:928
	;; [unrolled: 1-line block ×4, first 2 shown]
.LBB60_19:
	s_or_b32 exec_lo, exec_lo, s6
	v_mov_b32_e32 v4, s12
	v_cmp_lt_u32_e64 s4, 57, v0
	s_clause 0x3
	buffer_load_dword v1, v4, s[0:3], 0 offen
	buffer_load_dword v2, v4, s[0:3], 0 offen offset:4
	buffer_load_dword v3, v4, s[0:3], 0 offen offset:8
	;; [unrolled: 1-line block ×3, first 2 shown]
	s_waitcnt vmcnt(0)
	ds_write_b128 v40, v[1:4]
	s_waitcnt lgkmcnt(0)
	s_waitcnt_vscnt null, 0x0
	s_barrier
	buffer_gl0_inv
	s_and_saveexec_b32 s6, s4
	s_cbranch_execz .LBB60_33
; %bb.20:
	ds_read_b128 v[1:4], v40
	s_andn2_b32 vcc_lo, exec_lo, s7
	s_cbranch_vccnz .LBB60_22
; %bb.21:
	s_clause 0x3
	buffer_load_dword v41, v39, s[0:3], 0 offen offset:8
	buffer_load_dword v42, v39, s[0:3], 0 offen offset:12
	buffer_load_dword v43, v39, s[0:3], 0 offen
	buffer_load_dword v44, v39, s[0:3], 0 offen offset:4
	s_waitcnt vmcnt(2) lgkmcnt(0)
	v_mul_f64 v[45:46], v[3:4], v[41:42]
	v_mul_f64 v[41:42], v[1:2], v[41:42]
	s_waitcnt vmcnt(0)
	v_fma_f64 v[1:2], v[1:2], v[43:44], -v[45:46]
	v_fma_f64 v[3:4], v[3:4], v[43:44], v[41:42]
.LBB60_22:
	s_and_saveexec_b32 s8, s5
	s_cbranch_execz .LBB60_32
; %bb.23:
	v_subrev_nc_u32_e32 v42, 59, v0
	v_mov_b32_e32 v43, 58
	v_subrev_nc_u32_e32 v41, 58, v0
	s_mov_b32 s5, exec_lo
	v_cmpx_lt_u32_e32 6, v42
	s_cbranch_execz .LBB60_27
; %bb.24:
	v_and_b32_e32 v42, -8, v41
	s_movk_i32 s71, 0x770
	s_mov_b32 s70, 0
	s_mov_b32 s72, s11
	;; [unrolled: 1-line block ×3, first 2 shown]
.LBB60_25:                              ; =>This Inner Loop Header: Depth=1
	v_mov_b32_e32 v43, s72
	v_mov_b32_e32 v184, s71
	s_add_i32 s74, s73, 8
	s_addk_i32 s73, 0x42
	v_cmp_eq_u32_e32 vcc_lo, s74, v42
	s_clause 0x1f
	buffer_load_dword v51, v43, s[0:3], 0 offen offset:8
	buffer_load_dword v52, v43, s[0:3], 0 offen offset:12
	;; [unrolled: 1-line block ×4, first 2 shown]
	buffer_load_dword v61, v43, s[0:3], 0 offen
	buffer_load_dword v62, v43, s[0:3], 0 offen offset:4
	buffer_load_dword v63, v43, s[0:3], 0 offen offset:40
	;; [unrolled: 1-line block ×27, first 2 shown]
	ds_read_b128 v[43:46], v184
	ds_read_b128 v[47:50], v184 offset:16
	s_addk_i32 s71, 0x80
	s_addk_i32 s72, 0x80
	s_or_b32 s70, vcc_lo, s70
	s_waitcnt vmcnt(30) lgkmcnt(1)
	v_mul_f64 v[89:90], v[45:46], v[51:52]
	v_mul_f64 v[91:92], v[43:44], v[51:52]
	s_waitcnt vmcnt(28) lgkmcnt(0)
	v_mul_f64 v[182:183], v[49:50], v[59:60]
	v_mul_f64 v[59:60], v[47:48], v[59:60]
	ds_read_b128 v[51:54], v184 offset:32
	ds_read_b128 v[55:58], v184 offset:48
	s_waitcnt vmcnt(26)
	v_fma_f64 v[43:44], v[43:44], v[61:62], -v[89:90]
	v_fma_f64 v[45:46], v[45:46], v[61:62], v[91:92]
	s_waitcnt vmcnt(24) lgkmcnt(1)
	v_mul_f64 v[61:62], v[53:54], v[63:64]
	v_mul_f64 v[63:64], v[51:52], v[63:64]
	s_waitcnt vmcnt(22)
	v_fma_f64 v[47:48], v[47:48], v[65:66], -v[182:183]
	v_fma_f64 v[49:50], v[49:50], v[65:66], v[59:60]
	v_add_f64 v[1:2], v[1:2], v[43:44]
	v_add_f64 v[3:4], v[3:4], v[45:46]
	s_waitcnt vmcnt(20) lgkmcnt(0)
	v_mul_f64 v[43:44], v[57:58], v[67:68]
	v_mul_f64 v[45:46], v[55:56], v[67:68]
	s_waitcnt vmcnt(18)
	v_fma_f64 v[51:52], v[51:52], v[69:70], -v[61:62]
	v_fma_f64 v[53:54], v[53:54], v[69:70], v[63:64]
	v_add_f64 v[47:48], v[1:2], v[47:48]
	v_add_f64 v[49:50], v[3:4], v[49:50]
	ds_read_b128 v[1:4], v184 offset:64
	s_waitcnt vmcnt(14)
	v_fma_f64 v[55:56], v[55:56], v[73:74], -v[43:44]
	v_fma_f64 v[57:58], v[57:58], v[73:74], v[45:46]
	ds_read_b128 v[43:46], v184 offset:80
	s_waitcnt lgkmcnt(1)
	v_mul_f64 v[59:60], v[3:4], v[71:72]
	v_mul_f64 v[61:62], v[1:2], v[71:72]
	v_add_f64 v[47:48], v[47:48], v[51:52]
	v_add_f64 v[49:50], v[49:50], v[53:54]
	s_waitcnt vmcnt(12) lgkmcnt(0)
	v_mul_f64 v[51:52], v[45:46], v[75:76]
	v_mul_f64 v[53:54], v[43:44], v[75:76]
	s_waitcnt vmcnt(10)
	v_fma_f64 v[59:60], v[1:2], v[77:78], -v[59:60]
	v_fma_f64 v[61:62], v[3:4], v[77:78], v[61:62]
	v_add_f64 v[47:48], v[47:48], v[55:56]
	v_add_f64 v[49:50], v[49:50], v[57:58]
	ds_read_b128 v[1:4], v184 offset:96
	s_waitcnt vmcnt(6)
	v_fma_f64 v[51:52], v[43:44], v[81:82], -v[51:52]
	v_fma_f64 v[53:54], v[45:46], v[81:82], v[53:54]
	ds_read_b128 v[43:46], v184 offset:112
	s_waitcnt lgkmcnt(1)
	v_mul_f64 v[55:56], v[3:4], v[79:80]
	v_mul_f64 v[57:58], v[1:2], v[79:80]
	v_add_f64 v[47:48], v[47:48], v[59:60]
	v_add_f64 v[49:50], v[49:50], v[61:62]
	s_waitcnt vmcnt(4) lgkmcnt(0)
	v_mul_f64 v[59:60], v[45:46], v[83:84]
	v_mul_f64 v[61:62], v[43:44], v[83:84]
	s_waitcnt vmcnt(2)
	v_fma_f64 v[1:2], v[1:2], v[85:86], -v[55:56]
	v_fma_f64 v[3:4], v[3:4], v[85:86], v[57:58]
	v_add_f64 v[47:48], v[47:48], v[51:52]
	v_add_f64 v[49:50], v[49:50], v[53:54]
	s_waitcnt vmcnt(0)
	v_fma_f64 v[43:44], v[43:44], v[87:88], -v[59:60]
	v_fma_f64 v[45:46], v[45:46], v[87:88], v[61:62]
	v_add_f64 v[1:2], v[47:48], v[1:2]
	v_add_f64 v[3:4], v[49:50], v[3:4]
	;; [unrolled: 1-line block ×4, first 2 shown]
	v_mov_b32_e32 v43, s73
	s_mov_b32 s73, s74
	s_andn2_b32 exec_lo, exec_lo, s70
	s_cbranch_execnz .LBB60_25
; %bb.26:
	s_or_b32 exec_lo, exec_lo, s70
.LBB60_27:
	s_or_b32 exec_lo, exec_lo, s5
	v_and_b32_e32 v41, 7, v41
	s_mov_b32 s70, 0
	s_mov_b32 s5, exec_lo
	v_cmpx_ne_u32_e32 0, v41
	s_cbranch_execz .LBB60_31
; %bb.28:
	v_lshlrev_b32_e32 v43, 4, v43
	v_add_nc_u32_e32 v42, 0x3d0, v43
	.p2align	6
.LBB60_29:                              ; =>This Inner Loop Header: Depth=1
	s_clause 0x3
	buffer_load_dword v48, v43, s[0:3], 0 offen offset:8
	buffer_load_dword v49, v43, s[0:3], 0 offen offset:12
	buffer_load_dword v50, v43, s[0:3], 0 offen
	buffer_load_dword v51, v43, s[0:3], 0 offen offset:4
	ds_read_b128 v[44:47], v42
	v_add_nc_u32_e32 v41, -1, v41
	v_add_nc_u32_e32 v42, 16, v42
	v_add_nc_u32_e32 v43, 16, v43
	v_cmp_eq_u32_e32 vcc_lo, 0, v41
	s_or_b32 s70, vcc_lo, s70
	s_waitcnt vmcnt(2) lgkmcnt(0)
	v_mul_f64 v[52:53], v[46:47], v[48:49]
	v_mul_f64 v[48:49], v[44:45], v[48:49]
	s_waitcnt vmcnt(0)
	v_fma_f64 v[44:45], v[44:45], v[50:51], -v[52:53]
	v_fma_f64 v[46:47], v[46:47], v[50:51], v[48:49]
	v_add_f64 v[1:2], v[1:2], v[44:45]
	v_add_f64 v[3:4], v[3:4], v[46:47]
	s_andn2_b32 exec_lo, exec_lo, s70
	s_cbranch_execnz .LBB60_29
; %bb.30:
	s_or_b32 exec_lo, exec_lo, s70
.LBB60_31:
	s_or_b32 exec_lo, exec_lo, s5
.LBB60_32:
	s_or_b32 exec_lo, exec_lo, s8
	v_mov_b32_e32 v41, 0
	ds_read_b128 v[41:44], v41 offset:912
	s_waitcnt lgkmcnt(0)
	v_mul_f64 v[45:46], v[3:4], v[43:44]
	v_mul_f64 v[43:44], v[1:2], v[43:44]
	v_fma_f64 v[1:2], v[1:2], v[41:42], -v[45:46]
	v_fma_f64 v[3:4], v[3:4], v[41:42], v[43:44]
	buffer_store_dword v2, off, s[0:3], 0 offset:916
	buffer_store_dword v1, off, s[0:3], 0 offset:912
	;; [unrolled: 1-line block ×4, first 2 shown]
.LBB60_33:
	s_or_b32 exec_lo, exec_lo, s6
	v_mov_b32_e32 v4, s13
	v_cmp_lt_u32_e64 s5, 56, v0
	s_clause 0x3
	buffer_load_dword v1, v4, s[0:3], 0 offen
	buffer_load_dword v2, v4, s[0:3], 0 offen offset:4
	buffer_load_dword v3, v4, s[0:3], 0 offen offset:8
	;; [unrolled: 1-line block ×3, first 2 shown]
	s_waitcnt vmcnt(0)
	ds_write_b128 v40, v[1:4]
	s_waitcnt lgkmcnt(0)
	s_waitcnt_vscnt null, 0x0
	s_barrier
	buffer_gl0_inv
	s_and_saveexec_b32 s6, s5
	s_cbranch_execz .LBB60_47
; %bb.34:
	ds_read_b128 v[1:4], v40
	s_andn2_b32 vcc_lo, exec_lo, s7
	s_cbranch_vccnz .LBB60_36
; %bb.35:
	s_clause 0x3
	buffer_load_dword v41, v39, s[0:3], 0 offen offset:8
	buffer_load_dword v42, v39, s[0:3], 0 offen offset:12
	buffer_load_dword v43, v39, s[0:3], 0 offen
	buffer_load_dword v44, v39, s[0:3], 0 offen offset:4
	s_waitcnt vmcnt(2) lgkmcnt(0)
	v_mul_f64 v[45:46], v[3:4], v[41:42]
	v_mul_f64 v[41:42], v[1:2], v[41:42]
	s_waitcnt vmcnt(0)
	v_fma_f64 v[1:2], v[1:2], v[43:44], -v[45:46]
	v_fma_f64 v[3:4], v[3:4], v[43:44], v[41:42]
.LBB60_36:
	s_and_saveexec_b32 s8, s4
	s_cbranch_execz .LBB60_46
; %bb.37:
	v_subrev_nc_u32_e32 v42, 58, v0
	v_mov_b32_e32 v43, 57
	v_subrev_nc_u32_e32 v41, 57, v0
	s_mov_b32 s4, exec_lo
	v_cmpx_lt_u32_e32 6, v42
	s_cbranch_execz .LBB60_41
; %bb.38:
	v_and_b32_e32 v42, -8, v41
	s_movk_i32 s71, 0x760
	s_mov_b32 s70, 0
	s_mov_b32 s72, s12
	;; [unrolled: 1-line block ×3, first 2 shown]
.LBB60_39:                              ; =>This Inner Loop Header: Depth=1
	v_mov_b32_e32 v43, s72
	v_mov_b32_e32 v91, s71
	s_add_i32 s74, s73, 8
	s_addk_i32 s73, 0x41
	v_cmp_eq_u32_e32 vcc_lo, s74, v42
	s_clause 0x1f
	buffer_load_dword v51, v43, s[0:3], 0 offen offset:8
	buffer_load_dword v52, v43, s[0:3], 0 offen offset:12
	buffer_load_dword v53, v43, s[0:3], 0 offen
	buffer_load_dword v54, v43, s[0:3], 0 offen offset:4
	buffer_load_dword v55, v43, s[0:3], 0 offen offset:24
	;; [unrolled: 1-line block ×29, first 2 shown]
	ds_read_b128 v[43:46], v91
	ds_read_b128 v[47:50], v91 offset:16
	s_addk_i32 s71, 0x80
	s_addk_i32 s72, 0x80
	s_or_b32 s70, vcc_lo, s70
	s_waitcnt vmcnt(30) lgkmcnt(1)
	v_mul_f64 v[83:84], v[45:46], v[51:52]
	v_mul_f64 v[51:52], v[43:44], v[51:52]
	s_waitcnt vmcnt(26) lgkmcnt(0)
	v_mul_f64 v[85:86], v[49:50], v[55:56]
	v_mul_f64 v[55:56], v[47:48], v[55:56]
	v_fma_f64 v[83:84], v[43:44], v[53:54], -v[83:84]
	v_fma_f64 v[87:88], v[45:46], v[53:54], v[51:52]
	ds_read_b128 v[43:46], v91 offset:32
	ds_read_b128 v[51:54], v91 offset:48
	s_waitcnt vmcnt(24)
	v_fma_f64 v[47:48], v[47:48], v[57:58], -v[85:86]
	v_fma_f64 v[49:50], v[49:50], v[57:58], v[55:56]
	s_waitcnt vmcnt(22) lgkmcnt(1)
	v_mul_f64 v[89:90], v[45:46], v[59:60]
	v_mul_f64 v[59:60], v[43:44], v[59:60]
	v_add_f64 v[1:2], v[1:2], v[83:84]
	v_add_f64 v[3:4], v[3:4], v[87:88]
	s_waitcnt vmcnt(18) lgkmcnt(0)
	v_mul_f64 v[55:56], v[53:54], v[63:64]
	v_mul_f64 v[57:58], v[51:52], v[63:64]
	v_fma_f64 v[63:64], v[43:44], v[61:62], -v[89:90]
	v_fma_f64 v[59:60], v[45:46], v[61:62], v[59:60]
	v_add_f64 v[47:48], v[1:2], v[47:48]
	v_add_f64 v[49:50], v[3:4], v[49:50]
	ds_read_b128 v[1:4], v91 offset:64
	ds_read_b128 v[43:46], v91 offset:80
	s_waitcnt vmcnt(16)
	v_fma_f64 v[51:52], v[51:52], v[65:66], -v[55:56]
	v_fma_f64 v[53:54], v[53:54], v[65:66], v[57:58]
	s_waitcnt vmcnt(12) lgkmcnt(1)
	v_mul_f64 v[61:62], v[3:4], v[67:68]
	v_mul_f64 v[67:68], v[1:2], v[67:68]
	v_add_f64 v[47:48], v[47:48], v[63:64]
	v_add_f64 v[49:50], v[49:50], v[59:60]
	s_waitcnt vmcnt(10) lgkmcnt(0)
	v_mul_f64 v[55:56], v[45:46], v[69:70]
	v_mul_f64 v[57:58], v[43:44], v[69:70]
	s_waitcnt vmcnt(8)
	v_fma_f64 v[59:60], v[1:2], v[73:74], -v[61:62]
	v_fma_f64 v[61:62], v[3:4], v[73:74], v[67:68]
	v_add_f64 v[51:52], v[47:48], v[51:52]
	v_add_f64 v[53:54], v[49:50], v[53:54]
	ds_read_b128 v[1:4], v91 offset:96
	ds_read_b128 v[47:50], v91 offset:112
	v_fma_f64 v[43:44], v[43:44], v[71:72], -v[55:56]
	v_fma_f64 v[45:46], v[45:46], v[71:72], v[57:58]
	s_waitcnt vmcnt(4) lgkmcnt(1)
	v_mul_f64 v[63:64], v[3:4], v[75:76]
	v_mul_f64 v[65:66], v[1:2], v[75:76]
	v_add_f64 v[51:52], v[51:52], v[59:60]
	v_add_f64 v[53:54], v[53:54], v[61:62]
	s_waitcnt vmcnt(2) lgkmcnt(0)
	v_mul_f64 v[55:56], v[49:50], v[77:78]
	v_mul_f64 v[57:58], v[47:48], v[77:78]
	s_waitcnt vmcnt(0)
	v_fma_f64 v[1:2], v[1:2], v[81:82], -v[63:64]
	v_fma_f64 v[3:4], v[3:4], v[81:82], v[65:66]
	v_add_f64 v[43:44], v[51:52], v[43:44]
	v_add_f64 v[45:46], v[53:54], v[45:46]
	v_fma_f64 v[47:48], v[47:48], v[79:80], -v[55:56]
	v_fma_f64 v[49:50], v[49:50], v[79:80], v[57:58]
	v_add_f64 v[1:2], v[43:44], v[1:2]
	v_add_f64 v[3:4], v[45:46], v[3:4]
	v_mov_b32_e32 v43, s73
	s_mov_b32 s73, s74
	v_add_f64 v[1:2], v[1:2], v[47:48]
	v_add_f64 v[3:4], v[3:4], v[49:50]
	s_andn2_b32 exec_lo, exec_lo, s70
	s_cbranch_execnz .LBB60_39
; %bb.40:
	s_or_b32 exec_lo, exec_lo, s70
.LBB60_41:
	s_or_b32 exec_lo, exec_lo, s4
	v_and_b32_e32 v41, 7, v41
	s_mov_b32 s70, 0
	s_mov_b32 s4, exec_lo
	v_cmpx_ne_u32_e32 0, v41
	s_cbranch_execz .LBB60_45
; %bb.42:
	v_lshlrev_b32_e32 v43, 4, v43
	v_add_nc_u32_e32 v42, 0x3d0, v43
	.p2align	6
.LBB60_43:                              ; =>This Inner Loop Header: Depth=1
	s_clause 0x3
	buffer_load_dword v48, v43, s[0:3], 0 offen offset:8
	buffer_load_dword v49, v43, s[0:3], 0 offen offset:12
	buffer_load_dword v50, v43, s[0:3], 0 offen
	buffer_load_dword v51, v43, s[0:3], 0 offen offset:4
	ds_read_b128 v[44:47], v42
	v_add_nc_u32_e32 v41, -1, v41
	v_add_nc_u32_e32 v42, 16, v42
	v_add_nc_u32_e32 v43, 16, v43
	v_cmp_eq_u32_e32 vcc_lo, 0, v41
	s_or_b32 s70, vcc_lo, s70
	s_waitcnt vmcnt(2) lgkmcnt(0)
	v_mul_f64 v[52:53], v[46:47], v[48:49]
	v_mul_f64 v[48:49], v[44:45], v[48:49]
	s_waitcnt vmcnt(0)
	v_fma_f64 v[44:45], v[44:45], v[50:51], -v[52:53]
	v_fma_f64 v[46:47], v[46:47], v[50:51], v[48:49]
	v_add_f64 v[1:2], v[1:2], v[44:45]
	v_add_f64 v[3:4], v[3:4], v[46:47]
	s_andn2_b32 exec_lo, exec_lo, s70
	s_cbranch_execnz .LBB60_43
; %bb.44:
	s_or_b32 exec_lo, exec_lo, s70
.LBB60_45:
	s_or_b32 exec_lo, exec_lo, s4
.LBB60_46:
	s_or_b32 exec_lo, exec_lo, s8
	v_mov_b32_e32 v41, 0
	ds_read_b128 v[41:44], v41 offset:896
	s_waitcnt lgkmcnt(0)
	v_mul_f64 v[45:46], v[3:4], v[43:44]
	v_mul_f64 v[43:44], v[1:2], v[43:44]
	v_fma_f64 v[1:2], v[1:2], v[41:42], -v[45:46]
	v_fma_f64 v[3:4], v[3:4], v[41:42], v[43:44]
	buffer_store_dword v2, off, s[0:3], 0 offset:900
	buffer_store_dword v1, off, s[0:3], 0 offset:896
	;; [unrolled: 1-line block ×4, first 2 shown]
.LBB60_47:
	s_or_b32 exec_lo, exec_lo, s6
	v_mov_b32_e32 v4, s14
	v_cmp_lt_u32_e64 s6, 55, v0
	s_clause 0x3
	buffer_load_dword v1, v4, s[0:3], 0 offen
	buffer_load_dword v2, v4, s[0:3], 0 offen offset:4
	buffer_load_dword v3, v4, s[0:3], 0 offen offset:8
	;; [unrolled: 1-line block ×3, first 2 shown]
	s_waitcnt vmcnt(0)
	ds_write_b128 v40, v[1:4]
	s_waitcnt lgkmcnt(0)
	s_waitcnt_vscnt null, 0x0
	s_barrier
	buffer_gl0_inv
	s_and_saveexec_b32 s4, s6
	s_cbranch_execz .LBB60_61
; %bb.48:
	ds_read_b128 v[1:4], v40
	s_andn2_b32 vcc_lo, exec_lo, s7
	s_cbranch_vccnz .LBB60_50
; %bb.49:
	s_clause 0x3
	buffer_load_dword v41, v39, s[0:3], 0 offen offset:8
	buffer_load_dword v42, v39, s[0:3], 0 offen offset:12
	buffer_load_dword v43, v39, s[0:3], 0 offen
	buffer_load_dword v44, v39, s[0:3], 0 offen offset:4
	s_waitcnt vmcnt(2) lgkmcnt(0)
	v_mul_f64 v[45:46], v[3:4], v[41:42]
	v_mul_f64 v[41:42], v[1:2], v[41:42]
	s_waitcnt vmcnt(0)
	v_fma_f64 v[1:2], v[1:2], v[43:44], -v[45:46]
	v_fma_f64 v[3:4], v[3:4], v[43:44], v[41:42]
.LBB60_50:
	s_and_saveexec_b32 s8, s5
	s_cbranch_execz .LBB60_60
; %bb.51:
	v_subrev_nc_u32_e32 v41, 57, v0
	v_cmp_lt_u32_e32 vcc_lo, 6, v41
	v_mov_b32_e32 v41, 56
	s_and_saveexec_b32 s5, vcc_lo
	s_cbranch_execz .LBB60_55
; %bb.52:
	v_and_b32_e32 v41, 56, v0
	s_mov_b32 s70, 56
	s_movk_i32 s72, 0x750
	s_mov_b32 s71, 0
	s_mov_b32 s73, s13
.LBB60_53:                              ; =>This Inner Loop Header: Depth=1
	v_mov_b32_e32 v42, s73
	v_mov_b32_e32 v90, s72
	s_add_i32 s70, s70, 8
	s_addk_i32 s72, 0x80
	v_cmp_eq_u32_e32 vcc_lo, s70, v41
	s_clause 0x1f
	buffer_load_dword v50, v42, s[0:3], 0 offen offset:8
	buffer_load_dword v51, v42, s[0:3], 0 offen offset:12
	buffer_load_dword v52, v42, s[0:3], 0 offen
	buffer_load_dword v53, v42, s[0:3], 0 offen offset:4
	buffer_load_dword v54, v42, s[0:3], 0 offen offset:24
	;; [unrolled: 1-line block ×29, first 2 shown]
	ds_read_b128 v[42:45], v90
	ds_read_b128 v[46:49], v90 offset:16
	s_addk_i32 s73, 0x80
	s_or_b32 s71, vcc_lo, s71
	s_waitcnt vmcnt(30) lgkmcnt(1)
	v_mul_f64 v[82:83], v[44:45], v[50:51]
	v_mul_f64 v[50:51], v[42:43], v[50:51]
	s_waitcnt vmcnt(26) lgkmcnt(0)
	v_mul_f64 v[84:85], v[48:49], v[54:55]
	v_mul_f64 v[54:55], v[46:47], v[54:55]
	v_fma_f64 v[82:83], v[42:43], v[52:53], -v[82:83]
	v_fma_f64 v[86:87], v[44:45], v[52:53], v[50:51]
	ds_read_b128 v[42:45], v90 offset:32
	ds_read_b128 v[50:53], v90 offset:48
	s_waitcnt vmcnt(24)
	v_fma_f64 v[46:47], v[46:47], v[56:57], -v[84:85]
	v_fma_f64 v[48:49], v[48:49], v[56:57], v[54:55]
	s_waitcnt vmcnt(22) lgkmcnt(1)
	v_mul_f64 v[88:89], v[44:45], v[58:59]
	v_mul_f64 v[58:59], v[42:43], v[58:59]
	v_add_f64 v[1:2], v[1:2], v[82:83]
	v_add_f64 v[3:4], v[3:4], v[86:87]
	s_waitcnt vmcnt(18) lgkmcnt(0)
	v_mul_f64 v[54:55], v[52:53], v[62:63]
	v_mul_f64 v[56:57], v[50:51], v[62:63]
	v_fma_f64 v[62:63], v[42:43], v[60:61], -v[88:89]
	v_fma_f64 v[58:59], v[44:45], v[60:61], v[58:59]
	v_add_f64 v[46:47], v[1:2], v[46:47]
	v_add_f64 v[48:49], v[3:4], v[48:49]
	ds_read_b128 v[1:4], v90 offset:64
	ds_read_b128 v[42:45], v90 offset:80
	s_waitcnt vmcnt(16)
	v_fma_f64 v[50:51], v[50:51], v[64:65], -v[54:55]
	v_fma_f64 v[52:53], v[52:53], v[64:65], v[56:57]
	s_waitcnt vmcnt(12) lgkmcnt(1)
	v_mul_f64 v[60:61], v[3:4], v[66:67]
	v_mul_f64 v[66:67], v[1:2], v[66:67]
	v_add_f64 v[46:47], v[46:47], v[62:63]
	v_add_f64 v[48:49], v[48:49], v[58:59]
	s_waitcnt vmcnt(10) lgkmcnt(0)
	v_mul_f64 v[54:55], v[44:45], v[68:69]
	v_mul_f64 v[56:57], v[42:43], v[68:69]
	s_waitcnt vmcnt(8)
	v_fma_f64 v[58:59], v[1:2], v[72:73], -v[60:61]
	v_fma_f64 v[60:61], v[3:4], v[72:73], v[66:67]
	v_add_f64 v[50:51], v[46:47], v[50:51]
	v_add_f64 v[52:53], v[48:49], v[52:53]
	ds_read_b128 v[1:4], v90 offset:96
	ds_read_b128 v[46:49], v90 offset:112
	v_fma_f64 v[42:43], v[42:43], v[70:71], -v[54:55]
	v_fma_f64 v[44:45], v[44:45], v[70:71], v[56:57]
	s_waitcnt vmcnt(4) lgkmcnt(1)
	v_mul_f64 v[62:63], v[3:4], v[74:75]
	v_mul_f64 v[64:65], v[1:2], v[74:75]
	v_add_f64 v[50:51], v[50:51], v[58:59]
	v_add_f64 v[52:53], v[52:53], v[60:61]
	s_waitcnt vmcnt(2) lgkmcnt(0)
	v_mul_f64 v[54:55], v[48:49], v[76:77]
	v_mul_f64 v[56:57], v[46:47], v[76:77]
	s_waitcnt vmcnt(0)
	v_fma_f64 v[1:2], v[1:2], v[80:81], -v[62:63]
	v_fma_f64 v[3:4], v[3:4], v[80:81], v[64:65]
	v_add_f64 v[42:43], v[50:51], v[42:43]
	v_add_f64 v[44:45], v[52:53], v[44:45]
	v_fma_f64 v[46:47], v[46:47], v[78:79], -v[54:55]
	v_fma_f64 v[48:49], v[48:49], v[78:79], v[56:57]
	v_add_f64 v[1:2], v[42:43], v[1:2]
	v_add_f64 v[3:4], v[44:45], v[3:4]
	;; [unrolled: 1-line block ×4, first 2 shown]
	s_andn2_b32 exec_lo, exec_lo, s71
	s_cbranch_execnz .LBB60_53
; %bb.54:
	s_or_b32 exec_lo, exec_lo, s71
.LBB60_55:
	s_or_b32 exec_lo, exec_lo, s5
	v_and_b32_e32 v42, 7, v0
	s_mov_b32 s70, 0
	s_mov_b32 s5, exec_lo
	v_cmpx_ne_u32_e32 0, v42
	s_cbranch_execz .LBB60_59
; %bb.56:
	v_lshlrev_b32_e32 v43, 4, v41
	v_add_nc_u32_e32 v41, 0x3d0, v43
	.p2align	6
.LBB60_57:                              ; =>This Inner Loop Header: Depth=1
	s_clause 0x3
	buffer_load_dword v48, v43, s[0:3], 0 offen offset:8
	buffer_load_dword v49, v43, s[0:3], 0 offen offset:12
	buffer_load_dword v50, v43, s[0:3], 0 offen
	buffer_load_dword v51, v43, s[0:3], 0 offen offset:4
	ds_read_b128 v[44:47], v41
	v_add_nc_u32_e32 v42, -1, v42
	v_add_nc_u32_e32 v41, 16, v41
	v_add_nc_u32_e32 v43, 16, v43
	v_cmp_eq_u32_e32 vcc_lo, 0, v42
	s_or_b32 s70, vcc_lo, s70
	s_waitcnt vmcnt(2) lgkmcnt(0)
	v_mul_f64 v[52:53], v[46:47], v[48:49]
	v_mul_f64 v[48:49], v[44:45], v[48:49]
	s_waitcnt vmcnt(0)
	v_fma_f64 v[44:45], v[44:45], v[50:51], -v[52:53]
	v_fma_f64 v[46:47], v[46:47], v[50:51], v[48:49]
	v_add_f64 v[1:2], v[1:2], v[44:45]
	v_add_f64 v[3:4], v[3:4], v[46:47]
	s_andn2_b32 exec_lo, exec_lo, s70
	s_cbranch_execnz .LBB60_57
; %bb.58:
	s_or_b32 exec_lo, exec_lo, s70
.LBB60_59:
	s_or_b32 exec_lo, exec_lo, s5
.LBB60_60:
	s_or_b32 exec_lo, exec_lo, s8
	v_mov_b32_e32 v41, 0
	ds_read_b128 v[41:44], v41 offset:880
	s_waitcnt lgkmcnt(0)
	v_mul_f64 v[45:46], v[3:4], v[43:44]
	v_mul_f64 v[43:44], v[1:2], v[43:44]
	v_fma_f64 v[1:2], v[1:2], v[41:42], -v[45:46]
	v_fma_f64 v[3:4], v[3:4], v[41:42], v[43:44]
	buffer_store_dword v2, off, s[0:3], 0 offset:884
	buffer_store_dword v1, off, s[0:3], 0 offset:880
	;; [unrolled: 1-line block ×4, first 2 shown]
.LBB60_61:
	s_or_b32 exec_lo, exec_lo, s4
	v_mov_b32_e32 v4, s15
	v_cmp_lt_u32_e64 s4, 54, v0
	s_clause 0x3
	buffer_load_dword v1, v4, s[0:3], 0 offen
	buffer_load_dword v2, v4, s[0:3], 0 offen offset:4
	buffer_load_dword v3, v4, s[0:3], 0 offen offset:8
	;; [unrolled: 1-line block ×3, first 2 shown]
	s_waitcnt vmcnt(0)
	ds_write_b128 v40, v[1:4]
	s_waitcnt lgkmcnt(0)
	s_waitcnt_vscnt null, 0x0
	s_barrier
	buffer_gl0_inv
	s_and_saveexec_b32 s5, s4
	s_cbranch_execz .LBB60_75
; %bb.62:
	ds_read_b128 v[1:4], v40
	s_andn2_b32 vcc_lo, exec_lo, s7
	s_cbranch_vccnz .LBB60_64
; %bb.63:
	s_clause 0x3
	buffer_load_dword v41, v39, s[0:3], 0 offen offset:8
	buffer_load_dword v42, v39, s[0:3], 0 offen offset:12
	buffer_load_dword v43, v39, s[0:3], 0 offen
	buffer_load_dword v44, v39, s[0:3], 0 offen offset:4
	s_waitcnt vmcnt(2) lgkmcnt(0)
	v_mul_f64 v[45:46], v[3:4], v[41:42]
	v_mul_f64 v[41:42], v[1:2], v[41:42]
	s_waitcnt vmcnt(0)
	v_fma_f64 v[1:2], v[1:2], v[43:44], -v[45:46]
	v_fma_f64 v[3:4], v[3:4], v[43:44], v[41:42]
.LBB60_64:
	s_and_saveexec_b32 s8, s6
	s_cbranch_execz .LBB60_74
; %bb.65:
	v_subrev_nc_u32_e32 v42, 56, v0
	v_mov_b32_e32 v43, 55
	v_subrev_nc_u32_e32 v41, 55, v0
	s_mov_b32 s6, exec_lo
	v_cmpx_lt_u32_e32 6, v42
	s_cbranch_execz .LBB60_69
; %bb.66:
	v_and_b32_e32 v42, -8, v41
	s_movk_i32 s71, 0x740
	s_mov_b32 s70, 0
	s_mov_b32 s72, s14
	;; [unrolled: 1-line block ×3, first 2 shown]
.LBB60_67:                              ; =>This Inner Loop Header: Depth=1
	v_mov_b32_e32 v43, s72
	v_mov_b32_e32 v91, s71
	s_add_i32 s74, s73, 8
	s_add_i32 s73, s73, 63
	v_cmp_eq_u32_e32 vcc_lo, s74, v42
	s_clause 0x1f
	buffer_load_dword v51, v43, s[0:3], 0 offen offset:8
	buffer_load_dword v52, v43, s[0:3], 0 offen offset:12
	buffer_load_dword v53, v43, s[0:3], 0 offen
	buffer_load_dword v54, v43, s[0:3], 0 offen offset:4
	buffer_load_dword v55, v43, s[0:3], 0 offen offset:24
	;; [unrolled: 1-line block ×29, first 2 shown]
	ds_read_b128 v[43:46], v91
	ds_read_b128 v[47:50], v91 offset:16
	s_addk_i32 s71, 0x80
	s_addk_i32 s72, 0x80
	s_or_b32 s70, vcc_lo, s70
	s_waitcnt vmcnt(30) lgkmcnt(1)
	v_mul_f64 v[83:84], v[45:46], v[51:52]
	v_mul_f64 v[51:52], v[43:44], v[51:52]
	s_waitcnt vmcnt(26) lgkmcnt(0)
	v_mul_f64 v[85:86], v[49:50], v[55:56]
	v_mul_f64 v[55:56], v[47:48], v[55:56]
	v_fma_f64 v[83:84], v[43:44], v[53:54], -v[83:84]
	v_fma_f64 v[87:88], v[45:46], v[53:54], v[51:52]
	ds_read_b128 v[43:46], v91 offset:32
	ds_read_b128 v[51:54], v91 offset:48
	s_waitcnt vmcnt(24)
	v_fma_f64 v[47:48], v[47:48], v[57:58], -v[85:86]
	v_fma_f64 v[49:50], v[49:50], v[57:58], v[55:56]
	s_waitcnt vmcnt(22) lgkmcnt(1)
	v_mul_f64 v[89:90], v[45:46], v[59:60]
	v_mul_f64 v[59:60], v[43:44], v[59:60]
	v_add_f64 v[1:2], v[1:2], v[83:84]
	v_add_f64 v[3:4], v[3:4], v[87:88]
	s_waitcnt vmcnt(18) lgkmcnt(0)
	v_mul_f64 v[55:56], v[53:54], v[63:64]
	v_mul_f64 v[57:58], v[51:52], v[63:64]
	v_fma_f64 v[63:64], v[43:44], v[61:62], -v[89:90]
	v_fma_f64 v[59:60], v[45:46], v[61:62], v[59:60]
	v_add_f64 v[47:48], v[1:2], v[47:48]
	v_add_f64 v[49:50], v[3:4], v[49:50]
	ds_read_b128 v[1:4], v91 offset:64
	ds_read_b128 v[43:46], v91 offset:80
	s_waitcnt vmcnt(16)
	v_fma_f64 v[51:52], v[51:52], v[65:66], -v[55:56]
	v_fma_f64 v[53:54], v[53:54], v[65:66], v[57:58]
	s_waitcnt vmcnt(12) lgkmcnt(1)
	v_mul_f64 v[61:62], v[3:4], v[67:68]
	v_mul_f64 v[67:68], v[1:2], v[67:68]
	v_add_f64 v[47:48], v[47:48], v[63:64]
	v_add_f64 v[49:50], v[49:50], v[59:60]
	s_waitcnt vmcnt(10) lgkmcnt(0)
	v_mul_f64 v[55:56], v[45:46], v[69:70]
	v_mul_f64 v[57:58], v[43:44], v[69:70]
	s_waitcnt vmcnt(8)
	v_fma_f64 v[59:60], v[1:2], v[73:74], -v[61:62]
	v_fma_f64 v[61:62], v[3:4], v[73:74], v[67:68]
	v_add_f64 v[51:52], v[47:48], v[51:52]
	v_add_f64 v[53:54], v[49:50], v[53:54]
	ds_read_b128 v[1:4], v91 offset:96
	ds_read_b128 v[47:50], v91 offset:112
	v_fma_f64 v[43:44], v[43:44], v[71:72], -v[55:56]
	v_fma_f64 v[45:46], v[45:46], v[71:72], v[57:58]
	s_waitcnt vmcnt(4) lgkmcnt(1)
	v_mul_f64 v[63:64], v[3:4], v[75:76]
	v_mul_f64 v[65:66], v[1:2], v[75:76]
	v_add_f64 v[51:52], v[51:52], v[59:60]
	v_add_f64 v[53:54], v[53:54], v[61:62]
	s_waitcnt vmcnt(2) lgkmcnt(0)
	v_mul_f64 v[55:56], v[49:50], v[77:78]
	v_mul_f64 v[57:58], v[47:48], v[77:78]
	s_waitcnt vmcnt(0)
	v_fma_f64 v[1:2], v[1:2], v[81:82], -v[63:64]
	v_fma_f64 v[3:4], v[3:4], v[81:82], v[65:66]
	v_add_f64 v[43:44], v[51:52], v[43:44]
	v_add_f64 v[45:46], v[53:54], v[45:46]
	v_fma_f64 v[47:48], v[47:48], v[79:80], -v[55:56]
	v_fma_f64 v[49:50], v[49:50], v[79:80], v[57:58]
	v_add_f64 v[1:2], v[43:44], v[1:2]
	v_add_f64 v[3:4], v[45:46], v[3:4]
	v_mov_b32_e32 v43, s73
	s_mov_b32 s73, s74
	v_add_f64 v[1:2], v[1:2], v[47:48]
	v_add_f64 v[3:4], v[3:4], v[49:50]
	s_andn2_b32 exec_lo, exec_lo, s70
	s_cbranch_execnz .LBB60_67
; %bb.68:
	s_or_b32 exec_lo, exec_lo, s70
.LBB60_69:
	s_or_b32 exec_lo, exec_lo, s6
	v_and_b32_e32 v41, 7, v41
	s_mov_b32 s70, 0
	s_mov_b32 s6, exec_lo
	v_cmpx_ne_u32_e32 0, v41
	s_cbranch_execz .LBB60_73
; %bb.70:
	v_lshlrev_b32_e32 v43, 4, v43
	v_add_nc_u32_e32 v42, 0x3d0, v43
	.p2align	6
.LBB60_71:                              ; =>This Inner Loop Header: Depth=1
	s_clause 0x3
	buffer_load_dword v48, v43, s[0:3], 0 offen offset:8
	buffer_load_dword v49, v43, s[0:3], 0 offen offset:12
	buffer_load_dword v50, v43, s[0:3], 0 offen
	buffer_load_dword v51, v43, s[0:3], 0 offen offset:4
	ds_read_b128 v[44:47], v42
	v_add_nc_u32_e32 v41, -1, v41
	v_add_nc_u32_e32 v42, 16, v42
	v_add_nc_u32_e32 v43, 16, v43
	v_cmp_eq_u32_e32 vcc_lo, 0, v41
	s_or_b32 s70, vcc_lo, s70
	s_waitcnt vmcnt(2) lgkmcnt(0)
	v_mul_f64 v[52:53], v[46:47], v[48:49]
	v_mul_f64 v[48:49], v[44:45], v[48:49]
	s_waitcnt vmcnt(0)
	v_fma_f64 v[44:45], v[44:45], v[50:51], -v[52:53]
	v_fma_f64 v[46:47], v[46:47], v[50:51], v[48:49]
	v_add_f64 v[1:2], v[1:2], v[44:45]
	v_add_f64 v[3:4], v[3:4], v[46:47]
	s_andn2_b32 exec_lo, exec_lo, s70
	s_cbranch_execnz .LBB60_71
; %bb.72:
	s_or_b32 exec_lo, exec_lo, s70
.LBB60_73:
	s_or_b32 exec_lo, exec_lo, s6
.LBB60_74:
	s_or_b32 exec_lo, exec_lo, s8
	v_mov_b32_e32 v41, 0
	ds_read_b128 v[41:44], v41 offset:864
	s_waitcnt lgkmcnt(0)
	v_mul_f64 v[45:46], v[3:4], v[43:44]
	v_mul_f64 v[43:44], v[1:2], v[43:44]
	v_fma_f64 v[1:2], v[1:2], v[41:42], -v[45:46]
	v_fma_f64 v[3:4], v[3:4], v[41:42], v[43:44]
	buffer_store_dword v2, off, s[0:3], 0 offset:868
	buffer_store_dword v1, off, s[0:3], 0 offset:864
	;; [unrolled: 1-line block ×4, first 2 shown]
.LBB60_75:
	s_or_b32 exec_lo, exec_lo, s5
	v_mov_b32_e32 v4, s16
	v_cmp_lt_u32_e64 s5, 53, v0
	s_clause 0x3
	buffer_load_dword v1, v4, s[0:3], 0 offen
	buffer_load_dword v2, v4, s[0:3], 0 offen offset:4
	buffer_load_dword v3, v4, s[0:3], 0 offen offset:8
	;; [unrolled: 1-line block ×3, first 2 shown]
	s_waitcnt vmcnt(0)
	ds_write_b128 v40, v[1:4]
	s_waitcnt lgkmcnt(0)
	s_waitcnt_vscnt null, 0x0
	s_barrier
	buffer_gl0_inv
	s_and_saveexec_b32 s6, s5
	s_cbranch_execz .LBB60_89
; %bb.76:
	ds_read_b128 v[1:4], v40
	s_andn2_b32 vcc_lo, exec_lo, s7
	s_cbranch_vccnz .LBB60_78
; %bb.77:
	s_clause 0x3
	buffer_load_dword v41, v39, s[0:3], 0 offen offset:8
	buffer_load_dword v42, v39, s[0:3], 0 offen offset:12
	buffer_load_dword v43, v39, s[0:3], 0 offen
	buffer_load_dword v44, v39, s[0:3], 0 offen offset:4
	s_waitcnt vmcnt(2) lgkmcnt(0)
	v_mul_f64 v[45:46], v[3:4], v[41:42]
	v_mul_f64 v[41:42], v[1:2], v[41:42]
	s_waitcnt vmcnt(0)
	v_fma_f64 v[1:2], v[1:2], v[43:44], -v[45:46]
	v_fma_f64 v[3:4], v[3:4], v[43:44], v[41:42]
.LBB60_78:
	s_and_saveexec_b32 s8, s4
	s_cbranch_execz .LBB60_88
; %bb.79:
	v_subrev_nc_u32_e32 v42, 55, v0
	v_mov_b32_e32 v43, 54
	v_subrev_nc_u32_e32 v41, 54, v0
	s_mov_b32 s4, exec_lo
	v_cmpx_lt_u32_e32 6, v42
	s_cbranch_execz .LBB60_83
; %bb.80:
	v_and_b32_e32 v42, -8, v41
	s_movk_i32 s71, 0x730
	s_mov_b32 s70, 0
	s_mov_b32 s72, s15
	;; [unrolled: 1-line block ×3, first 2 shown]
.LBB60_81:                              ; =>This Inner Loop Header: Depth=1
	v_mov_b32_e32 v43, s72
	v_mov_b32_e32 v91, s71
	s_add_i32 s74, s73, 8
	s_add_i32 s73, s73, 62
	v_cmp_eq_u32_e32 vcc_lo, s74, v42
	s_clause 0x1f
	buffer_load_dword v51, v43, s[0:3], 0 offen offset:8
	buffer_load_dword v52, v43, s[0:3], 0 offen offset:12
	buffer_load_dword v53, v43, s[0:3], 0 offen
	buffer_load_dword v54, v43, s[0:3], 0 offen offset:4
	buffer_load_dword v55, v43, s[0:3], 0 offen offset:24
	;; [unrolled: 1-line block ×29, first 2 shown]
	ds_read_b128 v[43:46], v91
	ds_read_b128 v[47:50], v91 offset:16
	s_addk_i32 s71, 0x80
	s_addk_i32 s72, 0x80
	s_or_b32 s70, vcc_lo, s70
	s_waitcnt vmcnt(30) lgkmcnt(1)
	v_mul_f64 v[83:84], v[45:46], v[51:52]
	v_mul_f64 v[51:52], v[43:44], v[51:52]
	s_waitcnt vmcnt(26) lgkmcnt(0)
	v_mul_f64 v[85:86], v[49:50], v[55:56]
	v_mul_f64 v[55:56], v[47:48], v[55:56]
	v_fma_f64 v[83:84], v[43:44], v[53:54], -v[83:84]
	v_fma_f64 v[87:88], v[45:46], v[53:54], v[51:52]
	ds_read_b128 v[43:46], v91 offset:32
	ds_read_b128 v[51:54], v91 offset:48
	s_waitcnt vmcnt(24)
	v_fma_f64 v[47:48], v[47:48], v[57:58], -v[85:86]
	v_fma_f64 v[49:50], v[49:50], v[57:58], v[55:56]
	s_waitcnt vmcnt(22) lgkmcnt(1)
	v_mul_f64 v[89:90], v[45:46], v[59:60]
	v_mul_f64 v[59:60], v[43:44], v[59:60]
	v_add_f64 v[1:2], v[1:2], v[83:84]
	v_add_f64 v[3:4], v[3:4], v[87:88]
	s_waitcnt vmcnt(18) lgkmcnt(0)
	v_mul_f64 v[55:56], v[53:54], v[63:64]
	v_mul_f64 v[57:58], v[51:52], v[63:64]
	v_fma_f64 v[63:64], v[43:44], v[61:62], -v[89:90]
	v_fma_f64 v[59:60], v[45:46], v[61:62], v[59:60]
	v_add_f64 v[47:48], v[1:2], v[47:48]
	v_add_f64 v[49:50], v[3:4], v[49:50]
	ds_read_b128 v[1:4], v91 offset:64
	ds_read_b128 v[43:46], v91 offset:80
	s_waitcnt vmcnt(16)
	v_fma_f64 v[51:52], v[51:52], v[65:66], -v[55:56]
	v_fma_f64 v[53:54], v[53:54], v[65:66], v[57:58]
	s_waitcnt vmcnt(12) lgkmcnt(1)
	v_mul_f64 v[61:62], v[3:4], v[67:68]
	v_mul_f64 v[67:68], v[1:2], v[67:68]
	v_add_f64 v[47:48], v[47:48], v[63:64]
	v_add_f64 v[49:50], v[49:50], v[59:60]
	s_waitcnt vmcnt(10) lgkmcnt(0)
	v_mul_f64 v[55:56], v[45:46], v[69:70]
	v_mul_f64 v[57:58], v[43:44], v[69:70]
	s_waitcnt vmcnt(8)
	v_fma_f64 v[59:60], v[1:2], v[73:74], -v[61:62]
	v_fma_f64 v[61:62], v[3:4], v[73:74], v[67:68]
	v_add_f64 v[51:52], v[47:48], v[51:52]
	v_add_f64 v[53:54], v[49:50], v[53:54]
	ds_read_b128 v[1:4], v91 offset:96
	ds_read_b128 v[47:50], v91 offset:112
	v_fma_f64 v[43:44], v[43:44], v[71:72], -v[55:56]
	v_fma_f64 v[45:46], v[45:46], v[71:72], v[57:58]
	s_waitcnt vmcnt(4) lgkmcnt(1)
	v_mul_f64 v[63:64], v[3:4], v[75:76]
	v_mul_f64 v[65:66], v[1:2], v[75:76]
	v_add_f64 v[51:52], v[51:52], v[59:60]
	v_add_f64 v[53:54], v[53:54], v[61:62]
	s_waitcnt vmcnt(2) lgkmcnt(0)
	v_mul_f64 v[55:56], v[49:50], v[77:78]
	v_mul_f64 v[57:58], v[47:48], v[77:78]
	s_waitcnt vmcnt(0)
	v_fma_f64 v[1:2], v[1:2], v[81:82], -v[63:64]
	v_fma_f64 v[3:4], v[3:4], v[81:82], v[65:66]
	v_add_f64 v[43:44], v[51:52], v[43:44]
	v_add_f64 v[45:46], v[53:54], v[45:46]
	v_fma_f64 v[47:48], v[47:48], v[79:80], -v[55:56]
	v_fma_f64 v[49:50], v[49:50], v[79:80], v[57:58]
	v_add_f64 v[1:2], v[43:44], v[1:2]
	v_add_f64 v[3:4], v[45:46], v[3:4]
	v_mov_b32_e32 v43, s73
	s_mov_b32 s73, s74
	v_add_f64 v[1:2], v[1:2], v[47:48]
	v_add_f64 v[3:4], v[3:4], v[49:50]
	s_andn2_b32 exec_lo, exec_lo, s70
	s_cbranch_execnz .LBB60_81
; %bb.82:
	s_or_b32 exec_lo, exec_lo, s70
.LBB60_83:
	s_or_b32 exec_lo, exec_lo, s4
	v_and_b32_e32 v41, 7, v41
	s_mov_b32 s70, 0
	s_mov_b32 s4, exec_lo
	v_cmpx_ne_u32_e32 0, v41
	s_cbranch_execz .LBB60_87
; %bb.84:
	v_lshlrev_b32_e32 v43, 4, v43
	v_add_nc_u32_e32 v42, 0x3d0, v43
	.p2align	6
.LBB60_85:                              ; =>This Inner Loop Header: Depth=1
	s_clause 0x3
	buffer_load_dword v48, v43, s[0:3], 0 offen offset:8
	buffer_load_dword v49, v43, s[0:3], 0 offen offset:12
	buffer_load_dword v50, v43, s[0:3], 0 offen
	buffer_load_dword v51, v43, s[0:3], 0 offen offset:4
	ds_read_b128 v[44:47], v42
	v_add_nc_u32_e32 v41, -1, v41
	v_add_nc_u32_e32 v42, 16, v42
	v_add_nc_u32_e32 v43, 16, v43
	v_cmp_eq_u32_e32 vcc_lo, 0, v41
	s_or_b32 s70, vcc_lo, s70
	s_waitcnt vmcnt(2) lgkmcnt(0)
	v_mul_f64 v[52:53], v[46:47], v[48:49]
	v_mul_f64 v[48:49], v[44:45], v[48:49]
	s_waitcnt vmcnt(0)
	v_fma_f64 v[44:45], v[44:45], v[50:51], -v[52:53]
	v_fma_f64 v[46:47], v[46:47], v[50:51], v[48:49]
	v_add_f64 v[1:2], v[1:2], v[44:45]
	v_add_f64 v[3:4], v[3:4], v[46:47]
	s_andn2_b32 exec_lo, exec_lo, s70
	s_cbranch_execnz .LBB60_85
; %bb.86:
	s_or_b32 exec_lo, exec_lo, s70
.LBB60_87:
	s_or_b32 exec_lo, exec_lo, s4
.LBB60_88:
	s_or_b32 exec_lo, exec_lo, s8
	v_mov_b32_e32 v41, 0
	ds_read_b128 v[41:44], v41 offset:848
	s_waitcnt lgkmcnt(0)
	v_mul_f64 v[45:46], v[3:4], v[43:44]
	v_mul_f64 v[43:44], v[1:2], v[43:44]
	v_fma_f64 v[1:2], v[1:2], v[41:42], -v[45:46]
	v_fma_f64 v[3:4], v[3:4], v[41:42], v[43:44]
	buffer_store_dword v2, off, s[0:3], 0 offset:852
	buffer_store_dword v1, off, s[0:3], 0 offset:848
	;; [unrolled: 1-line block ×4, first 2 shown]
.LBB60_89:
	s_or_b32 exec_lo, exec_lo, s6
	v_mov_b32_e32 v4, s17
	v_cmp_lt_u32_e64 s4, 52, v0
	s_clause 0x3
	buffer_load_dword v1, v4, s[0:3], 0 offen
	buffer_load_dword v2, v4, s[0:3], 0 offen offset:4
	buffer_load_dword v3, v4, s[0:3], 0 offen offset:8
	;; [unrolled: 1-line block ×3, first 2 shown]
	s_waitcnt vmcnt(0)
	ds_write_b128 v40, v[1:4]
	s_waitcnt lgkmcnt(0)
	s_waitcnt_vscnt null, 0x0
	s_barrier
	buffer_gl0_inv
	s_and_saveexec_b32 s6, s4
	s_cbranch_execz .LBB60_103
; %bb.90:
	ds_read_b128 v[1:4], v40
	s_andn2_b32 vcc_lo, exec_lo, s7
	s_cbranch_vccnz .LBB60_92
; %bb.91:
	s_clause 0x3
	buffer_load_dword v41, v39, s[0:3], 0 offen offset:8
	buffer_load_dword v42, v39, s[0:3], 0 offen offset:12
	buffer_load_dword v43, v39, s[0:3], 0 offen
	buffer_load_dword v44, v39, s[0:3], 0 offen offset:4
	s_waitcnt vmcnt(2) lgkmcnt(0)
	v_mul_f64 v[45:46], v[3:4], v[41:42]
	v_mul_f64 v[41:42], v[1:2], v[41:42]
	s_waitcnt vmcnt(0)
	v_fma_f64 v[1:2], v[1:2], v[43:44], -v[45:46]
	v_fma_f64 v[3:4], v[3:4], v[43:44], v[41:42]
.LBB60_92:
	s_and_saveexec_b32 s8, s5
	s_cbranch_execz .LBB60_102
; %bb.93:
	v_subrev_nc_u32_e32 v42, 54, v0
	v_mov_b32_e32 v43, 53
	v_subrev_nc_u32_e32 v41, 53, v0
	s_mov_b32 s5, exec_lo
	v_cmpx_lt_u32_e32 6, v42
	s_cbranch_execz .LBB60_97
; %bb.94:
	v_and_b32_e32 v42, -8, v41
	s_movk_i32 s71, 0x720
	s_mov_b32 s70, 0
	s_mov_b32 s72, s16
	;; [unrolled: 1-line block ×3, first 2 shown]
.LBB60_95:                              ; =>This Inner Loop Header: Depth=1
	v_mov_b32_e32 v43, s72
	v_mov_b32_e32 v91, s71
	s_add_i32 s74, s73, 8
	s_add_i32 s73, s73, 61
	v_cmp_eq_u32_e32 vcc_lo, s74, v42
	s_clause 0x1f
	buffer_load_dword v51, v43, s[0:3], 0 offen offset:8
	buffer_load_dword v52, v43, s[0:3], 0 offen offset:12
	buffer_load_dword v53, v43, s[0:3], 0 offen
	buffer_load_dword v54, v43, s[0:3], 0 offen offset:4
	buffer_load_dword v55, v43, s[0:3], 0 offen offset:24
	;; [unrolled: 1-line block ×29, first 2 shown]
	ds_read_b128 v[43:46], v91
	ds_read_b128 v[47:50], v91 offset:16
	s_addk_i32 s71, 0x80
	s_addk_i32 s72, 0x80
	s_or_b32 s70, vcc_lo, s70
	s_waitcnt vmcnt(30) lgkmcnt(1)
	v_mul_f64 v[83:84], v[45:46], v[51:52]
	v_mul_f64 v[51:52], v[43:44], v[51:52]
	s_waitcnt vmcnt(26) lgkmcnt(0)
	v_mul_f64 v[85:86], v[49:50], v[55:56]
	v_mul_f64 v[55:56], v[47:48], v[55:56]
	v_fma_f64 v[83:84], v[43:44], v[53:54], -v[83:84]
	v_fma_f64 v[87:88], v[45:46], v[53:54], v[51:52]
	ds_read_b128 v[43:46], v91 offset:32
	ds_read_b128 v[51:54], v91 offset:48
	s_waitcnt vmcnt(24)
	v_fma_f64 v[47:48], v[47:48], v[57:58], -v[85:86]
	v_fma_f64 v[49:50], v[49:50], v[57:58], v[55:56]
	s_waitcnt vmcnt(22) lgkmcnt(1)
	v_mul_f64 v[89:90], v[45:46], v[59:60]
	v_mul_f64 v[59:60], v[43:44], v[59:60]
	v_add_f64 v[1:2], v[1:2], v[83:84]
	v_add_f64 v[3:4], v[3:4], v[87:88]
	s_waitcnt vmcnt(18) lgkmcnt(0)
	v_mul_f64 v[55:56], v[53:54], v[63:64]
	v_mul_f64 v[57:58], v[51:52], v[63:64]
	v_fma_f64 v[63:64], v[43:44], v[61:62], -v[89:90]
	v_fma_f64 v[59:60], v[45:46], v[61:62], v[59:60]
	v_add_f64 v[47:48], v[1:2], v[47:48]
	v_add_f64 v[49:50], v[3:4], v[49:50]
	ds_read_b128 v[1:4], v91 offset:64
	ds_read_b128 v[43:46], v91 offset:80
	s_waitcnt vmcnt(16)
	v_fma_f64 v[51:52], v[51:52], v[65:66], -v[55:56]
	v_fma_f64 v[53:54], v[53:54], v[65:66], v[57:58]
	s_waitcnt vmcnt(12) lgkmcnt(1)
	v_mul_f64 v[61:62], v[3:4], v[67:68]
	v_mul_f64 v[67:68], v[1:2], v[67:68]
	v_add_f64 v[47:48], v[47:48], v[63:64]
	v_add_f64 v[49:50], v[49:50], v[59:60]
	s_waitcnt vmcnt(10) lgkmcnt(0)
	v_mul_f64 v[55:56], v[45:46], v[69:70]
	v_mul_f64 v[57:58], v[43:44], v[69:70]
	s_waitcnt vmcnt(8)
	v_fma_f64 v[59:60], v[1:2], v[73:74], -v[61:62]
	v_fma_f64 v[61:62], v[3:4], v[73:74], v[67:68]
	v_add_f64 v[51:52], v[47:48], v[51:52]
	v_add_f64 v[53:54], v[49:50], v[53:54]
	ds_read_b128 v[1:4], v91 offset:96
	ds_read_b128 v[47:50], v91 offset:112
	v_fma_f64 v[43:44], v[43:44], v[71:72], -v[55:56]
	v_fma_f64 v[45:46], v[45:46], v[71:72], v[57:58]
	s_waitcnt vmcnt(4) lgkmcnt(1)
	v_mul_f64 v[63:64], v[3:4], v[75:76]
	v_mul_f64 v[65:66], v[1:2], v[75:76]
	v_add_f64 v[51:52], v[51:52], v[59:60]
	v_add_f64 v[53:54], v[53:54], v[61:62]
	s_waitcnt vmcnt(2) lgkmcnt(0)
	v_mul_f64 v[55:56], v[49:50], v[77:78]
	v_mul_f64 v[57:58], v[47:48], v[77:78]
	s_waitcnt vmcnt(0)
	v_fma_f64 v[1:2], v[1:2], v[81:82], -v[63:64]
	v_fma_f64 v[3:4], v[3:4], v[81:82], v[65:66]
	v_add_f64 v[43:44], v[51:52], v[43:44]
	v_add_f64 v[45:46], v[53:54], v[45:46]
	v_fma_f64 v[47:48], v[47:48], v[79:80], -v[55:56]
	v_fma_f64 v[49:50], v[49:50], v[79:80], v[57:58]
	v_add_f64 v[1:2], v[43:44], v[1:2]
	v_add_f64 v[3:4], v[45:46], v[3:4]
	v_mov_b32_e32 v43, s73
	s_mov_b32 s73, s74
	v_add_f64 v[1:2], v[1:2], v[47:48]
	v_add_f64 v[3:4], v[3:4], v[49:50]
	s_andn2_b32 exec_lo, exec_lo, s70
	s_cbranch_execnz .LBB60_95
; %bb.96:
	s_or_b32 exec_lo, exec_lo, s70
.LBB60_97:
	s_or_b32 exec_lo, exec_lo, s5
	v_and_b32_e32 v41, 7, v41
	s_mov_b32 s70, 0
	s_mov_b32 s5, exec_lo
	v_cmpx_ne_u32_e32 0, v41
	s_cbranch_execz .LBB60_101
; %bb.98:
	v_lshlrev_b32_e32 v43, 4, v43
	v_add_nc_u32_e32 v42, 0x3d0, v43
	.p2align	6
.LBB60_99:                              ; =>This Inner Loop Header: Depth=1
	s_clause 0x3
	buffer_load_dword v48, v43, s[0:3], 0 offen offset:8
	buffer_load_dword v49, v43, s[0:3], 0 offen offset:12
	buffer_load_dword v50, v43, s[0:3], 0 offen
	buffer_load_dword v51, v43, s[0:3], 0 offen offset:4
	ds_read_b128 v[44:47], v42
	v_add_nc_u32_e32 v41, -1, v41
	v_add_nc_u32_e32 v42, 16, v42
	v_add_nc_u32_e32 v43, 16, v43
	v_cmp_eq_u32_e32 vcc_lo, 0, v41
	s_or_b32 s70, vcc_lo, s70
	s_waitcnt vmcnt(2) lgkmcnt(0)
	v_mul_f64 v[52:53], v[46:47], v[48:49]
	v_mul_f64 v[48:49], v[44:45], v[48:49]
	s_waitcnt vmcnt(0)
	v_fma_f64 v[44:45], v[44:45], v[50:51], -v[52:53]
	v_fma_f64 v[46:47], v[46:47], v[50:51], v[48:49]
	v_add_f64 v[1:2], v[1:2], v[44:45]
	v_add_f64 v[3:4], v[3:4], v[46:47]
	s_andn2_b32 exec_lo, exec_lo, s70
	s_cbranch_execnz .LBB60_99
; %bb.100:
	s_or_b32 exec_lo, exec_lo, s70
.LBB60_101:
	s_or_b32 exec_lo, exec_lo, s5
.LBB60_102:
	s_or_b32 exec_lo, exec_lo, s8
	v_mov_b32_e32 v41, 0
	ds_read_b128 v[41:44], v41 offset:832
	s_waitcnt lgkmcnt(0)
	v_mul_f64 v[45:46], v[3:4], v[43:44]
	v_mul_f64 v[43:44], v[1:2], v[43:44]
	v_fma_f64 v[1:2], v[1:2], v[41:42], -v[45:46]
	v_fma_f64 v[3:4], v[3:4], v[41:42], v[43:44]
	buffer_store_dword v2, off, s[0:3], 0 offset:836
	buffer_store_dword v1, off, s[0:3], 0 offset:832
	;; [unrolled: 1-line block ×4, first 2 shown]
.LBB60_103:
	s_or_b32 exec_lo, exec_lo, s6
	v_mov_b32_e32 v4, s18
	v_cmp_lt_u32_e64 s5, 51, v0
	s_clause 0x3
	buffer_load_dword v1, v4, s[0:3], 0 offen
	buffer_load_dword v2, v4, s[0:3], 0 offen offset:4
	buffer_load_dword v3, v4, s[0:3], 0 offen offset:8
	;; [unrolled: 1-line block ×3, first 2 shown]
	s_waitcnt vmcnt(0)
	ds_write_b128 v40, v[1:4]
	s_waitcnt lgkmcnt(0)
	s_waitcnt_vscnt null, 0x0
	s_barrier
	buffer_gl0_inv
	s_and_saveexec_b32 s6, s5
	s_cbranch_execz .LBB60_117
; %bb.104:
	ds_read_b128 v[1:4], v40
	s_andn2_b32 vcc_lo, exec_lo, s7
	s_cbranch_vccnz .LBB60_106
; %bb.105:
	s_clause 0x3
	buffer_load_dword v41, v39, s[0:3], 0 offen offset:8
	buffer_load_dword v42, v39, s[0:3], 0 offen offset:12
	buffer_load_dword v43, v39, s[0:3], 0 offen
	buffer_load_dword v44, v39, s[0:3], 0 offen offset:4
	s_waitcnt vmcnt(2) lgkmcnt(0)
	v_mul_f64 v[45:46], v[3:4], v[41:42]
	v_mul_f64 v[41:42], v[1:2], v[41:42]
	s_waitcnt vmcnt(0)
	v_fma_f64 v[1:2], v[1:2], v[43:44], -v[45:46]
	v_fma_f64 v[3:4], v[3:4], v[43:44], v[41:42]
.LBB60_106:
	s_and_saveexec_b32 s8, s4
	s_cbranch_execz .LBB60_116
; %bb.107:
	v_subrev_nc_u32_e32 v42, 53, v0
	v_mov_b32_e32 v43, 52
	v_subrev_nc_u32_e32 v41, 52, v0
	s_mov_b32 s4, exec_lo
	v_cmpx_lt_u32_e32 6, v42
	s_cbranch_execz .LBB60_111
; %bb.108:
	v_and_b32_e32 v42, -8, v41
	s_movk_i32 s71, 0x710
	s_mov_b32 s70, 0
	s_mov_b32 s72, s17
	;; [unrolled: 1-line block ×3, first 2 shown]
.LBB60_109:                             ; =>This Inner Loop Header: Depth=1
	v_mov_b32_e32 v43, s72
	v_mov_b32_e32 v91, s71
	s_add_i32 s74, s73, 8
	s_add_i32 s73, s73, 60
	v_cmp_eq_u32_e32 vcc_lo, s74, v42
	s_clause 0x1f
	buffer_load_dword v51, v43, s[0:3], 0 offen offset:8
	buffer_load_dword v52, v43, s[0:3], 0 offen offset:12
	buffer_load_dword v53, v43, s[0:3], 0 offen
	buffer_load_dword v54, v43, s[0:3], 0 offen offset:4
	buffer_load_dword v55, v43, s[0:3], 0 offen offset:24
	buffer_load_dword v56, v43, s[0:3], 0 offen offset:28
	buffer_load_dword v57, v43, s[0:3], 0 offen offset:16
	buffer_load_dword v58, v43, s[0:3], 0 offen offset:20
	buffer_load_dword v59, v43, s[0:3], 0 offen offset:40
	buffer_load_dword v60, v43, s[0:3], 0 offen offset:44
	buffer_load_dword v61, v43, s[0:3], 0 offen offset:32
	buffer_load_dword v62, v43, s[0:3], 0 offen offset:36
	buffer_load_dword v63, v43, s[0:3], 0 offen offset:56
	buffer_load_dword v64, v43, s[0:3], 0 offen offset:60
	buffer_load_dword v65, v43, s[0:3], 0 offen offset:48
	buffer_load_dword v66, v43, s[0:3], 0 offen offset:52
	buffer_load_dword v68, v43, s[0:3], 0 offen offset:76
	buffer_load_dword v69, v43, s[0:3], 0 offen offset:88
	buffer_load_dword v71, v43, s[0:3], 0 offen offset:80
	buffer_load_dword v67, v43, s[0:3], 0 offen offset:72
	buffer_load_dword v72, v43, s[0:3], 0 offen offset:84
	buffer_load_dword v70, v43, s[0:3], 0 offen offset:92
	buffer_load_dword v74, v43, s[0:3], 0 offen offset:68
	buffer_load_dword v73, v43, s[0:3], 0 offen offset:64
	buffer_load_dword v76, v43, s[0:3], 0 offen offset:108
	buffer_load_dword v77, v43, s[0:3], 0 offen offset:120
	buffer_load_dword v79, v43, s[0:3], 0 offen offset:112
	buffer_load_dword v75, v43, s[0:3], 0 offen offset:104
	buffer_load_dword v80, v43, s[0:3], 0 offen offset:116
	buffer_load_dword v78, v43, s[0:3], 0 offen offset:124
	buffer_load_dword v82, v43, s[0:3], 0 offen offset:100
	buffer_load_dword v81, v43, s[0:3], 0 offen offset:96
	ds_read_b128 v[43:46], v91
	ds_read_b128 v[47:50], v91 offset:16
	s_addk_i32 s71, 0x80
	s_addk_i32 s72, 0x80
	s_or_b32 s70, vcc_lo, s70
	s_waitcnt vmcnt(30) lgkmcnt(1)
	v_mul_f64 v[83:84], v[45:46], v[51:52]
	v_mul_f64 v[51:52], v[43:44], v[51:52]
	s_waitcnt vmcnt(26) lgkmcnt(0)
	v_mul_f64 v[85:86], v[49:50], v[55:56]
	v_mul_f64 v[55:56], v[47:48], v[55:56]
	v_fma_f64 v[83:84], v[43:44], v[53:54], -v[83:84]
	v_fma_f64 v[87:88], v[45:46], v[53:54], v[51:52]
	ds_read_b128 v[43:46], v91 offset:32
	ds_read_b128 v[51:54], v91 offset:48
	s_waitcnt vmcnt(24)
	v_fma_f64 v[47:48], v[47:48], v[57:58], -v[85:86]
	v_fma_f64 v[49:50], v[49:50], v[57:58], v[55:56]
	s_waitcnt vmcnt(22) lgkmcnt(1)
	v_mul_f64 v[89:90], v[45:46], v[59:60]
	v_mul_f64 v[59:60], v[43:44], v[59:60]
	v_add_f64 v[1:2], v[1:2], v[83:84]
	v_add_f64 v[3:4], v[3:4], v[87:88]
	s_waitcnt vmcnt(18) lgkmcnt(0)
	v_mul_f64 v[55:56], v[53:54], v[63:64]
	v_mul_f64 v[57:58], v[51:52], v[63:64]
	v_fma_f64 v[63:64], v[43:44], v[61:62], -v[89:90]
	v_fma_f64 v[59:60], v[45:46], v[61:62], v[59:60]
	v_add_f64 v[47:48], v[1:2], v[47:48]
	v_add_f64 v[49:50], v[3:4], v[49:50]
	ds_read_b128 v[1:4], v91 offset:64
	ds_read_b128 v[43:46], v91 offset:80
	s_waitcnt vmcnt(16)
	v_fma_f64 v[51:52], v[51:52], v[65:66], -v[55:56]
	v_fma_f64 v[53:54], v[53:54], v[65:66], v[57:58]
	s_waitcnt vmcnt(12) lgkmcnt(1)
	v_mul_f64 v[61:62], v[3:4], v[67:68]
	v_mul_f64 v[67:68], v[1:2], v[67:68]
	v_add_f64 v[47:48], v[47:48], v[63:64]
	v_add_f64 v[49:50], v[49:50], v[59:60]
	s_waitcnt vmcnt(10) lgkmcnt(0)
	v_mul_f64 v[55:56], v[45:46], v[69:70]
	v_mul_f64 v[57:58], v[43:44], v[69:70]
	s_waitcnt vmcnt(8)
	v_fma_f64 v[59:60], v[1:2], v[73:74], -v[61:62]
	v_fma_f64 v[61:62], v[3:4], v[73:74], v[67:68]
	v_add_f64 v[51:52], v[47:48], v[51:52]
	v_add_f64 v[53:54], v[49:50], v[53:54]
	ds_read_b128 v[1:4], v91 offset:96
	ds_read_b128 v[47:50], v91 offset:112
	v_fma_f64 v[43:44], v[43:44], v[71:72], -v[55:56]
	v_fma_f64 v[45:46], v[45:46], v[71:72], v[57:58]
	s_waitcnt vmcnt(4) lgkmcnt(1)
	v_mul_f64 v[63:64], v[3:4], v[75:76]
	v_mul_f64 v[65:66], v[1:2], v[75:76]
	v_add_f64 v[51:52], v[51:52], v[59:60]
	v_add_f64 v[53:54], v[53:54], v[61:62]
	s_waitcnt vmcnt(2) lgkmcnt(0)
	v_mul_f64 v[55:56], v[49:50], v[77:78]
	v_mul_f64 v[57:58], v[47:48], v[77:78]
	s_waitcnt vmcnt(0)
	v_fma_f64 v[1:2], v[1:2], v[81:82], -v[63:64]
	v_fma_f64 v[3:4], v[3:4], v[81:82], v[65:66]
	v_add_f64 v[43:44], v[51:52], v[43:44]
	v_add_f64 v[45:46], v[53:54], v[45:46]
	v_fma_f64 v[47:48], v[47:48], v[79:80], -v[55:56]
	v_fma_f64 v[49:50], v[49:50], v[79:80], v[57:58]
	v_add_f64 v[1:2], v[43:44], v[1:2]
	v_add_f64 v[3:4], v[45:46], v[3:4]
	v_mov_b32_e32 v43, s73
	s_mov_b32 s73, s74
	v_add_f64 v[1:2], v[1:2], v[47:48]
	v_add_f64 v[3:4], v[3:4], v[49:50]
	s_andn2_b32 exec_lo, exec_lo, s70
	s_cbranch_execnz .LBB60_109
; %bb.110:
	s_or_b32 exec_lo, exec_lo, s70
.LBB60_111:
	s_or_b32 exec_lo, exec_lo, s4
	v_and_b32_e32 v41, 7, v41
	s_mov_b32 s70, 0
	s_mov_b32 s4, exec_lo
	v_cmpx_ne_u32_e32 0, v41
	s_cbranch_execz .LBB60_115
; %bb.112:
	v_lshlrev_b32_e32 v43, 4, v43
	v_add_nc_u32_e32 v42, 0x3d0, v43
	.p2align	6
.LBB60_113:                             ; =>This Inner Loop Header: Depth=1
	s_clause 0x3
	buffer_load_dword v48, v43, s[0:3], 0 offen offset:8
	buffer_load_dword v49, v43, s[0:3], 0 offen offset:12
	buffer_load_dword v50, v43, s[0:3], 0 offen
	buffer_load_dword v51, v43, s[0:3], 0 offen offset:4
	ds_read_b128 v[44:47], v42
	v_add_nc_u32_e32 v41, -1, v41
	v_add_nc_u32_e32 v42, 16, v42
	v_add_nc_u32_e32 v43, 16, v43
	v_cmp_eq_u32_e32 vcc_lo, 0, v41
	s_or_b32 s70, vcc_lo, s70
	s_waitcnt vmcnt(2) lgkmcnt(0)
	v_mul_f64 v[52:53], v[46:47], v[48:49]
	v_mul_f64 v[48:49], v[44:45], v[48:49]
	s_waitcnt vmcnt(0)
	v_fma_f64 v[44:45], v[44:45], v[50:51], -v[52:53]
	v_fma_f64 v[46:47], v[46:47], v[50:51], v[48:49]
	v_add_f64 v[1:2], v[1:2], v[44:45]
	v_add_f64 v[3:4], v[3:4], v[46:47]
	s_andn2_b32 exec_lo, exec_lo, s70
	s_cbranch_execnz .LBB60_113
; %bb.114:
	s_or_b32 exec_lo, exec_lo, s70
.LBB60_115:
	s_or_b32 exec_lo, exec_lo, s4
.LBB60_116:
	s_or_b32 exec_lo, exec_lo, s8
	v_mov_b32_e32 v41, 0
	ds_read_b128 v[41:44], v41 offset:816
	s_waitcnt lgkmcnt(0)
	v_mul_f64 v[45:46], v[3:4], v[43:44]
	v_mul_f64 v[43:44], v[1:2], v[43:44]
	v_fma_f64 v[1:2], v[1:2], v[41:42], -v[45:46]
	v_fma_f64 v[3:4], v[3:4], v[41:42], v[43:44]
	buffer_store_dword v2, off, s[0:3], 0 offset:820
	buffer_store_dword v1, off, s[0:3], 0 offset:816
	;; [unrolled: 1-line block ×4, first 2 shown]
.LBB60_117:
	s_or_b32 exec_lo, exec_lo, s6
	v_mov_b32_e32 v4, s19
	v_cmp_lt_u32_e64 s4, 50, v0
	s_clause 0x3
	buffer_load_dword v1, v4, s[0:3], 0 offen
	buffer_load_dword v2, v4, s[0:3], 0 offen offset:4
	buffer_load_dword v3, v4, s[0:3], 0 offen offset:8
	;; [unrolled: 1-line block ×3, first 2 shown]
	s_waitcnt vmcnt(0)
	ds_write_b128 v40, v[1:4]
	s_waitcnt lgkmcnt(0)
	s_waitcnt_vscnt null, 0x0
	s_barrier
	buffer_gl0_inv
	s_and_saveexec_b32 s6, s4
	s_cbranch_execz .LBB60_131
; %bb.118:
	ds_read_b128 v[1:4], v40
	s_andn2_b32 vcc_lo, exec_lo, s7
	s_cbranch_vccnz .LBB60_120
; %bb.119:
	s_clause 0x3
	buffer_load_dword v41, v39, s[0:3], 0 offen offset:8
	buffer_load_dword v42, v39, s[0:3], 0 offen offset:12
	buffer_load_dword v43, v39, s[0:3], 0 offen
	buffer_load_dword v44, v39, s[0:3], 0 offen offset:4
	s_waitcnt vmcnt(2) lgkmcnt(0)
	v_mul_f64 v[45:46], v[3:4], v[41:42]
	v_mul_f64 v[41:42], v[1:2], v[41:42]
	s_waitcnt vmcnt(0)
	v_fma_f64 v[1:2], v[1:2], v[43:44], -v[45:46]
	v_fma_f64 v[3:4], v[3:4], v[43:44], v[41:42]
.LBB60_120:
	s_and_saveexec_b32 s8, s5
	s_cbranch_execz .LBB60_130
; %bb.121:
	v_subrev_nc_u32_e32 v42, 52, v0
	v_mov_b32_e32 v43, 51
	v_subrev_nc_u32_e32 v41, 51, v0
	s_mov_b32 s5, exec_lo
	v_cmpx_lt_u32_e32 6, v42
	s_cbranch_execz .LBB60_125
; %bb.122:
	v_and_b32_e32 v42, -8, v41
	s_movk_i32 s71, 0x700
	s_mov_b32 s70, 0
	s_mov_b32 s72, s18
	;; [unrolled: 1-line block ×3, first 2 shown]
.LBB60_123:                             ; =>This Inner Loop Header: Depth=1
	v_mov_b32_e32 v43, s72
	v_mov_b32_e32 v91, s71
	s_add_i32 s74, s73, 8
	s_add_i32 s73, s73, 59
	v_cmp_eq_u32_e32 vcc_lo, s74, v42
	s_clause 0x1f
	buffer_load_dword v51, v43, s[0:3], 0 offen offset:8
	buffer_load_dword v52, v43, s[0:3], 0 offen offset:12
	buffer_load_dword v53, v43, s[0:3], 0 offen
	buffer_load_dword v54, v43, s[0:3], 0 offen offset:4
	buffer_load_dword v55, v43, s[0:3], 0 offen offset:24
	;; [unrolled: 1-line block ×29, first 2 shown]
	ds_read_b128 v[43:46], v91
	ds_read_b128 v[47:50], v91 offset:16
	s_addk_i32 s71, 0x80
	s_addk_i32 s72, 0x80
	s_or_b32 s70, vcc_lo, s70
	s_waitcnt vmcnt(30) lgkmcnt(1)
	v_mul_f64 v[83:84], v[45:46], v[51:52]
	v_mul_f64 v[51:52], v[43:44], v[51:52]
	s_waitcnt vmcnt(26) lgkmcnt(0)
	v_mul_f64 v[85:86], v[49:50], v[55:56]
	v_mul_f64 v[55:56], v[47:48], v[55:56]
	v_fma_f64 v[83:84], v[43:44], v[53:54], -v[83:84]
	v_fma_f64 v[87:88], v[45:46], v[53:54], v[51:52]
	ds_read_b128 v[43:46], v91 offset:32
	ds_read_b128 v[51:54], v91 offset:48
	s_waitcnt vmcnt(24)
	v_fma_f64 v[47:48], v[47:48], v[57:58], -v[85:86]
	v_fma_f64 v[49:50], v[49:50], v[57:58], v[55:56]
	s_waitcnt vmcnt(22) lgkmcnt(1)
	v_mul_f64 v[89:90], v[45:46], v[59:60]
	v_mul_f64 v[59:60], v[43:44], v[59:60]
	v_add_f64 v[1:2], v[1:2], v[83:84]
	v_add_f64 v[3:4], v[3:4], v[87:88]
	s_waitcnt vmcnt(18) lgkmcnt(0)
	v_mul_f64 v[55:56], v[53:54], v[63:64]
	v_mul_f64 v[57:58], v[51:52], v[63:64]
	v_fma_f64 v[63:64], v[43:44], v[61:62], -v[89:90]
	v_fma_f64 v[59:60], v[45:46], v[61:62], v[59:60]
	v_add_f64 v[47:48], v[1:2], v[47:48]
	v_add_f64 v[49:50], v[3:4], v[49:50]
	ds_read_b128 v[1:4], v91 offset:64
	ds_read_b128 v[43:46], v91 offset:80
	s_waitcnt vmcnt(16)
	v_fma_f64 v[51:52], v[51:52], v[65:66], -v[55:56]
	v_fma_f64 v[53:54], v[53:54], v[65:66], v[57:58]
	s_waitcnt vmcnt(12) lgkmcnt(1)
	v_mul_f64 v[61:62], v[3:4], v[67:68]
	v_mul_f64 v[67:68], v[1:2], v[67:68]
	v_add_f64 v[47:48], v[47:48], v[63:64]
	v_add_f64 v[49:50], v[49:50], v[59:60]
	s_waitcnt vmcnt(10) lgkmcnt(0)
	v_mul_f64 v[55:56], v[45:46], v[69:70]
	v_mul_f64 v[57:58], v[43:44], v[69:70]
	s_waitcnt vmcnt(8)
	v_fma_f64 v[59:60], v[1:2], v[73:74], -v[61:62]
	v_fma_f64 v[61:62], v[3:4], v[73:74], v[67:68]
	v_add_f64 v[51:52], v[47:48], v[51:52]
	v_add_f64 v[53:54], v[49:50], v[53:54]
	ds_read_b128 v[1:4], v91 offset:96
	ds_read_b128 v[47:50], v91 offset:112
	v_fma_f64 v[43:44], v[43:44], v[71:72], -v[55:56]
	v_fma_f64 v[45:46], v[45:46], v[71:72], v[57:58]
	s_waitcnt vmcnt(4) lgkmcnt(1)
	v_mul_f64 v[63:64], v[3:4], v[75:76]
	v_mul_f64 v[65:66], v[1:2], v[75:76]
	v_add_f64 v[51:52], v[51:52], v[59:60]
	v_add_f64 v[53:54], v[53:54], v[61:62]
	s_waitcnt vmcnt(2) lgkmcnt(0)
	v_mul_f64 v[55:56], v[49:50], v[77:78]
	v_mul_f64 v[57:58], v[47:48], v[77:78]
	s_waitcnt vmcnt(0)
	v_fma_f64 v[1:2], v[1:2], v[81:82], -v[63:64]
	v_fma_f64 v[3:4], v[3:4], v[81:82], v[65:66]
	v_add_f64 v[43:44], v[51:52], v[43:44]
	v_add_f64 v[45:46], v[53:54], v[45:46]
	v_fma_f64 v[47:48], v[47:48], v[79:80], -v[55:56]
	v_fma_f64 v[49:50], v[49:50], v[79:80], v[57:58]
	v_add_f64 v[1:2], v[43:44], v[1:2]
	v_add_f64 v[3:4], v[45:46], v[3:4]
	v_mov_b32_e32 v43, s73
	s_mov_b32 s73, s74
	v_add_f64 v[1:2], v[1:2], v[47:48]
	v_add_f64 v[3:4], v[3:4], v[49:50]
	s_andn2_b32 exec_lo, exec_lo, s70
	s_cbranch_execnz .LBB60_123
; %bb.124:
	s_or_b32 exec_lo, exec_lo, s70
.LBB60_125:
	s_or_b32 exec_lo, exec_lo, s5
	v_and_b32_e32 v41, 7, v41
	s_mov_b32 s70, 0
	s_mov_b32 s5, exec_lo
	v_cmpx_ne_u32_e32 0, v41
	s_cbranch_execz .LBB60_129
; %bb.126:
	v_lshlrev_b32_e32 v43, 4, v43
	v_add_nc_u32_e32 v42, 0x3d0, v43
	.p2align	6
.LBB60_127:                             ; =>This Inner Loop Header: Depth=1
	s_clause 0x3
	buffer_load_dword v48, v43, s[0:3], 0 offen offset:8
	buffer_load_dword v49, v43, s[0:3], 0 offen offset:12
	buffer_load_dword v50, v43, s[0:3], 0 offen
	buffer_load_dword v51, v43, s[0:3], 0 offen offset:4
	ds_read_b128 v[44:47], v42
	v_add_nc_u32_e32 v41, -1, v41
	v_add_nc_u32_e32 v42, 16, v42
	v_add_nc_u32_e32 v43, 16, v43
	v_cmp_eq_u32_e32 vcc_lo, 0, v41
	s_or_b32 s70, vcc_lo, s70
	s_waitcnt vmcnt(2) lgkmcnt(0)
	v_mul_f64 v[52:53], v[46:47], v[48:49]
	v_mul_f64 v[48:49], v[44:45], v[48:49]
	s_waitcnt vmcnt(0)
	v_fma_f64 v[44:45], v[44:45], v[50:51], -v[52:53]
	v_fma_f64 v[46:47], v[46:47], v[50:51], v[48:49]
	v_add_f64 v[1:2], v[1:2], v[44:45]
	v_add_f64 v[3:4], v[3:4], v[46:47]
	s_andn2_b32 exec_lo, exec_lo, s70
	s_cbranch_execnz .LBB60_127
; %bb.128:
	s_or_b32 exec_lo, exec_lo, s70
.LBB60_129:
	s_or_b32 exec_lo, exec_lo, s5
.LBB60_130:
	s_or_b32 exec_lo, exec_lo, s8
	v_mov_b32_e32 v41, 0
	ds_read_b128 v[41:44], v41 offset:800
	s_waitcnt lgkmcnt(0)
	v_mul_f64 v[45:46], v[3:4], v[43:44]
	v_mul_f64 v[43:44], v[1:2], v[43:44]
	v_fma_f64 v[1:2], v[1:2], v[41:42], -v[45:46]
	v_fma_f64 v[3:4], v[3:4], v[41:42], v[43:44]
	buffer_store_dword v2, off, s[0:3], 0 offset:804
	buffer_store_dword v1, off, s[0:3], 0 offset:800
	;; [unrolled: 1-line block ×4, first 2 shown]
.LBB60_131:
	s_or_b32 exec_lo, exec_lo, s6
	v_mov_b32_e32 v4, s20
	v_cmp_lt_u32_e64 s5, 49, v0
	s_clause 0x3
	buffer_load_dword v1, v4, s[0:3], 0 offen
	buffer_load_dword v2, v4, s[0:3], 0 offen offset:4
	buffer_load_dword v3, v4, s[0:3], 0 offen offset:8
	buffer_load_dword v4, v4, s[0:3], 0 offen offset:12
	s_waitcnt vmcnt(0)
	ds_write_b128 v40, v[1:4]
	s_waitcnt lgkmcnt(0)
	s_waitcnt_vscnt null, 0x0
	s_barrier
	buffer_gl0_inv
	s_and_saveexec_b32 s6, s5
	s_cbranch_execz .LBB60_145
; %bb.132:
	ds_read_b128 v[1:4], v40
	s_andn2_b32 vcc_lo, exec_lo, s7
	s_cbranch_vccnz .LBB60_134
; %bb.133:
	s_clause 0x3
	buffer_load_dword v41, v39, s[0:3], 0 offen offset:8
	buffer_load_dword v42, v39, s[0:3], 0 offen offset:12
	buffer_load_dword v43, v39, s[0:3], 0 offen
	buffer_load_dword v44, v39, s[0:3], 0 offen offset:4
	s_waitcnt vmcnt(2) lgkmcnt(0)
	v_mul_f64 v[45:46], v[3:4], v[41:42]
	v_mul_f64 v[41:42], v[1:2], v[41:42]
	s_waitcnt vmcnt(0)
	v_fma_f64 v[1:2], v[1:2], v[43:44], -v[45:46]
	v_fma_f64 v[3:4], v[3:4], v[43:44], v[41:42]
.LBB60_134:
	s_and_saveexec_b32 s8, s4
	s_cbranch_execz .LBB60_144
; %bb.135:
	v_subrev_nc_u32_e32 v42, 51, v0
	v_mov_b32_e32 v43, 50
	v_subrev_nc_u32_e32 v41, 50, v0
	s_mov_b32 s4, exec_lo
	v_cmpx_lt_u32_e32 6, v42
	s_cbranch_execz .LBB60_139
; %bb.136:
	v_and_b32_e32 v42, -8, v41
	s_movk_i32 s71, 0x6f0
	s_mov_b32 s70, 0
	s_mov_b32 s72, s19
	;; [unrolled: 1-line block ×3, first 2 shown]
.LBB60_137:                             ; =>This Inner Loop Header: Depth=1
	v_mov_b32_e32 v43, s72
	v_mov_b32_e32 v91, s71
	s_add_i32 s74, s73, 8
	s_add_i32 s73, s73, 58
	v_cmp_eq_u32_e32 vcc_lo, s74, v42
	s_clause 0x1f
	buffer_load_dword v51, v43, s[0:3], 0 offen offset:8
	buffer_load_dword v52, v43, s[0:3], 0 offen offset:12
	buffer_load_dword v53, v43, s[0:3], 0 offen
	buffer_load_dword v54, v43, s[0:3], 0 offen offset:4
	buffer_load_dword v55, v43, s[0:3], 0 offen offset:24
	;; [unrolled: 1-line block ×29, first 2 shown]
	ds_read_b128 v[43:46], v91
	ds_read_b128 v[47:50], v91 offset:16
	s_addk_i32 s71, 0x80
	s_addk_i32 s72, 0x80
	s_or_b32 s70, vcc_lo, s70
	s_waitcnt vmcnt(30) lgkmcnt(1)
	v_mul_f64 v[83:84], v[45:46], v[51:52]
	v_mul_f64 v[51:52], v[43:44], v[51:52]
	s_waitcnt vmcnt(26) lgkmcnt(0)
	v_mul_f64 v[85:86], v[49:50], v[55:56]
	v_mul_f64 v[55:56], v[47:48], v[55:56]
	v_fma_f64 v[83:84], v[43:44], v[53:54], -v[83:84]
	v_fma_f64 v[87:88], v[45:46], v[53:54], v[51:52]
	ds_read_b128 v[43:46], v91 offset:32
	ds_read_b128 v[51:54], v91 offset:48
	s_waitcnt vmcnt(24)
	v_fma_f64 v[47:48], v[47:48], v[57:58], -v[85:86]
	v_fma_f64 v[49:50], v[49:50], v[57:58], v[55:56]
	s_waitcnt vmcnt(22) lgkmcnt(1)
	v_mul_f64 v[89:90], v[45:46], v[59:60]
	v_mul_f64 v[59:60], v[43:44], v[59:60]
	v_add_f64 v[1:2], v[1:2], v[83:84]
	v_add_f64 v[3:4], v[3:4], v[87:88]
	s_waitcnt vmcnt(18) lgkmcnt(0)
	v_mul_f64 v[55:56], v[53:54], v[63:64]
	v_mul_f64 v[57:58], v[51:52], v[63:64]
	v_fma_f64 v[63:64], v[43:44], v[61:62], -v[89:90]
	v_fma_f64 v[59:60], v[45:46], v[61:62], v[59:60]
	v_add_f64 v[47:48], v[1:2], v[47:48]
	v_add_f64 v[49:50], v[3:4], v[49:50]
	ds_read_b128 v[1:4], v91 offset:64
	ds_read_b128 v[43:46], v91 offset:80
	s_waitcnt vmcnt(16)
	v_fma_f64 v[51:52], v[51:52], v[65:66], -v[55:56]
	v_fma_f64 v[53:54], v[53:54], v[65:66], v[57:58]
	s_waitcnt vmcnt(12) lgkmcnt(1)
	v_mul_f64 v[61:62], v[3:4], v[67:68]
	v_mul_f64 v[67:68], v[1:2], v[67:68]
	v_add_f64 v[47:48], v[47:48], v[63:64]
	v_add_f64 v[49:50], v[49:50], v[59:60]
	s_waitcnt vmcnt(10) lgkmcnt(0)
	v_mul_f64 v[55:56], v[45:46], v[69:70]
	v_mul_f64 v[57:58], v[43:44], v[69:70]
	s_waitcnt vmcnt(8)
	v_fma_f64 v[59:60], v[1:2], v[73:74], -v[61:62]
	v_fma_f64 v[61:62], v[3:4], v[73:74], v[67:68]
	v_add_f64 v[51:52], v[47:48], v[51:52]
	v_add_f64 v[53:54], v[49:50], v[53:54]
	ds_read_b128 v[1:4], v91 offset:96
	ds_read_b128 v[47:50], v91 offset:112
	v_fma_f64 v[43:44], v[43:44], v[71:72], -v[55:56]
	v_fma_f64 v[45:46], v[45:46], v[71:72], v[57:58]
	s_waitcnt vmcnt(4) lgkmcnt(1)
	v_mul_f64 v[63:64], v[3:4], v[75:76]
	v_mul_f64 v[65:66], v[1:2], v[75:76]
	v_add_f64 v[51:52], v[51:52], v[59:60]
	v_add_f64 v[53:54], v[53:54], v[61:62]
	s_waitcnt vmcnt(2) lgkmcnt(0)
	v_mul_f64 v[55:56], v[49:50], v[77:78]
	v_mul_f64 v[57:58], v[47:48], v[77:78]
	s_waitcnt vmcnt(0)
	v_fma_f64 v[1:2], v[1:2], v[81:82], -v[63:64]
	v_fma_f64 v[3:4], v[3:4], v[81:82], v[65:66]
	v_add_f64 v[43:44], v[51:52], v[43:44]
	v_add_f64 v[45:46], v[53:54], v[45:46]
	v_fma_f64 v[47:48], v[47:48], v[79:80], -v[55:56]
	v_fma_f64 v[49:50], v[49:50], v[79:80], v[57:58]
	v_add_f64 v[1:2], v[43:44], v[1:2]
	v_add_f64 v[3:4], v[45:46], v[3:4]
	v_mov_b32_e32 v43, s73
	s_mov_b32 s73, s74
	v_add_f64 v[1:2], v[1:2], v[47:48]
	v_add_f64 v[3:4], v[3:4], v[49:50]
	s_andn2_b32 exec_lo, exec_lo, s70
	s_cbranch_execnz .LBB60_137
; %bb.138:
	s_or_b32 exec_lo, exec_lo, s70
.LBB60_139:
	s_or_b32 exec_lo, exec_lo, s4
	v_and_b32_e32 v41, 7, v41
	s_mov_b32 s70, 0
	s_mov_b32 s4, exec_lo
	v_cmpx_ne_u32_e32 0, v41
	s_cbranch_execz .LBB60_143
; %bb.140:
	v_lshlrev_b32_e32 v43, 4, v43
	v_add_nc_u32_e32 v42, 0x3d0, v43
	.p2align	6
.LBB60_141:                             ; =>This Inner Loop Header: Depth=1
	s_clause 0x3
	buffer_load_dword v48, v43, s[0:3], 0 offen offset:8
	buffer_load_dword v49, v43, s[0:3], 0 offen offset:12
	buffer_load_dword v50, v43, s[0:3], 0 offen
	buffer_load_dword v51, v43, s[0:3], 0 offen offset:4
	ds_read_b128 v[44:47], v42
	v_add_nc_u32_e32 v41, -1, v41
	v_add_nc_u32_e32 v42, 16, v42
	v_add_nc_u32_e32 v43, 16, v43
	v_cmp_eq_u32_e32 vcc_lo, 0, v41
	s_or_b32 s70, vcc_lo, s70
	s_waitcnt vmcnt(2) lgkmcnt(0)
	v_mul_f64 v[52:53], v[46:47], v[48:49]
	v_mul_f64 v[48:49], v[44:45], v[48:49]
	s_waitcnt vmcnt(0)
	v_fma_f64 v[44:45], v[44:45], v[50:51], -v[52:53]
	v_fma_f64 v[46:47], v[46:47], v[50:51], v[48:49]
	v_add_f64 v[1:2], v[1:2], v[44:45]
	v_add_f64 v[3:4], v[3:4], v[46:47]
	s_andn2_b32 exec_lo, exec_lo, s70
	s_cbranch_execnz .LBB60_141
; %bb.142:
	s_or_b32 exec_lo, exec_lo, s70
.LBB60_143:
	s_or_b32 exec_lo, exec_lo, s4
.LBB60_144:
	s_or_b32 exec_lo, exec_lo, s8
	v_mov_b32_e32 v41, 0
	ds_read_b128 v[41:44], v41 offset:784
	s_waitcnt lgkmcnt(0)
	v_mul_f64 v[45:46], v[3:4], v[43:44]
	v_mul_f64 v[43:44], v[1:2], v[43:44]
	v_fma_f64 v[1:2], v[1:2], v[41:42], -v[45:46]
	v_fma_f64 v[3:4], v[3:4], v[41:42], v[43:44]
	buffer_store_dword v2, off, s[0:3], 0 offset:788
	buffer_store_dword v1, off, s[0:3], 0 offset:784
	;; [unrolled: 1-line block ×4, first 2 shown]
.LBB60_145:
	s_or_b32 exec_lo, exec_lo, s6
	v_mov_b32_e32 v4, s21
	v_cmp_lt_u32_e64 s4, 48, v0
	s_clause 0x3
	buffer_load_dword v1, v4, s[0:3], 0 offen
	buffer_load_dword v2, v4, s[0:3], 0 offen offset:4
	buffer_load_dword v3, v4, s[0:3], 0 offen offset:8
	;; [unrolled: 1-line block ×3, first 2 shown]
	s_waitcnt vmcnt(0)
	ds_write_b128 v40, v[1:4]
	s_waitcnt lgkmcnt(0)
	s_waitcnt_vscnt null, 0x0
	s_barrier
	buffer_gl0_inv
	s_and_saveexec_b32 s6, s4
	s_cbranch_execz .LBB60_159
; %bb.146:
	ds_read_b128 v[1:4], v40
	s_andn2_b32 vcc_lo, exec_lo, s7
	s_cbranch_vccnz .LBB60_148
; %bb.147:
	s_clause 0x3
	buffer_load_dword v41, v39, s[0:3], 0 offen offset:8
	buffer_load_dword v42, v39, s[0:3], 0 offen offset:12
	buffer_load_dword v43, v39, s[0:3], 0 offen
	buffer_load_dword v44, v39, s[0:3], 0 offen offset:4
	s_waitcnt vmcnt(2) lgkmcnt(0)
	v_mul_f64 v[45:46], v[3:4], v[41:42]
	v_mul_f64 v[41:42], v[1:2], v[41:42]
	s_waitcnt vmcnt(0)
	v_fma_f64 v[1:2], v[1:2], v[43:44], -v[45:46]
	v_fma_f64 v[3:4], v[3:4], v[43:44], v[41:42]
.LBB60_148:
	s_and_saveexec_b32 s8, s5
	s_cbranch_execz .LBB60_158
; %bb.149:
	v_subrev_nc_u32_e32 v42, 50, v0
	v_mov_b32_e32 v43, 49
	v_subrev_nc_u32_e32 v41, 49, v0
	s_mov_b32 s5, exec_lo
	v_cmpx_lt_u32_e32 6, v42
	s_cbranch_execz .LBB60_153
; %bb.150:
	v_and_b32_e32 v42, -8, v41
	s_movk_i32 s71, 0x6e0
	s_mov_b32 s70, 0
	s_mov_b32 s72, s20
	;; [unrolled: 1-line block ×3, first 2 shown]
.LBB60_151:                             ; =>This Inner Loop Header: Depth=1
	v_mov_b32_e32 v43, s72
	v_mov_b32_e32 v91, s71
	s_add_i32 s74, s73, 8
	s_add_i32 s73, s73, 57
	v_cmp_eq_u32_e32 vcc_lo, s74, v42
	s_clause 0x1f
	buffer_load_dword v51, v43, s[0:3], 0 offen offset:8
	buffer_load_dword v52, v43, s[0:3], 0 offen offset:12
	buffer_load_dword v53, v43, s[0:3], 0 offen
	buffer_load_dword v54, v43, s[0:3], 0 offen offset:4
	buffer_load_dword v55, v43, s[0:3], 0 offen offset:24
	;; [unrolled: 1-line block ×29, first 2 shown]
	ds_read_b128 v[43:46], v91
	ds_read_b128 v[47:50], v91 offset:16
	s_addk_i32 s71, 0x80
	s_addk_i32 s72, 0x80
	s_or_b32 s70, vcc_lo, s70
	s_waitcnt vmcnt(30) lgkmcnt(1)
	v_mul_f64 v[83:84], v[45:46], v[51:52]
	v_mul_f64 v[51:52], v[43:44], v[51:52]
	s_waitcnt vmcnt(26) lgkmcnt(0)
	v_mul_f64 v[85:86], v[49:50], v[55:56]
	v_mul_f64 v[55:56], v[47:48], v[55:56]
	v_fma_f64 v[83:84], v[43:44], v[53:54], -v[83:84]
	v_fma_f64 v[87:88], v[45:46], v[53:54], v[51:52]
	ds_read_b128 v[43:46], v91 offset:32
	ds_read_b128 v[51:54], v91 offset:48
	s_waitcnt vmcnt(24)
	v_fma_f64 v[47:48], v[47:48], v[57:58], -v[85:86]
	v_fma_f64 v[49:50], v[49:50], v[57:58], v[55:56]
	s_waitcnt vmcnt(22) lgkmcnt(1)
	v_mul_f64 v[89:90], v[45:46], v[59:60]
	v_mul_f64 v[59:60], v[43:44], v[59:60]
	v_add_f64 v[1:2], v[1:2], v[83:84]
	v_add_f64 v[3:4], v[3:4], v[87:88]
	s_waitcnt vmcnt(18) lgkmcnt(0)
	v_mul_f64 v[55:56], v[53:54], v[63:64]
	v_mul_f64 v[57:58], v[51:52], v[63:64]
	v_fma_f64 v[63:64], v[43:44], v[61:62], -v[89:90]
	v_fma_f64 v[59:60], v[45:46], v[61:62], v[59:60]
	v_add_f64 v[47:48], v[1:2], v[47:48]
	v_add_f64 v[49:50], v[3:4], v[49:50]
	ds_read_b128 v[1:4], v91 offset:64
	ds_read_b128 v[43:46], v91 offset:80
	s_waitcnt vmcnt(16)
	v_fma_f64 v[51:52], v[51:52], v[65:66], -v[55:56]
	v_fma_f64 v[53:54], v[53:54], v[65:66], v[57:58]
	s_waitcnt vmcnt(12) lgkmcnt(1)
	v_mul_f64 v[61:62], v[3:4], v[67:68]
	v_mul_f64 v[67:68], v[1:2], v[67:68]
	v_add_f64 v[47:48], v[47:48], v[63:64]
	v_add_f64 v[49:50], v[49:50], v[59:60]
	s_waitcnt vmcnt(10) lgkmcnt(0)
	v_mul_f64 v[55:56], v[45:46], v[69:70]
	v_mul_f64 v[57:58], v[43:44], v[69:70]
	s_waitcnt vmcnt(8)
	v_fma_f64 v[59:60], v[1:2], v[73:74], -v[61:62]
	v_fma_f64 v[61:62], v[3:4], v[73:74], v[67:68]
	v_add_f64 v[51:52], v[47:48], v[51:52]
	v_add_f64 v[53:54], v[49:50], v[53:54]
	ds_read_b128 v[1:4], v91 offset:96
	ds_read_b128 v[47:50], v91 offset:112
	v_fma_f64 v[43:44], v[43:44], v[71:72], -v[55:56]
	v_fma_f64 v[45:46], v[45:46], v[71:72], v[57:58]
	s_waitcnt vmcnt(4) lgkmcnt(1)
	v_mul_f64 v[63:64], v[3:4], v[75:76]
	v_mul_f64 v[65:66], v[1:2], v[75:76]
	v_add_f64 v[51:52], v[51:52], v[59:60]
	v_add_f64 v[53:54], v[53:54], v[61:62]
	s_waitcnt vmcnt(2) lgkmcnt(0)
	v_mul_f64 v[55:56], v[49:50], v[77:78]
	v_mul_f64 v[57:58], v[47:48], v[77:78]
	s_waitcnt vmcnt(0)
	v_fma_f64 v[1:2], v[1:2], v[81:82], -v[63:64]
	v_fma_f64 v[3:4], v[3:4], v[81:82], v[65:66]
	v_add_f64 v[43:44], v[51:52], v[43:44]
	v_add_f64 v[45:46], v[53:54], v[45:46]
	v_fma_f64 v[47:48], v[47:48], v[79:80], -v[55:56]
	v_fma_f64 v[49:50], v[49:50], v[79:80], v[57:58]
	v_add_f64 v[1:2], v[43:44], v[1:2]
	v_add_f64 v[3:4], v[45:46], v[3:4]
	v_mov_b32_e32 v43, s73
	s_mov_b32 s73, s74
	v_add_f64 v[1:2], v[1:2], v[47:48]
	v_add_f64 v[3:4], v[3:4], v[49:50]
	s_andn2_b32 exec_lo, exec_lo, s70
	s_cbranch_execnz .LBB60_151
; %bb.152:
	s_or_b32 exec_lo, exec_lo, s70
.LBB60_153:
	s_or_b32 exec_lo, exec_lo, s5
	v_and_b32_e32 v41, 7, v41
	s_mov_b32 s70, 0
	s_mov_b32 s5, exec_lo
	v_cmpx_ne_u32_e32 0, v41
	s_cbranch_execz .LBB60_157
; %bb.154:
	v_lshlrev_b32_e32 v43, 4, v43
	v_add_nc_u32_e32 v42, 0x3d0, v43
	.p2align	6
.LBB60_155:                             ; =>This Inner Loop Header: Depth=1
	s_clause 0x3
	buffer_load_dword v48, v43, s[0:3], 0 offen offset:8
	buffer_load_dword v49, v43, s[0:3], 0 offen offset:12
	buffer_load_dword v50, v43, s[0:3], 0 offen
	buffer_load_dword v51, v43, s[0:3], 0 offen offset:4
	ds_read_b128 v[44:47], v42
	v_add_nc_u32_e32 v41, -1, v41
	v_add_nc_u32_e32 v42, 16, v42
	v_add_nc_u32_e32 v43, 16, v43
	v_cmp_eq_u32_e32 vcc_lo, 0, v41
	s_or_b32 s70, vcc_lo, s70
	s_waitcnt vmcnt(2) lgkmcnt(0)
	v_mul_f64 v[52:53], v[46:47], v[48:49]
	v_mul_f64 v[48:49], v[44:45], v[48:49]
	s_waitcnt vmcnt(0)
	v_fma_f64 v[44:45], v[44:45], v[50:51], -v[52:53]
	v_fma_f64 v[46:47], v[46:47], v[50:51], v[48:49]
	v_add_f64 v[1:2], v[1:2], v[44:45]
	v_add_f64 v[3:4], v[3:4], v[46:47]
	s_andn2_b32 exec_lo, exec_lo, s70
	s_cbranch_execnz .LBB60_155
; %bb.156:
	s_or_b32 exec_lo, exec_lo, s70
.LBB60_157:
	s_or_b32 exec_lo, exec_lo, s5
.LBB60_158:
	s_or_b32 exec_lo, exec_lo, s8
	v_mov_b32_e32 v41, 0
	ds_read_b128 v[41:44], v41 offset:768
	s_waitcnt lgkmcnt(0)
	v_mul_f64 v[45:46], v[3:4], v[43:44]
	v_mul_f64 v[43:44], v[1:2], v[43:44]
	v_fma_f64 v[1:2], v[1:2], v[41:42], -v[45:46]
	v_fma_f64 v[3:4], v[3:4], v[41:42], v[43:44]
	buffer_store_dword v2, off, s[0:3], 0 offset:772
	buffer_store_dword v1, off, s[0:3], 0 offset:768
	;; [unrolled: 1-line block ×4, first 2 shown]
.LBB60_159:
	s_or_b32 exec_lo, exec_lo, s6
	v_mov_b32_e32 v4, s22
	v_cmp_lt_u32_e64 s5, 47, v0
	s_clause 0x3
	buffer_load_dword v1, v4, s[0:3], 0 offen
	buffer_load_dword v2, v4, s[0:3], 0 offen offset:4
	buffer_load_dword v3, v4, s[0:3], 0 offen offset:8
	;; [unrolled: 1-line block ×3, first 2 shown]
	s_waitcnt vmcnt(0)
	ds_write_b128 v40, v[1:4]
	s_waitcnt lgkmcnt(0)
	s_waitcnt_vscnt null, 0x0
	s_barrier
	buffer_gl0_inv
	s_and_saveexec_b32 s6, s5
	s_cbranch_execz .LBB60_173
; %bb.160:
	ds_read_b128 v[1:4], v40
	s_andn2_b32 vcc_lo, exec_lo, s7
	s_cbranch_vccnz .LBB60_162
; %bb.161:
	s_clause 0x3
	buffer_load_dword v41, v39, s[0:3], 0 offen offset:8
	buffer_load_dword v42, v39, s[0:3], 0 offen offset:12
	buffer_load_dword v43, v39, s[0:3], 0 offen
	buffer_load_dword v44, v39, s[0:3], 0 offen offset:4
	s_waitcnt vmcnt(2) lgkmcnt(0)
	v_mul_f64 v[45:46], v[3:4], v[41:42]
	v_mul_f64 v[41:42], v[1:2], v[41:42]
	s_waitcnt vmcnt(0)
	v_fma_f64 v[1:2], v[1:2], v[43:44], -v[45:46]
	v_fma_f64 v[3:4], v[3:4], v[43:44], v[41:42]
.LBB60_162:
	s_and_saveexec_b32 s8, s4
	s_cbranch_execz .LBB60_172
; %bb.163:
	v_subrev_nc_u32_e32 v41, 49, v0
	v_cmp_lt_u32_e32 vcc_lo, 6, v41
	v_mov_b32_e32 v41, 48
	s_and_saveexec_b32 s4, vcc_lo
	s_cbranch_execz .LBB60_167
; %bb.164:
	v_and_b32_e32 v41, 56, v0
	s_mov_b32 s70, 48
	s_movk_i32 s72, 0x6d0
	s_mov_b32 s71, 0
	s_mov_b32 s73, s21
.LBB60_165:                             ; =>This Inner Loop Header: Depth=1
	v_mov_b32_e32 v42, s73
	v_mov_b32_e32 v90, s72
	s_add_i32 s70, s70, 8
	s_addk_i32 s72, 0x80
	v_cmp_eq_u32_e32 vcc_lo, s70, v41
	s_clause 0x1f
	buffer_load_dword v50, v42, s[0:3], 0 offen offset:8
	buffer_load_dword v51, v42, s[0:3], 0 offen offset:12
	buffer_load_dword v52, v42, s[0:3], 0 offen
	buffer_load_dword v53, v42, s[0:3], 0 offen offset:4
	buffer_load_dword v54, v42, s[0:3], 0 offen offset:24
	;; [unrolled: 1-line block ×29, first 2 shown]
	ds_read_b128 v[42:45], v90
	ds_read_b128 v[46:49], v90 offset:16
	s_addk_i32 s73, 0x80
	s_or_b32 s71, vcc_lo, s71
	s_waitcnt vmcnt(30) lgkmcnt(1)
	v_mul_f64 v[82:83], v[44:45], v[50:51]
	v_mul_f64 v[50:51], v[42:43], v[50:51]
	s_waitcnt vmcnt(26) lgkmcnt(0)
	v_mul_f64 v[84:85], v[48:49], v[54:55]
	v_mul_f64 v[54:55], v[46:47], v[54:55]
	v_fma_f64 v[82:83], v[42:43], v[52:53], -v[82:83]
	v_fma_f64 v[86:87], v[44:45], v[52:53], v[50:51]
	ds_read_b128 v[42:45], v90 offset:32
	ds_read_b128 v[50:53], v90 offset:48
	s_waitcnt vmcnt(24)
	v_fma_f64 v[46:47], v[46:47], v[56:57], -v[84:85]
	v_fma_f64 v[48:49], v[48:49], v[56:57], v[54:55]
	s_waitcnt vmcnt(22) lgkmcnt(1)
	v_mul_f64 v[88:89], v[44:45], v[58:59]
	v_mul_f64 v[58:59], v[42:43], v[58:59]
	v_add_f64 v[1:2], v[1:2], v[82:83]
	v_add_f64 v[3:4], v[3:4], v[86:87]
	s_waitcnt vmcnt(18) lgkmcnt(0)
	v_mul_f64 v[54:55], v[52:53], v[62:63]
	v_mul_f64 v[56:57], v[50:51], v[62:63]
	v_fma_f64 v[62:63], v[42:43], v[60:61], -v[88:89]
	v_fma_f64 v[58:59], v[44:45], v[60:61], v[58:59]
	v_add_f64 v[46:47], v[1:2], v[46:47]
	v_add_f64 v[48:49], v[3:4], v[48:49]
	ds_read_b128 v[1:4], v90 offset:64
	ds_read_b128 v[42:45], v90 offset:80
	s_waitcnt vmcnt(16)
	v_fma_f64 v[50:51], v[50:51], v[64:65], -v[54:55]
	v_fma_f64 v[52:53], v[52:53], v[64:65], v[56:57]
	s_waitcnt vmcnt(12) lgkmcnt(1)
	v_mul_f64 v[60:61], v[3:4], v[66:67]
	v_mul_f64 v[66:67], v[1:2], v[66:67]
	v_add_f64 v[46:47], v[46:47], v[62:63]
	v_add_f64 v[48:49], v[48:49], v[58:59]
	s_waitcnt vmcnt(10) lgkmcnt(0)
	v_mul_f64 v[54:55], v[44:45], v[68:69]
	v_mul_f64 v[56:57], v[42:43], v[68:69]
	s_waitcnt vmcnt(8)
	v_fma_f64 v[58:59], v[1:2], v[72:73], -v[60:61]
	v_fma_f64 v[60:61], v[3:4], v[72:73], v[66:67]
	v_add_f64 v[50:51], v[46:47], v[50:51]
	v_add_f64 v[52:53], v[48:49], v[52:53]
	ds_read_b128 v[1:4], v90 offset:96
	ds_read_b128 v[46:49], v90 offset:112
	v_fma_f64 v[42:43], v[42:43], v[70:71], -v[54:55]
	v_fma_f64 v[44:45], v[44:45], v[70:71], v[56:57]
	s_waitcnt vmcnt(4) lgkmcnt(1)
	v_mul_f64 v[62:63], v[3:4], v[74:75]
	v_mul_f64 v[64:65], v[1:2], v[74:75]
	v_add_f64 v[50:51], v[50:51], v[58:59]
	v_add_f64 v[52:53], v[52:53], v[60:61]
	s_waitcnt vmcnt(2) lgkmcnt(0)
	v_mul_f64 v[54:55], v[48:49], v[76:77]
	v_mul_f64 v[56:57], v[46:47], v[76:77]
	s_waitcnt vmcnt(0)
	v_fma_f64 v[1:2], v[1:2], v[80:81], -v[62:63]
	v_fma_f64 v[3:4], v[3:4], v[80:81], v[64:65]
	v_add_f64 v[42:43], v[50:51], v[42:43]
	v_add_f64 v[44:45], v[52:53], v[44:45]
	v_fma_f64 v[46:47], v[46:47], v[78:79], -v[54:55]
	v_fma_f64 v[48:49], v[48:49], v[78:79], v[56:57]
	v_add_f64 v[1:2], v[42:43], v[1:2]
	v_add_f64 v[3:4], v[44:45], v[3:4]
	;; [unrolled: 1-line block ×4, first 2 shown]
	s_andn2_b32 exec_lo, exec_lo, s71
	s_cbranch_execnz .LBB60_165
; %bb.166:
	s_or_b32 exec_lo, exec_lo, s71
.LBB60_167:
	s_or_b32 exec_lo, exec_lo, s4
	v_and_b32_e32 v42, 7, v0
	s_mov_b32 s70, 0
	s_mov_b32 s4, exec_lo
	v_cmpx_ne_u32_e32 0, v42
	s_cbranch_execz .LBB60_171
; %bb.168:
	v_lshlrev_b32_e32 v43, 4, v41
	v_add_nc_u32_e32 v41, 0x3d0, v43
	.p2align	6
.LBB60_169:                             ; =>This Inner Loop Header: Depth=1
	s_clause 0x3
	buffer_load_dword v48, v43, s[0:3], 0 offen offset:8
	buffer_load_dword v49, v43, s[0:3], 0 offen offset:12
	buffer_load_dword v50, v43, s[0:3], 0 offen
	buffer_load_dword v51, v43, s[0:3], 0 offen offset:4
	ds_read_b128 v[44:47], v41
	v_add_nc_u32_e32 v42, -1, v42
	v_add_nc_u32_e32 v41, 16, v41
	v_add_nc_u32_e32 v43, 16, v43
	v_cmp_eq_u32_e32 vcc_lo, 0, v42
	s_or_b32 s70, vcc_lo, s70
	s_waitcnt vmcnt(2) lgkmcnt(0)
	v_mul_f64 v[52:53], v[46:47], v[48:49]
	v_mul_f64 v[48:49], v[44:45], v[48:49]
	s_waitcnt vmcnt(0)
	v_fma_f64 v[44:45], v[44:45], v[50:51], -v[52:53]
	v_fma_f64 v[46:47], v[46:47], v[50:51], v[48:49]
	v_add_f64 v[1:2], v[1:2], v[44:45]
	v_add_f64 v[3:4], v[3:4], v[46:47]
	s_andn2_b32 exec_lo, exec_lo, s70
	s_cbranch_execnz .LBB60_169
; %bb.170:
	s_or_b32 exec_lo, exec_lo, s70
.LBB60_171:
	s_or_b32 exec_lo, exec_lo, s4
.LBB60_172:
	s_or_b32 exec_lo, exec_lo, s8
	v_mov_b32_e32 v41, 0
	ds_read_b128 v[41:44], v41 offset:752
	s_waitcnt lgkmcnt(0)
	v_mul_f64 v[45:46], v[3:4], v[43:44]
	v_mul_f64 v[43:44], v[1:2], v[43:44]
	v_fma_f64 v[1:2], v[1:2], v[41:42], -v[45:46]
	v_fma_f64 v[3:4], v[3:4], v[41:42], v[43:44]
	buffer_store_dword v2, off, s[0:3], 0 offset:756
	buffer_store_dword v1, off, s[0:3], 0 offset:752
	;; [unrolled: 1-line block ×4, first 2 shown]
.LBB60_173:
	s_or_b32 exec_lo, exec_lo, s6
	v_mov_b32_e32 v4, s23
	v_cmp_lt_u32_e64 s4, 46, v0
	s_clause 0x3
	buffer_load_dword v1, v4, s[0:3], 0 offen
	buffer_load_dword v2, v4, s[0:3], 0 offen offset:4
	buffer_load_dword v3, v4, s[0:3], 0 offen offset:8
	buffer_load_dword v4, v4, s[0:3], 0 offen offset:12
	s_waitcnt vmcnt(0)
	ds_write_b128 v40, v[1:4]
	s_waitcnt lgkmcnt(0)
	s_waitcnt_vscnt null, 0x0
	s_barrier
	buffer_gl0_inv
	s_and_saveexec_b32 s6, s4
	s_cbranch_execz .LBB60_187
; %bb.174:
	ds_read_b128 v[1:4], v40
	s_andn2_b32 vcc_lo, exec_lo, s7
	s_cbranch_vccnz .LBB60_176
; %bb.175:
	s_clause 0x3
	buffer_load_dword v41, v39, s[0:3], 0 offen offset:8
	buffer_load_dword v42, v39, s[0:3], 0 offen offset:12
	buffer_load_dword v43, v39, s[0:3], 0 offen
	buffer_load_dword v44, v39, s[0:3], 0 offen offset:4
	s_waitcnt vmcnt(2) lgkmcnt(0)
	v_mul_f64 v[45:46], v[3:4], v[41:42]
	v_mul_f64 v[41:42], v[1:2], v[41:42]
	s_waitcnt vmcnt(0)
	v_fma_f64 v[1:2], v[1:2], v[43:44], -v[45:46]
	v_fma_f64 v[3:4], v[3:4], v[43:44], v[41:42]
.LBB60_176:
	s_and_saveexec_b32 s8, s5
	s_cbranch_execz .LBB60_186
; %bb.177:
	v_subrev_nc_u32_e32 v42, 48, v0
	v_mov_b32_e32 v43, 47
	v_subrev_nc_u32_e32 v41, 47, v0
	s_mov_b32 s5, exec_lo
	v_cmpx_lt_u32_e32 6, v42
	s_cbranch_execz .LBB60_181
; %bb.178:
	v_and_b32_e32 v42, -8, v41
	s_movk_i32 s71, 0x6c0
	s_mov_b32 s70, 0
	s_mov_b32 s72, s22
	;; [unrolled: 1-line block ×3, first 2 shown]
.LBB60_179:                             ; =>This Inner Loop Header: Depth=1
	v_mov_b32_e32 v43, s72
	v_mov_b32_e32 v91, s71
	s_add_i32 s74, s73, 8
	s_add_i32 s73, s73, 55
	v_cmp_eq_u32_e32 vcc_lo, s74, v42
	s_clause 0x1f
	buffer_load_dword v51, v43, s[0:3], 0 offen offset:8
	buffer_load_dword v52, v43, s[0:3], 0 offen offset:12
	buffer_load_dword v53, v43, s[0:3], 0 offen
	buffer_load_dword v54, v43, s[0:3], 0 offen offset:4
	buffer_load_dword v55, v43, s[0:3], 0 offen offset:24
	;; [unrolled: 1-line block ×29, first 2 shown]
	ds_read_b128 v[43:46], v91
	ds_read_b128 v[47:50], v91 offset:16
	s_addk_i32 s71, 0x80
	s_addk_i32 s72, 0x80
	s_or_b32 s70, vcc_lo, s70
	s_waitcnt vmcnt(30) lgkmcnt(1)
	v_mul_f64 v[83:84], v[45:46], v[51:52]
	v_mul_f64 v[51:52], v[43:44], v[51:52]
	s_waitcnt vmcnt(26) lgkmcnt(0)
	v_mul_f64 v[85:86], v[49:50], v[55:56]
	v_mul_f64 v[55:56], v[47:48], v[55:56]
	v_fma_f64 v[83:84], v[43:44], v[53:54], -v[83:84]
	v_fma_f64 v[87:88], v[45:46], v[53:54], v[51:52]
	ds_read_b128 v[43:46], v91 offset:32
	ds_read_b128 v[51:54], v91 offset:48
	s_waitcnt vmcnt(24)
	v_fma_f64 v[47:48], v[47:48], v[57:58], -v[85:86]
	v_fma_f64 v[49:50], v[49:50], v[57:58], v[55:56]
	s_waitcnt vmcnt(22) lgkmcnt(1)
	v_mul_f64 v[89:90], v[45:46], v[59:60]
	v_mul_f64 v[59:60], v[43:44], v[59:60]
	v_add_f64 v[1:2], v[1:2], v[83:84]
	v_add_f64 v[3:4], v[3:4], v[87:88]
	s_waitcnt vmcnt(18) lgkmcnt(0)
	v_mul_f64 v[55:56], v[53:54], v[63:64]
	v_mul_f64 v[57:58], v[51:52], v[63:64]
	v_fma_f64 v[63:64], v[43:44], v[61:62], -v[89:90]
	v_fma_f64 v[59:60], v[45:46], v[61:62], v[59:60]
	v_add_f64 v[47:48], v[1:2], v[47:48]
	v_add_f64 v[49:50], v[3:4], v[49:50]
	ds_read_b128 v[1:4], v91 offset:64
	ds_read_b128 v[43:46], v91 offset:80
	s_waitcnt vmcnt(16)
	v_fma_f64 v[51:52], v[51:52], v[65:66], -v[55:56]
	v_fma_f64 v[53:54], v[53:54], v[65:66], v[57:58]
	s_waitcnt vmcnt(12) lgkmcnt(1)
	v_mul_f64 v[61:62], v[3:4], v[67:68]
	v_mul_f64 v[67:68], v[1:2], v[67:68]
	v_add_f64 v[47:48], v[47:48], v[63:64]
	v_add_f64 v[49:50], v[49:50], v[59:60]
	s_waitcnt vmcnt(10) lgkmcnt(0)
	v_mul_f64 v[55:56], v[45:46], v[69:70]
	v_mul_f64 v[57:58], v[43:44], v[69:70]
	s_waitcnt vmcnt(8)
	v_fma_f64 v[59:60], v[1:2], v[73:74], -v[61:62]
	v_fma_f64 v[61:62], v[3:4], v[73:74], v[67:68]
	v_add_f64 v[51:52], v[47:48], v[51:52]
	v_add_f64 v[53:54], v[49:50], v[53:54]
	ds_read_b128 v[1:4], v91 offset:96
	ds_read_b128 v[47:50], v91 offset:112
	v_fma_f64 v[43:44], v[43:44], v[71:72], -v[55:56]
	v_fma_f64 v[45:46], v[45:46], v[71:72], v[57:58]
	s_waitcnt vmcnt(4) lgkmcnt(1)
	v_mul_f64 v[63:64], v[3:4], v[75:76]
	v_mul_f64 v[65:66], v[1:2], v[75:76]
	v_add_f64 v[51:52], v[51:52], v[59:60]
	v_add_f64 v[53:54], v[53:54], v[61:62]
	s_waitcnt vmcnt(2) lgkmcnt(0)
	v_mul_f64 v[55:56], v[49:50], v[77:78]
	v_mul_f64 v[57:58], v[47:48], v[77:78]
	s_waitcnt vmcnt(0)
	v_fma_f64 v[1:2], v[1:2], v[81:82], -v[63:64]
	v_fma_f64 v[3:4], v[3:4], v[81:82], v[65:66]
	v_add_f64 v[43:44], v[51:52], v[43:44]
	v_add_f64 v[45:46], v[53:54], v[45:46]
	v_fma_f64 v[47:48], v[47:48], v[79:80], -v[55:56]
	v_fma_f64 v[49:50], v[49:50], v[79:80], v[57:58]
	v_add_f64 v[1:2], v[43:44], v[1:2]
	v_add_f64 v[3:4], v[45:46], v[3:4]
	v_mov_b32_e32 v43, s73
	s_mov_b32 s73, s74
	v_add_f64 v[1:2], v[1:2], v[47:48]
	v_add_f64 v[3:4], v[3:4], v[49:50]
	s_andn2_b32 exec_lo, exec_lo, s70
	s_cbranch_execnz .LBB60_179
; %bb.180:
	s_or_b32 exec_lo, exec_lo, s70
.LBB60_181:
	s_or_b32 exec_lo, exec_lo, s5
	v_and_b32_e32 v41, 7, v41
	s_mov_b32 s70, 0
	s_mov_b32 s5, exec_lo
	v_cmpx_ne_u32_e32 0, v41
	s_cbranch_execz .LBB60_185
; %bb.182:
	v_lshlrev_b32_e32 v43, 4, v43
	v_add_nc_u32_e32 v42, 0x3d0, v43
	.p2align	6
.LBB60_183:                             ; =>This Inner Loop Header: Depth=1
	s_clause 0x3
	buffer_load_dword v48, v43, s[0:3], 0 offen offset:8
	buffer_load_dword v49, v43, s[0:3], 0 offen offset:12
	buffer_load_dword v50, v43, s[0:3], 0 offen
	buffer_load_dword v51, v43, s[0:3], 0 offen offset:4
	ds_read_b128 v[44:47], v42
	v_add_nc_u32_e32 v41, -1, v41
	v_add_nc_u32_e32 v42, 16, v42
	v_add_nc_u32_e32 v43, 16, v43
	v_cmp_eq_u32_e32 vcc_lo, 0, v41
	s_or_b32 s70, vcc_lo, s70
	s_waitcnt vmcnt(2) lgkmcnt(0)
	v_mul_f64 v[52:53], v[46:47], v[48:49]
	v_mul_f64 v[48:49], v[44:45], v[48:49]
	s_waitcnt vmcnt(0)
	v_fma_f64 v[44:45], v[44:45], v[50:51], -v[52:53]
	v_fma_f64 v[46:47], v[46:47], v[50:51], v[48:49]
	v_add_f64 v[1:2], v[1:2], v[44:45]
	v_add_f64 v[3:4], v[3:4], v[46:47]
	s_andn2_b32 exec_lo, exec_lo, s70
	s_cbranch_execnz .LBB60_183
; %bb.184:
	s_or_b32 exec_lo, exec_lo, s70
.LBB60_185:
	s_or_b32 exec_lo, exec_lo, s5
.LBB60_186:
	s_or_b32 exec_lo, exec_lo, s8
	v_mov_b32_e32 v41, 0
	ds_read_b128 v[41:44], v41 offset:736
	s_waitcnt lgkmcnt(0)
	v_mul_f64 v[45:46], v[3:4], v[43:44]
	v_mul_f64 v[43:44], v[1:2], v[43:44]
	v_fma_f64 v[1:2], v[1:2], v[41:42], -v[45:46]
	v_fma_f64 v[3:4], v[3:4], v[41:42], v[43:44]
	buffer_store_dword v2, off, s[0:3], 0 offset:740
	buffer_store_dword v1, off, s[0:3], 0 offset:736
	;; [unrolled: 1-line block ×4, first 2 shown]
.LBB60_187:
	s_or_b32 exec_lo, exec_lo, s6
	v_mov_b32_e32 v4, s24
	v_cmp_lt_u32_e64 s5, 45, v0
	s_clause 0x3
	buffer_load_dword v1, v4, s[0:3], 0 offen
	buffer_load_dword v2, v4, s[0:3], 0 offen offset:4
	buffer_load_dword v3, v4, s[0:3], 0 offen offset:8
	;; [unrolled: 1-line block ×3, first 2 shown]
	s_waitcnt vmcnt(0)
	ds_write_b128 v40, v[1:4]
	s_waitcnt lgkmcnt(0)
	s_waitcnt_vscnt null, 0x0
	s_barrier
	buffer_gl0_inv
	s_and_saveexec_b32 s6, s5
	s_cbranch_execz .LBB60_201
; %bb.188:
	ds_read_b128 v[1:4], v40
	s_andn2_b32 vcc_lo, exec_lo, s7
	s_cbranch_vccnz .LBB60_190
; %bb.189:
	s_clause 0x3
	buffer_load_dword v41, v39, s[0:3], 0 offen offset:8
	buffer_load_dword v42, v39, s[0:3], 0 offen offset:12
	buffer_load_dword v43, v39, s[0:3], 0 offen
	buffer_load_dword v44, v39, s[0:3], 0 offen offset:4
	s_waitcnt vmcnt(2) lgkmcnt(0)
	v_mul_f64 v[45:46], v[3:4], v[41:42]
	v_mul_f64 v[41:42], v[1:2], v[41:42]
	s_waitcnt vmcnt(0)
	v_fma_f64 v[1:2], v[1:2], v[43:44], -v[45:46]
	v_fma_f64 v[3:4], v[3:4], v[43:44], v[41:42]
.LBB60_190:
	s_and_saveexec_b32 s8, s4
	s_cbranch_execz .LBB60_200
; %bb.191:
	v_subrev_nc_u32_e32 v42, 47, v0
	v_mov_b32_e32 v43, 46
	v_subrev_nc_u32_e32 v41, 46, v0
	s_mov_b32 s4, exec_lo
	v_cmpx_lt_u32_e32 6, v42
	s_cbranch_execz .LBB60_195
; %bb.192:
	v_and_b32_e32 v42, -8, v41
	s_movk_i32 s71, 0x6b0
	s_mov_b32 s70, 0
	s_mov_b32 s72, s23
	;; [unrolled: 1-line block ×3, first 2 shown]
.LBB60_193:                             ; =>This Inner Loop Header: Depth=1
	v_mov_b32_e32 v43, s72
	v_mov_b32_e32 v91, s71
	s_add_i32 s74, s73, 8
	s_add_i32 s73, s73, 54
	v_cmp_eq_u32_e32 vcc_lo, s74, v42
	s_clause 0x1f
	buffer_load_dword v51, v43, s[0:3], 0 offen offset:8
	buffer_load_dword v52, v43, s[0:3], 0 offen offset:12
	buffer_load_dword v53, v43, s[0:3], 0 offen
	buffer_load_dword v54, v43, s[0:3], 0 offen offset:4
	buffer_load_dword v55, v43, s[0:3], 0 offen offset:24
	;; [unrolled: 1-line block ×29, first 2 shown]
	ds_read_b128 v[43:46], v91
	ds_read_b128 v[47:50], v91 offset:16
	s_addk_i32 s71, 0x80
	s_addk_i32 s72, 0x80
	s_or_b32 s70, vcc_lo, s70
	s_waitcnt vmcnt(30) lgkmcnt(1)
	v_mul_f64 v[83:84], v[45:46], v[51:52]
	v_mul_f64 v[51:52], v[43:44], v[51:52]
	s_waitcnt vmcnt(26) lgkmcnt(0)
	v_mul_f64 v[85:86], v[49:50], v[55:56]
	v_mul_f64 v[55:56], v[47:48], v[55:56]
	v_fma_f64 v[83:84], v[43:44], v[53:54], -v[83:84]
	v_fma_f64 v[87:88], v[45:46], v[53:54], v[51:52]
	ds_read_b128 v[43:46], v91 offset:32
	ds_read_b128 v[51:54], v91 offset:48
	s_waitcnt vmcnt(24)
	v_fma_f64 v[47:48], v[47:48], v[57:58], -v[85:86]
	v_fma_f64 v[49:50], v[49:50], v[57:58], v[55:56]
	s_waitcnt vmcnt(22) lgkmcnt(1)
	v_mul_f64 v[89:90], v[45:46], v[59:60]
	v_mul_f64 v[59:60], v[43:44], v[59:60]
	v_add_f64 v[1:2], v[1:2], v[83:84]
	v_add_f64 v[3:4], v[3:4], v[87:88]
	s_waitcnt vmcnt(18) lgkmcnt(0)
	v_mul_f64 v[55:56], v[53:54], v[63:64]
	v_mul_f64 v[57:58], v[51:52], v[63:64]
	v_fma_f64 v[63:64], v[43:44], v[61:62], -v[89:90]
	v_fma_f64 v[59:60], v[45:46], v[61:62], v[59:60]
	v_add_f64 v[47:48], v[1:2], v[47:48]
	v_add_f64 v[49:50], v[3:4], v[49:50]
	ds_read_b128 v[1:4], v91 offset:64
	ds_read_b128 v[43:46], v91 offset:80
	s_waitcnt vmcnt(16)
	v_fma_f64 v[51:52], v[51:52], v[65:66], -v[55:56]
	v_fma_f64 v[53:54], v[53:54], v[65:66], v[57:58]
	s_waitcnt vmcnt(12) lgkmcnt(1)
	v_mul_f64 v[61:62], v[3:4], v[67:68]
	v_mul_f64 v[67:68], v[1:2], v[67:68]
	v_add_f64 v[47:48], v[47:48], v[63:64]
	v_add_f64 v[49:50], v[49:50], v[59:60]
	s_waitcnt vmcnt(10) lgkmcnt(0)
	v_mul_f64 v[55:56], v[45:46], v[69:70]
	v_mul_f64 v[57:58], v[43:44], v[69:70]
	s_waitcnt vmcnt(8)
	v_fma_f64 v[59:60], v[1:2], v[73:74], -v[61:62]
	v_fma_f64 v[61:62], v[3:4], v[73:74], v[67:68]
	v_add_f64 v[51:52], v[47:48], v[51:52]
	v_add_f64 v[53:54], v[49:50], v[53:54]
	ds_read_b128 v[1:4], v91 offset:96
	ds_read_b128 v[47:50], v91 offset:112
	v_fma_f64 v[43:44], v[43:44], v[71:72], -v[55:56]
	v_fma_f64 v[45:46], v[45:46], v[71:72], v[57:58]
	s_waitcnt vmcnt(4) lgkmcnt(1)
	v_mul_f64 v[63:64], v[3:4], v[75:76]
	v_mul_f64 v[65:66], v[1:2], v[75:76]
	v_add_f64 v[51:52], v[51:52], v[59:60]
	v_add_f64 v[53:54], v[53:54], v[61:62]
	s_waitcnt vmcnt(2) lgkmcnt(0)
	v_mul_f64 v[55:56], v[49:50], v[77:78]
	v_mul_f64 v[57:58], v[47:48], v[77:78]
	s_waitcnt vmcnt(0)
	v_fma_f64 v[1:2], v[1:2], v[81:82], -v[63:64]
	v_fma_f64 v[3:4], v[3:4], v[81:82], v[65:66]
	v_add_f64 v[43:44], v[51:52], v[43:44]
	v_add_f64 v[45:46], v[53:54], v[45:46]
	v_fma_f64 v[47:48], v[47:48], v[79:80], -v[55:56]
	v_fma_f64 v[49:50], v[49:50], v[79:80], v[57:58]
	v_add_f64 v[1:2], v[43:44], v[1:2]
	v_add_f64 v[3:4], v[45:46], v[3:4]
	v_mov_b32_e32 v43, s73
	s_mov_b32 s73, s74
	v_add_f64 v[1:2], v[1:2], v[47:48]
	v_add_f64 v[3:4], v[3:4], v[49:50]
	s_andn2_b32 exec_lo, exec_lo, s70
	s_cbranch_execnz .LBB60_193
; %bb.194:
	s_or_b32 exec_lo, exec_lo, s70
.LBB60_195:
	s_or_b32 exec_lo, exec_lo, s4
	v_and_b32_e32 v41, 7, v41
	s_mov_b32 s70, 0
	s_mov_b32 s4, exec_lo
	v_cmpx_ne_u32_e32 0, v41
	s_cbranch_execz .LBB60_199
; %bb.196:
	v_lshlrev_b32_e32 v43, 4, v43
	v_add_nc_u32_e32 v42, 0x3d0, v43
	.p2align	6
.LBB60_197:                             ; =>This Inner Loop Header: Depth=1
	s_clause 0x3
	buffer_load_dword v48, v43, s[0:3], 0 offen offset:8
	buffer_load_dword v49, v43, s[0:3], 0 offen offset:12
	buffer_load_dword v50, v43, s[0:3], 0 offen
	buffer_load_dword v51, v43, s[0:3], 0 offen offset:4
	ds_read_b128 v[44:47], v42
	v_add_nc_u32_e32 v41, -1, v41
	v_add_nc_u32_e32 v42, 16, v42
	v_add_nc_u32_e32 v43, 16, v43
	v_cmp_eq_u32_e32 vcc_lo, 0, v41
	s_or_b32 s70, vcc_lo, s70
	s_waitcnt vmcnt(2) lgkmcnt(0)
	v_mul_f64 v[52:53], v[46:47], v[48:49]
	v_mul_f64 v[48:49], v[44:45], v[48:49]
	s_waitcnt vmcnt(0)
	v_fma_f64 v[44:45], v[44:45], v[50:51], -v[52:53]
	v_fma_f64 v[46:47], v[46:47], v[50:51], v[48:49]
	v_add_f64 v[1:2], v[1:2], v[44:45]
	v_add_f64 v[3:4], v[3:4], v[46:47]
	s_andn2_b32 exec_lo, exec_lo, s70
	s_cbranch_execnz .LBB60_197
; %bb.198:
	s_or_b32 exec_lo, exec_lo, s70
.LBB60_199:
	s_or_b32 exec_lo, exec_lo, s4
.LBB60_200:
	s_or_b32 exec_lo, exec_lo, s8
	v_mov_b32_e32 v41, 0
	ds_read_b128 v[41:44], v41 offset:720
	s_waitcnt lgkmcnt(0)
	v_mul_f64 v[45:46], v[3:4], v[43:44]
	v_mul_f64 v[43:44], v[1:2], v[43:44]
	v_fma_f64 v[1:2], v[1:2], v[41:42], -v[45:46]
	v_fma_f64 v[3:4], v[3:4], v[41:42], v[43:44]
	buffer_store_dword v2, off, s[0:3], 0 offset:724
	buffer_store_dword v1, off, s[0:3], 0 offset:720
	;; [unrolled: 1-line block ×4, first 2 shown]
.LBB60_201:
	s_or_b32 exec_lo, exec_lo, s6
	v_mov_b32_e32 v4, s25
	v_cmp_lt_u32_e64 s4, 44, v0
	s_clause 0x3
	buffer_load_dword v1, v4, s[0:3], 0 offen
	buffer_load_dword v2, v4, s[0:3], 0 offen offset:4
	buffer_load_dword v3, v4, s[0:3], 0 offen offset:8
	;; [unrolled: 1-line block ×3, first 2 shown]
	s_waitcnt vmcnt(0)
	ds_write_b128 v40, v[1:4]
	s_waitcnt lgkmcnt(0)
	s_waitcnt_vscnt null, 0x0
	s_barrier
	buffer_gl0_inv
	s_and_saveexec_b32 s6, s4
	s_cbranch_execz .LBB60_215
; %bb.202:
	ds_read_b128 v[1:4], v40
	s_andn2_b32 vcc_lo, exec_lo, s7
	s_cbranch_vccnz .LBB60_204
; %bb.203:
	s_clause 0x3
	buffer_load_dword v41, v39, s[0:3], 0 offen offset:8
	buffer_load_dword v42, v39, s[0:3], 0 offen offset:12
	buffer_load_dword v43, v39, s[0:3], 0 offen
	buffer_load_dword v44, v39, s[0:3], 0 offen offset:4
	s_waitcnt vmcnt(2) lgkmcnt(0)
	v_mul_f64 v[45:46], v[3:4], v[41:42]
	v_mul_f64 v[41:42], v[1:2], v[41:42]
	s_waitcnt vmcnt(0)
	v_fma_f64 v[1:2], v[1:2], v[43:44], -v[45:46]
	v_fma_f64 v[3:4], v[3:4], v[43:44], v[41:42]
.LBB60_204:
	s_and_saveexec_b32 s8, s5
	s_cbranch_execz .LBB60_214
; %bb.205:
	v_subrev_nc_u32_e32 v42, 46, v0
	v_mov_b32_e32 v43, 45
	v_subrev_nc_u32_e32 v41, 45, v0
	s_mov_b32 s5, exec_lo
	v_cmpx_lt_u32_e32 6, v42
	s_cbranch_execz .LBB60_209
; %bb.206:
	v_and_b32_e32 v42, -8, v41
	s_movk_i32 s71, 0x6a0
	s_mov_b32 s70, 0
	s_mov_b32 s72, s24
	;; [unrolled: 1-line block ×3, first 2 shown]
.LBB60_207:                             ; =>This Inner Loop Header: Depth=1
	v_mov_b32_e32 v43, s72
	v_mov_b32_e32 v91, s71
	s_add_i32 s74, s73, 8
	s_add_i32 s73, s73, 53
	v_cmp_eq_u32_e32 vcc_lo, s74, v42
	s_clause 0x1f
	buffer_load_dword v51, v43, s[0:3], 0 offen offset:8
	buffer_load_dword v52, v43, s[0:3], 0 offen offset:12
	buffer_load_dword v53, v43, s[0:3], 0 offen
	buffer_load_dword v54, v43, s[0:3], 0 offen offset:4
	buffer_load_dword v55, v43, s[0:3], 0 offen offset:24
	;; [unrolled: 1-line block ×29, first 2 shown]
	ds_read_b128 v[43:46], v91
	ds_read_b128 v[47:50], v91 offset:16
	s_addk_i32 s71, 0x80
	s_addk_i32 s72, 0x80
	s_or_b32 s70, vcc_lo, s70
	s_waitcnt vmcnt(30) lgkmcnt(1)
	v_mul_f64 v[83:84], v[45:46], v[51:52]
	v_mul_f64 v[51:52], v[43:44], v[51:52]
	s_waitcnt vmcnt(26) lgkmcnt(0)
	v_mul_f64 v[85:86], v[49:50], v[55:56]
	v_mul_f64 v[55:56], v[47:48], v[55:56]
	v_fma_f64 v[83:84], v[43:44], v[53:54], -v[83:84]
	v_fma_f64 v[87:88], v[45:46], v[53:54], v[51:52]
	ds_read_b128 v[43:46], v91 offset:32
	ds_read_b128 v[51:54], v91 offset:48
	s_waitcnt vmcnt(24)
	v_fma_f64 v[47:48], v[47:48], v[57:58], -v[85:86]
	v_fma_f64 v[49:50], v[49:50], v[57:58], v[55:56]
	s_waitcnt vmcnt(22) lgkmcnt(1)
	v_mul_f64 v[89:90], v[45:46], v[59:60]
	v_mul_f64 v[59:60], v[43:44], v[59:60]
	v_add_f64 v[1:2], v[1:2], v[83:84]
	v_add_f64 v[3:4], v[3:4], v[87:88]
	s_waitcnt vmcnt(18) lgkmcnt(0)
	v_mul_f64 v[55:56], v[53:54], v[63:64]
	v_mul_f64 v[57:58], v[51:52], v[63:64]
	v_fma_f64 v[63:64], v[43:44], v[61:62], -v[89:90]
	v_fma_f64 v[59:60], v[45:46], v[61:62], v[59:60]
	v_add_f64 v[47:48], v[1:2], v[47:48]
	v_add_f64 v[49:50], v[3:4], v[49:50]
	ds_read_b128 v[1:4], v91 offset:64
	ds_read_b128 v[43:46], v91 offset:80
	s_waitcnt vmcnt(16)
	v_fma_f64 v[51:52], v[51:52], v[65:66], -v[55:56]
	v_fma_f64 v[53:54], v[53:54], v[65:66], v[57:58]
	s_waitcnt vmcnt(12) lgkmcnt(1)
	v_mul_f64 v[61:62], v[3:4], v[67:68]
	v_mul_f64 v[67:68], v[1:2], v[67:68]
	v_add_f64 v[47:48], v[47:48], v[63:64]
	v_add_f64 v[49:50], v[49:50], v[59:60]
	s_waitcnt vmcnt(10) lgkmcnt(0)
	v_mul_f64 v[55:56], v[45:46], v[69:70]
	v_mul_f64 v[57:58], v[43:44], v[69:70]
	s_waitcnt vmcnt(8)
	v_fma_f64 v[59:60], v[1:2], v[73:74], -v[61:62]
	v_fma_f64 v[61:62], v[3:4], v[73:74], v[67:68]
	v_add_f64 v[51:52], v[47:48], v[51:52]
	v_add_f64 v[53:54], v[49:50], v[53:54]
	ds_read_b128 v[1:4], v91 offset:96
	ds_read_b128 v[47:50], v91 offset:112
	v_fma_f64 v[43:44], v[43:44], v[71:72], -v[55:56]
	v_fma_f64 v[45:46], v[45:46], v[71:72], v[57:58]
	s_waitcnt vmcnt(4) lgkmcnt(1)
	v_mul_f64 v[63:64], v[3:4], v[75:76]
	v_mul_f64 v[65:66], v[1:2], v[75:76]
	v_add_f64 v[51:52], v[51:52], v[59:60]
	v_add_f64 v[53:54], v[53:54], v[61:62]
	s_waitcnt vmcnt(2) lgkmcnt(0)
	v_mul_f64 v[55:56], v[49:50], v[77:78]
	v_mul_f64 v[57:58], v[47:48], v[77:78]
	s_waitcnt vmcnt(0)
	v_fma_f64 v[1:2], v[1:2], v[81:82], -v[63:64]
	v_fma_f64 v[3:4], v[3:4], v[81:82], v[65:66]
	v_add_f64 v[43:44], v[51:52], v[43:44]
	v_add_f64 v[45:46], v[53:54], v[45:46]
	v_fma_f64 v[47:48], v[47:48], v[79:80], -v[55:56]
	v_fma_f64 v[49:50], v[49:50], v[79:80], v[57:58]
	v_add_f64 v[1:2], v[43:44], v[1:2]
	v_add_f64 v[3:4], v[45:46], v[3:4]
	v_mov_b32_e32 v43, s73
	s_mov_b32 s73, s74
	v_add_f64 v[1:2], v[1:2], v[47:48]
	v_add_f64 v[3:4], v[3:4], v[49:50]
	s_andn2_b32 exec_lo, exec_lo, s70
	s_cbranch_execnz .LBB60_207
; %bb.208:
	s_or_b32 exec_lo, exec_lo, s70
.LBB60_209:
	s_or_b32 exec_lo, exec_lo, s5
	v_and_b32_e32 v41, 7, v41
	s_mov_b32 s70, 0
	s_mov_b32 s5, exec_lo
	v_cmpx_ne_u32_e32 0, v41
	s_cbranch_execz .LBB60_213
; %bb.210:
	v_lshlrev_b32_e32 v43, 4, v43
	v_add_nc_u32_e32 v42, 0x3d0, v43
	.p2align	6
.LBB60_211:                             ; =>This Inner Loop Header: Depth=1
	s_clause 0x3
	buffer_load_dword v48, v43, s[0:3], 0 offen offset:8
	buffer_load_dword v49, v43, s[0:3], 0 offen offset:12
	buffer_load_dword v50, v43, s[0:3], 0 offen
	buffer_load_dword v51, v43, s[0:3], 0 offen offset:4
	ds_read_b128 v[44:47], v42
	v_add_nc_u32_e32 v41, -1, v41
	v_add_nc_u32_e32 v42, 16, v42
	v_add_nc_u32_e32 v43, 16, v43
	v_cmp_eq_u32_e32 vcc_lo, 0, v41
	s_or_b32 s70, vcc_lo, s70
	s_waitcnt vmcnt(2) lgkmcnt(0)
	v_mul_f64 v[52:53], v[46:47], v[48:49]
	v_mul_f64 v[48:49], v[44:45], v[48:49]
	s_waitcnt vmcnt(0)
	v_fma_f64 v[44:45], v[44:45], v[50:51], -v[52:53]
	v_fma_f64 v[46:47], v[46:47], v[50:51], v[48:49]
	v_add_f64 v[1:2], v[1:2], v[44:45]
	v_add_f64 v[3:4], v[3:4], v[46:47]
	s_andn2_b32 exec_lo, exec_lo, s70
	s_cbranch_execnz .LBB60_211
; %bb.212:
	s_or_b32 exec_lo, exec_lo, s70
.LBB60_213:
	s_or_b32 exec_lo, exec_lo, s5
.LBB60_214:
	s_or_b32 exec_lo, exec_lo, s8
	v_mov_b32_e32 v41, 0
	ds_read_b128 v[41:44], v41 offset:704
	s_waitcnt lgkmcnt(0)
	v_mul_f64 v[45:46], v[3:4], v[43:44]
	v_mul_f64 v[43:44], v[1:2], v[43:44]
	v_fma_f64 v[1:2], v[1:2], v[41:42], -v[45:46]
	v_fma_f64 v[3:4], v[3:4], v[41:42], v[43:44]
	buffer_store_dword v2, off, s[0:3], 0 offset:708
	buffer_store_dword v1, off, s[0:3], 0 offset:704
	;; [unrolled: 1-line block ×4, first 2 shown]
.LBB60_215:
	s_or_b32 exec_lo, exec_lo, s6
	v_mov_b32_e32 v4, s26
	v_cmp_lt_u32_e64 s5, 43, v0
	s_clause 0x3
	buffer_load_dword v1, v4, s[0:3], 0 offen
	buffer_load_dword v2, v4, s[0:3], 0 offen offset:4
	buffer_load_dword v3, v4, s[0:3], 0 offen offset:8
	;; [unrolled: 1-line block ×3, first 2 shown]
	s_waitcnt vmcnt(0)
	ds_write_b128 v40, v[1:4]
	s_waitcnt lgkmcnt(0)
	s_waitcnt_vscnt null, 0x0
	s_barrier
	buffer_gl0_inv
	s_and_saveexec_b32 s6, s5
	s_cbranch_execz .LBB60_229
; %bb.216:
	ds_read_b128 v[1:4], v40
	s_andn2_b32 vcc_lo, exec_lo, s7
	s_cbranch_vccnz .LBB60_218
; %bb.217:
	s_clause 0x3
	buffer_load_dword v41, v39, s[0:3], 0 offen offset:8
	buffer_load_dword v42, v39, s[0:3], 0 offen offset:12
	buffer_load_dword v43, v39, s[0:3], 0 offen
	buffer_load_dword v44, v39, s[0:3], 0 offen offset:4
	s_waitcnt vmcnt(2) lgkmcnt(0)
	v_mul_f64 v[45:46], v[3:4], v[41:42]
	v_mul_f64 v[41:42], v[1:2], v[41:42]
	s_waitcnt vmcnt(0)
	v_fma_f64 v[1:2], v[1:2], v[43:44], -v[45:46]
	v_fma_f64 v[3:4], v[3:4], v[43:44], v[41:42]
.LBB60_218:
	s_and_saveexec_b32 s8, s4
	s_cbranch_execz .LBB60_228
; %bb.219:
	v_subrev_nc_u32_e32 v42, 45, v0
	v_mov_b32_e32 v43, 44
	v_subrev_nc_u32_e32 v41, 44, v0
	s_mov_b32 s4, exec_lo
	v_cmpx_lt_u32_e32 6, v42
	s_cbranch_execz .LBB60_223
; %bb.220:
	v_and_b32_e32 v42, -8, v41
	s_movk_i32 s71, 0x690
	s_mov_b32 s70, 0
	s_mov_b32 s72, s25
	;; [unrolled: 1-line block ×3, first 2 shown]
.LBB60_221:                             ; =>This Inner Loop Header: Depth=1
	v_mov_b32_e32 v43, s72
	v_mov_b32_e32 v91, s71
	s_add_i32 s74, s73, 8
	s_add_i32 s73, s73, 52
	v_cmp_eq_u32_e32 vcc_lo, s74, v42
	s_clause 0x1f
	buffer_load_dword v51, v43, s[0:3], 0 offen offset:8
	buffer_load_dword v52, v43, s[0:3], 0 offen offset:12
	buffer_load_dword v53, v43, s[0:3], 0 offen
	buffer_load_dword v54, v43, s[0:3], 0 offen offset:4
	buffer_load_dword v55, v43, s[0:3], 0 offen offset:24
	;; [unrolled: 1-line block ×29, first 2 shown]
	ds_read_b128 v[43:46], v91
	ds_read_b128 v[47:50], v91 offset:16
	s_addk_i32 s71, 0x80
	s_addk_i32 s72, 0x80
	s_or_b32 s70, vcc_lo, s70
	s_waitcnt vmcnt(30) lgkmcnt(1)
	v_mul_f64 v[83:84], v[45:46], v[51:52]
	v_mul_f64 v[51:52], v[43:44], v[51:52]
	s_waitcnt vmcnt(26) lgkmcnt(0)
	v_mul_f64 v[85:86], v[49:50], v[55:56]
	v_mul_f64 v[55:56], v[47:48], v[55:56]
	v_fma_f64 v[83:84], v[43:44], v[53:54], -v[83:84]
	v_fma_f64 v[87:88], v[45:46], v[53:54], v[51:52]
	ds_read_b128 v[43:46], v91 offset:32
	ds_read_b128 v[51:54], v91 offset:48
	s_waitcnt vmcnt(24)
	v_fma_f64 v[47:48], v[47:48], v[57:58], -v[85:86]
	v_fma_f64 v[49:50], v[49:50], v[57:58], v[55:56]
	s_waitcnt vmcnt(22) lgkmcnt(1)
	v_mul_f64 v[89:90], v[45:46], v[59:60]
	v_mul_f64 v[59:60], v[43:44], v[59:60]
	v_add_f64 v[1:2], v[1:2], v[83:84]
	v_add_f64 v[3:4], v[3:4], v[87:88]
	s_waitcnt vmcnt(18) lgkmcnt(0)
	v_mul_f64 v[55:56], v[53:54], v[63:64]
	v_mul_f64 v[57:58], v[51:52], v[63:64]
	v_fma_f64 v[63:64], v[43:44], v[61:62], -v[89:90]
	v_fma_f64 v[59:60], v[45:46], v[61:62], v[59:60]
	v_add_f64 v[47:48], v[1:2], v[47:48]
	v_add_f64 v[49:50], v[3:4], v[49:50]
	ds_read_b128 v[1:4], v91 offset:64
	ds_read_b128 v[43:46], v91 offset:80
	s_waitcnt vmcnt(16)
	v_fma_f64 v[51:52], v[51:52], v[65:66], -v[55:56]
	v_fma_f64 v[53:54], v[53:54], v[65:66], v[57:58]
	s_waitcnt vmcnt(12) lgkmcnt(1)
	v_mul_f64 v[61:62], v[3:4], v[67:68]
	v_mul_f64 v[67:68], v[1:2], v[67:68]
	v_add_f64 v[47:48], v[47:48], v[63:64]
	v_add_f64 v[49:50], v[49:50], v[59:60]
	s_waitcnt vmcnt(10) lgkmcnt(0)
	v_mul_f64 v[55:56], v[45:46], v[69:70]
	v_mul_f64 v[57:58], v[43:44], v[69:70]
	s_waitcnt vmcnt(8)
	v_fma_f64 v[59:60], v[1:2], v[73:74], -v[61:62]
	v_fma_f64 v[61:62], v[3:4], v[73:74], v[67:68]
	v_add_f64 v[51:52], v[47:48], v[51:52]
	v_add_f64 v[53:54], v[49:50], v[53:54]
	ds_read_b128 v[1:4], v91 offset:96
	ds_read_b128 v[47:50], v91 offset:112
	v_fma_f64 v[43:44], v[43:44], v[71:72], -v[55:56]
	v_fma_f64 v[45:46], v[45:46], v[71:72], v[57:58]
	s_waitcnt vmcnt(4) lgkmcnt(1)
	v_mul_f64 v[63:64], v[3:4], v[75:76]
	v_mul_f64 v[65:66], v[1:2], v[75:76]
	v_add_f64 v[51:52], v[51:52], v[59:60]
	v_add_f64 v[53:54], v[53:54], v[61:62]
	s_waitcnt vmcnt(2) lgkmcnt(0)
	v_mul_f64 v[55:56], v[49:50], v[77:78]
	v_mul_f64 v[57:58], v[47:48], v[77:78]
	s_waitcnt vmcnt(0)
	v_fma_f64 v[1:2], v[1:2], v[81:82], -v[63:64]
	v_fma_f64 v[3:4], v[3:4], v[81:82], v[65:66]
	v_add_f64 v[43:44], v[51:52], v[43:44]
	v_add_f64 v[45:46], v[53:54], v[45:46]
	v_fma_f64 v[47:48], v[47:48], v[79:80], -v[55:56]
	v_fma_f64 v[49:50], v[49:50], v[79:80], v[57:58]
	v_add_f64 v[1:2], v[43:44], v[1:2]
	v_add_f64 v[3:4], v[45:46], v[3:4]
	v_mov_b32_e32 v43, s73
	s_mov_b32 s73, s74
	v_add_f64 v[1:2], v[1:2], v[47:48]
	v_add_f64 v[3:4], v[3:4], v[49:50]
	s_andn2_b32 exec_lo, exec_lo, s70
	s_cbranch_execnz .LBB60_221
; %bb.222:
	s_or_b32 exec_lo, exec_lo, s70
.LBB60_223:
	s_or_b32 exec_lo, exec_lo, s4
	v_and_b32_e32 v41, 7, v41
	s_mov_b32 s70, 0
	s_mov_b32 s4, exec_lo
	v_cmpx_ne_u32_e32 0, v41
	s_cbranch_execz .LBB60_227
; %bb.224:
	v_lshlrev_b32_e32 v43, 4, v43
	v_add_nc_u32_e32 v42, 0x3d0, v43
	.p2align	6
.LBB60_225:                             ; =>This Inner Loop Header: Depth=1
	s_clause 0x3
	buffer_load_dword v48, v43, s[0:3], 0 offen offset:8
	buffer_load_dword v49, v43, s[0:3], 0 offen offset:12
	buffer_load_dword v50, v43, s[0:3], 0 offen
	buffer_load_dword v51, v43, s[0:3], 0 offen offset:4
	ds_read_b128 v[44:47], v42
	v_add_nc_u32_e32 v41, -1, v41
	v_add_nc_u32_e32 v42, 16, v42
	v_add_nc_u32_e32 v43, 16, v43
	v_cmp_eq_u32_e32 vcc_lo, 0, v41
	s_or_b32 s70, vcc_lo, s70
	s_waitcnt vmcnt(2) lgkmcnt(0)
	v_mul_f64 v[52:53], v[46:47], v[48:49]
	v_mul_f64 v[48:49], v[44:45], v[48:49]
	s_waitcnt vmcnt(0)
	v_fma_f64 v[44:45], v[44:45], v[50:51], -v[52:53]
	v_fma_f64 v[46:47], v[46:47], v[50:51], v[48:49]
	v_add_f64 v[1:2], v[1:2], v[44:45]
	v_add_f64 v[3:4], v[3:4], v[46:47]
	s_andn2_b32 exec_lo, exec_lo, s70
	s_cbranch_execnz .LBB60_225
; %bb.226:
	s_or_b32 exec_lo, exec_lo, s70
.LBB60_227:
	s_or_b32 exec_lo, exec_lo, s4
.LBB60_228:
	s_or_b32 exec_lo, exec_lo, s8
	v_mov_b32_e32 v41, 0
	ds_read_b128 v[41:44], v41 offset:688
	s_waitcnt lgkmcnt(0)
	v_mul_f64 v[45:46], v[3:4], v[43:44]
	v_mul_f64 v[43:44], v[1:2], v[43:44]
	v_fma_f64 v[1:2], v[1:2], v[41:42], -v[45:46]
	v_fma_f64 v[3:4], v[3:4], v[41:42], v[43:44]
	buffer_store_dword v2, off, s[0:3], 0 offset:692
	buffer_store_dword v1, off, s[0:3], 0 offset:688
	;; [unrolled: 1-line block ×4, first 2 shown]
.LBB60_229:
	s_or_b32 exec_lo, exec_lo, s6
	v_mov_b32_e32 v4, s27
	v_cmp_lt_u32_e64 s4, 42, v0
	s_clause 0x3
	buffer_load_dword v1, v4, s[0:3], 0 offen
	buffer_load_dword v2, v4, s[0:3], 0 offen offset:4
	buffer_load_dword v3, v4, s[0:3], 0 offen offset:8
	;; [unrolled: 1-line block ×3, first 2 shown]
	s_waitcnt vmcnt(0)
	ds_write_b128 v40, v[1:4]
	s_waitcnt lgkmcnt(0)
	s_waitcnt_vscnt null, 0x0
	s_barrier
	buffer_gl0_inv
	s_and_saveexec_b32 s6, s4
	s_cbranch_execz .LBB60_243
; %bb.230:
	ds_read_b128 v[1:4], v40
	s_andn2_b32 vcc_lo, exec_lo, s7
	s_cbranch_vccnz .LBB60_232
; %bb.231:
	s_clause 0x3
	buffer_load_dword v41, v39, s[0:3], 0 offen offset:8
	buffer_load_dword v42, v39, s[0:3], 0 offen offset:12
	buffer_load_dword v43, v39, s[0:3], 0 offen
	buffer_load_dword v44, v39, s[0:3], 0 offen offset:4
	s_waitcnt vmcnt(2) lgkmcnt(0)
	v_mul_f64 v[45:46], v[3:4], v[41:42]
	v_mul_f64 v[41:42], v[1:2], v[41:42]
	s_waitcnt vmcnt(0)
	v_fma_f64 v[1:2], v[1:2], v[43:44], -v[45:46]
	v_fma_f64 v[3:4], v[3:4], v[43:44], v[41:42]
.LBB60_232:
	s_and_saveexec_b32 s8, s5
	s_cbranch_execz .LBB60_242
; %bb.233:
	v_subrev_nc_u32_e32 v42, 44, v0
	v_mov_b32_e32 v43, 43
	v_subrev_nc_u32_e32 v41, 43, v0
	s_mov_b32 s5, exec_lo
	v_cmpx_lt_u32_e32 6, v42
	s_cbranch_execz .LBB60_237
; %bb.234:
	v_and_b32_e32 v42, -8, v41
	s_movk_i32 s71, 0x680
	s_mov_b32 s70, 0
	s_mov_b32 s72, s26
	;; [unrolled: 1-line block ×3, first 2 shown]
.LBB60_235:                             ; =>This Inner Loop Header: Depth=1
	v_mov_b32_e32 v43, s72
	v_mov_b32_e32 v91, s71
	s_add_i32 s74, s73, 8
	s_add_i32 s73, s73, 51
	v_cmp_eq_u32_e32 vcc_lo, s74, v42
	s_clause 0x1f
	buffer_load_dword v51, v43, s[0:3], 0 offen offset:8
	buffer_load_dword v52, v43, s[0:3], 0 offen offset:12
	buffer_load_dword v53, v43, s[0:3], 0 offen
	buffer_load_dword v54, v43, s[0:3], 0 offen offset:4
	buffer_load_dword v55, v43, s[0:3], 0 offen offset:24
	;; [unrolled: 1-line block ×29, first 2 shown]
	ds_read_b128 v[43:46], v91
	ds_read_b128 v[47:50], v91 offset:16
	s_addk_i32 s71, 0x80
	s_addk_i32 s72, 0x80
	s_or_b32 s70, vcc_lo, s70
	s_waitcnt vmcnt(30) lgkmcnt(1)
	v_mul_f64 v[83:84], v[45:46], v[51:52]
	v_mul_f64 v[51:52], v[43:44], v[51:52]
	s_waitcnt vmcnt(26) lgkmcnt(0)
	v_mul_f64 v[85:86], v[49:50], v[55:56]
	v_mul_f64 v[55:56], v[47:48], v[55:56]
	v_fma_f64 v[83:84], v[43:44], v[53:54], -v[83:84]
	v_fma_f64 v[87:88], v[45:46], v[53:54], v[51:52]
	ds_read_b128 v[43:46], v91 offset:32
	ds_read_b128 v[51:54], v91 offset:48
	s_waitcnt vmcnt(24)
	v_fma_f64 v[47:48], v[47:48], v[57:58], -v[85:86]
	v_fma_f64 v[49:50], v[49:50], v[57:58], v[55:56]
	s_waitcnt vmcnt(22) lgkmcnt(1)
	v_mul_f64 v[89:90], v[45:46], v[59:60]
	v_mul_f64 v[59:60], v[43:44], v[59:60]
	v_add_f64 v[1:2], v[1:2], v[83:84]
	v_add_f64 v[3:4], v[3:4], v[87:88]
	s_waitcnt vmcnt(18) lgkmcnt(0)
	v_mul_f64 v[55:56], v[53:54], v[63:64]
	v_mul_f64 v[57:58], v[51:52], v[63:64]
	v_fma_f64 v[63:64], v[43:44], v[61:62], -v[89:90]
	v_fma_f64 v[59:60], v[45:46], v[61:62], v[59:60]
	v_add_f64 v[47:48], v[1:2], v[47:48]
	v_add_f64 v[49:50], v[3:4], v[49:50]
	ds_read_b128 v[1:4], v91 offset:64
	ds_read_b128 v[43:46], v91 offset:80
	s_waitcnt vmcnt(16)
	v_fma_f64 v[51:52], v[51:52], v[65:66], -v[55:56]
	v_fma_f64 v[53:54], v[53:54], v[65:66], v[57:58]
	s_waitcnt vmcnt(12) lgkmcnt(1)
	v_mul_f64 v[61:62], v[3:4], v[67:68]
	v_mul_f64 v[67:68], v[1:2], v[67:68]
	v_add_f64 v[47:48], v[47:48], v[63:64]
	v_add_f64 v[49:50], v[49:50], v[59:60]
	s_waitcnt vmcnt(10) lgkmcnt(0)
	v_mul_f64 v[55:56], v[45:46], v[69:70]
	v_mul_f64 v[57:58], v[43:44], v[69:70]
	s_waitcnt vmcnt(8)
	v_fma_f64 v[59:60], v[1:2], v[73:74], -v[61:62]
	v_fma_f64 v[61:62], v[3:4], v[73:74], v[67:68]
	v_add_f64 v[51:52], v[47:48], v[51:52]
	v_add_f64 v[53:54], v[49:50], v[53:54]
	ds_read_b128 v[1:4], v91 offset:96
	ds_read_b128 v[47:50], v91 offset:112
	v_fma_f64 v[43:44], v[43:44], v[71:72], -v[55:56]
	v_fma_f64 v[45:46], v[45:46], v[71:72], v[57:58]
	s_waitcnt vmcnt(4) lgkmcnt(1)
	v_mul_f64 v[63:64], v[3:4], v[75:76]
	v_mul_f64 v[65:66], v[1:2], v[75:76]
	v_add_f64 v[51:52], v[51:52], v[59:60]
	v_add_f64 v[53:54], v[53:54], v[61:62]
	s_waitcnt vmcnt(2) lgkmcnt(0)
	v_mul_f64 v[55:56], v[49:50], v[77:78]
	v_mul_f64 v[57:58], v[47:48], v[77:78]
	s_waitcnt vmcnt(0)
	v_fma_f64 v[1:2], v[1:2], v[81:82], -v[63:64]
	v_fma_f64 v[3:4], v[3:4], v[81:82], v[65:66]
	v_add_f64 v[43:44], v[51:52], v[43:44]
	v_add_f64 v[45:46], v[53:54], v[45:46]
	v_fma_f64 v[47:48], v[47:48], v[79:80], -v[55:56]
	v_fma_f64 v[49:50], v[49:50], v[79:80], v[57:58]
	v_add_f64 v[1:2], v[43:44], v[1:2]
	v_add_f64 v[3:4], v[45:46], v[3:4]
	v_mov_b32_e32 v43, s73
	s_mov_b32 s73, s74
	v_add_f64 v[1:2], v[1:2], v[47:48]
	v_add_f64 v[3:4], v[3:4], v[49:50]
	s_andn2_b32 exec_lo, exec_lo, s70
	s_cbranch_execnz .LBB60_235
; %bb.236:
	s_or_b32 exec_lo, exec_lo, s70
.LBB60_237:
	s_or_b32 exec_lo, exec_lo, s5
	v_and_b32_e32 v41, 7, v41
	s_mov_b32 s70, 0
	s_mov_b32 s5, exec_lo
	v_cmpx_ne_u32_e32 0, v41
	s_cbranch_execz .LBB60_241
; %bb.238:
	v_lshlrev_b32_e32 v43, 4, v43
	v_add_nc_u32_e32 v42, 0x3d0, v43
	.p2align	6
.LBB60_239:                             ; =>This Inner Loop Header: Depth=1
	s_clause 0x3
	buffer_load_dword v48, v43, s[0:3], 0 offen offset:8
	buffer_load_dword v49, v43, s[0:3], 0 offen offset:12
	buffer_load_dword v50, v43, s[0:3], 0 offen
	buffer_load_dword v51, v43, s[0:3], 0 offen offset:4
	ds_read_b128 v[44:47], v42
	v_add_nc_u32_e32 v41, -1, v41
	v_add_nc_u32_e32 v42, 16, v42
	v_add_nc_u32_e32 v43, 16, v43
	v_cmp_eq_u32_e32 vcc_lo, 0, v41
	s_or_b32 s70, vcc_lo, s70
	s_waitcnt vmcnt(2) lgkmcnt(0)
	v_mul_f64 v[52:53], v[46:47], v[48:49]
	v_mul_f64 v[48:49], v[44:45], v[48:49]
	s_waitcnt vmcnt(0)
	v_fma_f64 v[44:45], v[44:45], v[50:51], -v[52:53]
	v_fma_f64 v[46:47], v[46:47], v[50:51], v[48:49]
	v_add_f64 v[1:2], v[1:2], v[44:45]
	v_add_f64 v[3:4], v[3:4], v[46:47]
	s_andn2_b32 exec_lo, exec_lo, s70
	s_cbranch_execnz .LBB60_239
; %bb.240:
	s_or_b32 exec_lo, exec_lo, s70
.LBB60_241:
	s_or_b32 exec_lo, exec_lo, s5
.LBB60_242:
	s_or_b32 exec_lo, exec_lo, s8
	v_mov_b32_e32 v41, 0
	ds_read_b128 v[41:44], v41 offset:672
	s_waitcnt lgkmcnt(0)
	v_mul_f64 v[45:46], v[3:4], v[43:44]
	v_mul_f64 v[43:44], v[1:2], v[43:44]
	v_fma_f64 v[1:2], v[1:2], v[41:42], -v[45:46]
	v_fma_f64 v[3:4], v[3:4], v[41:42], v[43:44]
	buffer_store_dword v2, off, s[0:3], 0 offset:676
	buffer_store_dword v1, off, s[0:3], 0 offset:672
	;; [unrolled: 1-line block ×4, first 2 shown]
.LBB60_243:
	s_or_b32 exec_lo, exec_lo, s6
	v_mov_b32_e32 v4, s28
	v_cmp_lt_u32_e64 s5, 41, v0
	s_clause 0x3
	buffer_load_dword v1, v4, s[0:3], 0 offen
	buffer_load_dword v2, v4, s[0:3], 0 offen offset:4
	buffer_load_dword v3, v4, s[0:3], 0 offen offset:8
	;; [unrolled: 1-line block ×3, first 2 shown]
	s_waitcnt vmcnt(0)
	ds_write_b128 v40, v[1:4]
	s_waitcnt lgkmcnt(0)
	s_waitcnt_vscnt null, 0x0
	s_barrier
	buffer_gl0_inv
	s_and_saveexec_b32 s6, s5
	s_cbranch_execz .LBB60_257
; %bb.244:
	ds_read_b128 v[1:4], v40
	s_andn2_b32 vcc_lo, exec_lo, s7
	s_cbranch_vccnz .LBB60_246
; %bb.245:
	s_clause 0x3
	buffer_load_dword v41, v39, s[0:3], 0 offen offset:8
	buffer_load_dword v42, v39, s[0:3], 0 offen offset:12
	buffer_load_dword v43, v39, s[0:3], 0 offen
	buffer_load_dword v44, v39, s[0:3], 0 offen offset:4
	s_waitcnt vmcnt(2) lgkmcnt(0)
	v_mul_f64 v[45:46], v[3:4], v[41:42]
	v_mul_f64 v[41:42], v[1:2], v[41:42]
	s_waitcnt vmcnt(0)
	v_fma_f64 v[1:2], v[1:2], v[43:44], -v[45:46]
	v_fma_f64 v[3:4], v[3:4], v[43:44], v[41:42]
.LBB60_246:
	s_and_saveexec_b32 s8, s4
	s_cbranch_execz .LBB60_256
; %bb.247:
	v_subrev_nc_u32_e32 v42, 43, v0
	v_mov_b32_e32 v43, 42
	v_subrev_nc_u32_e32 v41, 42, v0
	s_mov_b32 s4, exec_lo
	v_cmpx_lt_u32_e32 6, v42
	s_cbranch_execz .LBB60_251
; %bb.248:
	v_and_b32_e32 v42, -8, v41
	s_movk_i32 s71, 0x670
	s_mov_b32 s70, 0
	s_mov_b32 s72, s27
	;; [unrolled: 1-line block ×3, first 2 shown]
.LBB60_249:                             ; =>This Inner Loop Header: Depth=1
	v_mov_b32_e32 v43, s72
	v_mov_b32_e32 v91, s71
	s_add_i32 s74, s73, 8
	s_add_i32 s73, s73, 50
	v_cmp_eq_u32_e32 vcc_lo, s74, v42
	s_clause 0x1f
	buffer_load_dword v51, v43, s[0:3], 0 offen offset:8
	buffer_load_dword v52, v43, s[0:3], 0 offen offset:12
	buffer_load_dword v53, v43, s[0:3], 0 offen
	buffer_load_dword v54, v43, s[0:3], 0 offen offset:4
	buffer_load_dword v55, v43, s[0:3], 0 offen offset:24
	;; [unrolled: 1-line block ×29, first 2 shown]
	ds_read_b128 v[43:46], v91
	ds_read_b128 v[47:50], v91 offset:16
	s_addk_i32 s71, 0x80
	s_addk_i32 s72, 0x80
	s_or_b32 s70, vcc_lo, s70
	s_waitcnt vmcnt(30) lgkmcnt(1)
	v_mul_f64 v[83:84], v[45:46], v[51:52]
	v_mul_f64 v[51:52], v[43:44], v[51:52]
	s_waitcnt vmcnt(26) lgkmcnt(0)
	v_mul_f64 v[85:86], v[49:50], v[55:56]
	v_mul_f64 v[55:56], v[47:48], v[55:56]
	v_fma_f64 v[83:84], v[43:44], v[53:54], -v[83:84]
	v_fma_f64 v[87:88], v[45:46], v[53:54], v[51:52]
	ds_read_b128 v[43:46], v91 offset:32
	ds_read_b128 v[51:54], v91 offset:48
	s_waitcnt vmcnt(24)
	v_fma_f64 v[47:48], v[47:48], v[57:58], -v[85:86]
	v_fma_f64 v[49:50], v[49:50], v[57:58], v[55:56]
	s_waitcnt vmcnt(22) lgkmcnt(1)
	v_mul_f64 v[89:90], v[45:46], v[59:60]
	v_mul_f64 v[59:60], v[43:44], v[59:60]
	v_add_f64 v[1:2], v[1:2], v[83:84]
	v_add_f64 v[3:4], v[3:4], v[87:88]
	s_waitcnt vmcnt(18) lgkmcnt(0)
	v_mul_f64 v[55:56], v[53:54], v[63:64]
	v_mul_f64 v[57:58], v[51:52], v[63:64]
	v_fma_f64 v[63:64], v[43:44], v[61:62], -v[89:90]
	v_fma_f64 v[59:60], v[45:46], v[61:62], v[59:60]
	v_add_f64 v[47:48], v[1:2], v[47:48]
	v_add_f64 v[49:50], v[3:4], v[49:50]
	ds_read_b128 v[1:4], v91 offset:64
	ds_read_b128 v[43:46], v91 offset:80
	s_waitcnt vmcnt(16)
	v_fma_f64 v[51:52], v[51:52], v[65:66], -v[55:56]
	v_fma_f64 v[53:54], v[53:54], v[65:66], v[57:58]
	s_waitcnt vmcnt(12) lgkmcnt(1)
	v_mul_f64 v[61:62], v[3:4], v[67:68]
	v_mul_f64 v[67:68], v[1:2], v[67:68]
	v_add_f64 v[47:48], v[47:48], v[63:64]
	v_add_f64 v[49:50], v[49:50], v[59:60]
	s_waitcnt vmcnt(10) lgkmcnt(0)
	v_mul_f64 v[55:56], v[45:46], v[69:70]
	v_mul_f64 v[57:58], v[43:44], v[69:70]
	s_waitcnt vmcnt(8)
	v_fma_f64 v[59:60], v[1:2], v[73:74], -v[61:62]
	v_fma_f64 v[61:62], v[3:4], v[73:74], v[67:68]
	v_add_f64 v[51:52], v[47:48], v[51:52]
	v_add_f64 v[53:54], v[49:50], v[53:54]
	ds_read_b128 v[1:4], v91 offset:96
	ds_read_b128 v[47:50], v91 offset:112
	v_fma_f64 v[43:44], v[43:44], v[71:72], -v[55:56]
	v_fma_f64 v[45:46], v[45:46], v[71:72], v[57:58]
	s_waitcnt vmcnt(4) lgkmcnt(1)
	v_mul_f64 v[63:64], v[3:4], v[75:76]
	v_mul_f64 v[65:66], v[1:2], v[75:76]
	v_add_f64 v[51:52], v[51:52], v[59:60]
	v_add_f64 v[53:54], v[53:54], v[61:62]
	s_waitcnt vmcnt(2) lgkmcnt(0)
	v_mul_f64 v[55:56], v[49:50], v[77:78]
	v_mul_f64 v[57:58], v[47:48], v[77:78]
	s_waitcnt vmcnt(0)
	v_fma_f64 v[1:2], v[1:2], v[81:82], -v[63:64]
	v_fma_f64 v[3:4], v[3:4], v[81:82], v[65:66]
	v_add_f64 v[43:44], v[51:52], v[43:44]
	v_add_f64 v[45:46], v[53:54], v[45:46]
	v_fma_f64 v[47:48], v[47:48], v[79:80], -v[55:56]
	v_fma_f64 v[49:50], v[49:50], v[79:80], v[57:58]
	v_add_f64 v[1:2], v[43:44], v[1:2]
	v_add_f64 v[3:4], v[45:46], v[3:4]
	v_mov_b32_e32 v43, s73
	s_mov_b32 s73, s74
	v_add_f64 v[1:2], v[1:2], v[47:48]
	v_add_f64 v[3:4], v[3:4], v[49:50]
	s_andn2_b32 exec_lo, exec_lo, s70
	s_cbranch_execnz .LBB60_249
; %bb.250:
	s_or_b32 exec_lo, exec_lo, s70
.LBB60_251:
	s_or_b32 exec_lo, exec_lo, s4
	v_and_b32_e32 v41, 7, v41
	s_mov_b32 s70, 0
	s_mov_b32 s4, exec_lo
	v_cmpx_ne_u32_e32 0, v41
	s_cbranch_execz .LBB60_255
; %bb.252:
	v_lshlrev_b32_e32 v43, 4, v43
	v_add_nc_u32_e32 v42, 0x3d0, v43
	.p2align	6
.LBB60_253:                             ; =>This Inner Loop Header: Depth=1
	s_clause 0x3
	buffer_load_dword v48, v43, s[0:3], 0 offen offset:8
	buffer_load_dword v49, v43, s[0:3], 0 offen offset:12
	buffer_load_dword v50, v43, s[0:3], 0 offen
	buffer_load_dword v51, v43, s[0:3], 0 offen offset:4
	ds_read_b128 v[44:47], v42
	v_add_nc_u32_e32 v41, -1, v41
	v_add_nc_u32_e32 v42, 16, v42
	v_add_nc_u32_e32 v43, 16, v43
	v_cmp_eq_u32_e32 vcc_lo, 0, v41
	s_or_b32 s70, vcc_lo, s70
	s_waitcnt vmcnt(2) lgkmcnt(0)
	v_mul_f64 v[52:53], v[46:47], v[48:49]
	v_mul_f64 v[48:49], v[44:45], v[48:49]
	s_waitcnt vmcnt(0)
	v_fma_f64 v[44:45], v[44:45], v[50:51], -v[52:53]
	v_fma_f64 v[46:47], v[46:47], v[50:51], v[48:49]
	v_add_f64 v[1:2], v[1:2], v[44:45]
	v_add_f64 v[3:4], v[3:4], v[46:47]
	s_andn2_b32 exec_lo, exec_lo, s70
	s_cbranch_execnz .LBB60_253
; %bb.254:
	s_or_b32 exec_lo, exec_lo, s70
.LBB60_255:
	s_or_b32 exec_lo, exec_lo, s4
.LBB60_256:
	s_or_b32 exec_lo, exec_lo, s8
	v_mov_b32_e32 v41, 0
	ds_read_b128 v[41:44], v41 offset:656
	s_waitcnt lgkmcnt(0)
	v_mul_f64 v[45:46], v[3:4], v[43:44]
	v_mul_f64 v[43:44], v[1:2], v[43:44]
	v_fma_f64 v[1:2], v[1:2], v[41:42], -v[45:46]
	v_fma_f64 v[3:4], v[3:4], v[41:42], v[43:44]
	buffer_store_dword v2, off, s[0:3], 0 offset:660
	buffer_store_dword v1, off, s[0:3], 0 offset:656
	;; [unrolled: 1-line block ×4, first 2 shown]
.LBB60_257:
	s_or_b32 exec_lo, exec_lo, s6
	v_mov_b32_e32 v4, s29
	v_cmp_lt_u32_e64 s4, 40, v0
	s_clause 0x3
	buffer_load_dword v1, v4, s[0:3], 0 offen
	buffer_load_dword v2, v4, s[0:3], 0 offen offset:4
	buffer_load_dword v3, v4, s[0:3], 0 offen offset:8
	;; [unrolled: 1-line block ×3, first 2 shown]
	s_waitcnt vmcnt(0)
	ds_write_b128 v40, v[1:4]
	s_waitcnt lgkmcnt(0)
	s_waitcnt_vscnt null, 0x0
	s_barrier
	buffer_gl0_inv
	s_and_saveexec_b32 s6, s4
	s_cbranch_execz .LBB60_271
; %bb.258:
	ds_read_b128 v[1:4], v40
	s_andn2_b32 vcc_lo, exec_lo, s7
	s_cbranch_vccnz .LBB60_260
; %bb.259:
	s_clause 0x3
	buffer_load_dword v41, v39, s[0:3], 0 offen offset:8
	buffer_load_dword v42, v39, s[0:3], 0 offen offset:12
	buffer_load_dword v43, v39, s[0:3], 0 offen
	buffer_load_dword v44, v39, s[0:3], 0 offen offset:4
	s_waitcnt vmcnt(2) lgkmcnt(0)
	v_mul_f64 v[45:46], v[3:4], v[41:42]
	v_mul_f64 v[41:42], v[1:2], v[41:42]
	s_waitcnt vmcnt(0)
	v_fma_f64 v[1:2], v[1:2], v[43:44], -v[45:46]
	v_fma_f64 v[3:4], v[3:4], v[43:44], v[41:42]
.LBB60_260:
	s_and_saveexec_b32 s8, s5
	s_cbranch_execz .LBB60_270
; %bb.261:
	v_subrev_nc_u32_e32 v42, 42, v0
	v_mov_b32_e32 v43, 41
	v_subrev_nc_u32_e32 v41, 41, v0
	s_mov_b32 s5, exec_lo
	v_cmpx_lt_u32_e32 6, v42
	s_cbranch_execz .LBB60_265
; %bb.262:
	v_and_b32_e32 v42, -8, v41
	s_movk_i32 s71, 0x660
	s_mov_b32 s70, 0
	s_mov_b32 s72, s28
	;; [unrolled: 1-line block ×3, first 2 shown]
.LBB60_263:                             ; =>This Inner Loop Header: Depth=1
	v_mov_b32_e32 v43, s72
	v_mov_b32_e32 v91, s71
	s_add_i32 s74, s73, 8
	s_add_i32 s73, s73, 49
	v_cmp_eq_u32_e32 vcc_lo, s74, v42
	s_clause 0x1f
	buffer_load_dword v51, v43, s[0:3], 0 offen offset:8
	buffer_load_dword v52, v43, s[0:3], 0 offen offset:12
	buffer_load_dword v53, v43, s[0:3], 0 offen
	buffer_load_dword v54, v43, s[0:3], 0 offen offset:4
	buffer_load_dword v55, v43, s[0:3], 0 offen offset:24
	;; [unrolled: 1-line block ×29, first 2 shown]
	ds_read_b128 v[43:46], v91
	ds_read_b128 v[47:50], v91 offset:16
	s_addk_i32 s71, 0x80
	s_addk_i32 s72, 0x80
	s_or_b32 s70, vcc_lo, s70
	s_waitcnt vmcnt(30) lgkmcnt(1)
	v_mul_f64 v[83:84], v[45:46], v[51:52]
	v_mul_f64 v[51:52], v[43:44], v[51:52]
	s_waitcnt vmcnt(26) lgkmcnt(0)
	v_mul_f64 v[85:86], v[49:50], v[55:56]
	v_mul_f64 v[55:56], v[47:48], v[55:56]
	v_fma_f64 v[83:84], v[43:44], v[53:54], -v[83:84]
	v_fma_f64 v[87:88], v[45:46], v[53:54], v[51:52]
	ds_read_b128 v[43:46], v91 offset:32
	ds_read_b128 v[51:54], v91 offset:48
	s_waitcnt vmcnt(24)
	v_fma_f64 v[47:48], v[47:48], v[57:58], -v[85:86]
	v_fma_f64 v[49:50], v[49:50], v[57:58], v[55:56]
	s_waitcnt vmcnt(22) lgkmcnt(1)
	v_mul_f64 v[89:90], v[45:46], v[59:60]
	v_mul_f64 v[59:60], v[43:44], v[59:60]
	v_add_f64 v[1:2], v[1:2], v[83:84]
	v_add_f64 v[3:4], v[3:4], v[87:88]
	s_waitcnt vmcnt(18) lgkmcnt(0)
	v_mul_f64 v[55:56], v[53:54], v[63:64]
	v_mul_f64 v[57:58], v[51:52], v[63:64]
	v_fma_f64 v[63:64], v[43:44], v[61:62], -v[89:90]
	v_fma_f64 v[59:60], v[45:46], v[61:62], v[59:60]
	v_add_f64 v[47:48], v[1:2], v[47:48]
	v_add_f64 v[49:50], v[3:4], v[49:50]
	ds_read_b128 v[1:4], v91 offset:64
	ds_read_b128 v[43:46], v91 offset:80
	s_waitcnt vmcnt(16)
	v_fma_f64 v[51:52], v[51:52], v[65:66], -v[55:56]
	v_fma_f64 v[53:54], v[53:54], v[65:66], v[57:58]
	s_waitcnt vmcnt(12) lgkmcnt(1)
	v_mul_f64 v[61:62], v[3:4], v[67:68]
	v_mul_f64 v[67:68], v[1:2], v[67:68]
	v_add_f64 v[47:48], v[47:48], v[63:64]
	v_add_f64 v[49:50], v[49:50], v[59:60]
	s_waitcnt vmcnt(10) lgkmcnt(0)
	v_mul_f64 v[55:56], v[45:46], v[69:70]
	v_mul_f64 v[57:58], v[43:44], v[69:70]
	s_waitcnt vmcnt(8)
	v_fma_f64 v[59:60], v[1:2], v[73:74], -v[61:62]
	v_fma_f64 v[61:62], v[3:4], v[73:74], v[67:68]
	v_add_f64 v[51:52], v[47:48], v[51:52]
	v_add_f64 v[53:54], v[49:50], v[53:54]
	ds_read_b128 v[1:4], v91 offset:96
	ds_read_b128 v[47:50], v91 offset:112
	v_fma_f64 v[43:44], v[43:44], v[71:72], -v[55:56]
	v_fma_f64 v[45:46], v[45:46], v[71:72], v[57:58]
	s_waitcnt vmcnt(4) lgkmcnt(1)
	v_mul_f64 v[63:64], v[3:4], v[75:76]
	v_mul_f64 v[65:66], v[1:2], v[75:76]
	v_add_f64 v[51:52], v[51:52], v[59:60]
	v_add_f64 v[53:54], v[53:54], v[61:62]
	s_waitcnt vmcnt(2) lgkmcnt(0)
	v_mul_f64 v[55:56], v[49:50], v[77:78]
	v_mul_f64 v[57:58], v[47:48], v[77:78]
	s_waitcnt vmcnt(0)
	v_fma_f64 v[1:2], v[1:2], v[81:82], -v[63:64]
	v_fma_f64 v[3:4], v[3:4], v[81:82], v[65:66]
	v_add_f64 v[43:44], v[51:52], v[43:44]
	v_add_f64 v[45:46], v[53:54], v[45:46]
	v_fma_f64 v[47:48], v[47:48], v[79:80], -v[55:56]
	v_fma_f64 v[49:50], v[49:50], v[79:80], v[57:58]
	v_add_f64 v[1:2], v[43:44], v[1:2]
	v_add_f64 v[3:4], v[45:46], v[3:4]
	v_mov_b32_e32 v43, s73
	s_mov_b32 s73, s74
	v_add_f64 v[1:2], v[1:2], v[47:48]
	v_add_f64 v[3:4], v[3:4], v[49:50]
	s_andn2_b32 exec_lo, exec_lo, s70
	s_cbranch_execnz .LBB60_263
; %bb.264:
	s_or_b32 exec_lo, exec_lo, s70
.LBB60_265:
	s_or_b32 exec_lo, exec_lo, s5
	v_and_b32_e32 v41, 7, v41
	s_mov_b32 s70, 0
	s_mov_b32 s5, exec_lo
	v_cmpx_ne_u32_e32 0, v41
	s_cbranch_execz .LBB60_269
; %bb.266:
	v_lshlrev_b32_e32 v43, 4, v43
	v_add_nc_u32_e32 v42, 0x3d0, v43
	.p2align	6
.LBB60_267:                             ; =>This Inner Loop Header: Depth=1
	s_clause 0x3
	buffer_load_dword v48, v43, s[0:3], 0 offen offset:8
	buffer_load_dword v49, v43, s[0:3], 0 offen offset:12
	buffer_load_dword v50, v43, s[0:3], 0 offen
	buffer_load_dword v51, v43, s[0:3], 0 offen offset:4
	ds_read_b128 v[44:47], v42
	v_add_nc_u32_e32 v41, -1, v41
	v_add_nc_u32_e32 v42, 16, v42
	v_add_nc_u32_e32 v43, 16, v43
	v_cmp_eq_u32_e32 vcc_lo, 0, v41
	s_or_b32 s70, vcc_lo, s70
	s_waitcnt vmcnt(2) lgkmcnt(0)
	v_mul_f64 v[52:53], v[46:47], v[48:49]
	v_mul_f64 v[48:49], v[44:45], v[48:49]
	s_waitcnt vmcnt(0)
	v_fma_f64 v[44:45], v[44:45], v[50:51], -v[52:53]
	v_fma_f64 v[46:47], v[46:47], v[50:51], v[48:49]
	v_add_f64 v[1:2], v[1:2], v[44:45]
	v_add_f64 v[3:4], v[3:4], v[46:47]
	s_andn2_b32 exec_lo, exec_lo, s70
	s_cbranch_execnz .LBB60_267
; %bb.268:
	s_or_b32 exec_lo, exec_lo, s70
.LBB60_269:
	s_or_b32 exec_lo, exec_lo, s5
.LBB60_270:
	s_or_b32 exec_lo, exec_lo, s8
	v_mov_b32_e32 v41, 0
	ds_read_b128 v[41:44], v41 offset:640
	s_waitcnt lgkmcnt(0)
	v_mul_f64 v[45:46], v[3:4], v[43:44]
	v_mul_f64 v[43:44], v[1:2], v[43:44]
	v_fma_f64 v[1:2], v[1:2], v[41:42], -v[45:46]
	v_fma_f64 v[3:4], v[3:4], v[41:42], v[43:44]
	buffer_store_dword v2, off, s[0:3], 0 offset:644
	buffer_store_dword v1, off, s[0:3], 0 offset:640
	;; [unrolled: 1-line block ×4, first 2 shown]
.LBB60_271:
	s_or_b32 exec_lo, exec_lo, s6
	v_mov_b32_e32 v4, s30
	v_cmp_lt_u32_e64 s5, 39, v0
	s_clause 0x3
	buffer_load_dword v1, v4, s[0:3], 0 offen
	buffer_load_dword v2, v4, s[0:3], 0 offen offset:4
	buffer_load_dword v3, v4, s[0:3], 0 offen offset:8
	;; [unrolled: 1-line block ×3, first 2 shown]
	s_waitcnt vmcnt(0)
	ds_write_b128 v40, v[1:4]
	s_waitcnt lgkmcnt(0)
	s_waitcnt_vscnt null, 0x0
	s_barrier
	buffer_gl0_inv
	s_and_saveexec_b32 s6, s5
	s_cbranch_execz .LBB60_285
; %bb.272:
	ds_read_b128 v[1:4], v40
	s_andn2_b32 vcc_lo, exec_lo, s7
	s_cbranch_vccnz .LBB60_274
; %bb.273:
	s_clause 0x3
	buffer_load_dword v41, v39, s[0:3], 0 offen offset:8
	buffer_load_dword v42, v39, s[0:3], 0 offen offset:12
	buffer_load_dword v43, v39, s[0:3], 0 offen
	buffer_load_dword v44, v39, s[0:3], 0 offen offset:4
	s_waitcnt vmcnt(2) lgkmcnt(0)
	v_mul_f64 v[45:46], v[3:4], v[41:42]
	v_mul_f64 v[41:42], v[1:2], v[41:42]
	s_waitcnt vmcnt(0)
	v_fma_f64 v[1:2], v[1:2], v[43:44], -v[45:46]
	v_fma_f64 v[3:4], v[3:4], v[43:44], v[41:42]
.LBB60_274:
	s_and_saveexec_b32 s8, s4
	s_cbranch_execz .LBB60_284
; %bb.275:
	v_subrev_nc_u32_e32 v41, 41, v0
	v_cmp_lt_u32_e32 vcc_lo, 6, v41
	v_mov_b32_e32 v41, 40
	s_and_saveexec_b32 s4, vcc_lo
	s_cbranch_execz .LBB60_279
; %bb.276:
	v_and_b32_e32 v41, 56, v0
	s_mov_b32 s70, 40
	s_movk_i32 s72, 0x650
	s_mov_b32 s71, 0
	s_mov_b32 s73, s29
.LBB60_277:                             ; =>This Inner Loop Header: Depth=1
	v_mov_b32_e32 v42, s73
	v_mov_b32_e32 v90, s72
	s_add_i32 s70, s70, 8
	s_addk_i32 s72, 0x80
	v_cmp_eq_u32_e32 vcc_lo, s70, v41
	s_clause 0x1f
	buffer_load_dword v50, v42, s[0:3], 0 offen offset:8
	buffer_load_dword v51, v42, s[0:3], 0 offen offset:12
	buffer_load_dword v52, v42, s[0:3], 0 offen
	buffer_load_dword v53, v42, s[0:3], 0 offen offset:4
	buffer_load_dword v54, v42, s[0:3], 0 offen offset:24
	;; [unrolled: 1-line block ×29, first 2 shown]
	ds_read_b128 v[42:45], v90
	ds_read_b128 v[46:49], v90 offset:16
	s_addk_i32 s73, 0x80
	s_or_b32 s71, vcc_lo, s71
	s_waitcnt vmcnt(30) lgkmcnt(1)
	v_mul_f64 v[82:83], v[44:45], v[50:51]
	v_mul_f64 v[50:51], v[42:43], v[50:51]
	s_waitcnt vmcnt(26) lgkmcnt(0)
	v_mul_f64 v[84:85], v[48:49], v[54:55]
	v_mul_f64 v[54:55], v[46:47], v[54:55]
	v_fma_f64 v[82:83], v[42:43], v[52:53], -v[82:83]
	v_fma_f64 v[86:87], v[44:45], v[52:53], v[50:51]
	ds_read_b128 v[42:45], v90 offset:32
	ds_read_b128 v[50:53], v90 offset:48
	s_waitcnt vmcnt(24)
	v_fma_f64 v[46:47], v[46:47], v[56:57], -v[84:85]
	v_fma_f64 v[48:49], v[48:49], v[56:57], v[54:55]
	s_waitcnt vmcnt(22) lgkmcnt(1)
	v_mul_f64 v[88:89], v[44:45], v[58:59]
	v_mul_f64 v[58:59], v[42:43], v[58:59]
	v_add_f64 v[1:2], v[1:2], v[82:83]
	v_add_f64 v[3:4], v[3:4], v[86:87]
	s_waitcnt vmcnt(18) lgkmcnt(0)
	v_mul_f64 v[54:55], v[52:53], v[62:63]
	v_mul_f64 v[56:57], v[50:51], v[62:63]
	v_fma_f64 v[62:63], v[42:43], v[60:61], -v[88:89]
	v_fma_f64 v[58:59], v[44:45], v[60:61], v[58:59]
	v_add_f64 v[46:47], v[1:2], v[46:47]
	v_add_f64 v[48:49], v[3:4], v[48:49]
	ds_read_b128 v[1:4], v90 offset:64
	ds_read_b128 v[42:45], v90 offset:80
	s_waitcnt vmcnt(16)
	v_fma_f64 v[50:51], v[50:51], v[64:65], -v[54:55]
	v_fma_f64 v[52:53], v[52:53], v[64:65], v[56:57]
	s_waitcnt vmcnt(12) lgkmcnt(1)
	v_mul_f64 v[60:61], v[3:4], v[66:67]
	v_mul_f64 v[66:67], v[1:2], v[66:67]
	v_add_f64 v[46:47], v[46:47], v[62:63]
	v_add_f64 v[48:49], v[48:49], v[58:59]
	s_waitcnt vmcnt(10) lgkmcnt(0)
	v_mul_f64 v[54:55], v[44:45], v[68:69]
	v_mul_f64 v[56:57], v[42:43], v[68:69]
	s_waitcnt vmcnt(8)
	v_fma_f64 v[58:59], v[1:2], v[72:73], -v[60:61]
	v_fma_f64 v[60:61], v[3:4], v[72:73], v[66:67]
	v_add_f64 v[50:51], v[46:47], v[50:51]
	v_add_f64 v[52:53], v[48:49], v[52:53]
	ds_read_b128 v[1:4], v90 offset:96
	ds_read_b128 v[46:49], v90 offset:112
	v_fma_f64 v[42:43], v[42:43], v[70:71], -v[54:55]
	v_fma_f64 v[44:45], v[44:45], v[70:71], v[56:57]
	s_waitcnt vmcnt(4) lgkmcnt(1)
	v_mul_f64 v[62:63], v[3:4], v[74:75]
	v_mul_f64 v[64:65], v[1:2], v[74:75]
	v_add_f64 v[50:51], v[50:51], v[58:59]
	v_add_f64 v[52:53], v[52:53], v[60:61]
	s_waitcnt vmcnt(2) lgkmcnt(0)
	v_mul_f64 v[54:55], v[48:49], v[76:77]
	v_mul_f64 v[56:57], v[46:47], v[76:77]
	s_waitcnt vmcnt(0)
	v_fma_f64 v[1:2], v[1:2], v[80:81], -v[62:63]
	v_fma_f64 v[3:4], v[3:4], v[80:81], v[64:65]
	v_add_f64 v[42:43], v[50:51], v[42:43]
	v_add_f64 v[44:45], v[52:53], v[44:45]
	v_fma_f64 v[46:47], v[46:47], v[78:79], -v[54:55]
	v_fma_f64 v[48:49], v[48:49], v[78:79], v[56:57]
	v_add_f64 v[1:2], v[42:43], v[1:2]
	v_add_f64 v[3:4], v[44:45], v[3:4]
	;; [unrolled: 1-line block ×4, first 2 shown]
	s_andn2_b32 exec_lo, exec_lo, s71
	s_cbranch_execnz .LBB60_277
; %bb.278:
	s_or_b32 exec_lo, exec_lo, s71
.LBB60_279:
	s_or_b32 exec_lo, exec_lo, s4
	v_and_b32_e32 v42, 7, v0
	s_mov_b32 s70, 0
	s_mov_b32 s4, exec_lo
	v_cmpx_ne_u32_e32 0, v42
	s_cbranch_execz .LBB60_283
; %bb.280:
	v_lshlrev_b32_e32 v43, 4, v41
	v_add_nc_u32_e32 v41, 0x3d0, v43
	.p2align	6
.LBB60_281:                             ; =>This Inner Loop Header: Depth=1
	s_clause 0x3
	buffer_load_dword v48, v43, s[0:3], 0 offen offset:8
	buffer_load_dword v49, v43, s[0:3], 0 offen offset:12
	buffer_load_dword v50, v43, s[0:3], 0 offen
	buffer_load_dword v51, v43, s[0:3], 0 offen offset:4
	ds_read_b128 v[44:47], v41
	v_add_nc_u32_e32 v42, -1, v42
	v_add_nc_u32_e32 v41, 16, v41
	v_add_nc_u32_e32 v43, 16, v43
	v_cmp_eq_u32_e32 vcc_lo, 0, v42
	s_or_b32 s70, vcc_lo, s70
	s_waitcnt vmcnt(2) lgkmcnt(0)
	v_mul_f64 v[52:53], v[46:47], v[48:49]
	v_mul_f64 v[48:49], v[44:45], v[48:49]
	s_waitcnt vmcnt(0)
	v_fma_f64 v[44:45], v[44:45], v[50:51], -v[52:53]
	v_fma_f64 v[46:47], v[46:47], v[50:51], v[48:49]
	v_add_f64 v[1:2], v[1:2], v[44:45]
	v_add_f64 v[3:4], v[3:4], v[46:47]
	s_andn2_b32 exec_lo, exec_lo, s70
	s_cbranch_execnz .LBB60_281
; %bb.282:
	s_or_b32 exec_lo, exec_lo, s70
.LBB60_283:
	s_or_b32 exec_lo, exec_lo, s4
.LBB60_284:
	s_or_b32 exec_lo, exec_lo, s8
	v_mov_b32_e32 v41, 0
	ds_read_b128 v[41:44], v41 offset:624
	s_waitcnt lgkmcnt(0)
	v_mul_f64 v[45:46], v[3:4], v[43:44]
	v_mul_f64 v[43:44], v[1:2], v[43:44]
	v_fma_f64 v[1:2], v[1:2], v[41:42], -v[45:46]
	v_fma_f64 v[3:4], v[3:4], v[41:42], v[43:44]
	buffer_store_dword v2, off, s[0:3], 0 offset:628
	buffer_store_dword v1, off, s[0:3], 0 offset:624
	;; [unrolled: 1-line block ×4, first 2 shown]
.LBB60_285:
	s_or_b32 exec_lo, exec_lo, s6
	v_mov_b32_e32 v4, s31
	v_cmp_lt_u32_e64 s4, 38, v0
	s_clause 0x3
	buffer_load_dword v1, v4, s[0:3], 0 offen
	buffer_load_dword v2, v4, s[0:3], 0 offen offset:4
	buffer_load_dword v3, v4, s[0:3], 0 offen offset:8
	;; [unrolled: 1-line block ×3, first 2 shown]
	s_waitcnt vmcnt(0)
	ds_write_b128 v40, v[1:4]
	s_waitcnt lgkmcnt(0)
	s_waitcnt_vscnt null, 0x0
	s_barrier
	buffer_gl0_inv
	s_and_saveexec_b32 s6, s4
	s_cbranch_execz .LBB60_299
; %bb.286:
	ds_read_b128 v[1:4], v40
	s_andn2_b32 vcc_lo, exec_lo, s7
	s_cbranch_vccnz .LBB60_288
; %bb.287:
	s_clause 0x3
	buffer_load_dword v41, v39, s[0:3], 0 offen offset:8
	buffer_load_dword v42, v39, s[0:3], 0 offen offset:12
	buffer_load_dword v43, v39, s[0:3], 0 offen
	buffer_load_dword v44, v39, s[0:3], 0 offen offset:4
	s_waitcnt vmcnt(2) lgkmcnt(0)
	v_mul_f64 v[45:46], v[3:4], v[41:42]
	v_mul_f64 v[41:42], v[1:2], v[41:42]
	s_waitcnt vmcnt(0)
	v_fma_f64 v[1:2], v[1:2], v[43:44], -v[45:46]
	v_fma_f64 v[3:4], v[3:4], v[43:44], v[41:42]
.LBB60_288:
	s_and_saveexec_b32 s8, s5
	s_cbranch_execz .LBB60_298
; %bb.289:
	v_subrev_nc_u32_e32 v42, 40, v0
	v_mov_b32_e32 v43, 39
	v_subrev_nc_u32_e32 v41, 39, v0
	s_mov_b32 s5, exec_lo
	v_cmpx_lt_u32_e32 6, v42
	s_cbranch_execz .LBB60_293
; %bb.290:
	v_and_b32_e32 v42, -8, v41
	s_movk_i32 s71, 0x640
	s_mov_b32 s70, 0
	s_mov_b32 s72, s30
	;; [unrolled: 1-line block ×3, first 2 shown]
.LBB60_291:                             ; =>This Inner Loop Header: Depth=1
	v_mov_b32_e32 v43, s72
	v_mov_b32_e32 v91, s71
	s_add_i32 s74, s73, 8
	s_add_i32 s73, s73, 47
	v_cmp_eq_u32_e32 vcc_lo, s74, v42
	s_clause 0x1f
	buffer_load_dword v51, v43, s[0:3], 0 offen offset:8
	buffer_load_dword v52, v43, s[0:3], 0 offen offset:12
	buffer_load_dword v53, v43, s[0:3], 0 offen
	buffer_load_dword v54, v43, s[0:3], 0 offen offset:4
	buffer_load_dword v55, v43, s[0:3], 0 offen offset:24
	;; [unrolled: 1-line block ×29, first 2 shown]
	ds_read_b128 v[43:46], v91
	ds_read_b128 v[47:50], v91 offset:16
	s_addk_i32 s71, 0x80
	s_addk_i32 s72, 0x80
	s_or_b32 s70, vcc_lo, s70
	s_waitcnt vmcnt(30) lgkmcnt(1)
	v_mul_f64 v[83:84], v[45:46], v[51:52]
	v_mul_f64 v[51:52], v[43:44], v[51:52]
	s_waitcnt vmcnt(26) lgkmcnt(0)
	v_mul_f64 v[85:86], v[49:50], v[55:56]
	v_mul_f64 v[55:56], v[47:48], v[55:56]
	v_fma_f64 v[83:84], v[43:44], v[53:54], -v[83:84]
	v_fma_f64 v[87:88], v[45:46], v[53:54], v[51:52]
	ds_read_b128 v[43:46], v91 offset:32
	ds_read_b128 v[51:54], v91 offset:48
	s_waitcnt vmcnt(24)
	v_fma_f64 v[47:48], v[47:48], v[57:58], -v[85:86]
	v_fma_f64 v[49:50], v[49:50], v[57:58], v[55:56]
	s_waitcnt vmcnt(22) lgkmcnt(1)
	v_mul_f64 v[89:90], v[45:46], v[59:60]
	v_mul_f64 v[59:60], v[43:44], v[59:60]
	v_add_f64 v[1:2], v[1:2], v[83:84]
	v_add_f64 v[3:4], v[3:4], v[87:88]
	s_waitcnt vmcnt(18) lgkmcnt(0)
	v_mul_f64 v[55:56], v[53:54], v[63:64]
	v_mul_f64 v[57:58], v[51:52], v[63:64]
	v_fma_f64 v[63:64], v[43:44], v[61:62], -v[89:90]
	v_fma_f64 v[59:60], v[45:46], v[61:62], v[59:60]
	v_add_f64 v[47:48], v[1:2], v[47:48]
	v_add_f64 v[49:50], v[3:4], v[49:50]
	ds_read_b128 v[1:4], v91 offset:64
	ds_read_b128 v[43:46], v91 offset:80
	s_waitcnt vmcnt(16)
	v_fma_f64 v[51:52], v[51:52], v[65:66], -v[55:56]
	v_fma_f64 v[53:54], v[53:54], v[65:66], v[57:58]
	s_waitcnt vmcnt(12) lgkmcnt(1)
	v_mul_f64 v[61:62], v[3:4], v[67:68]
	v_mul_f64 v[67:68], v[1:2], v[67:68]
	v_add_f64 v[47:48], v[47:48], v[63:64]
	v_add_f64 v[49:50], v[49:50], v[59:60]
	s_waitcnt vmcnt(10) lgkmcnt(0)
	v_mul_f64 v[55:56], v[45:46], v[69:70]
	v_mul_f64 v[57:58], v[43:44], v[69:70]
	s_waitcnt vmcnt(8)
	v_fma_f64 v[59:60], v[1:2], v[73:74], -v[61:62]
	v_fma_f64 v[61:62], v[3:4], v[73:74], v[67:68]
	v_add_f64 v[51:52], v[47:48], v[51:52]
	v_add_f64 v[53:54], v[49:50], v[53:54]
	ds_read_b128 v[1:4], v91 offset:96
	ds_read_b128 v[47:50], v91 offset:112
	v_fma_f64 v[43:44], v[43:44], v[71:72], -v[55:56]
	v_fma_f64 v[45:46], v[45:46], v[71:72], v[57:58]
	s_waitcnt vmcnt(4) lgkmcnt(1)
	v_mul_f64 v[63:64], v[3:4], v[75:76]
	v_mul_f64 v[65:66], v[1:2], v[75:76]
	v_add_f64 v[51:52], v[51:52], v[59:60]
	v_add_f64 v[53:54], v[53:54], v[61:62]
	s_waitcnt vmcnt(2) lgkmcnt(0)
	v_mul_f64 v[55:56], v[49:50], v[77:78]
	v_mul_f64 v[57:58], v[47:48], v[77:78]
	s_waitcnt vmcnt(0)
	v_fma_f64 v[1:2], v[1:2], v[81:82], -v[63:64]
	v_fma_f64 v[3:4], v[3:4], v[81:82], v[65:66]
	v_add_f64 v[43:44], v[51:52], v[43:44]
	v_add_f64 v[45:46], v[53:54], v[45:46]
	v_fma_f64 v[47:48], v[47:48], v[79:80], -v[55:56]
	v_fma_f64 v[49:50], v[49:50], v[79:80], v[57:58]
	v_add_f64 v[1:2], v[43:44], v[1:2]
	v_add_f64 v[3:4], v[45:46], v[3:4]
	v_mov_b32_e32 v43, s73
	s_mov_b32 s73, s74
	v_add_f64 v[1:2], v[1:2], v[47:48]
	v_add_f64 v[3:4], v[3:4], v[49:50]
	s_andn2_b32 exec_lo, exec_lo, s70
	s_cbranch_execnz .LBB60_291
; %bb.292:
	s_or_b32 exec_lo, exec_lo, s70
.LBB60_293:
	s_or_b32 exec_lo, exec_lo, s5
	v_and_b32_e32 v41, 7, v41
	s_mov_b32 s70, 0
	s_mov_b32 s5, exec_lo
	v_cmpx_ne_u32_e32 0, v41
	s_cbranch_execz .LBB60_297
; %bb.294:
	v_lshlrev_b32_e32 v43, 4, v43
	v_add_nc_u32_e32 v42, 0x3d0, v43
	.p2align	6
.LBB60_295:                             ; =>This Inner Loop Header: Depth=1
	s_clause 0x3
	buffer_load_dword v48, v43, s[0:3], 0 offen offset:8
	buffer_load_dword v49, v43, s[0:3], 0 offen offset:12
	buffer_load_dword v50, v43, s[0:3], 0 offen
	buffer_load_dword v51, v43, s[0:3], 0 offen offset:4
	ds_read_b128 v[44:47], v42
	v_add_nc_u32_e32 v41, -1, v41
	v_add_nc_u32_e32 v42, 16, v42
	v_add_nc_u32_e32 v43, 16, v43
	v_cmp_eq_u32_e32 vcc_lo, 0, v41
	s_or_b32 s70, vcc_lo, s70
	s_waitcnt vmcnt(2) lgkmcnt(0)
	v_mul_f64 v[52:53], v[46:47], v[48:49]
	v_mul_f64 v[48:49], v[44:45], v[48:49]
	s_waitcnt vmcnt(0)
	v_fma_f64 v[44:45], v[44:45], v[50:51], -v[52:53]
	v_fma_f64 v[46:47], v[46:47], v[50:51], v[48:49]
	v_add_f64 v[1:2], v[1:2], v[44:45]
	v_add_f64 v[3:4], v[3:4], v[46:47]
	s_andn2_b32 exec_lo, exec_lo, s70
	s_cbranch_execnz .LBB60_295
; %bb.296:
	s_or_b32 exec_lo, exec_lo, s70
.LBB60_297:
	s_or_b32 exec_lo, exec_lo, s5
.LBB60_298:
	s_or_b32 exec_lo, exec_lo, s8
	v_mov_b32_e32 v41, 0
	ds_read_b128 v[41:44], v41 offset:608
	s_waitcnt lgkmcnt(0)
	v_mul_f64 v[45:46], v[3:4], v[43:44]
	v_mul_f64 v[43:44], v[1:2], v[43:44]
	v_fma_f64 v[1:2], v[1:2], v[41:42], -v[45:46]
	v_fma_f64 v[3:4], v[3:4], v[41:42], v[43:44]
	buffer_store_dword v2, off, s[0:3], 0 offset:612
	buffer_store_dword v1, off, s[0:3], 0 offset:608
	;; [unrolled: 1-line block ×4, first 2 shown]
.LBB60_299:
	s_or_b32 exec_lo, exec_lo, s6
	v_mov_b32_e32 v4, s33
	v_cmp_lt_u32_e64 s5, 37, v0
	s_clause 0x3
	buffer_load_dword v1, v4, s[0:3], 0 offen
	buffer_load_dword v2, v4, s[0:3], 0 offen offset:4
	buffer_load_dword v3, v4, s[0:3], 0 offen offset:8
	;; [unrolled: 1-line block ×3, first 2 shown]
	s_waitcnt vmcnt(0)
	ds_write_b128 v40, v[1:4]
	s_waitcnt lgkmcnt(0)
	s_waitcnt_vscnt null, 0x0
	s_barrier
	buffer_gl0_inv
	s_and_saveexec_b32 s6, s5
	s_cbranch_execz .LBB60_313
; %bb.300:
	ds_read_b128 v[1:4], v40
	s_andn2_b32 vcc_lo, exec_lo, s7
	s_cbranch_vccnz .LBB60_302
; %bb.301:
	s_clause 0x3
	buffer_load_dword v41, v39, s[0:3], 0 offen offset:8
	buffer_load_dword v42, v39, s[0:3], 0 offen offset:12
	buffer_load_dword v43, v39, s[0:3], 0 offen
	buffer_load_dword v44, v39, s[0:3], 0 offen offset:4
	s_waitcnt vmcnt(2) lgkmcnt(0)
	v_mul_f64 v[45:46], v[3:4], v[41:42]
	v_mul_f64 v[41:42], v[1:2], v[41:42]
	s_waitcnt vmcnt(0)
	v_fma_f64 v[1:2], v[1:2], v[43:44], -v[45:46]
	v_fma_f64 v[3:4], v[3:4], v[43:44], v[41:42]
.LBB60_302:
	s_and_saveexec_b32 s8, s4
	s_cbranch_execz .LBB60_312
; %bb.303:
	v_subrev_nc_u32_e32 v42, 39, v0
	v_mov_b32_e32 v43, 38
	v_subrev_nc_u32_e32 v41, 38, v0
	s_mov_b32 s4, exec_lo
	v_cmpx_lt_u32_e32 6, v42
	s_cbranch_execz .LBB60_307
; %bb.304:
	v_and_b32_e32 v42, -8, v41
	s_movk_i32 s71, 0x630
	s_mov_b32 s70, 0
	s_mov_b32 s72, s31
	;; [unrolled: 1-line block ×3, first 2 shown]
.LBB60_305:                             ; =>This Inner Loop Header: Depth=1
	v_mov_b32_e32 v43, s72
	v_mov_b32_e32 v91, s71
	s_add_i32 s74, s73, 8
	s_add_i32 s73, s73, 46
	v_cmp_eq_u32_e32 vcc_lo, s74, v42
	s_clause 0x1f
	buffer_load_dword v51, v43, s[0:3], 0 offen offset:8
	buffer_load_dword v52, v43, s[0:3], 0 offen offset:12
	buffer_load_dword v53, v43, s[0:3], 0 offen
	buffer_load_dword v54, v43, s[0:3], 0 offen offset:4
	buffer_load_dword v55, v43, s[0:3], 0 offen offset:24
	buffer_load_dword v56, v43, s[0:3], 0 offen offset:28
	buffer_load_dword v57, v43, s[0:3], 0 offen offset:16
	buffer_load_dword v58, v43, s[0:3], 0 offen offset:20
	buffer_load_dword v59, v43, s[0:3], 0 offen offset:40
	buffer_load_dword v60, v43, s[0:3], 0 offen offset:44
	buffer_load_dword v61, v43, s[0:3], 0 offen offset:32
	buffer_load_dword v62, v43, s[0:3], 0 offen offset:36
	buffer_load_dword v63, v43, s[0:3], 0 offen offset:56
	buffer_load_dword v64, v43, s[0:3], 0 offen offset:60
	buffer_load_dword v65, v43, s[0:3], 0 offen offset:48
	buffer_load_dword v66, v43, s[0:3], 0 offen offset:52
	buffer_load_dword v68, v43, s[0:3], 0 offen offset:76
	buffer_load_dword v69, v43, s[0:3], 0 offen offset:88
	buffer_load_dword v71, v43, s[0:3], 0 offen offset:80
	buffer_load_dword v67, v43, s[0:3], 0 offen offset:72
	buffer_load_dword v72, v43, s[0:3], 0 offen offset:84
	buffer_load_dword v70, v43, s[0:3], 0 offen offset:92
	buffer_load_dword v74, v43, s[0:3], 0 offen offset:68
	buffer_load_dword v73, v43, s[0:3], 0 offen offset:64
	buffer_load_dword v76, v43, s[0:3], 0 offen offset:108
	buffer_load_dword v77, v43, s[0:3], 0 offen offset:120
	buffer_load_dword v79, v43, s[0:3], 0 offen offset:112
	buffer_load_dword v75, v43, s[0:3], 0 offen offset:104
	buffer_load_dword v80, v43, s[0:3], 0 offen offset:116
	buffer_load_dword v78, v43, s[0:3], 0 offen offset:124
	buffer_load_dword v82, v43, s[0:3], 0 offen offset:100
	buffer_load_dword v81, v43, s[0:3], 0 offen offset:96
	ds_read_b128 v[43:46], v91
	ds_read_b128 v[47:50], v91 offset:16
	s_addk_i32 s71, 0x80
	s_addk_i32 s72, 0x80
	s_or_b32 s70, vcc_lo, s70
	s_waitcnt vmcnt(30) lgkmcnt(1)
	v_mul_f64 v[83:84], v[45:46], v[51:52]
	v_mul_f64 v[51:52], v[43:44], v[51:52]
	s_waitcnt vmcnt(26) lgkmcnt(0)
	v_mul_f64 v[85:86], v[49:50], v[55:56]
	v_mul_f64 v[55:56], v[47:48], v[55:56]
	v_fma_f64 v[83:84], v[43:44], v[53:54], -v[83:84]
	v_fma_f64 v[87:88], v[45:46], v[53:54], v[51:52]
	ds_read_b128 v[43:46], v91 offset:32
	ds_read_b128 v[51:54], v91 offset:48
	s_waitcnt vmcnt(24)
	v_fma_f64 v[47:48], v[47:48], v[57:58], -v[85:86]
	v_fma_f64 v[49:50], v[49:50], v[57:58], v[55:56]
	s_waitcnt vmcnt(22) lgkmcnt(1)
	v_mul_f64 v[89:90], v[45:46], v[59:60]
	v_mul_f64 v[59:60], v[43:44], v[59:60]
	v_add_f64 v[1:2], v[1:2], v[83:84]
	v_add_f64 v[3:4], v[3:4], v[87:88]
	s_waitcnt vmcnt(18) lgkmcnt(0)
	v_mul_f64 v[55:56], v[53:54], v[63:64]
	v_mul_f64 v[57:58], v[51:52], v[63:64]
	v_fma_f64 v[63:64], v[43:44], v[61:62], -v[89:90]
	v_fma_f64 v[59:60], v[45:46], v[61:62], v[59:60]
	v_add_f64 v[47:48], v[1:2], v[47:48]
	v_add_f64 v[49:50], v[3:4], v[49:50]
	ds_read_b128 v[1:4], v91 offset:64
	ds_read_b128 v[43:46], v91 offset:80
	s_waitcnt vmcnt(16)
	v_fma_f64 v[51:52], v[51:52], v[65:66], -v[55:56]
	v_fma_f64 v[53:54], v[53:54], v[65:66], v[57:58]
	s_waitcnt vmcnt(12) lgkmcnt(1)
	v_mul_f64 v[61:62], v[3:4], v[67:68]
	v_mul_f64 v[67:68], v[1:2], v[67:68]
	v_add_f64 v[47:48], v[47:48], v[63:64]
	v_add_f64 v[49:50], v[49:50], v[59:60]
	s_waitcnt vmcnt(10) lgkmcnt(0)
	v_mul_f64 v[55:56], v[45:46], v[69:70]
	v_mul_f64 v[57:58], v[43:44], v[69:70]
	s_waitcnt vmcnt(8)
	v_fma_f64 v[59:60], v[1:2], v[73:74], -v[61:62]
	v_fma_f64 v[61:62], v[3:4], v[73:74], v[67:68]
	v_add_f64 v[51:52], v[47:48], v[51:52]
	v_add_f64 v[53:54], v[49:50], v[53:54]
	ds_read_b128 v[1:4], v91 offset:96
	ds_read_b128 v[47:50], v91 offset:112
	v_fma_f64 v[43:44], v[43:44], v[71:72], -v[55:56]
	v_fma_f64 v[45:46], v[45:46], v[71:72], v[57:58]
	s_waitcnt vmcnt(4) lgkmcnt(1)
	v_mul_f64 v[63:64], v[3:4], v[75:76]
	v_mul_f64 v[65:66], v[1:2], v[75:76]
	v_add_f64 v[51:52], v[51:52], v[59:60]
	v_add_f64 v[53:54], v[53:54], v[61:62]
	s_waitcnt vmcnt(2) lgkmcnt(0)
	v_mul_f64 v[55:56], v[49:50], v[77:78]
	v_mul_f64 v[57:58], v[47:48], v[77:78]
	s_waitcnt vmcnt(0)
	v_fma_f64 v[1:2], v[1:2], v[81:82], -v[63:64]
	v_fma_f64 v[3:4], v[3:4], v[81:82], v[65:66]
	v_add_f64 v[43:44], v[51:52], v[43:44]
	v_add_f64 v[45:46], v[53:54], v[45:46]
	v_fma_f64 v[47:48], v[47:48], v[79:80], -v[55:56]
	v_fma_f64 v[49:50], v[49:50], v[79:80], v[57:58]
	v_add_f64 v[1:2], v[43:44], v[1:2]
	v_add_f64 v[3:4], v[45:46], v[3:4]
	v_mov_b32_e32 v43, s73
	s_mov_b32 s73, s74
	v_add_f64 v[1:2], v[1:2], v[47:48]
	v_add_f64 v[3:4], v[3:4], v[49:50]
	s_andn2_b32 exec_lo, exec_lo, s70
	s_cbranch_execnz .LBB60_305
; %bb.306:
	s_or_b32 exec_lo, exec_lo, s70
.LBB60_307:
	s_or_b32 exec_lo, exec_lo, s4
	v_and_b32_e32 v41, 7, v41
	s_mov_b32 s70, 0
	s_mov_b32 s4, exec_lo
	v_cmpx_ne_u32_e32 0, v41
	s_cbranch_execz .LBB60_311
; %bb.308:
	v_lshlrev_b32_e32 v43, 4, v43
	v_add_nc_u32_e32 v42, 0x3d0, v43
	.p2align	6
.LBB60_309:                             ; =>This Inner Loop Header: Depth=1
	s_clause 0x3
	buffer_load_dword v48, v43, s[0:3], 0 offen offset:8
	buffer_load_dword v49, v43, s[0:3], 0 offen offset:12
	buffer_load_dword v50, v43, s[0:3], 0 offen
	buffer_load_dword v51, v43, s[0:3], 0 offen offset:4
	ds_read_b128 v[44:47], v42
	v_add_nc_u32_e32 v41, -1, v41
	v_add_nc_u32_e32 v42, 16, v42
	v_add_nc_u32_e32 v43, 16, v43
	v_cmp_eq_u32_e32 vcc_lo, 0, v41
	s_or_b32 s70, vcc_lo, s70
	s_waitcnt vmcnt(2) lgkmcnt(0)
	v_mul_f64 v[52:53], v[46:47], v[48:49]
	v_mul_f64 v[48:49], v[44:45], v[48:49]
	s_waitcnt vmcnt(0)
	v_fma_f64 v[44:45], v[44:45], v[50:51], -v[52:53]
	v_fma_f64 v[46:47], v[46:47], v[50:51], v[48:49]
	v_add_f64 v[1:2], v[1:2], v[44:45]
	v_add_f64 v[3:4], v[3:4], v[46:47]
	s_andn2_b32 exec_lo, exec_lo, s70
	s_cbranch_execnz .LBB60_309
; %bb.310:
	s_or_b32 exec_lo, exec_lo, s70
.LBB60_311:
	s_or_b32 exec_lo, exec_lo, s4
.LBB60_312:
	s_or_b32 exec_lo, exec_lo, s8
	v_mov_b32_e32 v41, 0
	ds_read_b128 v[41:44], v41 offset:592
	s_waitcnt lgkmcnt(0)
	v_mul_f64 v[45:46], v[3:4], v[43:44]
	v_mul_f64 v[43:44], v[1:2], v[43:44]
	v_fma_f64 v[1:2], v[1:2], v[41:42], -v[45:46]
	v_fma_f64 v[3:4], v[3:4], v[41:42], v[43:44]
	buffer_store_dword v2, off, s[0:3], 0 offset:596
	buffer_store_dword v1, off, s[0:3], 0 offset:592
	;; [unrolled: 1-line block ×4, first 2 shown]
.LBB60_313:
	s_or_b32 exec_lo, exec_lo, s6
	v_mov_b32_e32 v4, s34
	v_cmp_lt_u32_e64 s4, 36, v0
	s_clause 0x3
	buffer_load_dword v1, v4, s[0:3], 0 offen
	buffer_load_dword v2, v4, s[0:3], 0 offen offset:4
	buffer_load_dword v3, v4, s[0:3], 0 offen offset:8
	;; [unrolled: 1-line block ×3, first 2 shown]
	s_waitcnt vmcnt(0)
	ds_write_b128 v40, v[1:4]
	s_waitcnt lgkmcnt(0)
	s_waitcnt_vscnt null, 0x0
	s_barrier
	buffer_gl0_inv
	s_and_saveexec_b32 s6, s4
	s_cbranch_execz .LBB60_327
; %bb.314:
	ds_read_b128 v[1:4], v40
	s_andn2_b32 vcc_lo, exec_lo, s7
	s_cbranch_vccnz .LBB60_316
; %bb.315:
	s_clause 0x3
	buffer_load_dword v41, v39, s[0:3], 0 offen offset:8
	buffer_load_dword v42, v39, s[0:3], 0 offen offset:12
	buffer_load_dword v43, v39, s[0:3], 0 offen
	buffer_load_dword v44, v39, s[0:3], 0 offen offset:4
	s_waitcnt vmcnt(2) lgkmcnt(0)
	v_mul_f64 v[45:46], v[3:4], v[41:42]
	v_mul_f64 v[41:42], v[1:2], v[41:42]
	s_waitcnt vmcnt(0)
	v_fma_f64 v[1:2], v[1:2], v[43:44], -v[45:46]
	v_fma_f64 v[3:4], v[3:4], v[43:44], v[41:42]
.LBB60_316:
	s_and_saveexec_b32 s8, s5
	s_cbranch_execz .LBB60_326
; %bb.317:
	v_subrev_nc_u32_e32 v42, 38, v0
	v_mov_b32_e32 v43, 37
	v_subrev_nc_u32_e32 v41, 37, v0
	s_mov_b32 s5, exec_lo
	v_cmpx_lt_u32_e32 6, v42
	s_cbranch_execz .LBB60_321
; %bb.318:
	v_and_b32_e32 v42, -8, v41
	s_movk_i32 s71, 0x620
	s_mov_b32 s70, 0
	s_mov_b32 s72, s33
	;; [unrolled: 1-line block ×3, first 2 shown]
.LBB60_319:                             ; =>This Inner Loop Header: Depth=1
	v_mov_b32_e32 v43, s72
	v_mov_b32_e32 v91, s71
	s_add_i32 s74, s73, 8
	s_add_i32 s73, s73, 45
	v_cmp_eq_u32_e32 vcc_lo, s74, v42
	s_clause 0x1f
	buffer_load_dword v51, v43, s[0:3], 0 offen offset:8
	buffer_load_dword v52, v43, s[0:3], 0 offen offset:12
	buffer_load_dword v53, v43, s[0:3], 0 offen
	buffer_load_dword v54, v43, s[0:3], 0 offen offset:4
	buffer_load_dword v55, v43, s[0:3], 0 offen offset:24
	;; [unrolled: 1-line block ×29, first 2 shown]
	ds_read_b128 v[43:46], v91
	ds_read_b128 v[47:50], v91 offset:16
	s_addk_i32 s71, 0x80
	s_addk_i32 s72, 0x80
	s_or_b32 s70, vcc_lo, s70
	s_waitcnt vmcnt(30) lgkmcnt(1)
	v_mul_f64 v[83:84], v[45:46], v[51:52]
	v_mul_f64 v[51:52], v[43:44], v[51:52]
	s_waitcnt vmcnt(26) lgkmcnt(0)
	v_mul_f64 v[85:86], v[49:50], v[55:56]
	v_mul_f64 v[55:56], v[47:48], v[55:56]
	v_fma_f64 v[83:84], v[43:44], v[53:54], -v[83:84]
	v_fma_f64 v[87:88], v[45:46], v[53:54], v[51:52]
	ds_read_b128 v[43:46], v91 offset:32
	ds_read_b128 v[51:54], v91 offset:48
	s_waitcnt vmcnt(24)
	v_fma_f64 v[47:48], v[47:48], v[57:58], -v[85:86]
	v_fma_f64 v[49:50], v[49:50], v[57:58], v[55:56]
	s_waitcnt vmcnt(22) lgkmcnt(1)
	v_mul_f64 v[89:90], v[45:46], v[59:60]
	v_mul_f64 v[59:60], v[43:44], v[59:60]
	v_add_f64 v[1:2], v[1:2], v[83:84]
	v_add_f64 v[3:4], v[3:4], v[87:88]
	s_waitcnt vmcnt(18) lgkmcnt(0)
	v_mul_f64 v[55:56], v[53:54], v[63:64]
	v_mul_f64 v[57:58], v[51:52], v[63:64]
	v_fma_f64 v[63:64], v[43:44], v[61:62], -v[89:90]
	v_fma_f64 v[59:60], v[45:46], v[61:62], v[59:60]
	v_add_f64 v[47:48], v[1:2], v[47:48]
	v_add_f64 v[49:50], v[3:4], v[49:50]
	ds_read_b128 v[1:4], v91 offset:64
	ds_read_b128 v[43:46], v91 offset:80
	s_waitcnt vmcnt(16)
	v_fma_f64 v[51:52], v[51:52], v[65:66], -v[55:56]
	v_fma_f64 v[53:54], v[53:54], v[65:66], v[57:58]
	s_waitcnt vmcnt(12) lgkmcnt(1)
	v_mul_f64 v[61:62], v[3:4], v[67:68]
	v_mul_f64 v[67:68], v[1:2], v[67:68]
	v_add_f64 v[47:48], v[47:48], v[63:64]
	v_add_f64 v[49:50], v[49:50], v[59:60]
	s_waitcnt vmcnt(10) lgkmcnt(0)
	v_mul_f64 v[55:56], v[45:46], v[69:70]
	v_mul_f64 v[57:58], v[43:44], v[69:70]
	s_waitcnt vmcnt(8)
	v_fma_f64 v[59:60], v[1:2], v[73:74], -v[61:62]
	v_fma_f64 v[61:62], v[3:4], v[73:74], v[67:68]
	v_add_f64 v[51:52], v[47:48], v[51:52]
	v_add_f64 v[53:54], v[49:50], v[53:54]
	ds_read_b128 v[1:4], v91 offset:96
	ds_read_b128 v[47:50], v91 offset:112
	v_fma_f64 v[43:44], v[43:44], v[71:72], -v[55:56]
	v_fma_f64 v[45:46], v[45:46], v[71:72], v[57:58]
	s_waitcnt vmcnt(4) lgkmcnt(1)
	v_mul_f64 v[63:64], v[3:4], v[75:76]
	v_mul_f64 v[65:66], v[1:2], v[75:76]
	v_add_f64 v[51:52], v[51:52], v[59:60]
	v_add_f64 v[53:54], v[53:54], v[61:62]
	s_waitcnt vmcnt(2) lgkmcnt(0)
	v_mul_f64 v[55:56], v[49:50], v[77:78]
	v_mul_f64 v[57:58], v[47:48], v[77:78]
	s_waitcnt vmcnt(0)
	v_fma_f64 v[1:2], v[1:2], v[81:82], -v[63:64]
	v_fma_f64 v[3:4], v[3:4], v[81:82], v[65:66]
	v_add_f64 v[43:44], v[51:52], v[43:44]
	v_add_f64 v[45:46], v[53:54], v[45:46]
	v_fma_f64 v[47:48], v[47:48], v[79:80], -v[55:56]
	v_fma_f64 v[49:50], v[49:50], v[79:80], v[57:58]
	v_add_f64 v[1:2], v[43:44], v[1:2]
	v_add_f64 v[3:4], v[45:46], v[3:4]
	v_mov_b32_e32 v43, s73
	s_mov_b32 s73, s74
	v_add_f64 v[1:2], v[1:2], v[47:48]
	v_add_f64 v[3:4], v[3:4], v[49:50]
	s_andn2_b32 exec_lo, exec_lo, s70
	s_cbranch_execnz .LBB60_319
; %bb.320:
	s_or_b32 exec_lo, exec_lo, s70
.LBB60_321:
	s_or_b32 exec_lo, exec_lo, s5
	v_and_b32_e32 v41, 7, v41
	s_mov_b32 s70, 0
	s_mov_b32 s5, exec_lo
	v_cmpx_ne_u32_e32 0, v41
	s_cbranch_execz .LBB60_325
; %bb.322:
	v_lshlrev_b32_e32 v43, 4, v43
	v_add_nc_u32_e32 v42, 0x3d0, v43
	.p2align	6
.LBB60_323:                             ; =>This Inner Loop Header: Depth=1
	s_clause 0x3
	buffer_load_dword v48, v43, s[0:3], 0 offen offset:8
	buffer_load_dword v49, v43, s[0:3], 0 offen offset:12
	buffer_load_dword v50, v43, s[0:3], 0 offen
	buffer_load_dword v51, v43, s[0:3], 0 offen offset:4
	ds_read_b128 v[44:47], v42
	v_add_nc_u32_e32 v41, -1, v41
	v_add_nc_u32_e32 v42, 16, v42
	v_add_nc_u32_e32 v43, 16, v43
	v_cmp_eq_u32_e32 vcc_lo, 0, v41
	s_or_b32 s70, vcc_lo, s70
	s_waitcnt vmcnt(2) lgkmcnt(0)
	v_mul_f64 v[52:53], v[46:47], v[48:49]
	v_mul_f64 v[48:49], v[44:45], v[48:49]
	s_waitcnt vmcnt(0)
	v_fma_f64 v[44:45], v[44:45], v[50:51], -v[52:53]
	v_fma_f64 v[46:47], v[46:47], v[50:51], v[48:49]
	v_add_f64 v[1:2], v[1:2], v[44:45]
	v_add_f64 v[3:4], v[3:4], v[46:47]
	s_andn2_b32 exec_lo, exec_lo, s70
	s_cbranch_execnz .LBB60_323
; %bb.324:
	s_or_b32 exec_lo, exec_lo, s70
.LBB60_325:
	s_or_b32 exec_lo, exec_lo, s5
.LBB60_326:
	s_or_b32 exec_lo, exec_lo, s8
	v_mov_b32_e32 v41, 0
	ds_read_b128 v[41:44], v41 offset:576
	s_waitcnt lgkmcnt(0)
	v_mul_f64 v[45:46], v[3:4], v[43:44]
	v_mul_f64 v[43:44], v[1:2], v[43:44]
	v_fma_f64 v[1:2], v[1:2], v[41:42], -v[45:46]
	v_fma_f64 v[3:4], v[3:4], v[41:42], v[43:44]
	buffer_store_dword v2, off, s[0:3], 0 offset:580
	buffer_store_dword v1, off, s[0:3], 0 offset:576
	;; [unrolled: 1-line block ×4, first 2 shown]
.LBB60_327:
	s_or_b32 exec_lo, exec_lo, s6
	v_mov_b32_e32 v4, s35
	v_cmp_lt_u32_e64 s5, 35, v0
	s_clause 0x3
	buffer_load_dword v1, v4, s[0:3], 0 offen
	buffer_load_dword v2, v4, s[0:3], 0 offen offset:4
	buffer_load_dword v3, v4, s[0:3], 0 offen offset:8
	;; [unrolled: 1-line block ×3, first 2 shown]
	s_waitcnt vmcnt(0)
	ds_write_b128 v40, v[1:4]
	s_waitcnt lgkmcnt(0)
	s_waitcnt_vscnt null, 0x0
	s_barrier
	buffer_gl0_inv
	s_and_saveexec_b32 s6, s5
	s_cbranch_execz .LBB60_341
; %bb.328:
	ds_read_b128 v[1:4], v40
	s_andn2_b32 vcc_lo, exec_lo, s7
	s_cbranch_vccnz .LBB60_330
; %bb.329:
	s_clause 0x3
	buffer_load_dword v41, v39, s[0:3], 0 offen offset:8
	buffer_load_dword v42, v39, s[0:3], 0 offen offset:12
	buffer_load_dword v43, v39, s[0:3], 0 offen
	buffer_load_dword v44, v39, s[0:3], 0 offen offset:4
	s_waitcnt vmcnt(2) lgkmcnt(0)
	v_mul_f64 v[45:46], v[3:4], v[41:42]
	v_mul_f64 v[41:42], v[1:2], v[41:42]
	s_waitcnt vmcnt(0)
	v_fma_f64 v[1:2], v[1:2], v[43:44], -v[45:46]
	v_fma_f64 v[3:4], v[3:4], v[43:44], v[41:42]
.LBB60_330:
	s_and_saveexec_b32 s8, s4
	s_cbranch_execz .LBB60_340
; %bb.331:
	v_subrev_nc_u32_e32 v42, 37, v0
	v_mov_b32_e32 v43, 36
	v_subrev_nc_u32_e32 v41, 36, v0
	s_mov_b32 s4, exec_lo
	v_cmpx_lt_u32_e32 6, v42
	s_cbranch_execz .LBB60_335
; %bb.332:
	v_and_b32_e32 v42, -8, v41
	s_movk_i32 s71, 0x610
	s_mov_b32 s70, 0
	s_mov_b32 s72, s34
	;; [unrolled: 1-line block ×3, first 2 shown]
.LBB60_333:                             ; =>This Inner Loop Header: Depth=1
	v_mov_b32_e32 v43, s72
	v_mov_b32_e32 v91, s71
	s_add_i32 s74, s73, 8
	s_add_i32 s73, s73, 44
	v_cmp_eq_u32_e32 vcc_lo, s74, v42
	s_clause 0x1f
	buffer_load_dword v51, v43, s[0:3], 0 offen offset:8
	buffer_load_dword v52, v43, s[0:3], 0 offen offset:12
	buffer_load_dword v53, v43, s[0:3], 0 offen
	buffer_load_dword v54, v43, s[0:3], 0 offen offset:4
	buffer_load_dword v55, v43, s[0:3], 0 offen offset:24
	;; [unrolled: 1-line block ×29, first 2 shown]
	ds_read_b128 v[43:46], v91
	ds_read_b128 v[47:50], v91 offset:16
	s_addk_i32 s71, 0x80
	s_addk_i32 s72, 0x80
	s_or_b32 s70, vcc_lo, s70
	s_waitcnt vmcnt(30) lgkmcnt(1)
	v_mul_f64 v[83:84], v[45:46], v[51:52]
	v_mul_f64 v[51:52], v[43:44], v[51:52]
	s_waitcnt vmcnt(26) lgkmcnt(0)
	v_mul_f64 v[85:86], v[49:50], v[55:56]
	v_mul_f64 v[55:56], v[47:48], v[55:56]
	v_fma_f64 v[83:84], v[43:44], v[53:54], -v[83:84]
	v_fma_f64 v[87:88], v[45:46], v[53:54], v[51:52]
	ds_read_b128 v[43:46], v91 offset:32
	ds_read_b128 v[51:54], v91 offset:48
	s_waitcnt vmcnt(24)
	v_fma_f64 v[47:48], v[47:48], v[57:58], -v[85:86]
	v_fma_f64 v[49:50], v[49:50], v[57:58], v[55:56]
	s_waitcnt vmcnt(22) lgkmcnt(1)
	v_mul_f64 v[89:90], v[45:46], v[59:60]
	v_mul_f64 v[59:60], v[43:44], v[59:60]
	v_add_f64 v[1:2], v[1:2], v[83:84]
	v_add_f64 v[3:4], v[3:4], v[87:88]
	s_waitcnt vmcnt(18) lgkmcnt(0)
	v_mul_f64 v[55:56], v[53:54], v[63:64]
	v_mul_f64 v[57:58], v[51:52], v[63:64]
	v_fma_f64 v[63:64], v[43:44], v[61:62], -v[89:90]
	v_fma_f64 v[59:60], v[45:46], v[61:62], v[59:60]
	v_add_f64 v[47:48], v[1:2], v[47:48]
	v_add_f64 v[49:50], v[3:4], v[49:50]
	ds_read_b128 v[1:4], v91 offset:64
	ds_read_b128 v[43:46], v91 offset:80
	s_waitcnt vmcnt(16)
	v_fma_f64 v[51:52], v[51:52], v[65:66], -v[55:56]
	v_fma_f64 v[53:54], v[53:54], v[65:66], v[57:58]
	s_waitcnt vmcnt(12) lgkmcnt(1)
	v_mul_f64 v[61:62], v[3:4], v[67:68]
	v_mul_f64 v[67:68], v[1:2], v[67:68]
	v_add_f64 v[47:48], v[47:48], v[63:64]
	v_add_f64 v[49:50], v[49:50], v[59:60]
	s_waitcnt vmcnt(10) lgkmcnt(0)
	v_mul_f64 v[55:56], v[45:46], v[69:70]
	v_mul_f64 v[57:58], v[43:44], v[69:70]
	s_waitcnt vmcnt(8)
	v_fma_f64 v[59:60], v[1:2], v[73:74], -v[61:62]
	v_fma_f64 v[61:62], v[3:4], v[73:74], v[67:68]
	v_add_f64 v[51:52], v[47:48], v[51:52]
	v_add_f64 v[53:54], v[49:50], v[53:54]
	ds_read_b128 v[1:4], v91 offset:96
	ds_read_b128 v[47:50], v91 offset:112
	v_fma_f64 v[43:44], v[43:44], v[71:72], -v[55:56]
	v_fma_f64 v[45:46], v[45:46], v[71:72], v[57:58]
	s_waitcnt vmcnt(4) lgkmcnt(1)
	v_mul_f64 v[63:64], v[3:4], v[75:76]
	v_mul_f64 v[65:66], v[1:2], v[75:76]
	v_add_f64 v[51:52], v[51:52], v[59:60]
	v_add_f64 v[53:54], v[53:54], v[61:62]
	s_waitcnt vmcnt(2) lgkmcnt(0)
	v_mul_f64 v[55:56], v[49:50], v[77:78]
	v_mul_f64 v[57:58], v[47:48], v[77:78]
	s_waitcnt vmcnt(0)
	v_fma_f64 v[1:2], v[1:2], v[81:82], -v[63:64]
	v_fma_f64 v[3:4], v[3:4], v[81:82], v[65:66]
	v_add_f64 v[43:44], v[51:52], v[43:44]
	v_add_f64 v[45:46], v[53:54], v[45:46]
	v_fma_f64 v[47:48], v[47:48], v[79:80], -v[55:56]
	v_fma_f64 v[49:50], v[49:50], v[79:80], v[57:58]
	v_add_f64 v[1:2], v[43:44], v[1:2]
	v_add_f64 v[3:4], v[45:46], v[3:4]
	v_mov_b32_e32 v43, s73
	s_mov_b32 s73, s74
	v_add_f64 v[1:2], v[1:2], v[47:48]
	v_add_f64 v[3:4], v[3:4], v[49:50]
	s_andn2_b32 exec_lo, exec_lo, s70
	s_cbranch_execnz .LBB60_333
; %bb.334:
	s_or_b32 exec_lo, exec_lo, s70
.LBB60_335:
	s_or_b32 exec_lo, exec_lo, s4
	v_and_b32_e32 v41, 7, v41
	s_mov_b32 s70, 0
	s_mov_b32 s4, exec_lo
	v_cmpx_ne_u32_e32 0, v41
	s_cbranch_execz .LBB60_339
; %bb.336:
	v_lshlrev_b32_e32 v43, 4, v43
	v_add_nc_u32_e32 v42, 0x3d0, v43
	.p2align	6
.LBB60_337:                             ; =>This Inner Loop Header: Depth=1
	s_clause 0x3
	buffer_load_dword v48, v43, s[0:3], 0 offen offset:8
	buffer_load_dword v49, v43, s[0:3], 0 offen offset:12
	buffer_load_dword v50, v43, s[0:3], 0 offen
	buffer_load_dword v51, v43, s[0:3], 0 offen offset:4
	ds_read_b128 v[44:47], v42
	v_add_nc_u32_e32 v41, -1, v41
	v_add_nc_u32_e32 v42, 16, v42
	v_add_nc_u32_e32 v43, 16, v43
	v_cmp_eq_u32_e32 vcc_lo, 0, v41
	s_or_b32 s70, vcc_lo, s70
	s_waitcnt vmcnt(2) lgkmcnt(0)
	v_mul_f64 v[52:53], v[46:47], v[48:49]
	v_mul_f64 v[48:49], v[44:45], v[48:49]
	s_waitcnt vmcnt(0)
	v_fma_f64 v[44:45], v[44:45], v[50:51], -v[52:53]
	v_fma_f64 v[46:47], v[46:47], v[50:51], v[48:49]
	v_add_f64 v[1:2], v[1:2], v[44:45]
	v_add_f64 v[3:4], v[3:4], v[46:47]
	s_andn2_b32 exec_lo, exec_lo, s70
	s_cbranch_execnz .LBB60_337
; %bb.338:
	s_or_b32 exec_lo, exec_lo, s70
.LBB60_339:
	s_or_b32 exec_lo, exec_lo, s4
.LBB60_340:
	s_or_b32 exec_lo, exec_lo, s8
	v_mov_b32_e32 v41, 0
	ds_read_b128 v[41:44], v41 offset:560
	s_waitcnt lgkmcnt(0)
	v_mul_f64 v[45:46], v[3:4], v[43:44]
	v_mul_f64 v[43:44], v[1:2], v[43:44]
	v_fma_f64 v[1:2], v[1:2], v[41:42], -v[45:46]
	v_fma_f64 v[3:4], v[3:4], v[41:42], v[43:44]
	buffer_store_dword v2, off, s[0:3], 0 offset:564
	buffer_store_dword v1, off, s[0:3], 0 offset:560
	;; [unrolled: 1-line block ×4, first 2 shown]
.LBB60_341:
	s_or_b32 exec_lo, exec_lo, s6
	v_mov_b32_e32 v4, s36
	v_cmp_lt_u32_e64 s4, 34, v0
	s_clause 0x3
	buffer_load_dword v1, v4, s[0:3], 0 offen
	buffer_load_dword v2, v4, s[0:3], 0 offen offset:4
	buffer_load_dword v3, v4, s[0:3], 0 offen offset:8
	;; [unrolled: 1-line block ×3, first 2 shown]
	s_waitcnt vmcnt(0)
	ds_write_b128 v40, v[1:4]
	s_waitcnt lgkmcnt(0)
	s_waitcnt_vscnt null, 0x0
	s_barrier
	buffer_gl0_inv
	s_and_saveexec_b32 s6, s4
	s_cbranch_execz .LBB60_355
; %bb.342:
	ds_read_b128 v[1:4], v40
	s_andn2_b32 vcc_lo, exec_lo, s7
	s_cbranch_vccnz .LBB60_344
; %bb.343:
	s_clause 0x3
	buffer_load_dword v41, v39, s[0:3], 0 offen offset:8
	buffer_load_dword v42, v39, s[0:3], 0 offen offset:12
	buffer_load_dword v43, v39, s[0:3], 0 offen
	buffer_load_dword v44, v39, s[0:3], 0 offen offset:4
	s_waitcnt vmcnt(2) lgkmcnt(0)
	v_mul_f64 v[45:46], v[3:4], v[41:42]
	v_mul_f64 v[41:42], v[1:2], v[41:42]
	s_waitcnt vmcnt(0)
	v_fma_f64 v[1:2], v[1:2], v[43:44], -v[45:46]
	v_fma_f64 v[3:4], v[3:4], v[43:44], v[41:42]
.LBB60_344:
	s_and_saveexec_b32 s8, s5
	s_cbranch_execz .LBB60_354
; %bb.345:
	v_subrev_nc_u32_e32 v42, 36, v0
	v_mov_b32_e32 v43, 35
	v_subrev_nc_u32_e32 v41, 35, v0
	s_mov_b32 s5, exec_lo
	v_cmpx_lt_u32_e32 6, v42
	s_cbranch_execz .LBB60_349
; %bb.346:
	v_and_b32_e32 v42, -8, v41
	s_movk_i32 s71, 0x600
	s_mov_b32 s70, 0
	s_mov_b32 s72, s35
	;; [unrolled: 1-line block ×3, first 2 shown]
.LBB60_347:                             ; =>This Inner Loop Header: Depth=1
	v_mov_b32_e32 v43, s72
	v_mov_b32_e32 v91, s71
	s_add_i32 s74, s73, 8
	s_add_i32 s73, s73, 43
	v_cmp_eq_u32_e32 vcc_lo, s74, v42
	s_clause 0x1f
	buffer_load_dword v51, v43, s[0:3], 0 offen offset:8
	buffer_load_dword v52, v43, s[0:3], 0 offen offset:12
	buffer_load_dword v53, v43, s[0:3], 0 offen
	buffer_load_dword v54, v43, s[0:3], 0 offen offset:4
	buffer_load_dword v55, v43, s[0:3], 0 offen offset:24
	;; [unrolled: 1-line block ×29, first 2 shown]
	ds_read_b128 v[43:46], v91
	ds_read_b128 v[47:50], v91 offset:16
	s_addk_i32 s71, 0x80
	s_addk_i32 s72, 0x80
	s_or_b32 s70, vcc_lo, s70
	s_waitcnt vmcnt(30) lgkmcnt(1)
	v_mul_f64 v[83:84], v[45:46], v[51:52]
	v_mul_f64 v[51:52], v[43:44], v[51:52]
	s_waitcnt vmcnt(26) lgkmcnt(0)
	v_mul_f64 v[85:86], v[49:50], v[55:56]
	v_mul_f64 v[55:56], v[47:48], v[55:56]
	v_fma_f64 v[83:84], v[43:44], v[53:54], -v[83:84]
	v_fma_f64 v[87:88], v[45:46], v[53:54], v[51:52]
	ds_read_b128 v[43:46], v91 offset:32
	ds_read_b128 v[51:54], v91 offset:48
	s_waitcnt vmcnt(24)
	v_fma_f64 v[47:48], v[47:48], v[57:58], -v[85:86]
	v_fma_f64 v[49:50], v[49:50], v[57:58], v[55:56]
	s_waitcnt vmcnt(22) lgkmcnt(1)
	v_mul_f64 v[89:90], v[45:46], v[59:60]
	v_mul_f64 v[59:60], v[43:44], v[59:60]
	v_add_f64 v[1:2], v[1:2], v[83:84]
	v_add_f64 v[3:4], v[3:4], v[87:88]
	s_waitcnt vmcnt(18) lgkmcnt(0)
	v_mul_f64 v[55:56], v[53:54], v[63:64]
	v_mul_f64 v[57:58], v[51:52], v[63:64]
	v_fma_f64 v[63:64], v[43:44], v[61:62], -v[89:90]
	v_fma_f64 v[59:60], v[45:46], v[61:62], v[59:60]
	v_add_f64 v[47:48], v[1:2], v[47:48]
	v_add_f64 v[49:50], v[3:4], v[49:50]
	ds_read_b128 v[1:4], v91 offset:64
	ds_read_b128 v[43:46], v91 offset:80
	s_waitcnt vmcnt(16)
	v_fma_f64 v[51:52], v[51:52], v[65:66], -v[55:56]
	v_fma_f64 v[53:54], v[53:54], v[65:66], v[57:58]
	s_waitcnt vmcnt(12) lgkmcnt(1)
	v_mul_f64 v[61:62], v[3:4], v[67:68]
	v_mul_f64 v[67:68], v[1:2], v[67:68]
	v_add_f64 v[47:48], v[47:48], v[63:64]
	v_add_f64 v[49:50], v[49:50], v[59:60]
	s_waitcnt vmcnt(10) lgkmcnt(0)
	v_mul_f64 v[55:56], v[45:46], v[69:70]
	v_mul_f64 v[57:58], v[43:44], v[69:70]
	s_waitcnt vmcnt(8)
	v_fma_f64 v[59:60], v[1:2], v[73:74], -v[61:62]
	v_fma_f64 v[61:62], v[3:4], v[73:74], v[67:68]
	v_add_f64 v[51:52], v[47:48], v[51:52]
	v_add_f64 v[53:54], v[49:50], v[53:54]
	ds_read_b128 v[1:4], v91 offset:96
	ds_read_b128 v[47:50], v91 offset:112
	v_fma_f64 v[43:44], v[43:44], v[71:72], -v[55:56]
	v_fma_f64 v[45:46], v[45:46], v[71:72], v[57:58]
	s_waitcnt vmcnt(4) lgkmcnt(1)
	v_mul_f64 v[63:64], v[3:4], v[75:76]
	v_mul_f64 v[65:66], v[1:2], v[75:76]
	v_add_f64 v[51:52], v[51:52], v[59:60]
	v_add_f64 v[53:54], v[53:54], v[61:62]
	s_waitcnt vmcnt(2) lgkmcnt(0)
	v_mul_f64 v[55:56], v[49:50], v[77:78]
	v_mul_f64 v[57:58], v[47:48], v[77:78]
	s_waitcnt vmcnt(0)
	v_fma_f64 v[1:2], v[1:2], v[81:82], -v[63:64]
	v_fma_f64 v[3:4], v[3:4], v[81:82], v[65:66]
	v_add_f64 v[43:44], v[51:52], v[43:44]
	v_add_f64 v[45:46], v[53:54], v[45:46]
	v_fma_f64 v[47:48], v[47:48], v[79:80], -v[55:56]
	v_fma_f64 v[49:50], v[49:50], v[79:80], v[57:58]
	v_add_f64 v[1:2], v[43:44], v[1:2]
	v_add_f64 v[3:4], v[45:46], v[3:4]
	v_mov_b32_e32 v43, s73
	s_mov_b32 s73, s74
	v_add_f64 v[1:2], v[1:2], v[47:48]
	v_add_f64 v[3:4], v[3:4], v[49:50]
	s_andn2_b32 exec_lo, exec_lo, s70
	s_cbranch_execnz .LBB60_347
; %bb.348:
	s_or_b32 exec_lo, exec_lo, s70
.LBB60_349:
	s_or_b32 exec_lo, exec_lo, s5
	v_and_b32_e32 v41, 7, v41
	s_mov_b32 s70, 0
	s_mov_b32 s5, exec_lo
	v_cmpx_ne_u32_e32 0, v41
	s_cbranch_execz .LBB60_353
; %bb.350:
	v_lshlrev_b32_e32 v43, 4, v43
	v_add_nc_u32_e32 v42, 0x3d0, v43
	.p2align	6
.LBB60_351:                             ; =>This Inner Loop Header: Depth=1
	s_clause 0x3
	buffer_load_dword v48, v43, s[0:3], 0 offen offset:8
	buffer_load_dword v49, v43, s[0:3], 0 offen offset:12
	buffer_load_dword v50, v43, s[0:3], 0 offen
	buffer_load_dword v51, v43, s[0:3], 0 offen offset:4
	ds_read_b128 v[44:47], v42
	v_add_nc_u32_e32 v41, -1, v41
	v_add_nc_u32_e32 v42, 16, v42
	v_add_nc_u32_e32 v43, 16, v43
	v_cmp_eq_u32_e32 vcc_lo, 0, v41
	s_or_b32 s70, vcc_lo, s70
	s_waitcnt vmcnt(2) lgkmcnt(0)
	v_mul_f64 v[52:53], v[46:47], v[48:49]
	v_mul_f64 v[48:49], v[44:45], v[48:49]
	s_waitcnt vmcnt(0)
	v_fma_f64 v[44:45], v[44:45], v[50:51], -v[52:53]
	v_fma_f64 v[46:47], v[46:47], v[50:51], v[48:49]
	v_add_f64 v[1:2], v[1:2], v[44:45]
	v_add_f64 v[3:4], v[3:4], v[46:47]
	s_andn2_b32 exec_lo, exec_lo, s70
	s_cbranch_execnz .LBB60_351
; %bb.352:
	s_or_b32 exec_lo, exec_lo, s70
.LBB60_353:
	s_or_b32 exec_lo, exec_lo, s5
.LBB60_354:
	s_or_b32 exec_lo, exec_lo, s8
	v_mov_b32_e32 v41, 0
	ds_read_b128 v[41:44], v41 offset:544
	s_waitcnt lgkmcnt(0)
	v_mul_f64 v[45:46], v[3:4], v[43:44]
	v_mul_f64 v[43:44], v[1:2], v[43:44]
	v_fma_f64 v[1:2], v[1:2], v[41:42], -v[45:46]
	v_fma_f64 v[3:4], v[3:4], v[41:42], v[43:44]
	buffer_store_dword v2, off, s[0:3], 0 offset:548
	buffer_store_dword v1, off, s[0:3], 0 offset:544
	;; [unrolled: 1-line block ×4, first 2 shown]
.LBB60_355:
	s_or_b32 exec_lo, exec_lo, s6
	v_mov_b32_e32 v4, s37
	v_cmp_lt_u32_e64 s5, 33, v0
	s_clause 0x3
	buffer_load_dword v1, v4, s[0:3], 0 offen
	buffer_load_dword v2, v4, s[0:3], 0 offen offset:4
	buffer_load_dword v3, v4, s[0:3], 0 offen offset:8
	;; [unrolled: 1-line block ×3, first 2 shown]
	s_waitcnt vmcnt(0)
	ds_write_b128 v40, v[1:4]
	s_waitcnt lgkmcnt(0)
	s_waitcnt_vscnt null, 0x0
	s_barrier
	buffer_gl0_inv
	s_and_saveexec_b32 s6, s5
	s_cbranch_execz .LBB60_369
; %bb.356:
	ds_read_b128 v[1:4], v40
	s_andn2_b32 vcc_lo, exec_lo, s7
	s_cbranch_vccnz .LBB60_358
; %bb.357:
	s_clause 0x3
	buffer_load_dword v41, v39, s[0:3], 0 offen offset:8
	buffer_load_dword v42, v39, s[0:3], 0 offen offset:12
	buffer_load_dword v43, v39, s[0:3], 0 offen
	buffer_load_dword v44, v39, s[0:3], 0 offen offset:4
	s_waitcnt vmcnt(2) lgkmcnt(0)
	v_mul_f64 v[45:46], v[3:4], v[41:42]
	v_mul_f64 v[41:42], v[1:2], v[41:42]
	s_waitcnt vmcnt(0)
	v_fma_f64 v[1:2], v[1:2], v[43:44], -v[45:46]
	v_fma_f64 v[3:4], v[3:4], v[43:44], v[41:42]
.LBB60_358:
	s_and_saveexec_b32 s8, s4
	s_cbranch_execz .LBB60_368
; %bb.359:
	v_subrev_nc_u32_e32 v42, 35, v0
	v_mov_b32_e32 v43, 34
	v_subrev_nc_u32_e32 v41, 34, v0
	s_mov_b32 s4, exec_lo
	v_cmpx_lt_u32_e32 6, v42
	s_cbranch_execz .LBB60_363
; %bb.360:
	v_and_b32_e32 v42, -8, v41
	s_movk_i32 s71, 0x5f0
	s_mov_b32 s70, 0
	s_mov_b32 s72, s36
	;; [unrolled: 1-line block ×3, first 2 shown]
.LBB60_361:                             ; =>This Inner Loop Header: Depth=1
	v_mov_b32_e32 v43, s72
	v_mov_b32_e32 v91, s71
	s_add_i32 s74, s73, 8
	s_add_i32 s73, s73, 42
	v_cmp_eq_u32_e32 vcc_lo, s74, v42
	s_clause 0x1f
	buffer_load_dword v51, v43, s[0:3], 0 offen offset:8
	buffer_load_dword v52, v43, s[0:3], 0 offen offset:12
	buffer_load_dword v53, v43, s[0:3], 0 offen
	buffer_load_dword v54, v43, s[0:3], 0 offen offset:4
	buffer_load_dword v55, v43, s[0:3], 0 offen offset:24
	;; [unrolled: 1-line block ×29, first 2 shown]
	ds_read_b128 v[43:46], v91
	ds_read_b128 v[47:50], v91 offset:16
	s_addk_i32 s71, 0x80
	s_addk_i32 s72, 0x80
	s_or_b32 s70, vcc_lo, s70
	s_waitcnt vmcnt(30) lgkmcnt(1)
	v_mul_f64 v[83:84], v[45:46], v[51:52]
	v_mul_f64 v[51:52], v[43:44], v[51:52]
	s_waitcnt vmcnt(26) lgkmcnt(0)
	v_mul_f64 v[85:86], v[49:50], v[55:56]
	v_mul_f64 v[55:56], v[47:48], v[55:56]
	v_fma_f64 v[83:84], v[43:44], v[53:54], -v[83:84]
	v_fma_f64 v[87:88], v[45:46], v[53:54], v[51:52]
	ds_read_b128 v[43:46], v91 offset:32
	ds_read_b128 v[51:54], v91 offset:48
	s_waitcnt vmcnt(24)
	v_fma_f64 v[47:48], v[47:48], v[57:58], -v[85:86]
	v_fma_f64 v[49:50], v[49:50], v[57:58], v[55:56]
	s_waitcnt vmcnt(22) lgkmcnt(1)
	v_mul_f64 v[89:90], v[45:46], v[59:60]
	v_mul_f64 v[59:60], v[43:44], v[59:60]
	v_add_f64 v[1:2], v[1:2], v[83:84]
	v_add_f64 v[3:4], v[3:4], v[87:88]
	s_waitcnt vmcnt(18) lgkmcnt(0)
	v_mul_f64 v[55:56], v[53:54], v[63:64]
	v_mul_f64 v[57:58], v[51:52], v[63:64]
	v_fma_f64 v[63:64], v[43:44], v[61:62], -v[89:90]
	v_fma_f64 v[59:60], v[45:46], v[61:62], v[59:60]
	v_add_f64 v[47:48], v[1:2], v[47:48]
	v_add_f64 v[49:50], v[3:4], v[49:50]
	ds_read_b128 v[1:4], v91 offset:64
	ds_read_b128 v[43:46], v91 offset:80
	s_waitcnt vmcnt(16)
	v_fma_f64 v[51:52], v[51:52], v[65:66], -v[55:56]
	v_fma_f64 v[53:54], v[53:54], v[65:66], v[57:58]
	s_waitcnt vmcnt(12) lgkmcnt(1)
	v_mul_f64 v[61:62], v[3:4], v[67:68]
	v_mul_f64 v[67:68], v[1:2], v[67:68]
	v_add_f64 v[47:48], v[47:48], v[63:64]
	v_add_f64 v[49:50], v[49:50], v[59:60]
	s_waitcnt vmcnt(10) lgkmcnt(0)
	v_mul_f64 v[55:56], v[45:46], v[69:70]
	v_mul_f64 v[57:58], v[43:44], v[69:70]
	s_waitcnt vmcnt(8)
	v_fma_f64 v[59:60], v[1:2], v[73:74], -v[61:62]
	v_fma_f64 v[61:62], v[3:4], v[73:74], v[67:68]
	v_add_f64 v[51:52], v[47:48], v[51:52]
	v_add_f64 v[53:54], v[49:50], v[53:54]
	ds_read_b128 v[1:4], v91 offset:96
	ds_read_b128 v[47:50], v91 offset:112
	v_fma_f64 v[43:44], v[43:44], v[71:72], -v[55:56]
	v_fma_f64 v[45:46], v[45:46], v[71:72], v[57:58]
	s_waitcnt vmcnt(4) lgkmcnt(1)
	v_mul_f64 v[63:64], v[3:4], v[75:76]
	v_mul_f64 v[65:66], v[1:2], v[75:76]
	v_add_f64 v[51:52], v[51:52], v[59:60]
	v_add_f64 v[53:54], v[53:54], v[61:62]
	s_waitcnt vmcnt(2) lgkmcnt(0)
	v_mul_f64 v[55:56], v[49:50], v[77:78]
	v_mul_f64 v[57:58], v[47:48], v[77:78]
	s_waitcnt vmcnt(0)
	v_fma_f64 v[1:2], v[1:2], v[81:82], -v[63:64]
	v_fma_f64 v[3:4], v[3:4], v[81:82], v[65:66]
	v_add_f64 v[43:44], v[51:52], v[43:44]
	v_add_f64 v[45:46], v[53:54], v[45:46]
	v_fma_f64 v[47:48], v[47:48], v[79:80], -v[55:56]
	v_fma_f64 v[49:50], v[49:50], v[79:80], v[57:58]
	v_add_f64 v[1:2], v[43:44], v[1:2]
	v_add_f64 v[3:4], v[45:46], v[3:4]
	v_mov_b32_e32 v43, s73
	s_mov_b32 s73, s74
	v_add_f64 v[1:2], v[1:2], v[47:48]
	v_add_f64 v[3:4], v[3:4], v[49:50]
	s_andn2_b32 exec_lo, exec_lo, s70
	s_cbranch_execnz .LBB60_361
; %bb.362:
	s_or_b32 exec_lo, exec_lo, s70
.LBB60_363:
	s_or_b32 exec_lo, exec_lo, s4
	v_and_b32_e32 v41, 7, v41
	s_mov_b32 s70, 0
	s_mov_b32 s4, exec_lo
	v_cmpx_ne_u32_e32 0, v41
	s_cbranch_execz .LBB60_367
; %bb.364:
	v_lshlrev_b32_e32 v43, 4, v43
	v_add_nc_u32_e32 v42, 0x3d0, v43
	.p2align	6
.LBB60_365:                             ; =>This Inner Loop Header: Depth=1
	s_clause 0x3
	buffer_load_dword v48, v43, s[0:3], 0 offen offset:8
	buffer_load_dword v49, v43, s[0:3], 0 offen offset:12
	buffer_load_dword v50, v43, s[0:3], 0 offen
	buffer_load_dword v51, v43, s[0:3], 0 offen offset:4
	ds_read_b128 v[44:47], v42
	v_add_nc_u32_e32 v41, -1, v41
	v_add_nc_u32_e32 v42, 16, v42
	v_add_nc_u32_e32 v43, 16, v43
	v_cmp_eq_u32_e32 vcc_lo, 0, v41
	s_or_b32 s70, vcc_lo, s70
	s_waitcnt vmcnt(2) lgkmcnt(0)
	v_mul_f64 v[52:53], v[46:47], v[48:49]
	v_mul_f64 v[48:49], v[44:45], v[48:49]
	s_waitcnt vmcnt(0)
	v_fma_f64 v[44:45], v[44:45], v[50:51], -v[52:53]
	v_fma_f64 v[46:47], v[46:47], v[50:51], v[48:49]
	v_add_f64 v[1:2], v[1:2], v[44:45]
	v_add_f64 v[3:4], v[3:4], v[46:47]
	s_andn2_b32 exec_lo, exec_lo, s70
	s_cbranch_execnz .LBB60_365
; %bb.366:
	s_or_b32 exec_lo, exec_lo, s70
.LBB60_367:
	s_or_b32 exec_lo, exec_lo, s4
.LBB60_368:
	s_or_b32 exec_lo, exec_lo, s8
	v_mov_b32_e32 v41, 0
	ds_read_b128 v[41:44], v41 offset:528
	s_waitcnt lgkmcnt(0)
	v_mul_f64 v[45:46], v[3:4], v[43:44]
	v_mul_f64 v[43:44], v[1:2], v[43:44]
	v_fma_f64 v[1:2], v[1:2], v[41:42], -v[45:46]
	v_fma_f64 v[3:4], v[3:4], v[41:42], v[43:44]
	buffer_store_dword v2, off, s[0:3], 0 offset:532
	buffer_store_dword v1, off, s[0:3], 0 offset:528
	;; [unrolled: 1-line block ×4, first 2 shown]
.LBB60_369:
	s_or_b32 exec_lo, exec_lo, s6
	v_mov_b32_e32 v4, s38
	v_cmp_lt_u32_e64 s4, 32, v0
	s_clause 0x3
	buffer_load_dword v1, v4, s[0:3], 0 offen
	buffer_load_dword v2, v4, s[0:3], 0 offen offset:4
	buffer_load_dword v3, v4, s[0:3], 0 offen offset:8
	;; [unrolled: 1-line block ×3, first 2 shown]
	s_waitcnt vmcnt(0)
	ds_write_b128 v40, v[1:4]
	s_waitcnt lgkmcnt(0)
	s_waitcnt_vscnt null, 0x0
	s_barrier
	buffer_gl0_inv
	s_and_saveexec_b32 s6, s4
	s_cbranch_execz .LBB60_383
; %bb.370:
	ds_read_b128 v[1:4], v40
	s_andn2_b32 vcc_lo, exec_lo, s7
	s_cbranch_vccnz .LBB60_372
; %bb.371:
	s_clause 0x3
	buffer_load_dword v41, v39, s[0:3], 0 offen offset:8
	buffer_load_dword v42, v39, s[0:3], 0 offen offset:12
	buffer_load_dword v43, v39, s[0:3], 0 offen
	buffer_load_dword v44, v39, s[0:3], 0 offen offset:4
	s_waitcnt vmcnt(2) lgkmcnt(0)
	v_mul_f64 v[45:46], v[3:4], v[41:42]
	v_mul_f64 v[41:42], v[1:2], v[41:42]
	s_waitcnt vmcnt(0)
	v_fma_f64 v[1:2], v[1:2], v[43:44], -v[45:46]
	v_fma_f64 v[3:4], v[3:4], v[43:44], v[41:42]
.LBB60_372:
	s_and_saveexec_b32 s8, s5
	s_cbranch_execz .LBB60_382
; %bb.373:
	v_subrev_nc_u32_e32 v42, 34, v0
	v_mov_b32_e32 v43, 33
	v_subrev_nc_u32_e32 v41, 33, v0
	s_mov_b32 s5, exec_lo
	v_cmpx_lt_u32_e32 6, v42
	s_cbranch_execz .LBB60_377
; %bb.374:
	v_and_b32_e32 v42, -8, v41
	s_movk_i32 s71, 0x5e0
	s_mov_b32 s70, 0
	s_mov_b32 s72, s37
	;; [unrolled: 1-line block ×3, first 2 shown]
.LBB60_375:                             ; =>This Inner Loop Header: Depth=1
	v_mov_b32_e32 v43, s72
	v_mov_b32_e32 v91, s71
	s_add_i32 s74, s73, 8
	s_add_i32 s73, s73, 41
	v_cmp_eq_u32_e32 vcc_lo, s74, v42
	s_clause 0x1f
	buffer_load_dword v51, v43, s[0:3], 0 offen offset:8
	buffer_load_dword v52, v43, s[0:3], 0 offen offset:12
	buffer_load_dword v53, v43, s[0:3], 0 offen
	buffer_load_dword v54, v43, s[0:3], 0 offen offset:4
	buffer_load_dword v55, v43, s[0:3], 0 offen offset:24
	;; [unrolled: 1-line block ×29, first 2 shown]
	ds_read_b128 v[43:46], v91
	ds_read_b128 v[47:50], v91 offset:16
	s_addk_i32 s71, 0x80
	s_addk_i32 s72, 0x80
	s_or_b32 s70, vcc_lo, s70
	s_waitcnt vmcnt(30) lgkmcnt(1)
	v_mul_f64 v[83:84], v[45:46], v[51:52]
	v_mul_f64 v[51:52], v[43:44], v[51:52]
	s_waitcnt vmcnt(26) lgkmcnt(0)
	v_mul_f64 v[85:86], v[49:50], v[55:56]
	v_mul_f64 v[55:56], v[47:48], v[55:56]
	v_fma_f64 v[83:84], v[43:44], v[53:54], -v[83:84]
	v_fma_f64 v[87:88], v[45:46], v[53:54], v[51:52]
	ds_read_b128 v[43:46], v91 offset:32
	ds_read_b128 v[51:54], v91 offset:48
	s_waitcnt vmcnt(24)
	v_fma_f64 v[47:48], v[47:48], v[57:58], -v[85:86]
	v_fma_f64 v[49:50], v[49:50], v[57:58], v[55:56]
	s_waitcnt vmcnt(22) lgkmcnt(1)
	v_mul_f64 v[89:90], v[45:46], v[59:60]
	v_mul_f64 v[59:60], v[43:44], v[59:60]
	v_add_f64 v[1:2], v[1:2], v[83:84]
	v_add_f64 v[3:4], v[3:4], v[87:88]
	s_waitcnt vmcnt(18) lgkmcnt(0)
	v_mul_f64 v[55:56], v[53:54], v[63:64]
	v_mul_f64 v[57:58], v[51:52], v[63:64]
	v_fma_f64 v[63:64], v[43:44], v[61:62], -v[89:90]
	v_fma_f64 v[59:60], v[45:46], v[61:62], v[59:60]
	v_add_f64 v[47:48], v[1:2], v[47:48]
	v_add_f64 v[49:50], v[3:4], v[49:50]
	ds_read_b128 v[1:4], v91 offset:64
	ds_read_b128 v[43:46], v91 offset:80
	s_waitcnt vmcnt(16)
	v_fma_f64 v[51:52], v[51:52], v[65:66], -v[55:56]
	v_fma_f64 v[53:54], v[53:54], v[65:66], v[57:58]
	s_waitcnt vmcnt(12) lgkmcnt(1)
	v_mul_f64 v[61:62], v[3:4], v[67:68]
	v_mul_f64 v[67:68], v[1:2], v[67:68]
	v_add_f64 v[47:48], v[47:48], v[63:64]
	v_add_f64 v[49:50], v[49:50], v[59:60]
	s_waitcnt vmcnt(10) lgkmcnt(0)
	v_mul_f64 v[55:56], v[45:46], v[69:70]
	v_mul_f64 v[57:58], v[43:44], v[69:70]
	s_waitcnt vmcnt(8)
	v_fma_f64 v[59:60], v[1:2], v[73:74], -v[61:62]
	v_fma_f64 v[61:62], v[3:4], v[73:74], v[67:68]
	v_add_f64 v[51:52], v[47:48], v[51:52]
	v_add_f64 v[53:54], v[49:50], v[53:54]
	ds_read_b128 v[1:4], v91 offset:96
	ds_read_b128 v[47:50], v91 offset:112
	v_fma_f64 v[43:44], v[43:44], v[71:72], -v[55:56]
	v_fma_f64 v[45:46], v[45:46], v[71:72], v[57:58]
	s_waitcnt vmcnt(4) lgkmcnt(1)
	v_mul_f64 v[63:64], v[3:4], v[75:76]
	v_mul_f64 v[65:66], v[1:2], v[75:76]
	v_add_f64 v[51:52], v[51:52], v[59:60]
	v_add_f64 v[53:54], v[53:54], v[61:62]
	s_waitcnt vmcnt(2) lgkmcnt(0)
	v_mul_f64 v[55:56], v[49:50], v[77:78]
	v_mul_f64 v[57:58], v[47:48], v[77:78]
	s_waitcnt vmcnt(0)
	v_fma_f64 v[1:2], v[1:2], v[81:82], -v[63:64]
	v_fma_f64 v[3:4], v[3:4], v[81:82], v[65:66]
	v_add_f64 v[43:44], v[51:52], v[43:44]
	v_add_f64 v[45:46], v[53:54], v[45:46]
	v_fma_f64 v[47:48], v[47:48], v[79:80], -v[55:56]
	v_fma_f64 v[49:50], v[49:50], v[79:80], v[57:58]
	v_add_f64 v[1:2], v[43:44], v[1:2]
	v_add_f64 v[3:4], v[45:46], v[3:4]
	v_mov_b32_e32 v43, s73
	s_mov_b32 s73, s74
	v_add_f64 v[1:2], v[1:2], v[47:48]
	v_add_f64 v[3:4], v[3:4], v[49:50]
	s_andn2_b32 exec_lo, exec_lo, s70
	s_cbranch_execnz .LBB60_375
; %bb.376:
	s_or_b32 exec_lo, exec_lo, s70
.LBB60_377:
	s_or_b32 exec_lo, exec_lo, s5
	v_and_b32_e32 v41, 7, v41
	s_mov_b32 s70, 0
	s_mov_b32 s5, exec_lo
	v_cmpx_ne_u32_e32 0, v41
	s_cbranch_execz .LBB60_381
; %bb.378:
	v_lshlrev_b32_e32 v43, 4, v43
	v_add_nc_u32_e32 v42, 0x3d0, v43
	.p2align	6
.LBB60_379:                             ; =>This Inner Loop Header: Depth=1
	s_clause 0x3
	buffer_load_dword v48, v43, s[0:3], 0 offen offset:8
	buffer_load_dword v49, v43, s[0:3], 0 offen offset:12
	buffer_load_dword v50, v43, s[0:3], 0 offen
	buffer_load_dword v51, v43, s[0:3], 0 offen offset:4
	ds_read_b128 v[44:47], v42
	v_add_nc_u32_e32 v41, -1, v41
	v_add_nc_u32_e32 v42, 16, v42
	v_add_nc_u32_e32 v43, 16, v43
	v_cmp_eq_u32_e32 vcc_lo, 0, v41
	s_or_b32 s70, vcc_lo, s70
	s_waitcnt vmcnt(2) lgkmcnt(0)
	v_mul_f64 v[52:53], v[46:47], v[48:49]
	v_mul_f64 v[48:49], v[44:45], v[48:49]
	s_waitcnt vmcnt(0)
	v_fma_f64 v[44:45], v[44:45], v[50:51], -v[52:53]
	v_fma_f64 v[46:47], v[46:47], v[50:51], v[48:49]
	v_add_f64 v[1:2], v[1:2], v[44:45]
	v_add_f64 v[3:4], v[3:4], v[46:47]
	s_andn2_b32 exec_lo, exec_lo, s70
	s_cbranch_execnz .LBB60_379
; %bb.380:
	s_or_b32 exec_lo, exec_lo, s70
.LBB60_381:
	s_or_b32 exec_lo, exec_lo, s5
.LBB60_382:
	s_or_b32 exec_lo, exec_lo, s8
	v_mov_b32_e32 v41, 0
	ds_read_b128 v[41:44], v41 offset:512
	s_waitcnt lgkmcnt(0)
	v_mul_f64 v[45:46], v[3:4], v[43:44]
	v_mul_f64 v[43:44], v[1:2], v[43:44]
	v_fma_f64 v[1:2], v[1:2], v[41:42], -v[45:46]
	v_fma_f64 v[3:4], v[3:4], v[41:42], v[43:44]
	buffer_store_dword v2, off, s[0:3], 0 offset:516
	buffer_store_dword v1, off, s[0:3], 0 offset:512
	;; [unrolled: 1-line block ×4, first 2 shown]
.LBB60_383:
	s_or_b32 exec_lo, exec_lo, s6
	v_mov_b32_e32 v4, s39
	v_cmp_lt_u32_e64 s5, 31, v0
	s_clause 0x3
	buffer_load_dword v1, v4, s[0:3], 0 offen
	buffer_load_dword v2, v4, s[0:3], 0 offen offset:4
	buffer_load_dword v3, v4, s[0:3], 0 offen offset:8
	;; [unrolled: 1-line block ×3, first 2 shown]
	s_waitcnt vmcnt(0)
	ds_write_b128 v40, v[1:4]
	s_waitcnt lgkmcnt(0)
	s_waitcnt_vscnt null, 0x0
	s_barrier
	buffer_gl0_inv
	s_and_saveexec_b32 s6, s5
	s_cbranch_execz .LBB60_397
; %bb.384:
	ds_read_b128 v[1:4], v40
	s_andn2_b32 vcc_lo, exec_lo, s7
	s_cbranch_vccnz .LBB60_386
; %bb.385:
	s_clause 0x3
	buffer_load_dword v41, v39, s[0:3], 0 offen offset:8
	buffer_load_dword v42, v39, s[0:3], 0 offen offset:12
	buffer_load_dword v43, v39, s[0:3], 0 offen
	buffer_load_dword v44, v39, s[0:3], 0 offen offset:4
	s_waitcnt vmcnt(2) lgkmcnt(0)
	v_mul_f64 v[45:46], v[3:4], v[41:42]
	v_mul_f64 v[41:42], v[1:2], v[41:42]
	s_waitcnt vmcnt(0)
	v_fma_f64 v[1:2], v[1:2], v[43:44], -v[45:46]
	v_fma_f64 v[3:4], v[3:4], v[43:44], v[41:42]
.LBB60_386:
	s_and_saveexec_b32 s8, s4
	s_cbranch_execz .LBB60_396
; %bb.387:
	v_subrev_nc_u32_e32 v41, 33, v0
	v_cmp_lt_u32_e32 vcc_lo, 6, v41
	v_mov_b32_e32 v41, 32
	s_and_saveexec_b32 s4, vcc_lo
	s_cbranch_execz .LBB60_391
; %bb.388:
	v_and_b32_e32 v41, 56, v0
	s_mov_b32 s70, 32
	s_movk_i32 s72, 0x5d0
	s_mov_b32 s71, 0
	s_mov_b32 s73, s38
.LBB60_389:                             ; =>This Inner Loop Header: Depth=1
	v_mov_b32_e32 v42, s73
	v_mov_b32_e32 v90, s72
	s_add_i32 s70, s70, 8
	s_addk_i32 s72, 0x80
	v_cmp_eq_u32_e32 vcc_lo, s70, v41
	s_clause 0x1f
	buffer_load_dword v50, v42, s[0:3], 0 offen offset:8
	buffer_load_dword v51, v42, s[0:3], 0 offen offset:12
	buffer_load_dword v52, v42, s[0:3], 0 offen
	buffer_load_dword v53, v42, s[0:3], 0 offen offset:4
	buffer_load_dword v54, v42, s[0:3], 0 offen offset:24
	;; [unrolled: 1-line block ×29, first 2 shown]
	ds_read_b128 v[42:45], v90
	ds_read_b128 v[46:49], v90 offset:16
	s_addk_i32 s73, 0x80
	s_or_b32 s71, vcc_lo, s71
	s_waitcnt vmcnt(30) lgkmcnt(1)
	v_mul_f64 v[82:83], v[44:45], v[50:51]
	v_mul_f64 v[50:51], v[42:43], v[50:51]
	s_waitcnt vmcnt(26) lgkmcnt(0)
	v_mul_f64 v[84:85], v[48:49], v[54:55]
	v_mul_f64 v[54:55], v[46:47], v[54:55]
	v_fma_f64 v[82:83], v[42:43], v[52:53], -v[82:83]
	v_fma_f64 v[86:87], v[44:45], v[52:53], v[50:51]
	ds_read_b128 v[42:45], v90 offset:32
	ds_read_b128 v[50:53], v90 offset:48
	s_waitcnt vmcnt(24)
	v_fma_f64 v[46:47], v[46:47], v[56:57], -v[84:85]
	v_fma_f64 v[48:49], v[48:49], v[56:57], v[54:55]
	s_waitcnt vmcnt(22) lgkmcnt(1)
	v_mul_f64 v[88:89], v[44:45], v[58:59]
	v_mul_f64 v[58:59], v[42:43], v[58:59]
	v_add_f64 v[1:2], v[1:2], v[82:83]
	v_add_f64 v[3:4], v[3:4], v[86:87]
	s_waitcnt vmcnt(18) lgkmcnt(0)
	v_mul_f64 v[54:55], v[52:53], v[62:63]
	v_mul_f64 v[56:57], v[50:51], v[62:63]
	v_fma_f64 v[62:63], v[42:43], v[60:61], -v[88:89]
	v_fma_f64 v[58:59], v[44:45], v[60:61], v[58:59]
	v_add_f64 v[46:47], v[1:2], v[46:47]
	v_add_f64 v[48:49], v[3:4], v[48:49]
	ds_read_b128 v[1:4], v90 offset:64
	ds_read_b128 v[42:45], v90 offset:80
	s_waitcnt vmcnt(16)
	v_fma_f64 v[50:51], v[50:51], v[64:65], -v[54:55]
	v_fma_f64 v[52:53], v[52:53], v[64:65], v[56:57]
	s_waitcnt vmcnt(12) lgkmcnt(1)
	v_mul_f64 v[60:61], v[3:4], v[66:67]
	v_mul_f64 v[66:67], v[1:2], v[66:67]
	v_add_f64 v[46:47], v[46:47], v[62:63]
	v_add_f64 v[48:49], v[48:49], v[58:59]
	s_waitcnt vmcnt(10) lgkmcnt(0)
	v_mul_f64 v[54:55], v[44:45], v[68:69]
	v_mul_f64 v[56:57], v[42:43], v[68:69]
	s_waitcnt vmcnt(8)
	v_fma_f64 v[58:59], v[1:2], v[72:73], -v[60:61]
	v_fma_f64 v[60:61], v[3:4], v[72:73], v[66:67]
	v_add_f64 v[50:51], v[46:47], v[50:51]
	v_add_f64 v[52:53], v[48:49], v[52:53]
	ds_read_b128 v[1:4], v90 offset:96
	ds_read_b128 v[46:49], v90 offset:112
	v_fma_f64 v[42:43], v[42:43], v[70:71], -v[54:55]
	v_fma_f64 v[44:45], v[44:45], v[70:71], v[56:57]
	s_waitcnt vmcnt(4) lgkmcnt(1)
	v_mul_f64 v[62:63], v[3:4], v[74:75]
	v_mul_f64 v[64:65], v[1:2], v[74:75]
	v_add_f64 v[50:51], v[50:51], v[58:59]
	v_add_f64 v[52:53], v[52:53], v[60:61]
	s_waitcnt vmcnt(2) lgkmcnt(0)
	v_mul_f64 v[54:55], v[48:49], v[76:77]
	v_mul_f64 v[56:57], v[46:47], v[76:77]
	s_waitcnt vmcnt(0)
	v_fma_f64 v[1:2], v[1:2], v[80:81], -v[62:63]
	v_fma_f64 v[3:4], v[3:4], v[80:81], v[64:65]
	v_add_f64 v[42:43], v[50:51], v[42:43]
	v_add_f64 v[44:45], v[52:53], v[44:45]
	v_fma_f64 v[46:47], v[46:47], v[78:79], -v[54:55]
	v_fma_f64 v[48:49], v[48:49], v[78:79], v[56:57]
	v_add_f64 v[1:2], v[42:43], v[1:2]
	v_add_f64 v[3:4], v[44:45], v[3:4]
	;; [unrolled: 1-line block ×4, first 2 shown]
	s_andn2_b32 exec_lo, exec_lo, s71
	s_cbranch_execnz .LBB60_389
; %bb.390:
	s_or_b32 exec_lo, exec_lo, s71
.LBB60_391:
	s_or_b32 exec_lo, exec_lo, s4
	v_and_b32_e32 v42, 7, v0
	s_mov_b32 s70, 0
	s_mov_b32 s4, exec_lo
	v_cmpx_ne_u32_e32 0, v42
	s_cbranch_execz .LBB60_395
; %bb.392:
	v_lshlrev_b32_e32 v43, 4, v41
	v_add_nc_u32_e32 v41, 0x3d0, v43
	.p2align	6
.LBB60_393:                             ; =>This Inner Loop Header: Depth=1
	s_clause 0x3
	buffer_load_dword v48, v43, s[0:3], 0 offen offset:8
	buffer_load_dword v49, v43, s[0:3], 0 offen offset:12
	buffer_load_dword v50, v43, s[0:3], 0 offen
	buffer_load_dword v51, v43, s[0:3], 0 offen offset:4
	ds_read_b128 v[44:47], v41
	v_add_nc_u32_e32 v42, -1, v42
	v_add_nc_u32_e32 v41, 16, v41
	v_add_nc_u32_e32 v43, 16, v43
	v_cmp_eq_u32_e32 vcc_lo, 0, v42
	s_or_b32 s70, vcc_lo, s70
	s_waitcnt vmcnt(2) lgkmcnt(0)
	v_mul_f64 v[52:53], v[46:47], v[48:49]
	v_mul_f64 v[48:49], v[44:45], v[48:49]
	s_waitcnt vmcnt(0)
	v_fma_f64 v[44:45], v[44:45], v[50:51], -v[52:53]
	v_fma_f64 v[46:47], v[46:47], v[50:51], v[48:49]
	v_add_f64 v[1:2], v[1:2], v[44:45]
	v_add_f64 v[3:4], v[3:4], v[46:47]
	s_andn2_b32 exec_lo, exec_lo, s70
	s_cbranch_execnz .LBB60_393
; %bb.394:
	s_or_b32 exec_lo, exec_lo, s70
.LBB60_395:
	s_or_b32 exec_lo, exec_lo, s4
.LBB60_396:
	s_or_b32 exec_lo, exec_lo, s8
	v_mov_b32_e32 v41, 0
	ds_read_b128 v[41:44], v41 offset:496
	s_waitcnt lgkmcnt(0)
	v_mul_f64 v[45:46], v[3:4], v[43:44]
	v_mul_f64 v[43:44], v[1:2], v[43:44]
	v_fma_f64 v[1:2], v[1:2], v[41:42], -v[45:46]
	v_fma_f64 v[3:4], v[3:4], v[41:42], v[43:44]
	buffer_store_dword v2, off, s[0:3], 0 offset:500
	buffer_store_dword v1, off, s[0:3], 0 offset:496
	;; [unrolled: 1-line block ×4, first 2 shown]
.LBB60_397:
	s_or_b32 exec_lo, exec_lo, s6
	v_mov_b32_e32 v4, s40
	v_cmp_lt_u32_e64 s4, 30, v0
	s_clause 0x3
	buffer_load_dword v1, v4, s[0:3], 0 offen
	buffer_load_dword v2, v4, s[0:3], 0 offen offset:4
	buffer_load_dword v3, v4, s[0:3], 0 offen offset:8
	;; [unrolled: 1-line block ×3, first 2 shown]
	s_waitcnt vmcnt(0)
	ds_write_b128 v40, v[1:4]
	s_waitcnt lgkmcnt(0)
	s_waitcnt_vscnt null, 0x0
	s_barrier
	buffer_gl0_inv
	s_and_saveexec_b32 s6, s4
	s_cbranch_execz .LBB60_411
; %bb.398:
	ds_read_b128 v[1:4], v40
	s_andn2_b32 vcc_lo, exec_lo, s7
	s_cbranch_vccnz .LBB60_400
; %bb.399:
	s_clause 0x3
	buffer_load_dword v41, v39, s[0:3], 0 offen offset:8
	buffer_load_dword v42, v39, s[0:3], 0 offen offset:12
	buffer_load_dword v43, v39, s[0:3], 0 offen
	buffer_load_dword v44, v39, s[0:3], 0 offen offset:4
	s_waitcnt vmcnt(2) lgkmcnt(0)
	v_mul_f64 v[45:46], v[3:4], v[41:42]
	v_mul_f64 v[41:42], v[1:2], v[41:42]
	s_waitcnt vmcnt(0)
	v_fma_f64 v[1:2], v[1:2], v[43:44], -v[45:46]
	v_fma_f64 v[3:4], v[3:4], v[43:44], v[41:42]
.LBB60_400:
	s_and_saveexec_b32 s8, s5
	s_cbranch_execz .LBB60_410
; %bb.401:
	v_subrev_nc_u32_e32 v42, 32, v0
	v_mov_b32_e32 v43, 31
	v_subrev_nc_u32_e32 v41, 31, v0
	s_mov_b32 s5, exec_lo
	v_cmpx_lt_u32_e32 6, v42
	s_cbranch_execz .LBB60_405
; %bb.402:
	v_and_b32_e32 v42, -8, v41
	s_movk_i32 s71, 0x5c0
	s_mov_b32 s70, 0
	s_mov_b32 s72, s39
	;; [unrolled: 1-line block ×3, first 2 shown]
.LBB60_403:                             ; =>This Inner Loop Header: Depth=1
	v_mov_b32_e32 v43, s72
	v_mov_b32_e32 v91, s71
	s_add_i32 s74, s73, 8
	s_add_i32 s73, s73, 39
	v_cmp_eq_u32_e32 vcc_lo, s74, v42
	s_clause 0x1f
	buffer_load_dword v51, v43, s[0:3], 0 offen offset:8
	buffer_load_dword v52, v43, s[0:3], 0 offen offset:12
	buffer_load_dword v53, v43, s[0:3], 0 offen
	buffer_load_dword v54, v43, s[0:3], 0 offen offset:4
	buffer_load_dword v55, v43, s[0:3], 0 offen offset:24
	;; [unrolled: 1-line block ×29, first 2 shown]
	ds_read_b128 v[43:46], v91
	ds_read_b128 v[47:50], v91 offset:16
	s_addk_i32 s71, 0x80
	s_addk_i32 s72, 0x80
	s_or_b32 s70, vcc_lo, s70
	s_waitcnt vmcnt(30) lgkmcnt(1)
	v_mul_f64 v[83:84], v[45:46], v[51:52]
	v_mul_f64 v[51:52], v[43:44], v[51:52]
	s_waitcnt vmcnt(26) lgkmcnt(0)
	v_mul_f64 v[85:86], v[49:50], v[55:56]
	v_mul_f64 v[55:56], v[47:48], v[55:56]
	v_fma_f64 v[83:84], v[43:44], v[53:54], -v[83:84]
	v_fma_f64 v[87:88], v[45:46], v[53:54], v[51:52]
	ds_read_b128 v[43:46], v91 offset:32
	ds_read_b128 v[51:54], v91 offset:48
	s_waitcnt vmcnt(24)
	v_fma_f64 v[47:48], v[47:48], v[57:58], -v[85:86]
	v_fma_f64 v[49:50], v[49:50], v[57:58], v[55:56]
	s_waitcnt vmcnt(22) lgkmcnt(1)
	v_mul_f64 v[89:90], v[45:46], v[59:60]
	v_mul_f64 v[59:60], v[43:44], v[59:60]
	v_add_f64 v[1:2], v[1:2], v[83:84]
	v_add_f64 v[3:4], v[3:4], v[87:88]
	s_waitcnt vmcnt(18) lgkmcnt(0)
	v_mul_f64 v[55:56], v[53:54], v[63:64]
	v_mul_f64 v[57:58], v[51:52], v[63:64]
	v_fma_f64 v[63:64], v[43:44], v[61:62], -v[89:90]
	v_fma_f64 v[59:60], v[45:46], v[61:62], v[59:60]
	v_add_f64 v[47:48], v[1:2], v[47:48]
	v_add_f64 v[49:50], v[3:4], v[49:50]
	ds_read_b128 v[1:4], v91 offset:64
	ds_read_b128 v[43:46], v91 offset:80
	s_waitcnt vmcnt(16)
	v_fma_f64 v[51:52], v[51:52], v[65:66], -v[55:56]
	v_fma_f64 v[53:54], v[53:54], v[65:66], v[57:58]
	s_waitcnt vmcnt(12) lgkmcnt(1)
	v_mul_f64 v[61:62], v[3:4], v[67:68]
	v_mul_f64 v[67:68], v[1:2], v[67:68]
	v_add_f64 v[47:48], v[47:48], v[63:64]
	v_add_f64 v[49:50], v[49:50], v[59:60]
	s_waitcnt vmcnt(10) lgkmcnt(0)
	v_mul_f64 v[55:56], v[45:46], v[69:70]
	v_mul_f64 v[57:58], v[43:44], v[69:70]
	s_waitcnt vmcnt(8)
	v_fma_f64 v[59:60], v[1:2], v[73:74], -v[61:62]
	v_fma_f64 v[61:62], v[3:4], v[73:74], v[67:68]
	v_add_f64 v[51:52], v[47:48], v[51:52]
	v_add_f64 v[53:54], v[49:50], v[53:54]
	ds_read_b128 v[1:4], v91 offset:96
	ds_read_b128 v[47:50], v91 offset:112
	v_fma_f64 v[43:44], v[43:44], v[71:72], -v[55:56]
	v_fma_f64 v[45:46], v[45:46], v[71:72], v[57:58]
	s_waitcnt vmcnt(4) lgkmcnt(1)
	v_mul_f64 v[63:64], v[3:4], v[75:76]
	v_mul_f64 v[65:66], v[1:2], v[75:76]
	v_add_f64 v[51:52], v[51:52], v[59:60]
	v_add_f64 v[53:54], v[53:54], v[61:62]
	s_waitcnt vmcnt(2) lgkmcnt(0)
	v_mul_f64 v[55:56], v[49:50], v[77:78]
	v_mul_f64 v[57:58], v[47:48], v[77:78]
	s_waitcnt vmcnt(0)
	v_fma_f64 v[1:2], v[1:2], v[81:82], -v[63:64]
	v_fma_f64 v[3:4], v[3:4], v[81:82], v[65:66]
	v_add_f64 v[43:44], v[51:52], v[43:44]
	v_add_f64 v[45:46], v[53:54], v[45:46]
	v_fma_f64 v[47:48], v[47:48], v[79:80], -v[55:56]
	v_fma_f64 v[49:50], v[49:50], v[79:80], v[57:58]
	v_add_f64 v[1:2], v[43:44], v[1:2]
	v_add_f64 v[3:4], v[45:46], v[3:4]
	v_mov_b32_e32 v43, s73
	s_mov_b32 s73, s74
	v_add_f64 v[1:2], v[1:2], v[47:48]
	v_add_f64 v[3:4], v[3:4], v[49:50]
	s_andn2_b32 exec_lo, exec_lo, s70
	s_cbranch_execnz .LBB60_403
; %bb.404:
	s_or_b32 exec_lo, exec_lo, s70
.LBB60_405:
	s_or_b32 exec_lo, exec_lo, s5
	v_and_b32_e32 v41, 7, v41
	s_mov_b32 s70, 0
	s_mov_b32 s5, exec_lo
	v_cmpx_ne_u32_e32 0, v41
	s_cbranch_execz .LBB60_409
; %bb.406:
	v_lshlrev_b32_e32 v43, 4, v43
	v_add_nc_u32_e32 v42, 0x3d0, v43
	.p2align	6
.LBB60_407:                             ; =>This Inner Loop Header: Depth=1
	s_clause 0x3
	buffer_load_dword v48, v43, s[0:3], 0 offen offset:8
	buffer_load_dword v49, v43, s[0:3], 0 offen offset:12
	buffer_load_dword v50, v43, s[0:3], 0 offen
	buffer_load_dword v51, v43, s[0:3], 0 offen offset:4
	ds_read_b128 v[44:47], v42
	v_add_nc_u32_e32 v41, -1, v41
	v_add_nc_u32_e32 v42, 16, v42
	v_add_nc_u32_e32 v43, 16, v43
	v_cmp_eq_u32_e32 vcc_lo, 0, v41
	s_or_b32 s70, vcc_lo, s70
	s_waitcnt vmcnt(2) lgkmcnt(0)
	v_mul_f64 v[52:53], v[46:47], v[48:49]
	v_mul_f64 v[48:49], v[44:45], v[48:49]
	s_waitcnt vmcnt(0)
	v_fma_f64 v[44:45], v[44:45], v[50:51], -v[52:53]
	v_fma_f64 v[46:47], v[46:47], v[50:51], v[48:49]
	v_add_f64 v[1:2], v[1:2], v[44:45]
	v_add_f64 v[3:4], v[3:4], v[46:47]
	s_andn2_b32 exec_lo, exec_lo, s70
	s_cbranch_execnz .LBB60_407
; %bb.408:
	s_or_b32 exec_lo, exec_lo, s70
.LBB60_409:
	s_or_b32 exec_lo, exec_lo, s5
.LBB60_410:
	s_or_b32 exec_lo, exec_lo, s8
	v_mov_b32_e32 v41, 0
	ds_read_b128 v[41:44], v41 offset:480
	s_waitcnt lgkmcnt(0)
	v_mul_f64 v[45:46], v[3:4], v[43:44]
	v_mul_f64 v[43:44], v[1:2], v[43:44]
	v_fma_f64 v[1:2], v[1:2], v[41:42], -v[45:46]
	v_fma_f64 v[3:4], v[3:4], v[41:42], v[43:44]
	buffer_store_dword v2, off, s[0:3], 0 offset:484
	buffer_store_dword v1, off, s[0:3], 0 offset:480
	;; [unrolled: 1-line block ×4, first 2 shown]
.LBB60_411:
	s_or_b32 exec_lo, exec_lo, s6
	v_mov_b32_e32 v4, s41
	v_cmp_lt_u32_e64 s5, 29, v0
	s_clause 0x3
	buffer_load_dword v1, v4, s[0:3], 0 offen
	buffer_load_dword v2, v4, s[0:3], 0 offen offset:4
	buffer_load_dword v3, v4, s[0:3], 0 offen offset:8
	;; [unrolled: 1-line block ×3, first 2 shown]
	s_waitcnt vmcnt(0)
	ds_write_b128 v40, v[1:4]
	s_waitcnt lgkmcnt(0)
	s_waitcnt_vscnt null, 0x0
	s_barrier
	buffer_gl0_inv
	s_and_saveexec_b32 s6, s5
	s_cbranch_execz .LBB60_425
; %bb.412:
	ds_read_b128 v[1:4], v40
	s_andn2_b32 vcc_lo, exec_lo, s7
	s_cbranch_vccnz .LBB60_414
; %bb.413:
	s_clause 0x3
	buffer_load_dword v41, v39, s[0:3], 0 offen offset:8
	buffer_load_dword v42, v39, s[0:3], 0 offen offset:12
	buffer_load_dword v43, v39, s[0:3], 0 offen
	buffer_load_dword v44, v39, s[0:3], 0 offen offset:4
	s_waitcnt vmcnt(2) lgkmcnt(0)
	v_mul_f64 v[45:46], v[3:4], v[41:42]
	v_mul_f64 v[41:42], v[1:2], v[41:42]
	s_waitcnt vmcnt(0)
	v_fma_f64 v[1:2], v[1:2], v[43:44], -v[45:46]
	v_fma_f64 v[3:4], v[3:4], v[43:44], v[41:42]
.LBB60_414:
	s_and_saveexec_b32 s8, s4
	s_cbranch_execz .LBB60_424
; %bb.415:
	v_subrev_nc_u32_e32 v42, 31, v0
	v_mov_b32_e32 v43, 30
	v_subrev_nc_u32_e32 v41, 30, v0
	s_mov_b32 s4, exec_lo
	v_cmpx_lt_u32_e32 6, v42
	s_cbranch_execz .LBB60_419
; %bb.416:
	v_and_b32_e32 v42, -8, v41
	s_movk_i32 s71, 0x5b0
	s_mov_b32 s70, 0
	s_mov_b32 s72, s40
	;; [unrolled: 1-line block ×3, first 2 shown]
.LBB60_417:                             ; =>This Inner Loop Header: Depth=1
	v_mov_b32_e32 v43, s72
	v_mov_b32_e32 v91, s71
	s_add_i32 s74, s73, 8
	s_add_i32 s73, s73, 38
	v_cmp_eq_u32_e32 vcc_lo, s74, v42
	s_clause 0x1f
	buffer_load_dword v51, v43, s[0:3], 0 offen offset:8
	buffer_load_dword v52, v43, s[0:3], 0 offen offset:12
	buffer_load_dword v53, v43, s[0:3], 0 offen
	buffer_load_dword v54, v43, s[0:3], 0 offen offset:4
	buffer_load_dword v55, v43, s[0:3], 0 offen offset:24
	;; [unrolled: 1-line block ×29, first 2 shown]
	ds_read_b128 v[43:46], v91
	ds_read_b128 v[47:50], v91 offset:16
	s_addk_i32 s71, 0x80
	s_addk_i32 s72, 0x80
	s_or_b32 s70, vcc_lo, s70
	s_waitcnt vmcnt(30) lgkmcnt(1)
	v_mul_f64 v[83:84], v[45:46], v[51:52]
	v_mul_f64 v[51:52], v[43:44], v[51:52]
	s_waitcnt vmcnt(26) lgkmcnt(0)
	v_mul_f64 v[85:86], v[49:50], v[55:56]
	v_mul_f64 v[55:56], v[47:48], v[55:56]
	v_fma_f64 v[83:84], v[43:44], v[53:54], -v[83:84]
	v_fma_f64 v[87:88], v[45:46], v[53:54], v[51:52]
	ds_read_b128 v[43:46], v91 offset:32
	ds_read_b128 v[51:54], v91 offset:48
	s_waitcnt vmcnt(24)
	v_fma_f64 v[47:48], v[47:48], v[57:58], -v[85:86]
	v_fma_f64 v[49:50], v[49:50], v[57:58], v[55:56]
	s_waitcnt vmcnt(22) lgkmcnt(1)
	v_mul_f64 v[89:90], v[45:46], v[59:60]
	v_mul_f64 v[59:60], v[43:44], v[59:60]
	v_add_f64 v[1:2], v[1:2], v[83:84]
	v_add_f64 v[3:4], v[3:4], v[87:88]
	s_waitcnt vmcnt(18) lgkmcnt(0)
	v_mul_f64 v[55:56], v[53:54], v[63:64]
	v_mul_f64 v[57:58], v[51:52], v[63:64]
	v_fma_f64 v[63:64], v[43:44], v[61:62], -v[89:90]
	v_fma_f64 v[59:60], v[45:46], v[61:62], v[59:60]
	v_add_f64 v[47:48], v[1:2], v[47:48]
	v_add_f64 v[49:50], v[3:4], v[49:50]
	ds_read_b128 v[1:4], v91 offset:64
	ds_read_b128 v[43:46], v91 offset:80
	s_waitcnt vmcnt(16)
	v_fma_f64 v[51:52], v[51:52], v[65:66], -v[55:56]
	v_fma_f64 v[53:54], v[53:54], v[65:66], v[57:58]
	s_waitcnt vmcnt(12) lgkmcnt(1)
	v_mul_f64 v[61:62], v[3:4], v[67:68]
	v_mul_f64 v[67:68], v[1:2], v[67:68]
	v_add_f64 v[47:48], v[47:48], v[63:64]
	v_add_f64 v[49:50], v[49:50], v[59:60]
	s_waitcnt vmcnt(10) lgkmcnt(0)
	v_mul_f64 v[55:56], v[45:46], v[69:70]
	v_mul_f64 v[57:58], v[43:44], v[69:70]
	s_waitcnt vmcnt(8)
	v_fma_f64 v[59:60], v[1:2], v[73:74], -v[61:62]
	v_fma_f64 v[61:62], v[3:4], v[73:74], v[67:68]
	v_add_f64 v[51:52], v[47:48], v[51:52]
	v_add_f64 v[53:54], v[49:50], v[53:54]
	ds_read_b128 v[1:4], v91 offset:96
	ds_read_b128 v[47:50], v91 offset:112
	v_fma_f64 v[43:44], v[43:44], v[71:72], -v[55:56]
	v_fma_f64 v[45:46], v[45:46], v[71:72], v[57:58]
	s_waitcnt vmcnt(4) lgkmcnt(1)
	v_mul_f64 v[63:64], v[3:4], v[75:76]
	v_mul_f64 v[65:66], v[1:2], v[75:76]
	v_add_f64 v[51:52], v[51:52], v[59:60]
	v_add_f64 v[53:54], v[53:54], v[61:62]
	s_waitcnt vmcnt(2) lgkmcnt(0)
	v_mul_f64 v[55:56], v[49:50], v[77:78]
	v_mul_f64 v[57:58], v[47:48], v[77:78]
	s_waitcnt vmcnt(0)
	v_fma_f64 v[1:2], v[1:2], v[81:82], -v[63:64]
	v_fma_f64 v[3:4], v[3:4], v[81:82], v[65:66]
	v_add_f64 v[43:44], v[51:52], v[43:44]
	v_add_f64 v[45:46], v[53:54], v[45:46]
	v_fma_f64 v[47:48], v[47:48], v[79:80], -v[55:56]
	v_fma_f64 v[49:50], v[49:50], v[79:80], v[57:58]
	v_add_f64 v[1:2], v[43:44], v[1:2]
	v_add_f64 v[3:4], v[45:46], v[3:4]
	v_mov_b32_e32 v43, s73
	s_mov_b32 s73, s74
	v_add_f64 v[1:2], v[1:2], v[47:48]
	v_add_f64 v[3:4], v[3:4], v[49:50]
	s_andn2_b32 exec_lo, exec_lo, s70
	s_cbranch_execnz .LBB60_417
; %bb.418:
	s_or_b32 exec_lo, exec_lo, s70
.LBB60_419:
	s_or_b32 exec_lo, exec_lo, s4
	v_and_b32_e32 v41, 7, v41
	s_mov_b32 s70, 0
	s_mov_b32 s4, exec_lo
	v_cmpx_ne_u32_e32 0, v41
	s_cbranch_execz .LBB60_423
; %bb.420:
	v_lshlrev_b32_e32 v43, 4, v43
	v_add_nc_u32_e32 v42, 0x3d0, v43
	.p2align	6
.LBB60_421:                             ; =>This Inner Loop Header: Depth=1
	s_clause 0x3
	buffer_load_dword v48, v43, s[0:3], 0 offen offset:8
	buffer_load_dword v49, v43, s[0:3], 0 offen offset:12
	buffer_load_dword v50, v43, s[0:3], 0 offen
	buffer_load_dword v51, v43, s[0:3], 0 offen offset:4
	ds_read_b128 v[44:47], v42
	v_add_nc_u32_e32 v41, -1, v41
	v_add_nc_u32_e32 v42, 16, v42
	v_add_nc_u32_e32 v43, 16, v43
	v_cmp_eq_u32_e32 vcc_lo, 0, v41
	s_or_b32 s70, vcc_lo, s70
	s_waitcnt vmcnt(2) lgkmcnt(0)
	v_mul_f64 v[52:53], v[46:47], v[48:49]
	v_mul_f64 v[48:49], v[44:45], v[48:49]
	s_waitcnt vmcnt(0)
	v_fma_f64 v[44:45], v[44:45], v[50:51], -v[52:53]
	v_fma_f64 v[46:47], v[46:47], v[50:51], v[48:49]
	v_add_f64 v[1:2], v[1:2], v[44:45]
	v_add_f64 v[3:4], v[3:4], v[46:47]
	s_andn2_b32 exec_lo, exec_lo, s70
	s_cbranch_execnz .LBB60_421
; %bb.422:
	s_or_b32 exec_lo, exec_lo, s70
.LBB60_423:
	s_or_b32 exec_lo, exec_lo, s4
.LBB60_424:
	s_or_b32 exec_lo, exec_lo, s8
	v_mov_b32_e32 v41, 0
	ds_read_b128 v[41:44], v41 offset:464
	s_waitcnt lgkmcnt(0)
	v_mul_f64 v[45:46], v[3:4], v[43:44]
	v_mul_f64 v[43:44], v[1:2], v[43:44]
	v_fma_f64 v[1:2], v[1:2], v[41:42], -v[45:46]
	v_fma_f64 v[3:4], v[3:4], v[41:42], v[43:44]
	buffer_store_dword v2, off, s[0:3], 0 offset:468
	buffer_store_dword v1, off, s[0:3], 0 offset:464
	;; [unrolled: 1-line block ×4, first 2 shown]
.LBB60_425:
	s_or_b32 exec_lo, exec_lo, s6
	v_mov_b32_e32 v4, s42
	v_cmp_lt_u32_e64 s4, 28, v0
	s_clause 0x3
	buffer_load_dword v1, v4, s[0:3], 0 offen
	buffer_load_dword v2, v4, s[0:3], 0 offen offset:4
	buffer_load_dword v3, v4, s[0:3], 0 offen offset:8
	buffer_load_dword v4, v4, s[0:3], 0 offen offset:12
	s_waitcnt vmcnt(0)
	ds_write_b128 v40, v[1:4]
	s_waitcnt lgkmcnt(0)
	s_waitcnt_vscnt null, 0x0
	s_barrier
	buffer_gl0_inv
	s_and_saveexec_b32 s6, s4
	s_cbranch_execz .LBB60_439
; %bb.426:
	ds_read_b128 v[1:4], v40
	s_andn2_b32 vcc_lo, exec_lo, s7
	s_cbranch_vccnz .LBB60_428
; %bb.427:
	s_clause 0x3
	buffer_load_dword v41, v39, s[0:3], 0 offen offset:8
	buffer_load_dword v42, v39, s[0:3], 0 offen offset:12
	buffer_load_dword v43, v39, s[0:3], 0 offen
	buffer_load_dword v44, v39, s[0:3], 0 offen offset:4
	s_waitcnt vmcnt(2) lgkmcnt(0)
	v_mul_f64 v[45:46], v[3:4], v[41:42]
	v_mul_f64 v[41:42], v[1:2], v[41:42]
	s_waitcnt vmcnt(0)
	v_fma_f64 v[1:2], v[1:2], v[43:44], -v[45:46]
	v_fma_f64 v[3:4], v[3:4], v[43:44], v[41:42]
.LBB60_428:
	s_and_saveexec_b32 s8, s5
	s_cbranch_execz .LBB60_438
; %bb.429:
	v_subrev_nc_u32_e32 v42, 30, v0
	v_mov_b32_e32 v43, 29
	v_subrev_nc_u32_e32 v41, 29, v0
	s_mov_b32 s5, exec_lo
	v_cmpx_lt_u32_e32 6, v42
	s_cbranch_execz .LBB60_433
; %bb.430:
	v_and_b32_e32 v42, -8, v41
	s_movk_i32 s71, 0x5a0
	s_mov_b32 s70, 0
	s_mov_b32 s72, s41
	;; [unrolled: 1-line block ×3, first 2 shown]
.LBB60_431:                             ; =>This Inner Loop Header: Depth=1
	v_mov_b32_e32 v43, s72
	v_mov_b32_e32 v91, s71
	s_add_i32 s74, s73, 8
	s_add_i32 s73, s73, 37
	v_cmp_eq_u32_e32 vcc_lo, s74, v42
	s_clause 0x1f
	buffer_load_dword v51, v43, s[0:3], 0 offen offset:8
	buffer_load_dword v52, v43, s[0:3], 0 offen offset:12
	buffer_load_dword v53, v43, s[0:3], 0 offen
	buffer_load_dword v54, v43, s[0:3], 0 offen offset:4
	buffer_load_dword v55, v43, s[0:3], 0 offen offset:24
	;; [unrolled: 1-line block ×29, first 2 shown]
	ds_read_b128 v[43:46], v91
	ds_read_b128 v[47:50], v91 offset:16
	s_addk_i32 s71, 0x80
	s_addk_i32 s72, 0x80
	s_or_b32 s70, vcc_lo, s70
	s_waitcnt vmcnt(30) lgkmcnt(1)
	v_mul_f64 v[83:84], v[45:46], v[51:52]
	v_mul_f64 v[51:52], v[43:44], v[51:52]
	s_waitcnt vmcnt(26) lgkmcnt(0)
	v_mul_f64 v[85:86], v[49:50], v[55:56]
	v_mul_f64 v[55:56], v[47:48], v[55:56]
	v_fma_f64 v[83:84], v[43:44], v[53:54], -v[83:84]
	v_fma_f64 v[87:88], v[45:46], v[53:54], v[51:52]
	ds_read_b128 v[43:46], v91 offset:32
	ds_read_b128 v[51:54], v91 offset:48
	s_waitcnt vmcnt(24)
	v_fma_f64 v[47:48], v[47:48], v[57:58], -v[85:86]
	v_fma_f64 v[49:50], v[49:50], v[57:58], v[55:56]
	s_waitcnt vmcnt(22) lgkmcnt(1)
	v_mul_f64 v[89:90], v[45:46], v[59:60]
	v_mul_f64 v[59:60], v[43:44], v[59:60]
	v_add_f64 v[1:2], v[1:2], v[83:84]
	v_add_f64 v[3:4], v[3:4], v[87:88]
	s_waitcnt vmcnt(18) lgkmcnt(0)
	v_mul_f64 v[55:56], v[53:54], v[63:64]
	v_mul_f64 v[57:58], v[51:52], v[63:64]
	v_fma_f64 v[63:64], v[43:44], v[61:62], -v[89:90]
	v_fma_f64 v[59:60], v[45:46], v[61:62], v[59:60]
	v_add_f64 v[47:48], v[1:2], v[47:48]
	v_add_f64 v[49:50], v[3:4], v[49:50]
	ds_read_b128 v[1:4], v91 offset:64
	ds_read_b128 v[43:46], v91 offset:80
	s_waitcnt vmcnt(16)
	v_fma_f64 v[51:52], v[51:52], v[65:66], -v[55:56]
	v_fma_f64 v[53:54], v[53:54], v[65:66], v[57:58]
	s_waitcnt vmcnt(12) lgkmcnt(1)
	v_mul_f64 v[61:62], v[3:4], v[67:68]
	v_mul_f64 v[67:68], v[1:2], v[67:68]
	v_add_f64 v[47:48], v[47:48], v[63:64]
	v_add_f64 v[49:50], v[49:50], v[59:60]
	s_waitcnt vmcnt(10) lgkmcnt(0)
	v_mul_f64 v[55:56], v[45:46], v[69:70]
	v_mul_f64 v[57:58], v[43:44], v[69:70]
	s_waitcnt vmcnt(8)
	v_fma_f64 v[59:60], v[1:2], v[73:74], -v[61:62]
	v_fma_f64 v[61:62], v[3:4], v[73:74], v[67:68]
	v_add_f64 v[51:52], v[47:48], v[51:52]
	v_add_f64 v[53:54], v[49:50], v[53:54]
	ds_read_b128 v[1:4], v91 offset:96
	ds_read_b128 v[47:50], v91 offset:112
	v_fma_f64 v[43:44], v[43:44], v[71:72], -v[55:56]
	v_fma_f64 v[45:46], v[45:46], v[71:72], v[57:58]
	s_waitcnt vmcnt(4) lgkmcnt(1)
	v_mul_f64 v[63:64], v[3:4], v[75:76]
	v_mul_f64 v[65:66], v[1:2], v[75:76]
	v_add_f64 v[51:52], v[51:52], v[59:60]
	v_add_f64 v[53:54], v[53:54], v[61:62]
	s_waitcnt vmcnt(2) lgkmcnt(0)
	v_mul_f64 v[55:56], v[49:50], v[77:78]
	v_mul_f64 v[57:58], v[47:48], v[77:78]
	s_waitcnt vmcnt(0)
	v_fma_f64 v[1:2], v[1:2], v[81:82], -v[63:64]
	v_fma_f64 v[3:4], v[3:4], v[81:82], v[65:66]
	v_add_f64 v[43:44], v[51:52], v[43:44]
	v_add_f64 v[45:46], v[53:54], v[45:46]
	v_fma_f64 v[47:48], v[47:48], v[79:80], -v[55:56]
	v_fma_f64 v[49:50], v[49:50], v[79:80], v[57:58]
	v_add_f64 v[1:2], v[43:44], v[1:2]
	v_add_f64 v[3:4], v[45:46], v[3:4]
	v_mov_b32_e32 v43, s73
	s_mov_b32 s73, s74
	v_add_f64 v[1:2], v[1:2], v[47:48]
	v_add_f64 v[3:4], v[3:4], v[49:50]
	s_andn2_b32 exec_lo, exec_lo, s70
	s_cbranch_execnz .LBB60_431
; %bb.432:
	s_or_b32 exec_lo, exec_lo, s70
.LBB60_433:
	s_or_b32 exec_lo, exec_lo, s5
	v_and_b32_e32 v41, 7, v41
	s_mov_b32 s70, 0
	s_mov_b32 s5, exec_lo
	v_cmpx_ne_u32_e32 0, v41
	s_cbranch_execz .LBB60_437
; %bb.434:
	v_lshlrev_b32_e32 v43, 4, v43
	v_add_nc_u32_e32 v42, 0x3d0, v43
	.p2align	6
.LBB60_435:                             ; =>This Inner Loop Header: Depth=1
	s_clause 0x3
	buffer_load_dword v48, v43, s[0:3], 0 offen offset:8
	buffer_load_dword v49, v43, s[0:3], 0 offen offset:12
	buffer_load_dword v50, v43, s[0:3], 0 offen
	buffer_load_dword v51, v43, s[0:3], 0 offen offset:4
	ds_read_b128 v[44:47], v42
	v_add_nc_u32_e32 v41, -1, v41
	v_add_nc_u32_e32 v42, 16, v42
	v_add_nc_u32_e32 v43, 16, v43
	v_cmp_eq_u32_e32 vcc_lo, 0, v41
	s_or_b32 s70, vcc_lo, s70
	s_waitcnt vmcnt(2) lgkmcnt(0)
	v_mul_f64 v[52:53], v[46:47], v[48:49]
	v_mul_f64 v[48:49], v[44:45], v[48:49]
	s_waitcnt vmcnt(0)
	v_fma_f64 v[44:45], v[44:45], v[50:51], -v[52:53]
	v_fma_f64 v[46:47], v[46:47], v[50:51], v[48:49]
	v_add_f64 v[1:2], v[1:2], v[44:45]
	v_add_f64 v[3:4], v[3:4], v[46:47]
	s_andn2_b32 exec_lo, exec_lo, s70
	s_cbranch_execnz .LBB60_435
; %bb.436:
	s_or_b32 exec_lo, exec_lo, s70
.LBB60_437:
	s_or_b32 exec_lo, exec_lo, s5
.LBB60_438:
	s_or_b32 exec_lo, exec_lo, s8
	v_mov_b32_e32 v41, 0
	ds_read_b128 v[41:44], v41 offset:448
	s_waitcnt lgkmcnt(0)
	v_mul_f64 v[45:46], v[3:4], v[43:44]
	v_mul_f64 v[43:44], v[1:2], v[43:44]
	v_fma_f64 v[1:2], v[1:2], v[41:42], -v[45:46]
	v_fma_f64 v[3:4], v[3:4], v[41:42], v[43:44]
	buffer_store_dword v2, off, s[0:3], 0 offset:452
	buffer_store_dword v1, off, s[0:3], 0 offset:448
	;; [unrolled: 1-line block ×4, first 2 shown]
.LBB60_439:
	s_or_b32 exec_lo, exec_lo, s6
	v_mov_b32_e32 v4, s43
	v_cmp_lt_u32_e64 s5, 27, v0
	s_clause 0x3
	buffer_load_dword v1, v4, s[0:3], 0 offen
	buffer_load_dword v2, v4, s[0:3], 0 offen offset:4
	buffer_load_dword v3, v4, s[0:3], 0 offen offset:8
	;; [unrolled: 1-line block ×3, first 2 shown]
	s_waitcnt vmcnt(0)
	ds_write_b128 v40, v[1:4]
	s_waitcnt lgkmcnt(0)
	s_waitcnt_vscnt null, 0x0
	s_barrier
	buffer_gl0_inv
	s_and_saveexec_b32 s6, s5
	s_cbranch_execz .LBB60_453
; %bb.440:
	ds_read_b128 v[1:4], v40
	s_andn2_b32 vcc_lo, exec_lo, s7
	s_cbranch_vccnz .LBB60_442
; %bb.441:
	s_clause 0x3
	buffer_load_dword v41, v39, s[0:3], 0 offen offset:8
	buffer_load_dword v42, v39, s[0:3], 0 offen offset:12
	buffer_load_dword v43, v39, s[0:3], 0 offen
	buffer_load_dword v44, v39, s[0:3], 0 offen offset:4
	s_waitcnt vmcnt(2) lgkmcnt(0)
	v_mul_f64 v[45:46], v[3:4], v[41:42]
	v_mul_f64 v[41:42], v[1:2], v[41:42]
	s_waitcnt vmcnt(0)
	v_fma_f64 v[1:2], v[1:2], v[43:44], -v[45:46]
	v_fma_f64 v[3:4], v[3:4], v[43:44], v[41:42]
.LBB60_442:
	s_and_saveexec_b32 s8, s4
	s_cbranch_execz .LBB60_452
; %bb.443:
	v_subrev_nc_u32_e32 v42, 29, v0
	v_mov_b32_e32 v43, 28
	v_subrev_nc_u32_e32 v41, 28, v0
	s_mov_b32 s4, exec_lo
	v_cmpx_lt_u32_e32 6, v42
	s_cbranch_execz .LBB60_447
; %bb.444:
	v_and_b32_e32 v42, -8, v41
	s_movk_i32 s71, 0x590
	s_mov_b32 s70, 0
	s_mov_b32 s72, s42
	;; [unrolled: 1-line block ×3, first 2 shown]
.LBB60_445:                             ; =>This Inner Loop Header: Depth=1
	v_mov_b32_e32 v43, s72
	v_mov_b32_e32 v91, s71
	s_add_i32 s74, s73, 8
	s_add_i32 s73, s73, 36
	v_cmp_eq_u32_e32 vcc_lo, s74, v42
	s_clause 0x1f
	buffer_load_dword v51, v43, s[0:3], 0 offen offset:8
	buffer_load_dword v52, v43, s[0:3], 0 offen offset:12
	buffer_load_dword v53, v43, s[0:3], 0 offen
	buffer_load_dword v54, v43, s[0:3], 0 offen offset:4
	buffer_load_dword v55, v43, s[0:3], 0 offen offset:24
	;; [unrolled: 1-line block ×29, first 2 shown]
	ds_read_b128 v[43:46], v91
	ds_read_b128 v[47:50], v91 offset:16
	s_addk_i32 s71, 0x80
	s_addk_i32 s72, 0x80
	s_or_b32 s70, vcc_lo, s70
	s_waitcnt vmcnt(30) lgkmcnt(1)
	v_mul_f64 v[83:84], v[45:46], v[51:52]
	v_mul_f64 v[51:52], v[43:44], v[51:52]
	s_waitcnt vmcnt(26) lgkmcnt(0)
	v_mul_f64 v[85:86], v[49:50], v[55:56]
	v_mul_f64 v[55:56], v[47:48], v[55:56]
	v_fma_f64 v[83:84], v[43:44], v[53:54], -v[83:84]
	v_fma_f64 v[87:88], v[45:46], v[53:54], v[51:52]
	ds_read_b128 v[43:46], v91 offset:32
	ds_read_b128 v[51:54], v91 offset:48
	s_waitcnt vmcnt(24)
	v_fma_f64 v[47:48], v[47:48], v[57:58], -v[85:86]
	v_fma_f64 v[49:50], v[49:50], v[57:58], v[55:56]
	s_waitcnt vmcnt(22) lgkmcnt(1)
	v_mul_f64 v[89:90], v[45:46], v[59:60]
	v_mul_f64 v[59:60], v[43:44], v[59:60]
	v_add_f64 v[1:2], v[1:2], v[83:84]
	v_add_f64 v[3:4], v[3:4], v[87:88]
	s_waitcnt vmcnt(18) lgkmcnt(0)
	v_mul_f64 v[55:56], v[53:54], v[63:64]
	v_mul_f64 v[57:58], v[51:52], v[63:64]
	v_fma_f64 v[63:64], v[43:44], v[61:62], -v[89:90]
	v_fma_f64 v[59:60], v[45:46], v[61:62], v[59:60]
	v_add_f64 v[47:48], v[1:2], v[47:48]
	v_add_f64 v[49:50], v[3:4], v[49:50]
	ds_read_b128 v[1:4], v91 offset:64
	ds_read_b128 v[43:46], v91 offset:80
	s_waitcnt vmcnt(16)
	v_fma_f64 v[51:52], v[51:52], v[65:66], -v[55:56]
	v_fma_f64 v[53:54], v[53:54], v[65:66], v[57:58]
	s_waitcnt vmcnt(12) lgkmcnt(1)
	v_mul_f64 v[61:62], v[3:4], v[67:68]
	v_mul_f64 v[67:68], v[1:2], v[67:68]
	v_add_f64 v[47:48], v[47:48], v[63:64]
	v_add_f64 v[49:50], v[49:50], v[59:60]
	s_waitcnt vmcnt(10) lgkmcnt(0)
	v_mul_f64 v[55:56], v[45:46], v[69:70]
	v_mul_f64 v[57:58], v[43:44], v[69:70]
	s_waitcnt vmcnt(8)
	v_fma_f64 v[59:60], v[1:2], v[73:74], -v[61:62]
	v_fma_f64 v[61:62], v[3:4], v[73:74], v[67:68]
	v_add_f64 v[51:52], v[47:48], v[51:52]
	v_add_f64 v[53:54], v[49:50], v[53:54]
	ds_read_b128 v[1:4], v91 offset:96
	ds_read_b128 v[47:50], v91 offset:112
	v_fma_f64 v[43:44], v[43:44], v[71:72], -v[55:56]
	v_fma_f64 v[45:46], v[45:46], v[71:72], v[57:58]
	s_waitcnt vmcnt(4) lgkmcnt(1)
	v_mul_f64 v[63:64], v[3:4], v[75:76]
	v_mul_f64 v[65:66], v[1:2], v[75:76]
	v_add_f64 v[51:52], v[51:52], v[59:60]
	v_add_f64 v[53:54], v[53:54], v[61:62]
	s_waitcnt vmcnt(2) lgkmcnt(0)
	v_mul_f64 v[55:56], v[49:50], v[77:78]
	v_mul_f64 v[57:58], v[47:48], v[77:78]
	s_waitcnt vmcnt(0)
	v_fma_f64 v[1:2], v[1:2], v[81:82], -v[63:64]
	v_fma_f64 v[3:4], v[3:4], v[81:82], v[65:66]
	v_add_f64 v[43:44], v[51:52], v[43:44]
	v_add_f64 v[45:46], v[53:54], v[45:46]
	v_fma_f64 v[47:48], v[47:48], v[79:80], -v[55:56]
	v_fma_f64 v[49:50], v[49:50], v[79:80], v[57:58]
	v_add_f64 v[1:2], v[43:44], v[1:2]
	v_add_f64 v[3:4], v[45:46], v[3:4]
	v_mov_b32_e32 v43, s73
	s_mov_b32 s73, s74
	v_add_f64 v[1:2], v[1:2], v[47:48]
	v_add_f64 v[3:4], v[3:4], v[49:50]
	s_andn2_b32 exec_lo, exec_lo, s70
	s_cbranch_execnz .LBB60_445
; %bb.446:
	s_or_b32 exec_lo, exec_lo, s70
.LBB60_447:
	s_or_b32 exec_lo, exec_lo, s4
	v_and_b32_e32 v41, 7, v41
	s_mov_b32 s70, 0
	s_mov_b32 s4, exec_lo
	v_cmpx_ne_u32_e32 0, v41
	s_cbranch_execz .LBB60_451
; %bb.448:
	v_lshlrev_b32_e32 v43, 4, v43
	v_add_nc_u32_e32 v42, 0x3d0, v43
	.p2align	6
.LBB60_449:                             ; =>This Inner Loop Header: Depth=1
	s_clause 0x3
	buffer_load_dword v48, v43, s[0:3], 0 offen offset:8
	buffer_load_dword v49, v43, s[0:3], 0 offen offset:12
	buffer_load_dword v50, v43, s[0:3], 0 offen
	buffer_load_dword v51, v43, s[0:3], 0 offen offset:4
	ds_read_b128 v[44:47], v42
	v_add_nc_u32_e32 v41, -1, v41
	v_add_nc_u32_e32 v42, 16, v42
	v_add_nc_u32_e32 v43, 16, v43
	v_cmp_eq_u32_e32 vcc_lo, 0, v41
	s_or_b32 s70, vcc_lo, s70
	s_waitcnt vmcnt(2) lgkmcnt(0)
	v_mul_f64 v[52:53], v[46:47], v[48:49]
	v_mul_f64 v[48:49], v[44:45], v[48:49]
	s_waitcnt vmcnt(0)
	v_fma_f64 v[44:45], v[44:45], v[50:51], -v[52:53]
	v_fma_f64 v[46:47], v[46:47], v[50:51], v[48:49]
	v_add_f64 v[1:2], v[1:2], v[44:45]
	v_add_f64 v[3:4], v[3:4], v[46:47]
	s_andn2_b32 exec_lo, exec_lo, s70
	s_cbranch_execnz .LBB60_449
; %bb.450:
	s_or_b32 exec_lo, exec_lo, s70
.LBB60_451:
	s_or_b32 exec_lo, exec_lo, s4
.LBB60_452:
	s_or_b32 exec_lo, exec_lo, s8
	v_mov_b32_e32 v41, 0
	ds_read_b128 v[41:44], v41 offset:432
	s_waitcnt lgkmcnt(0)
	v_mul_f64 v[45:46], v[3:4], v[43:44]
	v_mul_f64 v[43:44], v[1:2], v[43:44]
	v_fma_f64 v[1:2], v[1:2], v[41:42], -v[45:46]
	v_fma_f64 v[3:4], v[3:4], v[41:42], v[43:44]
	buffer_store_dword v2, off, s[0:3], 0 offset:436
	buffer_store_dword v1, off, s[0:3], 0 offset:432
	;; [unrolled: 1-line block ×4, first 2 shown]
.LBB60_453:
	s_or_b32 exec_lo, exec_lo, s6
	v_mov_b32_e32 v4, s44
	v_cmp_lt_u32_e64 s4, 26, v0
	s_clause 0x3
	buffer_load_dword v1, v4, s[0:3], 0 offen
	buffer_load_dword v2, v4, s[0:3], 0 offen offset:4
	buffer_load_dword v3, v4, s[0:3], 0 offen offset:8
	;; [unrolled: 1-line block ×3, first 2 shown]
	s_waitcnt vmcnt(0)
	ds_write_b128 v40, v[1:4]
	s_waitcnt lgkmcnt(0)
	s_waitcnt_vscnt null, 0x0
	s_barrier
	buffer_gl0_inv
	s_and_saveexec_b32 s6, s4
	s_cbranch_execz .LBB60_467
; %bb.454:
	ds_read_b128 v[1:4], v40
	s_andn2_b32 vcc_lo, exec_lo, s7
	s_cbranch_vccnz .LBB60_456
; %bb.455:
	s_clause 0x3
	buffer_load_dword v41, v39, s[0:3], 0 offen offset:8
	buffer_load_dword v42, v39, s[0:3], 0 offen offset:12
	buffer_load_dword v43, v39, s[0:3], 0 offen
	buffer_load_dword v44, v39, s[0:3], 0 offen offset:4
	s_waitcnt vmcnt(2) lgkmcnt(0)
	v_mul_f64 v[45:46], v[3:4], v[41:42]
	v_mul_f64 v[41:42], v[1:2], v[41:42]
	s_waitcnt vmcnt(0)
	v_fma_f64 v[1:2], v[1:2], v[43:44], -v[45:46]
	v_fma_f64 v[3:4], v[3:4], v[43:44], v[41:42]
.LBB60_456:
	s_and_saveexec_b32 s8, s5
	s_cbranch_execz .LBB60_466
; %bb.457:
	v_subrev_nc_u32_e32 v42, 28, v0
	v_mov_b32_e32 v43, 27
	v_subrev_nc_u32_e32 v41, 27, v0
	s_mov_b32 s5, exec_lo
	v_cmpx_lt_u32_e32 6, v42
	s_cbranch_execz .LBB60_461
; %bb.458:
	v_and_b32_e32 v42, -8, v41
	s_movk_i32 s71, 0x580
	s_mov_b32 s70, 0
	s_mov_b32 s72, s43
	;; [unrolled: 1-line block ×3, first 2 shown]
.LBB60_459:                             ; =>This Inner Loop Header: Depth=1
	v_mov_b32_e32 v43, s72
	v_mov_b32_e32 v91, s71
	s_add_i32 s74, s73, 8
	s_add_i32 s73, s73, 35
	v_cmp_eq_u32_e32 vcc_lo, s74, v42
	s_clause 0x1f
	buffer_load_dword v51, v43, s[0:3], 0 offen offset:8
	buffer_load_dword v52, v43, s[0:3], 0 offen offset:12
	buffer_load_dword v53, v43, s[0:3], 0 offen
	buffer_load_dword v54, v43, s[0:3], 0 offen offset:4
	buffer_load_dword v55, v43, s[0:3], 0 offen offset:24
	buffer_load_dword v56, v43, s[0:3], 0 offen offset:28
	buffer_load_dword v57, v43, s[0:3], 0 offen offset:16
	buffer_load_dword v58, v43, s[0:3], 0 offen offset:20
	buffer_load_dword v59, v43, s[0:3], 0 offen offset:40
	buffer_load_dword v60, v43, s[0:3], 0 offen offset:44
	buffer_load_dword v61, v43, s[0:3], 0 offen offset:32
	buffer_load_dword v62, v43, s[0:3], 0 offen offset:36
	buffer_load_dword v63, v43, s[0:3], 0 offen offset:56
	buffer_load_dword v64, v43, s[0:3], 0 offen offset:60
	buffer_load_dword v65, v43, s[0:3], 0 offen offset:48
	buffer_load_dword v66, v43, s[0:3], 0 offen offset:52
	buffer_load_dword v68, v43, s[0:3], 0 offen offset:76
	buffer_load_dword v69, v43, s[0:3], 0 offen offset:88
	buffer_load_dword v71, v43, s[0:3], 0 offen offset:80
	buffer_load_dword v67, v43, s[0:3], 0 offen offset:72
	buffer_load_dword v72, v43, s[0:3], 0 offen offset:84
	buffer_load_dword v70, v43, s[0:3], 0 offen offset:92
	buffer_load_dword v74, v43, s[0:3], 0 offen offset:68
	buffer_load_dword v73, v43, s[0:3], 0 offen offset:64
	buffer_load_dword v76, v43, s[0:3], 0 offen offset:108
	buffer_load_dword v77, v43, s[0:3], 0 offen offset:120
	buffer_load_dword v79, v43, s[0:3], 0 offen offset:112
	buffer_load_dword v75, v43, s[0:3], 0 offen offset:104
	buffer_load_dword v80, v43, s[0:3], 0 offen offset:116
	buffer_load_dword v78, v43, s[0:3], 0 offen offset:124
	buffer_load_dword v82, v43, s[0:3], 0 offen offset:100
	buffer_load_dword v81, v43, s[0:3], 0 offen offset:96
	ds_read_b128 v[43:46], v91
	ds_read_b128 v[47:50], v91 offset:16
	s_addk_i32 s71, 0x80
	s_addk_i32 s72, 0x80
	s_or_b32 s70, vcc_lo, s70
	s_waitcnt vmcnt(30) lgkmcnt(1)
	v_mul_f64 v[83:84], v[45:46], v[51:52]
	v_mul_f64 v[51:52], v[43:44], v[51:52]
	s_waitcnt vmcnt(26) lgkmcnt(0)
	v_mul_f64 v[85:86], v[49:50], v[55:56]
	v_mul_f64 v[55:56], v[47:48], v[55:56]
	v_fma_f64 v[83:84], v[43:44], v[53:54], -v[83:84]
	v_fma_f64 v[87:88], v[45:46], v[53:54], v[51:52]
	ds_read_b128 v[43:46], v91 offset:32
	ds_read_b128 v[51:54], v91 offset:48
	s_waitcnt vmcnt(24)
	v_fma_f64 v[47:48], v[47:48], v[57:58], -v[85:86]
	v_fma_f64 v[49:50], v[49:50], v[57:58], v[55:56]
	s_waitcnt vmcnt(22) lgkmcnt(1)
	v_mul_f64 v[89:90], v[45:46], v[59:60]
	v_mul_f64 v[59:60], v[43:44], v[59:60]
	v_add_f64 v[1:2], v[1:2], v[83:84]
	v_add_f64 v[3:4], v[3:4], v[87:88]
	s_waitcnt vmcnt(18) lgkmcnt(0)
	v_mul_f64 v[55:56], v[53:54], v[63:64]
	v_mul_f64 v[57:58], v[51:52], v[63:64]
	v_fma_f64 v[63:64], v[43:44], v[61:62], -v[89:90]
	v_fma_f64 v[59:60], v[45:46], v[61:62], v[59:60]
	v_add_f64 v[47:48], v[1:2], v[47:48]
	v_add_f64 v[49:50], v[3:4], v[49:50]
	ds_read_b128 v[1:4], v91 offset:64
	ds_read_b128 v[43:46], v91 offset:80
	s_waitcnt vmcnt(16)
	v_fma_f64 v[51:52], v[51:52], v[65:66], -v[55:56]
	v_fma_f64 v[53:54], v[53:54], v[65:66], v[57:58]
	s_waitcnt vmcnt(12) lgkmcnt(1)
	v_mul_f64 v[61:62], v[3:4], v[67:68]
	v_mul_f64 v[67:68], v[1:2], v[67:68]
	v_add_f64 v[47:48], v[47:48], v[63:64]
	v_add_f64 v[49:50], v[49:50], v[59:60]
	s_waitcnt vmcnt(10) lgkmcnt(0)
	v_mul_f64 v[55:56], v[45:46], v[69:70]
	v_mul_f64 v[57:58], v[43:44], v[69:70]
	s_waitcnt vmcnt(8)
	v_fma_f64 v[59:60], v[1:2], v[73:74], -v[61:62]
	v_fma_f64 v[61:62], v[3:4], v[73:74], v[67:68]
	v_add_f64 v[51:52], v[47:48], v[51:52]
	v_add_f64 v[53:54], v[49:50], v[53:54]
	ds_read_b128 v[1:4], v91 offset:96
	ds_read_b128 v[47:50], v91 offset:112
	v_fma_f64 v[43:44], v[43:44], v[71:72], -v[55:56]
	v_fma_f64 v[45:46], v[45:46], v[71:72], v[57:58]
	s_waitcnt vmcnt(4) lgkmcnt(1)
	v_mul_f64 v[63:64], v[3:4], v[75:76]
	v_mul_f64 v[65:66], v[1:2], v[75:76]
	v_add_f64 v[51:52], v[51:52], v[59:60]
	v_add_f64 v[53:54], v[53:54], v[61:62]
	s_waitcnt vmcnt(2) lgkmcnt(0)
	v_mul_f64 v[55:56], v[49:50], v[77:78]
	v_mul_f64 v[57:58], v[47:48], v[77:78]
	s_waitcnt vmcnt(0)
	v_fma_f64 v[1:2], v[1:2], v[81:82], -v[63:64]
	v_fma_f64 v[3:4], v[3:4], v[81:82], v[65:66]
	v_add_f64 v[43:44], v[51:52], v[43:44]
	v_add_f64 v[45:46], v[53:54], v[45:46]
	v_fma_f64 v[47:48], v[47:48], v[79:80], -v[55:56]
	v_fma_f64 v[49:50], v[49:50], v[79:80], v[57:58]
	v_add_f64 v[1:2], v[43:44], v[1:2]
	v_add_f64 v[3:4], v[45:46], v[3:4]
	v_mov_b32_e32 v43, s73
	s_mov_b32 s73, s74
	v_add_f64 v[1:2], v[1:2], v[47:48]
	v_add_f64 v[3:4], v[3:4], v[49:50]
	s_andn2_b32 exec_lo, exec_lo, s70
	s_cbranch_execnz .LBB60_459
; %bb.460:
	s_or_b32 exec_lo, exec_lo, s70
.LBB60_461:
	s_or_b32 exec_lo, exec_lo, s5
	v_and_b32_e32 v41, 7, v41
	s_mov_b32 s70, 0
	s_mov_b32 s5, exec_lo
	v_cmpx_ne_u32_e32 0, v41
	s_cbranch_execz .LBB60_465
; %bb.462:
	v_lshlrev_b32_e32 v43, 4, v43
	v_add_nc_u32_e32 v42, 0x3d0, v43
	.p2align	6
.LBB60_463:                             ; =>This Inner Loop Header: Depth=1
	s_clause 0x3
	buffer_load_dword v48, v43, s[0:3], 0 offen offset:8
	buffer_load_dword v49, v43, s[0:3], 0 offen offset:12
	buffer_load_dword v50, v43, s[0:3], 0 offen
	buffer_load_dword v51, v43, s[0:3], 0 offen offset:4
	ds_read_b128 v[44:47], v42
	v_add_nc_u32_e32 v41, -1, v41
	v_add_nc_u32_e32 v42, 16, v42
	v_add_nc_u32_e32 v43, 16, v43
	v_cmp_eq_u32_e32 vcc_lo, 0, v41
	s_or_b32 s70, vcc_lo, s70
	s_waitcnt vmcnt(2) lgkmcnt(0)
	v_mul_f64 v[52:53], v[46:47], v[48:49]
	v_mul_f64 v[48:49], v[44:45], v[48:49]
	s_waitcnt vmcnt(0)
	v_fma_f64 v[44:45], v[44:45], v[50:51], -v[52:53]
	v_fma_f64 v[46:47], v[46:47], v[50:51], v[48:49]
	v_add_f64 v[1:2], v[1:2], v[44:45]
	v_add_f64 v[3:4], v[3:4], v[46:47]
	s_andn2_b32 exec_lo, exec_lo, s70
	s_cbranch_execnz .LBB60_463
; %bb.464:
	s_or_b32 exec_lo, exec_lo, s70
.LBB60_465:
	s_or_b32 exec_lo, exec_lo, s5
.LBB60_466:
	s_or_b32 exec_lo, exec_lo, s8
	v_mov_b32_e32 v41, 0
	ds_read_b128 v[41:44], v41 offset:416
	s_waitcnt lgkmcnt(0)
	v_mul_f64 v[45:46], v[3:4], v[43:44]
	v_mul_f64 v[43:44], v[1:2], v[43:44]
	v_fma_f64 v[1:2], v[1:2], v[41:42], -v[45:46]
	v_fma_f64 v[3:4], v[3:4], v[41:42], v[43:44]
	buffer_store_dword v2, off, s[0:3], 0 offset:420
	buffer_store_dword v1, off, s[0:3], 0 offset:416
	;; [unrolled: 1-line block ×4, first 2 shown]
.LBB60_467:
	s_or_b32 exec_lo, exec_lo, s6
	v_mov_b32_e32 v4, s45
	v_cmp_lt_u32_e64 s5, 25, v0
	s_clause 0x3
	buffer_load_dword v1, v4, s[0:3], 0 offen
	buffer_load_dword v2, v4, s[0:3], 0 offen offset:4
	buffer_load_dword v3, v4, s[0:3], 0 offen offset:8
	;; [unrolled: 1-line block ×3, first 2 shown]
	s_waitcnt vmcnt(0)
	ds_write_b128 v40, v[1:4]
	s_waitcnt lgkmcnt(0)
	s_waitcnt_vscnt null, 0x0
	s_barrier
	buffer_gl0_inv
	s_and_saveexec_b32 s6, s5
	s_cbranch_execz .LBB60_481
; %bb.468:
	ds_read_b128 v[1:4], v40
	s_andn2_b32 vcc_lo, exec_lo, s7
	s_cbranch_vccnz .LBB60_470
; %bb.469:
	s_clause 0x3
	buffer_load_dword v41, v39, s[0:3], 0 offen offset:8
	buffer_load_dword v42, v39, s[0:3], 0 offen offset:12
	buffer_load_dword v43, v39, s[0:3], 0 offen
	buffer_load_dword v44, v39, s[0:3], 0 offen offset:4
	s_waitcnt vmcnt(2) lgkmcnt(0)
	v_mul_f64 v[45:46], v[3:4], v[41:42]
	v_mul_f64 v[41:42], v[1:2], v[41:42]
	s_waitcnt vmcnt(0)
	v_fma_f64 v[1:2], v[1:2], v[43:44], -v[45:46]
	v_fma_f64 v[3:4], v[3:4], v[43:44], v[41:42]
.LBB60_470:
	s_and_saveexec_b32 s8, s4
	s_cbranch_execz .LBB60_480
; %bb.471:
	v_subrev_nc_u32_e32 v42, 27, v0
	v_mov_b32_e32 v43, 26
	v_subrev_nc_u32_e32 v41, 26, v0
	s_mov_b32 s4, exec_lo
	v_cmpx_lt_u32_e32 6, v42
	s_cbranch_execz .LBB60_475
; %bb.472:
	v_and_b32_e32 v42, -8, v41
	s_movk_i32 s71, 0x570
	s_mov_b32 s70, 0
	s_mov_b32 s72, s44
	;; [unrolled: 1-line block ×3, first 2 shown]
.LBB60_473:                             ; =>This Inner Loop Header: Depth=1
	v_mov_b32_e32 v43, s72
	v_mov_b32_e32 v91, s71
	s_add_i32 s74, s73, 8
	s_add_i32 s73, s73, 34
	v_cmp_eq_u32_e32 vcc_lo, s74, v42
	s_clause 0x1f
	buffer_load_dword v51, v43, s[0:3], 0 offen offset:8
	buffer_load_dword v52, v43, s[0:3], 0 offen offset:12
	buffer_load_dword v53, v43, s[0:3], 0 offen
	buffer_load_dword v54, v43, s[0:3], 0 offen offset:4
	buffer_load_dword v55, v43, s[0:3], 0 offen offset:24
	;; [unrolled: 1-line block ×29, first 2 shown]
	ds_read_b128 v[43:46], v91
	ds_read_b128 v[47:50], v91 offset:16
	s_addk_i32 s71, 0x80
	s_addk_i32 s72, 0x80
	s_or_b32 s70, vcc_lo, s70
	s_waitcnt vmcnt(30) lgkmcnt(1)
	v_mul_f64 v[83:84], v[45:46], v[51:52]
	v_mul_f64 v[51:52], v[43:44], v[51:52]
	s_waitcnt vmcnt(26) lgkmcnt(0)
	v_mul_f64 v[85:86], v[49:50], v[55:56]
	v_mul_f64 v[55:56], v[47:48], v[55:56]
	v_fma_f64 v[83:84], v[43:44], v[53:54], -v[83:84]
	v_fma_f64 v[87:88], v[45:46], v[53:54], v[51:52]
	ds_read_b128 v[43:46], v91 offset:32
	ds_read_b128 v[51:54], v91 offset:48
	s_waitcnt vmcnt(24)
	v_fma_f64 v[47:48], v[47:48], v[57:58], -v[85:86]
	v_fma_f64 v[49:50], v[49:50], v[57:58], v[55:56]
	s_waitcnt vmcnt(22) lgkmcnt(1)
	v_mul_f64 v[89:90], v[45:46], v[59:60]
	v_mul_f64 v[59:60], v[43:44], v[59:60]
	v_add_f64 v[1:2], v[1:2], v[83:84]
	v_add_f64 v[3:4], v[3:4], v[87:88]
	s_waitcnt vmcnt(18) lgkmcnt(0)
	v_mul_f64 v[55:56], v[53:54], v[63:64]
	v_mul_f64 v[57:58], v[51:52], v[63:64]
	v_fma_f64 v[63:64], v[43:44], v[61:62], -v[89:90]
	v_fma_f64 v[59:60], v[45:46], v[61:62], v[59:60]
	v_add_f64 v[47:48], v[1:2], v[47:48]
	v_add_f64 v[49:50], v[3:4], v[49:50]
	ds_read_b128 v[1:4], v91 offset:64
	ds_read_b128 v[43:46], v91 offset:80
	s_waitcnt vmcnt(16)
	v_fma_f64 v[51:52], v[51:52], v[65:66], -v[55:56]
	v_fma_f64 v[53:54], v[53:54], v[65:66], v[57:58]
	s_waitcnt vmcnt(12) lgkmcnt(1)
	v_mul_f64 v[61:62], v[3:4], v[67:68]
	v_mul_f64 v[67:68], v[1:2], v[67:68]
	v_add_f64 v[47:48], v[47:48], v[63:64]
	v_add_f64 v[49:50], v[49:50], v[59:60]
	s_waitcnt vmcnt(10) lgkmcnt(0)
	v_mul_f64 v[55:56], v[45:46], v[69:70]
	v_mul_f64 v[57:58], v[43:44], v[69:70]
	s_waitcnt vmcnt(8)
	v_fma_f64 v[59:60], v[1:2], v[73:74], -v[61:62]
	v_fma_f64 v[61:62], v[3:4], v[73:74], v[67:68]
	v_add_f64 v[51:52], v[47:48], v[51:52]
	v_add_f64 v[53:54], v[49:50], v[53:54]
	ds_read_b128 v[1:4], v91 offset:96
	ds_read_b128 v[47:50], v91 offset:112
	v_fma_f64 v[43:44], v[43:44], v[71:72], -v[55:56]
	v_fma_f64 v[45:46], v[45:46], v[71:72], v[57:58]
	s_waitcnt vmcnt(4) lgkmcnt(1)
	v_mul_f64 v[63:64], v[3:4], v[75:76]
	v_mul_f64 v[65:66], v[1:2], v[75:76]
	v_add_f64 v[51:52], v[51:52], v[59:60]
	v_add_f64 v[53:54], v[53:54], v[61:62]
	s_waitcnt vmcnt(2) lgkmcnt(0)
	v_mul_f64 v[55:56], v[49:50], v[77:78]
	v_mul_f64 v[57:58], v[47:48], v[77:78]
	s_waitcnt vmcnt(0)
	v_fma_f64 v[1:2], v[1:2], v[81:82], -v[63:64]
	v_fma_f64 v[3:4], v[3:4], v[81:82], v[65:66]
	v_add_f64 v[43:44], v[51:52], v[43:44]
	v_add_f64 v[45:46], v[53:54], v[45:46]
	v_fma_f64 v[47:48], v[47:48], v[79:80], -v[55:56]
	v_fma_f64 v[49:50], v[49:50], v[79:80], v[57:58]
	v_add_f64 v[1:2], v[43:44], v[1:2]
	v_add_f64 v[3:4], v[45:46], v[3:4]
	v_mov_b32_e32 v43, s73
	s_mov_b32 s73, s74
	v_add_f64 v[1:2], v[1:2], v[47:48]
	v_add_f64 v[3:4], v[3:4], v[49:50]
	s_andn2_b32 exec_lo, exec_lo, s70
	s_cbranch_execnz .LBB60_473
; %bb.474:
	s_or_b32 exec_lo, exec_lo, s70
.LBB60_475:
	s_or_b32 exec_lo, exec_lo, s4
	v_and_b32_e32 v41, 7, v41
	s_mov_b32 s70, 0
	s_mov_b32 s4, exec_lo
	v_cmpx_ne_u32_e32 0, v41
	s_cbranch_execz .LBB60_479
; %bb.476:
	v_lshlrev_b32_e32 v43, 4, v43
	v_add_nc_u32_e32 v42, 0x3d0, v43
	.p2align	6
.LBB60_477:                             ; =>This Inner Loop Header: Depth=1
	s_clause 0x3
	buffer_load_dword v48, v43, s[0:3], 0 offen offset:8
	buffer_load_dword v49, v43, s[0:3], 0 offen offset:12
	buffer_load_dword v50, v43, s[0:3], 0 offen
	buffer_load_dword v51, v43, s[0:3], 0 offen offset:4
	ds_read_b128 v[44:47], v42
	v_add_nc_u32_e32 v41, -1, v41
	v_add_nc_u32_e32 v42, 16, v42
	v_add_nc_u32_e32 v43, 16, v43
	v_cmp_eq_u32_e32 vcc_lo, 0, v41
	s_or_b32 s70, vcc_lo, s70
	s_waitcnt vmcnt(2) lgkmcnt(0)
	v_mul_f64 v[52:53], v[46:47], v[48:49]
	v_mul_f64 v[48:49], v[44:45], v[48:49]
	s_waitcnt vmcnt(0)
	v_fma_f64 v[44:45], v[44:45], v[50:51], -v[52:53]
	v_fma_f64 v[46:47], v[46:47], v[50:51], v[48:49]
	v_add_f64 v[1:2], v[1:2], v[44:45]
	v_add_f64 v[3:4], v[3:4], v[46:47]
	s_andn2_b32 exec_lo, exec_lo, s70
	s_cbranch_execnz .LBB60_477
; %bb.478:
	s_or_b32 exec_lo, exec_lo, s70
.LBB60_479:
	s_or_b32 exec_lo, exec_lo, s4
.LBB60_480:
	s_or_b32 exec_lo, exec_lo, s8
	v_mov_b32_e32 v41, 0
	ds_read_b128 v[41:44], v41 offset:400
	s_waitcnt lgkmcnt(0)
	v_mul_f64 v[45:46], v[3:4], v[43:44]
	v_mul_f64 v[43:44], v[1:2], v[43:44]
	v_fma_f64 v[1:2], v[1:2], v[41:42], -v[45:46]
	v_fma_f64 v[3:4], v[3:4], v[41:42], v[43:44]
	buffer_store_dword v2, off, s[0:3], 0 offset:404
	buffer_store_dword v1, off, s[0:3], 0 offset:400
	buffer_store_dword v4, off, s[0:3], 0 offset:412
	buffer_store_dword v3, off, s[0:3], 0 offset:408
.LBB60_481:
	s_or_b32 exec_lo, exec_lo, s6
	v_mov_b32_e32 v4, s46
	v_cmp_lt_u32_e64 s4, 24, v0
	s_clause 0x3
	buffer_load_dword v1, v4, s[0:3], 0 offen
	buffer_load_dword v2, v4, s[0:3], 0 offen offset:4
	buffer_load_dword v3, v4, s[0:3], 0 offen offset:8
	;; [unrolled: 1-line block ×3, first 2 shown]
	s_waitcnt vmcnt(0)
	ds_write_b128 v40, v[1:4]
	s_waitcnt lgkmcnt(0)
	s_waitcnt_vscnt null, 0x0
	s_barrier
	buffer_gl0_inv
	s_and_saveexec_b32 s6, s4
	s_cbranch_execz .LBB60_495
; %bb.482:
	ds_read_b128 v[1:4], v40
	s_andn2_b32 vcc_lo, exec_lo, s7
	s_cbranch_vccnz .LBB60_484
; %bb.483:
	s_clause 0x3
	buffer_load_dword v41, v39, s[0:3], 0 offen offset:8
	buffer_load_dword v42, v39, s[0:3], 0 offen offset:12
	buffer_load_dword v43, v39, s[0:3], 0 offen
	buffer_load_dword v44, v39, s[0:3], 0 offen offset:4
	s_waitcnt vmcnt(2) lgkmcnt(0)
	v_mul_f64 v[45:46], v[3:4], v[41:42]
	v_mul_f64 v[41:42], v[1:2], v[41:42]
	s_waitcnt vmcnt(0)
	v_fma_f64 v[1:2], v[1:2], v[43:44], -v[45:46]
	v_fma_f64 v[3:4], v[3:4], v[43:44], v[41:42]
.LBB60_484:
	s_and_saveexec_b32 s8, s5
	s_cbranch_execz .LBB60_494
; %bb.485:
	v_subrev_nc_u32_e32 v42, 26, v0
	v_mov_b32_e32 v43, 25
	v_subrev_nc_u32_e32 v41, 25, v0
	s_mov_b32 s5, exec_lo
	v_cmpx_lt_u32_e32 6, v42
	s_cbranch_execz .LBB60_489
; %bb.486:
	v_and_b32_e32 v42, -8, v41
	s_movk_i32 s71, 0x560
	s_mov_b32 s70, 0
	s_mov_b32 s72, s45
	;; [unrolled: 1-line block ×3, first 2 shown]
.LBB60_487:                             ; =>This Inner Loop Header: Depth=1
	v_mov_b32_e32 v43, s72
	v_mov_b32_e32 v91, s71
	s_add_i32 s74, s73, 8
	s_add_i32 s73, s73, 33
	v_cmp_eq_u32_e32 vcc_lo, s74, v42
	s_clause 0x1f
	buffer_load_dword v51, v43, s[0:3], 0 offen offset:8
	buffer_load_dword v52, v43, s[0:3], 0 offen offset:12
	buffer_load_dword v53, v43, s[0:3], 0 offen
	buffer_load_dword v54, v43, s[0:3], 0 offen offset:4
	buffer_load_dword v55, v43, s[0:3], 0 offen offset:24
	;; [unrolled: 1-line block ×29, first 2 shown]
	ds_read_b128 v[43:46], v91
	ds_read_b128 v[47:50], v91 offset:16
	s_addk_i32 s71, 0x80
	s_addk_i32 s72, 0x80
	s_or_b32 s70, vcc_lo, s70
	s_waitcnt vmcnt(30) lgkmcnt(1)
	v_mul_f64 v[83:84], v[45:46], v[51:52]
	v_mul_f64 v[51:52], v[43:44], v[51:52]
	s_waitcnt vmcnt(26) lgkmcnt(0)
	v_mul_f64 v[85:86], v[49:50], v[55:56]
	v_mul_f64 v[55:56], v[47:48], v[55:56]
	v_fma_f64 v[83:84], v[43:44], v[53:54], -v[83:84]
	v_fma_f64 v[87:88], v[45:46], v[53:54], v[51:52]
	ds_read_b128 v[43:46], v91 offset:32
	ds_read_b128 v[51:54], v91 offset:48
	s_waitcnt vmcnt(24)
	v_fma_f64 v[47:48], v[47:48], v[57:58], -v[85:86]
	v_fma_f64 v[49:50], v[49:50], v[57:58], v[55:56]
	s_waitcnt vmcnt(22) lgkmcnt(1)
	v_mul_f64 v[89:90], v[45:46], v[59:60]
	v_mul_f64 v[59:60], v[43:44], v[59:60]
	v_add_f64 v[1:2], v[1:2], v[83:84]
	v_add_f64 v[3:4], v[3:4], v[87:88]
	s_waitcnt vmcnt(18) lgkmcnt(0)
	v_mul_f64 v[55:56], v[53:54], v[63:64]
	v_mul_f64 v[57:58], v[51:52], v[63:64]
	v_fma_f64 v[63:64], v[43:44], v[61:62], -v[89:90]
	v_fma_f64 v[59:60], v[45:46], v[61:62], v[59:60]
	v_add_f64 v[47:48], v[1:2], v[47:48]
	v_add_f64 v[49:50], v[3:4], v[49:50]
	ds_read_b128 v[1:4], v91 offset:64
	ds_read_b128 v[43:46], v91 offset:80
	s_waitcnt vmcnt(16)
	v_fma_f64 v[51:52], v[51:52], v[65:66], -v[55:56]
	v_fma_f64 v[53:54], v[53:54], v[65:66], v[57:58]
	s_waitcnt vmcnt(12) lgkmcnt(1)
	v_mul_f64 v[61:62], v[3:4], v[67:68]
	v_mul_f64 v[67:68], v[1:2], v[67:68]
	v_add_f64 v[47:48], v[47:48], v[63:64]
	v_add_f64 v[49:50], v[49:50], v[59:60]
	s_waitcnt vmcnt(10) lgkmcnt(0)
	v_mul_f64 v[55:56], v[45:46], v[69:70]
	v_mul_f64 v[57:58], v[43:44], v[69:70]
	s_waitcnt vmcnt(8)
	v_fma_f64 v[59:60], v[1:2], v[73:74], -v[61:62]
	v_fma_f64 v[61:62], v[3:4], v[73:74], v[67:68]
	v_add_f64 v[51:52], v[47:48], v[51:52]
	v_add_f64 v[53:54], v[49:50], v[53:54]
	ds_read_b128 v[1:4], v91 offset:96
	ds_read_b128 v[47:50], v91 offset:112
	v_fma_f64 v[43:44], v[43:44], v[71:72], -v[55:56]
	v_fma_f64 v[45:46], v[45:46], v[71:72], v[57:58]
	s_waitcnt vmcnt(4) lgkmcnt(1)
	v_mul_f64 v[63:64], v[3:4], v[75:76]
	v_mul_f64 v[65:66], v[1:2], v[75:76]
	v_add_f64 v[51:52], v[51:52], v[59:60]
	v_add_f64 v[53:54], v[53:54], v[61:62]
	s_waitcnt vmcnt(2) lgkmcnt(0)
	v_mul_f64 v[55:56], v[49:50], v[77:78]
	v_mul_f64 v[57:58], v[47:48], v[77:78]
	s_waitcnt vmcnt(0)
	v_fma_f64 v[1:2], v[1:2], v[81:82], -v[63:64]
	v_fma_f64 v[3:4], v[3:4], v[81:82], v[65:66]
	v_add_f64 v[43:44], v[51:52], v[43:44]
	v_add_f64 v[45:46], v[53:54], v[45:46]
	v_fma_f64 v[47:48], v[47:48], v[79:80], -v[55:56]
	v_fma_f64 v[49:50], v[49:50], v[79:80], v[57:58]
	v_add_f64 v[1:2], v[43:44], v[1:2]
	v_add_f64 v[3:4], v[45:46], v[3:4]
	v_mov_b32_e32 v43, s73
	s_mov_b32 s73, s74
	v_add_f64 v[1:2], v[1:2], v[47:48]
	v_add_f64 v[3:4], v[3:4], v[49:50]
	s_andn2_b32 exec_lo, exec_lo, s70
	s_cbranch_execnz .LBB60_487
; %bb.488:
	s_or_b32 exec_lo, exec_lo, s70
.LBB60_489:
	s_or_b32 exec_lo, exec_lo, s5
	v_and_b32_e32 v41, 7, v41
	s_mov_b32 s70, 0
	s_mov_b32 s5, exec_lo
	v_cmpx_ne_u32_e32 0, v41
	s_cbranch_execz .LBB60_493
; %bb.490:
	v_lshlrev_b32_e32 v43, 4, v43
	v_add_nc_u32_e32 v42, 0x3d0, v43
	.p2align	6
.LBB60_491:                             ; =>This Inner Loop Header: Depth=1
	s_clause 0x3
	buffer_load_dword v48, v43, s[0:3], 0 offen offset:8
	buffer_load_dword v49, v43, s[0:3], 0 offen offset:12
	buffer_load_dword v50, v43, s[0:3], 0 offen
	buffer_load_dword v51, v43, s[0:3], 0 offen offset:4
	ds_read_b128 v[44:47], v42
	v_add_nc_u32_e32 v41, -1, v41
	v_add_nc_u32_e32 v42, 16, v42
	v_add_nc_u32_e32 v43, 16, v43
	v_cmp_eq_u32_e32 vcc_lo, 0, v41
	s_or_b32 s70, vcc_lo, s70
	s_waitcnt vmcnt(2) lgkmcnt(0)
	v_mul_f64 v[52:53], v[46:47], v[48:49]
	v_mul_f64 v[48:49], v[44:45], v[48:49]
	s_waitcnt vmcnt(0)
	v_fma_f64 v[44:45], v[44:45], v[50:51], -v[52:53]
	v_fma_f64 v[46:47], v[46:47], v[50:51], v[48:49]
	v_add_f64 v[1:2], v[1:2], v[44:45]
	v_add_f64 v[3:4], v[3:4], v[46:47]
	s_andn2_b32 exec_lo, exec_lo, s70
	s_cbranch_execnz .LBB60_491
; %bb.492:
	s_or_b32 exec_lo, exec_lo, s70
.LBB60_493:
	s_or_b32 exec_lo, exec_lo, s5
.LBB60_494:
	s_or_b32 exec_lo, exec_lo, s8
	v_mov_b32_e32 v41, 0
	ds_read_b128 v[41:44], v41 offset:384
	s_waitcnt lgkmcnt(0)
	v_mul_f64 v[45:46], v[3:4], v[43:44]
	v_mul_f64 v[43:44], v[1:2], v[43:44]
	v_fma_f64 v[1:2], v[1:2], v[41:42], -v[45:46]
	v_fma_f64 v[3:4], v[3:4], v[41:42], v[43:44]
	buffer_store_dword v2, off, s[0:3], 0 offset:388
	buffer_store_dword v1, off, s[0:3], 0 offset:384
	;; [unrolled: 1-line block ×4, first 2 shown]
.LBB60_495:
	s_or_b32 exec_lo, exec_lo, s6
	v_mov_b32_e32 v4, s47
	v_cmp_lt_u32_e64 s5, 23, v0
	s_clause 0x3
	buffer_load_dword v1, v4, s[0:3], 0 offen
	buffer_load_dword v2, v4, s[0:3], 0 offen offset:4
	buffer_load_dword v3, v4, s[0:3], 0 offen offset:8
	;; [unrolled: 1-line block ×3, first 2 shown]
	s_waitcnt vmcnt(0)
	ds_write_b128 v40, v[1:4]
	s_waitcnt lgkmcnt(0)
	s_waitcnt_vscnt null, 0x0
	s_barrier
	buffer_gl0_inv
	s_and_saveexec_b32 s6, s5
	s_cbranch_execz .LBB60_509
; %bb.496:
	ds_read_b128 v[1:4], v40
	s_andn2_b32 vcc_lo, exec_lo, s7
	s_cbranch_vccnz .LBB60_498
; %bb.497:
	s_clause 0x3
	buffer_load_dword v41, v39, s[0:3], 0 offen offset:8
	buffer_load_dword v42, v39, s[0:3], 0 offen offset:12
	buffer_load_dword v43, v39, s[0:3], 0 offen
	buffer_load_dword v44, v39, s[0:3], 0 offen offset:4
	s_waitcnt vmcnt(2) lgkmcnt(0)
	v_mul_f64 v[45:46], v[3:4], v[41:42]
	v_mul_f64 v[41:42], v[1:2], v[41:42]
	s_waitcnt vmcnt(0)
	v_fma_f64 v[1:2], v[1:2], v[43:44], -v[45:46]
	v_fma_f64 v[3:4], v[3:4], v[43:44], v[41:42]
.LBB60_498:
	s_and_saveexec_b32 s8, s4
	s_cbranch_execz .LBB60_508
; %bb.499:
	v_subrev_nc_u32_e32 v41, 25, v0
	v_cmp_lt_u32_e32 vcc_lo, 6, v41
	v_mov_b32_e32 v41, 24
	s_and_saveexec_b32 s4, vcc_lo
	s_cbranch_execz .LBB60_503
; %bb.500:
	v_and_b32_e32 v41, 56, v0
	s_mov_b32 s70, 24
	s_movk_i32 s72, 0x550
	s_mov_b32 s71, 0
	s_mov_b32 s73, s46
.LBB60_501:                             ; =>This Inner Loop Header: Depth=1
	v_mov_b32_e32 v42, s73
	v_mov_b32_e32 v90, s72
	s_add_i32 s70, s70, 8
	s_addk_i32 s72, 0x80
	v_cmp_eq_u32_e32 vcc_lo, s70, v41
	s_clause 0x1f
	buffer_load_dword v50, v42, s[0:3], 0 offen offset:8
	buffer_load_dword v51, v42, s[0:3], 0 offen offset:12
	buffer_load_dword v52, v42, s[0:3], 0 offen
	buffer_load_dword v53, v42, s[0:3], 0 offen offset:4
	buffer_load_dword v54, v42, s[0:3], 0 offen offset:24
	;; [unrolled: 1-line block ×29, first 2 shown]
	ds_read_b128 v[42:45], v90
	ds_read_b128 v[46:49], v90 offset:16
	s_addk_i32 s73, 0x80
	s_or_b32 s71, vcc_lo, s71
	s_waitcnt vmcnt(30) lgkmcnt(1)
	v_mul_f64 v[82:83], v[44:45], v[50:51]
	v_mul_f64 v[50:51], v[42:43], v[50:51]
	s_waitcnt vmcnt(26) lgkmcnt(0)
	v_mul_f64 v[84:85], v[48:49], v[54:55]
	v_mul_f64 v[54:55], v[46:47], v[54:55]
	v_fma_f64 v[82:83], v[42:43], v[52:53], -v[82:83]
	v_fma_f64 v[86:87], v[44:45], v[52:53], v[50:51]
	ds_read_b128 v[42:45], v90 offset:32
	ds_read_b128 v[50:53], v90 offset:48
	s_waitcnt vmcnt(24)
	v_fma_f64 v[46:47], v[46:47], v[56:57], -v[84:85]
	v_fma_f64 v[48:49], v[48:49], v[56:57], v[54:55]
	s_waitcnt vmcnt(22) lgkmcnt(1)
	v_mul_f64 v[88:89], v[44:45], v[58:59]
	v_mul_f64 v[58:59], v[42:43], v[58:59]
	v_add_f64 v[1:2], v[1:2], v[82:83]
	v_add_f64 v[3:4], v[3:4], v[86:87]
	s_waitcnt vmcnt(18) lgkmcnt(0)
	v_mul_f64 v[54:55], v[52:53], v[62:63]
	v_mul_f64 v[56:57], v[50:51], v[62:63]
	v_fma_f64 v[62:63], v[42:43], v[60:61], -v[88:89]
	v_fma_f64 v[58:59], v[44:45], v[60:61], v[58:59]
	v_add_f64 v[46:47], v[1:2], v[46:47]
	v_add_f64 v[48:49], v[3:4], v[48:49]
	ds_read_b128 v[1:4], v90 offset:64
	ds_read_b128 v[42:45], v90 offset:80
	s_waitcnt vmcnt(16)
	v_fma_f64 v[50:51], v[50:51], v[64:65], -v[54:55]
	v_fma_f64 v[52:53], v[52:53], v[64:65], v[56:57]
	s_waitcnt vmcnt(12) lgkmcnt(1)
	v_mul_f64 v[60:61], v[3:4], v[66:67]
	v_mul_f64 v[66:67], v[1:2], v[66:67]
	v_add_f64 v[46:47], v[46:47], v[62:63]
	v_add_f64 v[48:49], v[48:49], v[58:59]
	s_waitcnt vmcnt(10) lgkmcnt(0)
	v_mul_f64 v[54:55], v[44:45], v[68:69]
	v_mul_f64 v[56:57], v[42:43], v[68:69]
	s_waitcnt vmcnt(8)
	v_fma_f64 v[58:59], v[1:2], v[72:73], -v[60:61]
	v_fma_f64 v[60:61], v[3:4], v[72:73], v[66:67]
	v_add_f64 v[50:51], v[46:47], v[50:51]
	v_add_f64 v[52:53], v[48:49], v[52:53]
	ds_read_b128 v[1:4], v90 offset:96
	ds_read_b128 v[46:49], v90 offset:112
	v_fma_f64 v[42:43], v[42:43], v[70:71], -v[54:55]
	v_fma_f64 v[44:45], v[44:45], v[70:71], v[56:57]
	s_waitcnt vmcnt(4) lgkmcnt(1)
	v_mul_f64 v[62:63], v[3:4], v[74:75]
	v_mul_f64 v[64:65], v[1:2], v[74:75]
	v_add_f64 v[50:51], v[50:51], v[58:59]
	v_add_f64 v[52:53], v[52:53], v[60:61]
	s_waitcnt vmcnt(2) lgkmcnt(0)
	v_mul_f64 v[54:55], v[48:49], v[76:77]
	v_mul_f64 v[56:57], v[46:47], v[76:77]
	s_waitcnt vmcnt(0)
	v_fma_f64 v[1:2], v[1:2], v[80:81], -v[62:63]
	v_fma_f64 v[3:4], v[3:4], v[80:81], v[64:65]
	v_add_f64 v[42:43], v[50:51], v[42:43]
	v_add_f64 v[44:45], v[52:53], v[44:45]
	v_fma_f64 v[46:47], v[46:47], v[78:79], -v[54:55]
	v_fma_f64 v[48:49], v[48:49], v[78:79], v[56:57]
	v_add_f64 v[1:2], v[42:43], v[1:2]
	v_add_f64 v[3:4], v[44:45], v[3:4]
	;; [unrolled: 1-line block ×4, first 2 shown]
	s_andn2_b32 exec_lo, exec_lo, s71
	s_cbranch_execnz .LBB60_501
; %bb.502:
	s_or_b32 exec_lo, exec_lo, s71
.LBB60_503:
	s_or_b32 exec_lo, exec_lo, s4
	v_and_b32_e32 v42, 7, v0
	s_mov_b32 s70, 0
	s_mov_b32 s4, exec_lo
	v_cmpx_ne_u32_e32 0, v42
	s_cbranch_execz .LBB60_507
; %bb.504:
	v_lshlrev_b32_e32 v43, 4, v41
	v_add_nc_u32_e32 v41, 0x3d0, v43
	.p2align	6
.LBB60_505:                             ; =>This Inner Loop Header: Depth=1
	s_clause 0x3
	buffer_load_dword v48, v43, s[0:3], 0 offen offset:8
	buffer_load_dword v49, v43, s[0:3], 0 offen offset:12
	buffer_load_dword v50, v43, s[0:3], 0 offen
	buffer_load_dword v51, v43, s[0:3], 0 offen offset:4
	ds_read_b128 v[44:47], v41
	v_add_nc_u32_e32 v42, -1, v42
	v_add_nc_u32_e32 v41, 16, v41
	v_add_nc_u32_e32 v43, 16, v43
	v_cmp_eq_u32_e32 vcc_lo, 0, v42
	s_or_b32 s70, vcc_lo, s70
	s_waitcnt vmcnt(2) lgkmcnt(0)
	v_mul_f64 v[52:53], v[46:47], v[48:49]
	v_mul_f64 v[48:49], v[44:45], v[48:49]
	s_waitcnt vmcnt(0)
	v_fma_f64 v[44:45], v[44:45], v[50:51], -v[52:53]
	v_fma_f64 v[46:47], v[46:47], v[50:51], v[48:49]
	v_add_f64 v[1:2], v[1:2], v[44:45]
	v_add_f64 v[3:4], v[3:4], v[46:47]
	s_andn2_b32 exec_lo, exec_lo, s70
	s_cbranch_execnz .LBB60_505
; %bb.506:
	s_or_b32 exec_lo, exec_lo, s70
.LBB60_507:
	s_or_b32 exec_lo, exec_lo, s4
.LBB60_508:
	s_or_b32 exec_lo, exec_lo, s8
	v_mov_b32_e32 v41, 0
	ds_read_b128 v[41:44], v41 offset:368
	s_waitcnt lgkmcnt(0)
	v_mul_f64 v[45:46], v[3:4], v[43:44]
	v_mul_f64 v[43:44], v[1:2], v[43:44]
	v_fma_f64 v[1:2], v[1:2], v[41:42], -v[45:46]
	v_fma_f64 v[3:4], v[3:4], v[41:42], v[43:44]
	buffer_store_dword v2, off, s[0:3], 0 offset:372
	buffer_store_dword v1, off, s[0:3], 0 offset:368
	;; [unrolled: 1-line block ×4, first 2 shown]
.LBB60_509:
	s_or_b32 exec_lo, exec_lo, s6
	v_mov_b32_e32 v4, s48
	v_cmp_lt_u32_e64 s4, 22, v0
	s_clause 0x3
	buffer_load_dword v1, v4, s[0:3], 0 offen
	buffer_load_dword v2, v4, s[0:3], 0 offen offset:4
	buffer_load_dword v3, v4, s[0:3], 0 offen offset:8
	;; [unrolled: 1-line block ×3, first 2 shown]
	s_waitcnt vmcnt(0)
	ds_write_b128 v40, v[1:4]
	s_waitcnt lgkmcnt(0)
	s_waitcnt_vscnt null, 0x0
	s_barrier
	buffer_gl0_inv
	s_and_saveexec_b32 s6, s4
	s_cbranch_execz .LBB60_523
; %bb.510:
	ds_read_b128 v[1:4], v40
	s_andn2_b32 vcc_lo, exec_lo, s7
	s_cbranch_vccnz .LBB60_512
; %bb.511:
	s_clause 0x3
	buffer_load_dword v41, v39, s[0:3], 0 offen offset:8
	buffer_load_dword v42, v39, s[0:3], 0 offen offset:12
	buffer_load_dword v43, v39, s[0:3], 0 offen
	buffer_load_dword v44, v39, s[0:3], 0 offen offset:4
	s_waitcnt vmcnt(2) lgkmcnt(0)
	v_mul_f64 v[45:46], v[3:4], v[41:42]
	v_mul_f64 v[41:42], v[1:2], v[41:42]
	s_waitcnt vmcnt(0)
	v_fma_f64 v[1:2], v[1:2], v[43:44], -v[45:46]
	v_fma_f64 v[3:4], v[3:4], v[43:44], v[41:42]
.LBB60_512:
	s_and_saveexec_b32 s8, s5
	s_cbranch_execz .LBB60_522
; %bb.513:
	v_subrev_nc_u32_e32 v42, 24, v0
	v_mov_b32_e32 v43, 23
	v_subrev_nc_u32_e32 v41, 23, v0
	s_mov_b32 s5, exec_lo
	v_cmpx_lt_u32_e32 6, v42
	s_cbranch_execz .LBB60_517
; %bb.514:
	v_and_b32_e32 v42, -8, v41
	s_movk_i32 s71, 0x540
	s_mov_b32 s70, 0
	s_mov_b32 s72, s47
	;; [unrolled: 1-line block ×3, first 2 shown]
.LBB60_515:                             ; =>This Inner Loop Header: Depth=1
	v_mov_b32_e32 v43, s72
	v_mov_b32_e32 v91, s71
	s_add_i32 s74, s73, 8
	s_add_i32 s73, s73, 31
	v_cmp_eq_u32_e32 vcc_lo, s74, v42
	s_clause 0x1f
	buffer_load_dword v51, v43, s[0:3], 0 offen offset:8
	buffer_load_dword v52, v43, s[0:3], 0 offen offset:12
	buffer_load_dword v53, v43, s[0:3], 0 offen
	buffer_load_dword v54, v43, s[0:3], 0 offen offset:4
	buffer_load_dword v55, v43, s[0:3], 0 offen offset:24
	;; [unrolled: 1-line block ×29, first 2 shown]
	ds_read_b128 v[43:46], v91
	ds_read_b128 v[47:50], v91 offset:16
	s_addk_i32 s71, 0x80
	s_addk_i32 s72, 0x80
	s_or_b32 s70, vcc_lo, s70
	s_waitcnt vmcnt(30) lgkmcnt(1)
	v_mul_f64 v[83:84], v[45:46], v[51:52]
	v_mul_f64 v[51:52], v[43:44], v[51:52]
	s_waitcnt vmcnt(26) lgkmcnt(0)
	v_mul_f64 v[85:86], v[49:50], v[55:56]
	v_mul_f64 v[55:56], v[47:48], v[55:56]
	v_fma_f64 v[83:84], v[43:44], v[53:54], -v[83:84]
	v_fma_f64 v[87:88], v[45:46], v[53:54], v[51:52]
	ds_read_b128 v[43:46], v91 offset:32
	ds_read_b128 v[51:54], v91 offset:48
	s_waitcnt vmcnt(24)
	v_fma_f64 v[47:48], v[47:48], v[57:58], -v[85:86]
	v_fma_f64 v[49:50], v[49:50], v[57:58], v[55:56]
	s_waitcnt vmcnt(22) lgkmcnt(1)
	v_mul_f64 v[89:90], v[45:46], v[59:60]
	v_mul_f64 v[59:60], v[43:44], v[59:60]
	v_add_f64 v[1:2], v[1:2], v[83:84]
	v_add_f64 v[3:4], v[3:4], v[87:88]
	s_waitcnt vmcnt(18) lgkmcnt(0)
	v_mul_f64 v[55:56], v[53:54], v[63:64]
	v_mul_f64 v[57:58], v[51:52], v[63:64]
	v_fma_f64 v[63:64], v[43:44], v[61:62], -v[89:90]
	v_fma_f64 v[59:60], v[45:46], v[61:62], v[59:60]
	v_add_f64 v[47:48], v[1:2], v[47:48]
	v_add_f64 v[49:50], v[3:4], v[49:50]
	ds_read_b128 v[1:4], v91 offset:64
	ds_read_b128 v[43:46], v91 offset:80
	s_waitcnt vmcnt(16)
	v_fma_f64 v[51:52], v[51:52], v[65:66], -v[55:56]
	v_fma_f64 v[53:54], v[53:54], v[65:66], v[57:58]
	s_waitcnt vmcnt(12) lgkmcnt(1)
	v_mul_f64 v[61:62], v[3:4], v[67:68]
	v_mul_f64 v[67:68], v[1:2], v[67:68]
	v_add_f64 v[47:48], v[47:48], v[63:64]
	v_add_f64 v[49:50], v[49:50], v[59:60]
	s_waitcnt vmcnt(10) lgkmcnt(0)
	v_mul_f64 v[55:56], v[45:46], v[69:70]
	v_mul_f64 v[57:58], v[43:44], v[69:70]
	s_waitcnt vmcnt(8)
	v_fma_f64 v[59:60], v[1:2], v[73:74], -v[61:62]
	v_fma_f64 v[61:62], v[3:4], v[73:74], v[67:68]
	v_add_f64 v[51:52], v[47:48], v[51:52]
	v_add_f64 v[53:54], v[49:50], v[53:54]
	ds_read_b128 v[1:4], v91 offset:96
	ds_read_b128 v[47:50], v91 offset:112
	v_fma_f64 v[43:44], v[43:44], v[71:72], -v[55:56]
	v_fma_f64 v[45:46], v[45:46], v[71:72], v[57:58]
	s_waitcnt vmcnt(4) lgkmcnt(1)
	v_mul_f64 v[63:64], v[3:4], v[75:76]
	v_mul_f64 v[65:66], v[1:2], v[75:76]
	v_add_f64 v[51:52], v[51:52], v[59:60]
	v_add_f64 v[53:54], v[53:54], v[61:62]
	s_waitcnt vmcnt(2) lgkmcnt(0)
	v_mul_f64 v[55:56], v[49:50], v[77:78]
	v_mul_f64 v[57:58], v[47:48], v[77:78]
	s_waitcnt vmcnt(0)
	v_fma_f64 v[1:2], v[1:2], v[81:82], -v[63:64]
	v_fma_f64 v[3:4], v[3:4], v[81:82], v[65:66]
	v_add_f64 v[43:44], v[51:52], v[43:44]
	v_add_f64 v[45:46], v[53:54], v[45:46]
	v_fma_f64 v[47:48], v[47:48], v[79:80], -v[55:56]
	v_fma_f64 v[49:50], v[49:50], v[79:80], v[57:58]
	v_add_f64 v[1:2], v[43:44], v[1:2]
	v_add_f64 v[3:4], v[45:46], v[3:4]
	v_mov_b32_e32 v43, s73
	s_mov_b32 s73, s74
	v_add_f64 v[1:2], v[1:2], v[47:48]
	v_add_f64 v[3:4], v[3:4], v[49:50]
	s_andn2_b32 exec_lo, exec_lo, s70
	s_cbranch_execnz .LBB60_515
; %bb.516:
	s_or_b32 exec_lo, exec_lo, s70
.LBB60_517:
	s_or_b32 exec_lo, exec_lo, s5
	v_and_b32_e32 v41, 7, v41
	s_mov_b32 s70, 0
	s_mov_b32 s5, exec_lo
	v_cmpx_ne_u32_e32 0, v41
	s_cbranch_execz .LBB60_521
; %bb.518:
	v_lshlrev_b32_e32 v43, 4, v43
	v_add_nc_u32_e32 v42, 0x3d0, v43
	.p2align	6
.LBB60_519:                             ; =>This Inner Loop Header: Depth=1
	s_clause 0x3
	buffer_load_dword v48, v43, s[0:3], 0 offen offset:8
	buffer_load_dword v49, v43, s[0:3], 0 offen offset:12
	buffer_load_dword v50, v43, s[0:3], 0 offen
	buffer_load_dword v51, v43, s[0:3], 0 offen offset:4
	ds_read_b128 v[44:47], v42
	v_add_nc_u32_e32 v41, -1, v41
	v_add_nc_u32_e32 v42, 16, v42
	v_add_nc_u32_e32 v43, 16, v43
	v_cmp_eq_u32_e32 vcc_lo, 0, v41
	s_or_b32 s70, vcc_lo, s70
	s_waitcnt vmcnt(2) lgkmcnt(0)
	v_mul_f64 v[52:53], v[46:47], v[48:49]
	v_mul_f64 v[48:49], v[44:45], v[48:49]
	s_waitcnt vmcnt(0)
	v_fma_f64 v[44:45], v[44:45], v[50:51], -v[52:53]
	v_fma_f64 v[46:47], v[46:47], v[50:51], v[48:49]
	v_add_f64 v[1:2], v[1:2], v[44:45]
	v_add_f64 v[3:4], v[3:4], v[46:47]
	s_andn2_b32 exec_lo, exec_lo, s70
	s_cbranch_execnz .LBB60_519
; %bb.520:
	s_or_b32 exec_lo, exec_lo, s70
.LBB60_521:
	s_or_b32 exec_lo, exec_lo, s5
.LBB60_522:
	s_or_b32 exec_lo, exec_lo, s8
	v_mov_b32_e32 v41, 0
	ds_read_b128 v[41:44], v41 offset:352
	s_waitcnt lgkmcnt(0)
	v_mul_f64 v[45:46], v[3:4], v[43:44]
	v_mul_f64 v[43:44], v[1:2], v[43:44]
	v_fma_f64 v[1:2], v[1:2], v[41:42], -v[45:46]
	v_fma_f64 v[3:4], v[3:4], v[41:42], v[43:44]
	buffer_store_dword v2, off, s[0:3], 0 offset:356
	buffer_store_dword v1, off, s[0:3], 0 offset:352
	;; [unrolled: 1-line block ×4, first 2 shown]
.LBB60_523:
	s_or_b32 exec_lo, exec_lo, s6
	v_mov_b32_e32 v4, s49
	v_cmp_lt_u32_e64 s5, 21, v0
	s_clause 0x3
	buffer_load_dword v1, v4, s[0:3], 0 offen
	buffer_load_dword v2, v4, s[0:3], 0 offen offset:4
	buffer_load_dword v3, v4, s[0:3], 0 offen offset:8
	;; [unrolled: 1-line block ×3, first 2 shown]
	s_waitcnt vmcnt(0)
	ds_write_b128 v40, v[1:4]
	s_waitcnt lgkmcnt(0)
	s_waitcnt_vscnt null, 0x0
	s_barrier
	buffer_gl0_inv
	s_and_saveexec_b32 s6, s5
	s_cbranch_execz .LBB60_537
; %bb.524:
	ds_read_b128 v[1:4], v40
	s_andn2_b32 vcc_lo, exec_lo, s7
	s_cbranch_vccnz .LBB60_526
; %bb.525:
	s_clause 0x3
	buffer_load_dword v41, v39, s[0:3], 0 offen offset:8
	buffer_load_dword v42, v39, s[0:3], 0 offen offset:12
	buffer_load_dword v43, v39, s[0:3], 0 offen
	buffer_load_dword v44, v39, s[0:3], 0 offen offset:4
	s_waitcnt vmcnt(2) lgkmcnt(0)
	v_mul_f64 v[45:46], v[3:4], v[41:42]
	v_mul_f64 v[41:42], v[1:2], v[41:42]
	s_waitcnt vmcnt(0)
	v_fma_f64 v[1:2], v[1:2], v[43:44], -v[45:46]
	v_fma_f64 v[3:4], v[3:4], v[43:44], v[41:42]
.LBB60_526:
	s_and_saveexec_b32 s8, s4
	s_cbranch_execz .LBB60_536
; %bb.527:
	v_subrev_nc_u32_e32 v42, 23, v0
	v_mov_b32_e32 v43, 22
	v_subrev_nc_u32_e32 v41, 22, v0
	s_mov_b32 s4, exec_lo
	v_cmpx_lt_u32_e32 6, v42
	s_cbranch_execz .LBB60_531
; %bb.528:
	v_and_b32_e32 v42, -8, v41
	s_movk_i32 s71, 0x530
	s_mov_b32 s70, 0
	s_mov_b32 s72, s48
	;; [unrolled: 1-line block ×3, first 2 shown]
.LBB60_529:                             ; =>This Inner Loop Header: Depth=1
	v_mov_b32_e32 v43, s72
	v_mov_b32_e32 v91, s71
	s_add_i32 s74, s73, 8
	s_add_i32 s73, s73, 30
	v_cmp_eq_u32_e32 vcc_lo, s74, v42
	s_clause 0x1f
	buffer_load_dword v51, v43, s[0:3], 0 offen offset:8
	buffer_load_dword v52, v43, s[0:3], 0 offen offset:12
	buffer_load_dword v53, v43, s[0:3], 0 offen
	buffer_load_dword v54, v43, s[0:3], 0 offen offset:4
	buffer_load_dword v55, v43, s[0:3], 0 offen offset:24
	;; [unrolled: 1-line block ×29, first 2 shown]
	ds_read_b128 v[43:46], v91
	ds_read_b128 v[47:50], v91 offset:16
	s_addk_i32 s71, 0x80
	s_addk_i32 s72, 0x80
	s_or_b32 s70, vcc_lo, s70
	s_waitcnt vmcnt(30) lgkmcnt(1)
	v_mul_f64 v[83:84], v[45:46], v[51:52]
	v_mul_f64 v[51:52], v[43:44], v[51:52]
	s_waitcnt vmcnt(26) lgkmcnt(0)
	v_mul_f64 v[85:86], v[49:50], v[55:56]
	v_mul_f64 v[55:56], v[47:48], v[55:56]
	v_fma_f64 v[83:84], v[43:44], v[53:54], -v[83:84]
	v_fma_f64 v[87:88], v[45:46], v[53:54], v[51:52]
	ds_read_b128 v[43:46], v91 offset:32
	ds_read_b128 v[51:54], v91 offset:48
	s_waitcnt vmcnt(24)
	v_fma_f64 v[47:48], v[47:48], v[57:58], -v[85:86]
	v_fma_f64 v[49:50], v[49:50], v[57:58], v[55:56]
	s_waitcnt vmcnt(22) lgkmcnt(1)
	v_mul_f64 v[89:90], v[45:46], v[59:60]
	v_mul_f64 v[59:60], v[43:44], v[59:60]
	v_add_f64 v[1:2], v[1:2], v[83:84]
	v_add_f64 v[3:4], v[3:4], v[87:88]
	s_waitcnt vmcnt(18) lgkmcnt(0)
	v_mul_f64 v[55:56], v[53:54], v[63:64]
	v_mul_f64 v[57:58], v[51:52], v[63:64]
	v_fma_f64 v[63:64], v[43:44], v[61:62], -v[89:90]
	v_fma_f64 v[59:60], v[45:46], v[61:62], v[59:60]
	v_add_f64 v[47:48], v[1:2], v[47:48]
	v_add_f64 v[49:50], v[3:4], v[49:50]
	ds_read_b128 v[1:4], v91 offset:64
	ds_read_b128 v[43:46], v91 offset:80
	s_waitcnt vmcnt(16)
	v_fma_f64 v[51:52], v[51:52], v[65:66], -v[55:56]
	v_fma_f64 v[53:54], v[53:54], v[65:66], v[57:58]
	s_waitcnt vmcnt(12) lgkmcnt(1)
	v_mul_f64 v[61:62], v[3:4], v[67:68]
	v_mul_f64 v[67:68], v[1:2], v[67:68]
	v_add_f64 v[47:48], v[47:48], v[63:64]
	v_add_f64 v[49:50], v[49:50], v[59:60]
	s_waitcnt vmcnt(10) lgkmcnt(0)
	v_mul_f64 v[55:56], v[45:46], v[69:70]
	v_mul_f64 v[57:58], v[43:44], v[69:70]
	s_waitcnt vmcnt(8)
	v_fma_f64 v[59:60], v[1:2], v[73:74], -v[61:62]
	v_fma_f64 v[61:62], v[3:4], v[73:74], v[67:68]
	v_add_f64 v[51:52], v[47:48], v[51:52]
	v_add_f64 v[53:54], v[49:50], v[53:54]
	ds_read_b128 v[1:4], v91 offset:96
	ds_read_b128 v[47:50], v91 offset:112
	v_fma_f64 v[43:44], v[43:44], v[71:72], -v[55:56]
	v_fma_f64 v[45:46], v[45:46], v[71:72], v[57:58]
	s_waitcnt vmcnt(4) lgkmcnt(1)
	v_mul_f64 v[63:64], v[3:4], v[75:76]
	v_mul_f64 v[65:66], v[1:2], v[75:76]
	v_add_f64 v[51:52], v[51:52], v[59:60]
	v_add_f64 v[53:54], v[53:54], v[61:62]
	s_waitcnt vmcnt(2) lgkmcnt(0)
	v_mul_f64 v[55:56], v[49:50], v[77:78]
	v_mul_f64 v[57:58], v[47:48], v[77:78]
	s_waitcnt vmcnt(0)
	v_fma_f64 v[1:2], v[1:2], v[81:82], -v[63:64]
	v_fma_f64 v[3:4], v[3:4], v[81:82], v[65:66]
	v_add_f64 v[43:44], v[51:52], v[43:44]
	v_add_f64 v[45:46], v[53:54], v[45:46]
	v_fma_f64 v[47:48], v[47:48], v[79:80], -v[55:56]
	v_fma_f64 v[49:50], v[49:50], v[79:80], v[57:58]
	v_add_f64 v[1:2], v[43:44], v[1:2]
	v_add_f64 v[3:4], v[45:46], v[3:4]
	v_mov_b32_e32 v43, s73
	s_mov_b32 s73, s74
	v_add_f64 v[1:2], v[1:2], v[47:48]
	v_add_f64 v[3:4], v[3:4], v[49:50]
	s_andn2_b32 exec_lo, exec_lo, s70
	s_cbranch_execnz .LBB60_529
; %bb.530:
	s_or_b32 exec_lo, exec_lo, s70
.LBB60_531:
	s_or_b32 exec_lo, exec_lo, s4
	v_and_b32_e32 v41, 7, v41
	s_mov_b32 s70, 0
	s_mov_b32 s4, exec_lo
	v_cmpx_ne_u32_e32 0, v41
	s_cbranch_execz .LBB60_535
; %bb.532:
	v_lshlrev_b32_e32 v43, 4, v43
	v_add_nc_u32_e32 v42, 0x3d0, v43
	.p2align	6
.LBB60_533:                             ; =>This Inner Loop Header: Depth=1
	s_clause 0x3
	buffer_load_dword v48, v43, s[0:3], 0 offen offset:8
	buffer_load_dword v49, v43, s[0:3], 0 offen offset:12
	buffer_load_dword v50, v43, s[0:3], 0 offen
	buffer_load_dword v51, v43, s[0:3], 0 offen offset:4
	ds_read_b128 v[44:47], v42
	v_add_nc_u32_e32 v41, -1, v41
	v_add_nc_u32_e32 v42, 16, v42
	v_add_nc_u32_e32 v43, 16, v43
	v_cmp_eq_u32_e32 vcc_lo, 0, v41
	s_or_b32 s70, vcc_lo, s70
	s_waitcnt vmcnt(2) lgkmcnt(0)
	v_mul_f64 v[52:53], v[46:47], v[48:49]
	v_mul_f64 v[48:49], v[44:45], v[48:49]
	s_waitcnt vmcnt(0)
	v_fma_f64 v[44:45], v[44:45], v[50:51], -v[52:53]
	v_fma_f64 v[46:47], v[46:47], v[50:51], v[48:49]
	v_add_f64 v[1:2], v[1:2], v[44:45]
	v_add_f64 v[3:4], v[3:4], v[46:47]
	s_andn2_b32 exec_lo, exec_lo, s70
	s_cbranch_execnz .LBB60_533
; %bb.534:
	s_or_b32 exec_lo, exec_lo, s70
.LBB60_535:
	s_or_b32 exec_lo, exec_lo, s4
.LBB60_536:
	s_or_b32 exec_lo, exec_lo, s8
	v_mov_b32_e32 v41, 0
	ds_read_b128 v[41:44], v41 offset:336
	s_waitcnt lgkmcnt(0)
	v_mul_f64 v[45:46], v[3:4], v[43:44]
	v_mul_f64 v[43:44], v[1:2], v[43:44]
	v_fma_f64 v[1:2], v[1:2], v[41:42], -v[45:46]
	v_fma_f64 v[3:4], v[3:4], v[41:42], v[43:44]
	buffer_store_dword v2, off, s[0:3], 0 offset:340
	buffer_store_dword v1, off, s[0:3], 0 offset:336
	;; [unrolled: 1-line block ×4, first 2 shown]
.LBB60_537:
	s_or_b32 exec_lo, exec_lo, s6
	v_mov_b32_e32 v4, s50
	v_cmp_lt_u32_e64 s4, 20, v0
	s_clause 0x3
	buffer_load_dword v1, v4, s[0:3], 0 offen
	buffer_load_dword v2, v4, s[0:3], 0 offen offset:4
	buffer_load_dword v3, v4, s[0:3], 0 offen offset:8
	buffer_load_dword v4, v4, s[0:3], 0 offen offset:12
	s_waitcnt vmcnt(0)
	ds_write_b128 v40, v[1:4]
	s_waitcnt lgkmcnt(0)
	s_waitcnt_vscnt null, 0x0
	s_barrier
	buffer_gl0_inv
	s_and_saveexec_b32 s6, s4
	s_cbranch_execz .LBB60_551
; %bb.538:
	ds_read_b128 v[1:4], v40
	s_andn2_b32 vcc_lo, exec_lo, s7
	s_cbranch_vccnz .LBB60_540
; %bb.539:
	s_clause 0x3
	buffer_load_dword v41, v39, s[0:3], 0 offen offset:8
	buffer_load_dword v42, v39, s[0:3], 0 offen offset:12
	buffer_load_dword v43, v39, s[0:3], 0 offen
	buffer_load_dword v44, v39, s[0:3], 0 offen offset:4
	s_waitcnt vmcnt(2) lgkmcnt(0)
	v_mul_f64 v[45:46], v[3:4], v[41:42]
	v_mul_f64 v[41:42], v[1:2], v[41:42]
	s_waitcnt vmcnt(0)
	v_fma_f64 v[1:2], v[1:2], v[43:44], -v[45:46]
	v_fma_f64 v[3:4], v[3:4], v[43:44], v[41:42]
.LBB60_540:
	s_and_saveexec_b32 s8, s5
	s_cbranch_execz .LBB60_550
; %bb.541:
	v_subrev_nc_u32_e32 v42, 22, v0
	v_mov_b32_e32 v43, 21
	v_subrev_nc_u32_e32 v41, 21, v0
	s_mov_b32 s5, exec_lo
	v_cmpx_lt_u32_e32 6, v42
	s_cbranch_execz .LBB60_545
; %bb.542:
	v_and_b32_e32 v42, -8, v41
	s_movk_i32 s71, 0x520
	s_mov_b32 s70, 0
	s_mov_b32 s72, s49
	;; [unrolled: 1-line block ×3, first 2 shown]
.LBB60_543:                             ; =>This Inner Loop Header: Depth=1
	v_mov_b32_e32 v43, s72
	v_mov_b32_e32 v91, s71
	s_add_i32 s74, s73, 8
	s_add_i32 s73, s73, 29
	v_cmp_eq_u32_e32 vcc_lo, s74, v42
	s_clause 0x1f
	buffer_load_dword v51, v43, s[0:3], 0 offen offset:8
	buffer_load_dword v52, v43, s[0:3], 0 offen offset:12
	buffer_load_dword v53, v43, s[0:3], 0 offen
	buffer_load_dword v54, v43, s[0:3], 0 offen offset:4
	buffer_load_dword v55, v43, s[0:3], 0 offen offset:24
	;; [unrolled: 1-line block ×29, first 2 shown]
	ds_read_b128 v[43:46], v91
	ds_read_b128 v[47:50], v91 offset:16
	s_addk_i32 s71, 0x80
	s_addk_i32 s72, 0x80
	s_or_b32 s70, vcc_lo, s70
	s_waitcnt vmcnt(30) lgkmcnt(1)
	v_mul_f64 v[83:84], v[45:46], v[51:52]
	v_mul_f64 v[51:52], v[43:44], v[51:52]
	s_waitcnt vmcnt(26) lgkmcnt(0)
	v_mul_f64 v[85:86], v[49:50], v[55:56]
	v_mul_f64 v[55:56], v[47:48], v[55:56]
	v_fma_f64 v[83:84], v[43:44], v[53:54], -v[83:84]
	v_fma_f64 v[87:88], v[45:46], v[53:54], v[51:52]
	ds_read_b128 v[43:46], v91 offset:32
	ds_read_b128 v[51:54], v91 offset:48
	s_waitcnt vmcnt(24)
	v_fma_f64 v[47:48], v[47:48], v[57:58], -v[85:86]
	v_fma_f64 v[49:50], v[49:50], v[57:58], v[55:56]
	s_waitcnt vmcnt(22) lgkmcnt(1)
	v_mul_f64 v[89:90], v[45:46], v[59:60]
	v_mul_f64 v[59:60], v[43:44], v[59:60]
	v_add_f64 v[1:2], v[1:2], v[83:84]
	v_add_f64 v[3:4], v[3:4], v[87:88]
	s_waitcnt vmcnt(18) lgkmcnt(0)
	v_mul_f64 v[55:56], v[53:54], v[63:64]
	v_mul_f64 v[57:58], v[51:52], v[63:64]
	v_fma_f64 v[63:64], v[43:44], v[61:62], -v[89:90]
	v_fma_f64 v[59:60], v[45:46], v[61:62], v[59:60]
	v_add_f64 v[47:48], v[1:2], v[47:48]
	v_add_f64 v[49:50], v[3:4], v[49:50]
	ds_read_b128 v[1:4], v91 offset:64
	ds_read_b128 v[43:46], v91 offset:80
	s_waitcnt vmcnt(16)
	v_fma_f64 v[51:52], v[51:52], v[65:66], -v[55:56]
	v_fma_f64 v[53:54], v[53:54], v[65:66], v[57:58]
	s_waitcnt vmcnt(12) lgkmcnt(1)
	v_mul_f64 v[61:62], v[3:4], v[67:68]
	v_mul_f64 v[67:68], v[1:2], v[67:68]
	v_add_f64 v[47:48], v[47:48], v[63:64]
	v_add_f64 v[49:50], v[49:50], v[59:60]
	s_waitcnt vmcnt(10) lgkmcnt(0)
	v_mul_f64 v[55:56], v[45:46], v[69:70]
	v_mul_f64 v[57:58], v[43:44], v[69:70]
	s_waitcnt vmcnt(8)
	v_fma_f64 v[59:60], v[1:2], v[73:74], -v[61:62]
	v_fma_f64 v[61:62], v[3:4], v[73:74], v[67:68]
	v_add_f64 v[51:52], v[47:48], v[51:52]
	v_add_f64 v[53:54], v[49:50], v[53:54]
	ds_read_b128 v[1:4], v91 offset:96
	ds_read_b128 v[47:50], v91 offset:112
	v_fma_f64 v[43:44], v[43:44], v[71:72], -v[55:56]
	v_fma_f64 v[45:46], v[45:46], v[71:72], v[57:58]
	s_waitcnt vmcnt(4) lgkmcnt(1)
	v_mul_f64 v[63:64], v[3:4], v[75:76]
	v_mul_f64 v[65:66], v[1:2], v[75:76]
	v_add_f64 v[51:52], v[51:52], v[59:60]
	v_add_f64 v[53:54], v[53:54], v[61:62]
	s_waitcnt vmcnt(2) lgkmcnt(0)
	v_mul_f64 v[55:56], v[49:50], v[77:78]
	v_mul_f64 v[57:58], v[47:48], v[77:78]
	s_waitcnt vmcnt(0)
	v_fma_f64 v[1:2], v[1:2], v[81:82], -v[63:64]
	v_fma_f64 v[3:4], v[3:4], v[81:82], v[65:66]
	v_add_f64 v[43:44], v[51:52], v[43:44]
	v_add_f64 v[45:46], v[53:54], v[45:46]
	v_fma_f64 v[47:48], v[47:48], v[79:80], -v[55:56]
	v_fma_f64 v[49:50], v[49:50], v[79:80], v[57:58]
	v_add_f64 v[1:2], v[43:44], v[1:2]
	v_add_f64 v[3:4], v[45:46], v[3:4]
	v_mov_b32_e32 v43, s73
	s_mov_b32 s73, s74
	v_add_f64 v[1:2], v[1:2], v[47:48]
	v_add_f64 v[3:4], v[3:4], v[49:50]
	s_andn2_b32 exec_lo, exec_lo, s70
	s_cbranch_execnz .LBB60_543
; %bb.544:
	s_or_b32 exec_lo, exec_lo, s70
.LBB60_545:
	s_or_b32 exec_lo, exec_lo, s5
	v_and_b32_e32 v41, 7, v41
	s_mov_b32 s70, 0
	s_mov_b32 s5, exec_lo
	v_cmpx_ne_u32_e32 0, v41
	s_cbranch_execz .LBB60_549
; %bb.546:
	v_lshlrev_b32_e32 v43, 4, v43
	v_add_nc_u32_e32 v42, 0x3d0, v43
	.p2align	6
.LBB60_547:                             ; =>This Inner Loop Header: Depth=1
	s_clause 0x3
	buffer_load_dword v48, v43, s[0:3], 0 offen offset:8
	buffer_load_dword v49, v43, s[0:3], 0 offen offset:12
	buffer_load_dword v50, v43, s[0:3], 0 offen
	buffer_load_dword v51, v43, s[0:3], 0 offen offset:4
	ds_read_b128 v[44:47], v42
	v_add_nc_u32_e32 v41, -1, v41
	v_add_nc_u32_e32 v42, 16, v42
	v_add_nc_u32_e32 v43, 16, v43
	v_cmp_eq_u32_e32 vcc_lo, 0, v41
	s_or_b32 s70, vcc_lo, s70
	s_waitcnt vmcnt(2) lgkmcnt(0)
	v_mul_f64 v[52:53], v[46:47], v[48:49]
	v_mul_f64 v[48:49], v[44:45], v[48:49]
	s_waitcnt vmcnt(0)
	v_fma_f64 v[44:45], v[44:45], v[50:51], -v[52:53]
	v_fma_f64 v[46:47], v[46:47], v[50:51], v[48:49]
	v_add_f64 v[1:2], v[1:2], v[44:45]
	v_add_f64 v[3:4], v[3:4], v[46:47]
	s_andn2_b32 exec_lo, exec_lo, s70
	s_cbranch_execnz .LBB60_547
; %bb.548:
	s_or_b32 exec_lo, exec_lo, s70
.LBB60_549:
	s_or_b32 exec_lo, exec_lo, s5
.LBB60_550:
	s_or_b32 exec_lo, exec_lo, s8
	v_mov_b32_e32 v41, 0
	ds_read_b128 v[41:44], v41 offset:320
	s_waitcnt lgkmcnt(0)
	v_mul_f64 v[45:46], v[3:4], v[43:44]
	v_mul_f64 v[43:44], v[1:2], v[43:44]
	v_fma_f64 v[1:2], v[1:2], v[41:42], -v[45:46]
	v_fma_f64 v[3:4], v[3:4], v[41:42], v[43:44]
	buffer_store_dword v2, off, s[0:3], 0 offset:324
	buffer_store_dword v1, off, s[0:3], 0 offset:320
	;; [unrolled: 1-line block ×4, first 2 shown]
.LBB60_551:
	s_or_b32 exec_lo, exec_lo, s6
	v_mov_b32_e32 v4, s51
	v_cmp_lt_u32_e64 s5, 19, v0
	s_clause 0x3
	buffer_load_dword v1, v4, s[0:3], 0 offen
	buffer_load_dword v2, v4, s[0:3], 0 offen offset:4
	buffer_load_dword v3, v4, s[0:3], 0 offen offset:8
	;; [unrolled: 1-line block ×3, first 2 shown]
	s_waitcnt vmcnt(0)
	ds_write_b128 v40, v[1:4]
	s_waitcnt lgkmcnt(0)
	s_waitcnt_vscnt null, 0x0
	s_barrier
	buffer_gl0_inv
	s_and_saveexec_b32 s6, s5
	s_cbranch_execz .LBB60_565
; %bb.552:
	ds_read_b128 v[1:4], v40
	s_andn2_b32 vcc_lo, exec_lo, s7
	s_cbranch_vccnz .LBB60_554
; %bb.553:
	s_clause 0x3
	buffer_load_dword v41, v39, s[0:3], 0 offen offset:8
	buffer_load_dword v42, v39, s[0:3], 0 offen offset:12
	buffer_load_dword v43, v39, s[0:3], 0 offen
	buffer_load_dword v44, v39, s[0:3], 0 offen offset:4
	s_waitcnt vmcnt(2) lgkmcnt(0)
	v_mul_f64 v[45:46], v[3:4], v[41:42]
	v_mul_f64 v[41:42], v[1:2], v[41:42]
	s_waitcnt vmcnt(0)
	v_fma_f64 v[1:2], v[1:2], v[43:44], -v[45:46]
	v_fma_f64 v[3:4], v[3:4], v[43:44], v[41:42]
.LBB60_554:
	s_and_saveexec_b32 s8, s4
	s_cbranch_execz .LBB60_564
; %bb.555:
	v_subrev_nc_u32_e32 v42, 21, v0
	v_mov_b32_e32 v43, 20
	v_subrev_nc_u32_e32 v41, 20, v0
	s_mov_b32 s4, exec_lo
	v_cmpx_lt_u32_e32 6, v42
	s_cbranch_execz .LBB60_559
; %bb.556:
	v_and_b32_e32 v42, -8, v41
	s_movk_i32 s71, 0x510
	s_mov_b32 s70, 0
	s_mov_b32 s72, s50
	;; [unrolled: 1-line block ×3, first 2 shown]
.LBB60_557:                             ; =>This Inner Loop Header: Depth=1
	v_mov_b32_e32 v43, s72
	v_mov_b32_e32 v91, s71
	s_add_i32 s74, s73, 8
	s_add_i32 s73, s73, 28
	v_cmp_eq_u32_e32 vcc_lo, s74, v42
	s_clause 0x1f
	buffer_load_dword v51, v43, s[0:3], 0 offen offset:8
	buffer_load_dword v52, v43, s[0:3], 0 offen offset:12
	buffer_load_dword v53, v43, s[0:3], 0 offen
	buffer_load_dword v54, v43, s[0:3], 0 offen offset:4
	buffer_load_dword v55, v43, s[0:3], 0 offen offset:24
	;; [unrolled: 1-line block ×29, first 2 shown]
	ds_read_b128 v[43:46], v91
	ds_read_b128 v[47:50], v91 offset:16
	s_addk_i32 s71, 0x80
	s_addk_i32 s72, 0x80
	s_or_b32 s70, vcc_lo, s70
	s_waitcnt vmcnt(30) lgkmcnt(1)
	v_mul_f64 v[83:84], v[45:46], v[51:52]
	v_mul_f64 v[51:52], v[43:44], v[51:52]
	s_waitcnt vmcnt(26) lgkmcnt(0)
	v_mul_f64 v[85:86], v[49:50], v[55:56]
	v_mul_f64 v[55:56], v[47:48], v[55:56]
	v_fma_f64 v[83:84], v[43:44], v[53:54], -v[83:84]
	v_fma_f64 v[87:88], v[45:46], v[53:54], v[51:52]
	ds_read_b128 v[43:46], v91 offset:32
	ds_read_b128 v[51:54], v91 offset:48
	s_waitcnt vmcnt(24)
	v_fma_f64 v[47:48], v[47:48], v[57:58], -v[85:86]
	v_fma_f64 v[49:50], v[49:50], v[57:58], v[55:56]
	s_waitcnt vmcnt(22) lgkmcnt(1)
	v_mul_f64 v[89:90], v[45:46], v[59:60]
	v_mul_f64 v[59:60], v[43:44], v[59:60]
	v_add_f64 v[1:2], v[1:2], v[83:84]
	v_add_f64 v[3:4], v[3:4], v[87:88]
	s_waitcnt vmcnt(18) lgkmcnt(0)
	v_mul_f64 v[55:56], v[53:54], v[63:64]
	v_mul_f64 v[57:58], v[51:52], v[63:64]
	v_fma_f64 v[63:64], v[43:44], v[61:62], -v[89:90]
	v_fma_f64 v[59:60], v[45:46], v[61:62], v[59:60]
	v_add_f64 v[47:48], v[1:2], v[47:48]
	v_add_f64 v[49:50], v[3:4], v[49:50]
	ds_read_b128 v[1:4], v91 offset:64
	ds_read_b128 v[43:46], v91 offset:80
	s_waitcnt vmcnt(16)
	v_fma_f64 v[51:52], v[51:52], v[65:66], -v[55:56]
	v_fma_f64 v[53:54], v[53:54], v[65:66], v[57:58]
	s_waitcnt vmcnt(12) lgkmcnt(1)
	v_mul_f64 v[61:62], v[3:4], v[67:68]
	v_mul_f64 v[67:68], v[1:2], v[67:68]
	v_add_f64 v[47:48], v[47:48], v[63:64]
	v_add_f64 v[49:50], v[49:50], v[59:60]
	s_waitcnt vmcnt(10) lgkmcnt(0)
	v_mul_f64 v[55:56], v[45:46], v[69:70]
	v_mul_f64 v[57:58], v[43:44], v[69:70]
	s_waitcnt vmcnt(8)
	v_fma_f64 v[59:60], v[1:2], v[73:74], -v[61:62]
	v_fma_f64 v[61:62], v[3:4], v[73:74], v[67:68]
	v_add_f64 v[51:52], v[47:48], v[51:52]
	v_add_f64 v[53:54], v[49:50], v[53:54]
	ds_read_b128 v[1:4], v91 offset:96
	ds_read_b128 v[47:50], v91 offset:112
	v_fma_f64 v[43:44], v[43:44], v[71:72], -v[55:56]
	v_fma_f64 v[45:46], v[45:46], v[71:72], v[57:58]
	s_waitcnt vmcnt(4) lgkmcnt(1)
	v_mul_f64 v[63:64], v[3:4], v[75:76]
	v_mul_f64 v[65:66], v[1:2], v[75:76]
	v_add_f64 v[51:52], v[51:52], v[59:60]
	v_add_f64 v[53:54], v[53:54], v[61:62]
	s_waitcnt vmcnt(2) lgkmcnt(0)
	v_mul_f64 v[55:56], v[49:50], v[77:78]
	v_mul_f64 v[57:58], v[47:48], v[77:78]
	s_waitcnt vmcnt(0)
	v_fma_f64 v[1:2], v[1:2], v[81:82], -v[63:64]
	v_fma_f64 v[3:4], v[3:4], v[81:82], v[65:66]
	v_add_f64 v[43:44], v[51:52], v[43:44]
	v_add_f64 v[45:46], v[53:54], v[45:46]
	v_fma_f64 v[47:48], v[47:48], v[79:80], -v[55:56]
	v_fma_f64 v[49:50], v[49:50], v[79:80], v[57:58]
	v_add_f64 v[1:2], v[43:44], v[1:2]
	v_add_f64 v[3:4], v[45:46], v[3:4]
	v_mov_b32_e32 v43, s73
	s_mov_b32 s73, s74
	v_add_f64 v[1:2], v[1:2], v[47:48]
	v_add_f64 v[3:4], v[3:4], v[49:50]
	s_andn2_b32 exec_lo, exec_lo, s70
	s_cbranch_execnz .LBB60_557
; %bb.558:
	s_or_b32 exec_lo, exec_lo, s70
.LBB60_559:
	s_or_b32 exec_lo, exec_lo, s4
	v_and_b32_e32 v41, 7, v41
	s_mov_b32 s70, 0
	s_mov_b32 s4, exec_lo
	v_cmpx_ne_u32_e32 0, v41
	s_cbranch_execz .LBB60_563
; %bb.560:
	v_lshlrev_b32_e32 v43, 4, v43
	v_add_nc_u32_e32 v42, 0x3d0, v43
	.p2align	6
.LBB60_561:                             ; =>This Inner Loop Header: Depth=1
	s_clause 0x3
	buffer_load_dword v48, v43, s[0:3], 0 offen offset:8
	buffer_load_dword v49, v43, s[0:3], 0 offen offset:12
	buffer_load_dword v50, v43, s[0:3], 0 offen
	buffer_load_dword v51, v43, s[0:3], 0 offen offset:4
	ds_read_b128 v[44:47], v42
	v_add_nc_u32_e32 v41, -1, v41
	v_add_nc_u32_e32 v42, 16, v42
	v_add_nc_u32_e32 v43, 16, v43
	v_cmp_eq_u32_e32 vcc_lo, 0, v41
	s_or_b32 s70, vcc_lo, s70
	s_waitcnt vmcnt(2) lgkmcnt(0)
	v_mul_f64 v[52:53], v[46:47], v[48:49]
	v_mul_f64 v[48:49], v[44:45], v[48:49]
	s_waitcnt vmcnt(0)
	v_fma_f64 v[44:45], v[44:45], v[50:51], -v[52:53]
	v_fma_f64 v[46:47], v[46:47], v[50:51], v[48:49]
	v_add_f64 v[1:2], v[1:2], v[44:45]
	v_add_f64 v[3:4], v[3:4], v[46:47]
	s_andn2_b32 exec_lo, exec_lo, s70
	s_cbranch_execnz .LBB60_561
; %bb.562:
	s_or_b32 exec_lo, exec_lo, s70
.LBB60_563:
	s_or_b32 exec_lo, exec_lo, s4
.LBB60_564:
	s_or_b32 exec_lo, exec_lo, s8
	v_mov_b32_e32 v41, 0
	ds_read_b128 v[41:44], v41 offset:304
	s_waitcnt lgkmcnt(0)
	v_mul_f64 v[45:46], v[3:4], v[43:44]
	v_mul_f64 v[43:44], v[1:2], v[43:44]
	v_fma_f64 v[1:2], v[1:2], v[41:42], -v[45:46]
	v_fma_f64 v[3:4], v[3:4], v[41:42], v[43:44]
	buffer_store_dword v2, off, s[0:3], 0 offset:308
	buffer_store_dword v1, off, s[0:3], 0 offset:304
	;; [unrolled: 1-line block ×4, first 2 shown]
.LBB60_565:
	s_or_b32 exec_lo, exec_lo, s6
	v_mov_b32_e32 v4, s52
	v_cmp_lt_u32_e64 s4, 18, v0
	s_clause 0x3
	buffer_load_dword v1, v4, s[0:3], 0 offen
	buffer_load_dword v2, v4, s[0:3], 0 offen offset:4
	buffer_load_dword v3, v4, s[0:3], 0 offen offset:8
	;; [unrolled: 1-line block ×3, first 2 shown]
	s_waitcnt vmcnt(0)
	ds_write_b128 v40, v[1:4]
	s_waitcnt lgkmcnt(0)
	s_waitcnt_vscnt null, 0x0
	s_barrier
	buffer_gl0_inv
	s_and_saveexec_b32 s6, s4
	s_cbranch_execz .LBB60_579
; %bb.566:
	ds_read_b128 v[1:4], v40
	s_andn2_b32 vcc_lo, exec_lo, s7
	s_cbranch_vccnz .LBB60_568
; %bb.567:
	s_clause 0x3
	buffer_load_dword v41, v39, s[0:3], 0 offen offset:8
	buffer_load_dword v42, v39, s[0:3], 0 offen offset:12
	buffer_load_dword v43, v39, s[0:3], 0 offen
	buffer_load_dword v44, v39, s[0:3], 0 offen offset:4
	s_waitcnt vmcnt(2) lgkmcnt(0)
	v_mul_f64 v[45:46], v[3:4], v[41:42]
	v_mul_f64 v[41:42], v[1:2], v[41:42]
	s_waitcnt vmcnt(0)
	v_fma_f64 v[1:2], v[1:2], v[43:44], -v[45:46]
	v_fma_f64 v[3:4], v[3:4], v[43:44], v[41:42]
.LBB60_568:
	s_and_saveexec_b32 s8, s5
	s_cbranch_execz .LBB60_578
; %bb.569:
	v_subrev_nc_u32_e32 v42, 20, v0
	v_mov_b32_e32 v43, 19
	v_subrev_nc_u32_e32 v41, 19, v0
	s_mov_b32 s5, exec_lo
	v_cmpx_lt_u32_e32 6, v42
	s_cbranch_execz .LBB60_573
; %bb.570:
	v_and_b32_e32 v42, -8, v41
	s_movk_i32 s71, 0x500
	s_mov_b32 s70, 0
	s_mov_b32 s72, s51
	;; [unrolled: 1-line block ×3, first 2 shown]
.LBB60_571:                             ; =>This Inner Loop Header: Depth=1
	v_mov_b32_e32 v43, s72
	v_mov_b32_e32 v91, s71
	s_add_i32 s74, s73, 8
	s_add_i32 s73, s73, 27
	v_cmp_eq_u32_e32 vcc_lo, s74, v42
	s_clause 0x1f
	buffer_load_dword v51, v43, s[0:3], 0 offen offset:8
	buffer_load_dword v52, v43, s[0:3], 0 offen offset:12
	buffer_load_dword v53, v43, s[0:3], 0 offen
	buffer_load_dword v54, v43, s[0:3], 0 offen offset:4
	buffer_load_dword v55, v43, s[0:3], 0 offen offset:24
	;; [unrolled: 1-line block ×29, first 2 shown]
	ds_read_b128 v[43:46], v91
	ds_read_b128 v[47:50], v91 offset:16
	s_addk_i32 s71, 0x80
	s_addk_i32 s72, 0x80
	s_or_b32 s70, vcc_lo, s70
	s_waitcnt vmcnt(30) lgkmcnt(1)
	v_mul_f64 v[83:84], v[45:46], v[51:52]
	v_mul_f64 v[51:52], v[43:44], v[51:52]
	s_waitcnt vmcnt(26) lgkmcnt(0)
	v_mul_f64 v[85:86], v[49:50], v[55:56]
	v_mul_f64 v[55:56], v[47:48], v[55:56]
	v_fma_f64 v[83:84], v[43:44], v[53:54], -v[83:84]
	v_fma_f64 v[87:88], v[45:46], v[53:54], v[51:52]
	ds_read_b128 v[43:46], v91 offset:32
	ds_read_b128 v[51:54], v91 offset:48
	s_waitcnt vmcnt(24)
	v_fma_f64 v[47:48], v[47:48], v[57:58], -v[85:86]
	v_fma_f64 v[49:50], v[49:50], v[57:58], v[55:56]
	s_waitcnt vmcnt(22) lgkmcnt(1)
	v_mul_f64 v[89:90], v[45:46], v[59:60]
	v_mul_f64 v[59:60], v[43:44], v[59:60]
	v_add_f64 v[1:2], v[1:2], v[83:84]
	v_add_f64 v[3:4], v[3:4], v[87:88]
	s_waitcnt vmcnt(18) lgkmcnt(0)
	v_mul_f64 v[55:56], v[53:54], v[63:64]
	v_mul_f64 v[57:58], v[51:52], v[63:64]
	v_fma_f64 v[63:64], v[43:44], v[61:62], -v[89:90]
	v_fma_f64 v[59:60], v[45:46], v[61:62], v[59:60]
	v_add_f64 v[47:48], v[1:2], v[47:48]
	v_add_f64 v[49:50], v[3:4], v[49:50]
	ds_read_b128 v[1:4], v91 offset:64
	ds_read_b128 v[43:46], v91 offset:80
	s_waitcnt vmcnt(16)
	v_fma_f64 v[51:52], v[51:52], v[65:66], -v[55:56]
	v_fma_f64 v[53:54], v[53:54], v[65:66], v[57:58]
	s_waitcnt vmcnt(12) lgkmcnt(1)
	v_mul_f64 v[61:62], v[3:4], v[67:68]
	v_mul_f64 v[67:68], v[1:2], v[67:68]
	v_add_f64 v[47:48], v[47:48], v[63:64]
	v_add_f64 v[49:50], v[49:50], v[59:60]
	s_waitcnt vmcnt(10) lgkmcnt(0)
	v_mul_f64 v[55:56], v[45:46], v[69:70]
	v_mul_f64 v[57:58], v[43:44], v[69:70]
	s_waitcnt vmcnt(8)
	v_fma_f64 v[59:60], v[1:2], v[73:74], -v[61:62]
	v_fma_f64 v[61:62], v[3:4], v[73:74], v[67:68]
	v_add_f64 v[51:52], v[47:48], v[51:52]
	v_add_f64 v[53:54], v[49:50], v[53:54]
	ds_read_b128 v[1:4], v91 offset:96
	ds_read_b128 v[47:50], v91 offset:112
	v_fma_f64 v[43:44], v[43:44], v[71:72], -v[55:56]
	v_fma_f64 v[45:46], v[45:46], v[71:72], v[57:58]
	s_waitcnt vmcnt(4) lgkmcnt(1)
	v_mul_f64 v[63:64], v[3:4], v[75:76]
	v_mul_f64 v[65:66], v[1:2], v[75:76]
	v_add_f64 v[51:52], v[51:52], v[59:60]
	v_add_f64 v[53:54], v[53:54], v[61:62]
	s_waitcnt vmcnt(2) lgkmcnt(0)
	v_mul_f64 v[55:56], v[49:50], v[77:78]
	v_mul_f64 v[57:58], v[47:48], v[77:78]
	s_waitcnt vmcnt(0)
	v_fma_f64 v[1:2], v[1:2], v[81:82], -v[63:64]
	v_fma_f64 v[3:4], v[3:4], v[81:82], v[65:66]
	v_add_f64 v[43:44], v[51:52], v[43:44]
	v_add_f64 v[45:46], v[53:54], v[45:46]
	v_fma_f64 v[47:48], v[47:48], v[79:80], -v[55:56]
	v_fma_f64 v[49:50], v[49:50], v[79:80], v[57:58]
	v_add_f64 v[1:2], v[43:44], v[1:2]
	v_add_f64 v[3:4], v[45:46], v[3:4]
	v_mov_b32_e32 v43, s73
	s_mov_b32 s73, s74
	v_add_f64 v[1:2], v[1:2], v[47:48]
	v_add_f64 v[3:4], v[3:4], v[49:50]
	s_andn2_b32 exec_lo, exec_lo, s70
	s_cbranch_execnz .LBB60_571
; %bb.572:
	s_or_b32 exec_lo, exec_lo, s70
.LBB60_573:
	s_or_b32 exec_lo, exec_lo, s5
	v_and_b32_e32 v41, 7, v41
	s_mov_b32 s70, 0
	s_mov_b32 s5, exec_lo
	v_cmpx_ne_u32_e32 0, v41
	s_cbranch_execz .LBB60_577
; %bb.574:
	v_lshlrev_b32_e32 v43, 4, v43
	v_add_nc_u32_e32 v42, 0x3d0, v43
	.p2align	6
.LBB60_575:                             ; =>This Inner Loop Header: Depth=1
	s_clause 0x3
	buffer_load_dword v48, v43, s[0:3], 0 offen offset:8
	buffer_load_dword v49, v43, s[0:3], 0 offen offset:12
	buffer_load_dword v50, v43, s[0:3], 0 offen
	buffer_load_dword v51, v43, s[0:3], 0 offen offset:4
	ds_read_b128 v[44:47], v42
	v_add_nc_u32_e32 v41, -1, v41
	v_add_nc_u32_e32 v42, 16, v42
	v_add_nc_u32_e32 v43, 16, v43
	v_cmp_eq_u32_e32 vcc_lo, 0, v41
	s_or_b32 s70, vcc_lo, s70
	s_waitcnt vmcnt(2) lgkmcnt(0)
	v_mul_f64 v[52:53], v[46:47], v[48:49]
	v_mul_f64 v[48:49], v[44:45], v[48:49]
	s_waitcnt vmcnt(0)
	v_fma_f64 v[44:45], v[44:45], v[50:51], -v[52:53]
	v_fma_f64 v[46:47], v[46:47], v[50:51], v[48:49]
	v_add_f64 v[1:2], v[1:2], v[44:45]
	v_add_f64 v[3:4], v[3:4], v[46:47]
	s_andn2_b32 exec_lo, exec_lo, s70
	s_cbranch_execnz .LBB60_575
; %bb.576:
	s_or_b32 exec_lo, exec_lo, s70
.LBB60_577:
	s_or_b32 exec_lo, exec_lo, s5
.LBB60_578:
	s_or_b32 exec_lo, exec_lo, s8
	v_mov_b32_e32 v41, 0
	ds_read_b128 v[41:44], v41 offset:288
	s_waitcnt lgkmcnt(0)
	v_mul_f64 v[45:46], v[3:4], v[43:44]
	v_mul_f64 v[43:44], v[1:2], v[43:44]
	v_fma_f64 v[1:2], v[1:2], v[41:42], -v[45:46]
	v_fma_f64 v[3:4], v[3:4], v[41:42], v[43:44]
	buffer_store_dword v2, off, s[0:3], 0 offset:292
	buffer_store_dword v1, off, s[0:3], 0 offset:288
	;; [unrolled: 1-line block ×4, first 2 shown]
.LBB60_579:
	s_or_b32 exec_lo, exec_lo, s6
	v_mov_b32_e32 v4, s53
	v_cmp_lt_u32_e64 s5, 17, v0
	s_clause 0x3
	buffer_load_dword v1, v4, s[0:3], 0 offen
	buffer_load_dword v2, v4, s[0:3], 0 offen offset:4
	buffer_load_dword v3, v4, s[0:3], 0 offen offset:8
	;; [unrolled: 1-line block ×3, first 2 shown]
	s_waitcnt vmcnt(0)
	ds_write_b128 v40, v[1:4]
	s_waitcnt lgkmcnt(0)
	s_waitcnt_vscnt null, 0x0
	s_barrier
	buffer_gl0_inv
	s_and_saveexec_b32 s6, s5
	s_cbranch_execz .LBB60_593
; %bb.580:
	ds_read_b128 v[1:4], v40
	s_andn2_b32 vcc_lo, exec_lo, s7
	s_cbranch_vccnz .LBB60_582
; %bb.581:
	s_clause 0x3
	buffer_load_dword v41, v39, s[0:3], 0 offen offset:8
	buffer_load_dword v42, v39, s[0:3], 0 offen offset:12
	buffer_load_dword v43, v39, s[0:3], 0 offen
	buffer_load_dword v44, v39, s[0:3], 0 offen offset:4
	s_waitcnt vmcnt(2) lgkmcnt(0)
	v_mul_f64 v[45:46], v[3:4], v[41:42]
	v_mul_f64 v[41:42], v[1:2], v[41:42]
	s_waitcnt vmcnt(0)
	v_fma_f64 v[1:2], v[1:2], v[43:44], -v[45:46]
	v_fma_f64 v[3:4], v[3:4], v[43:44], v[41:42]
.LBB60_582:
	s_and_saveexec_b32 s8, s4
	s_cbranch_execz .LBB60_592
; %bb.583:
	v_subrev_nc_u32_e32 v42, 19, v0
	v_mov_b32_e32 v43, 18
	v_subrev_nc_u32_e32 v41, 18, v0
	s_mov_b32 s4, exec_lo
	v_cmpx_lt_u32_e32 6, v42
	s_cbranch_execz .LBB60_587
; %bb.584:
	v_and_b32_e32 v42, -8, v41
	s_movk_i32 s71, 0x4f0
	s_mov_b32 s70, 0
	s_mov_b32 s72, s52
	;; [unrolled: 1-line block ×3, first 2 shown]
.LBB60_585:                             ; =>This Inner Loop Header: Depth=1
	v_mov_b32_e32 v43, s72
	v_mov_b32_e32 v91, s71
	s_add_i32 s74, s73, 8
	s_add_i32 s73, s73, 26
	v_cmp_eq_u32_e32 vcc_lo, s74, v42
	s_clause 0x1f
	buffer_load_dword v51, v43, s[0:3], 0 offen offset:8
	buffer_load_dword v52, v43, s[0:3], 0 offen offset:12
	buffer_load_dword v53, v43, s[0:3], 0 offen
	buffer_load_dword v54, v43, s[0:3], 0 offen offset:4
	buffer_load_dword v55, v43, s[0:3], 0 offen offset:24
	;; [unrolled: 1-line block ×29, first 2 shown]
	ds_read_b128 v[43:46], v91
	ds_read_b128 v[47:50], v91 offset:16
	s_addk_i32 s71, 0x80
	s_addk_i32 s72, 0x80
	s_or_b32 s70, vcc_lo, s70
	s_waitcnt vmcnt(30) lgkmcnt(1)
	v_mul_f64 v[83:84], v[45:46], v[51:52]
	v_mul_f64 v[51:52], v[43:44], v[51:52]
	s_waitcnt vmcnt(26) lgkmcnt(0)
	v_mul_f64 v[85:86], v[49:50], v[55:56]
	v_mul_f64 v[55:56], v[47:48], v[55:56]
	v_fma_f64 v[83:84], v[43:44], v[53:54], -v[83:84]
	v_fma_f64 v[87:88], v[45:46], v[53:54], v[51:52]
	ds_read_b128 v[43:46], v91 offset:32
	ds_read_b128 v[51:54], v91 offset:48
	s_waitcnt vmcnt(24)
	v_fma_f64 v[47:48], v[47:48], v[57:58], -v[85:86]
	v_fma_f64 v[49:50], v[49:50], v[57:58], v[55:56]
	s_waitcnt vmcnt(22) lgkmcnt(1)
	v_mul_f64 v[89:90], v[45:46], v[59:60]
	v_mul_f64 v[59:60], v[43:44], v[59:60]
	v_add_f64 v[1:2], v[1:2], v[83:84]
	v_add_f64 v[3:4], v[3:4], v[87:88]
	s_waitcnt vmcnt(18) lgkmcnt(0)
	v_mul_f64 v[55:56], v[53:54], v[63:64]
	v_mul_f64 v[57:58], v[51:52], v[63:64]
	v_fma_f64 v[63:64], v[43:44], v[61:62], -v[89:90]
	v_fma_f64 v[59:60], v[45:46], v[61:62], v[59:60]
	v_add_f64 v[47:48], v[1:2], v[47:48]
	v_add_f64 v[49:50], v[3:4], v[49:50]
	ds_read_b128 v[1:4], v91 offset:64
	ds_read_b128 v[43:46], v91 offset:80
	s_waitcnt vmcnt(16)
	v_fma_f64 v[51:52], v[51:52], v[65:66], -v[55:56]
	v_fma_f64 v[53:54], v[53:54], v[65:66], v[57:58]
	s_waitcnt vmcnt(12) lgkmcnt(1)
	v_mul_f64 v[61:62], v[3:4], v[67:68]
	v_mul_f64 v[67:68], v[1:2], v[67:68]
	v_add_f64 v[47:48], v[47:48], v[63:64]
	v_add_f64 v[49:50], v[49:50], v[59:60]
	s_waitcnt vmcnt(10) lgkmcnt(0)
	v_mul_f64 v[55:56], v[45:46], v[69:70]
	v_mul_f64 v[57:58], v[43:44], v[69:70]
	s_waitcnt vmcnt(8)
	v_fma_f64 v[59:60], v[1:2], v[73:74], -v[61:62]
	v_fma_f64 v[61:62], v[3:4], v[73:74], v[67:68]
	v_add_f64 v[51:52], v[47:48], v[51:52]
	v_add_f64 v[53:54], v[49:50], v[53:54]
	ds_read_b128 v[1:4], v91 offset:96
	ds_read_b128 v[47:50], v91 offset:112
	v_fma_f64 v[43:44], v[43:44], v[71:72], -v[55:56]
	v_fma_f64 v[45:46], v[45:46], v[71:72], v[57:58]
	s_waitcnt vmcnt(4) lgkmcnt(1)
	v_mul_f64 v[63:64], v[3:4], v[75:76]
	v_mul_f64 v[65:66], v[1:2], v[75:76]
	v_add_f64 v[51:52], v[51:52], v[59:60]
	v_add_f64 v[53:54], v[53:54], v[61:62]
	s_waitcnt vmcnt(2) lgkmcnt(0)
	v_mul_f64 v[55:56], v[49:50], v[77:78]
	v_mul_f64 v[57:58], v[47:48], v[77:78]
	s_waitcnt vmcnt(0)
	v_fma_f64 v[1:2], v[1:2], v[81:82], -v[63:64]
	v_fma_f64 v[3:4], v[3:4], v[81:82], v[65:66]
	v_add_f64 v[43:44], v[51:52], v[43:44]
	v_add_f64 v[45:46], v[53:54], v[45:46]
	v_fma_f64 v[47:48], v[47:48], v[79:80], -v[55:56]
	v_fma_f64 v[49:50], v[49:50], v[79:80], v[57:58]
	v_add_f64 v[1:2], v[43:44], v[1:2]
	v_add_f64 v[3:4], v[45:46], v[3:4]
	v_mov_b32_e32 v43, s73
	s_mov_b32 s73, s74
	v_add_f64 v[1:2], v[1:2], v[47:48]
	v_add_f64 v[3:4], v[3:4], v[49:50]
	s_andn2_b32 exec_lo, exec_lo, s70
	s_cbranch_execnz .LBB60_585
; %bb.586:
	s_or_b32 exec_lo, exec_lo, s70
.LBB60_587:
	s_or_b32 exec_lo, exec_lo, s4
	v_and_b32_e32 v41, 7, v41
	s_mov_b32 s70, 0
	s_mov_b32 s4, exec_lo
	v_cmpx_ne_u32_e32 0, v41
	s_cbranch_execz .LBB60_591
; %bb.588:
	v_lshlrev_b32_e32 v43, 4, v43
	v_add_nc_u32_e32 v42, 0x3d0, v43
	.p2align	6
.LBB60_589:                             ; =>This Inner Loop Header: Depth=1
	s_clause 0x3
	buffer_load_dword v48, v43, s[0:3], 0 offen offset:8
	buffer_load_dword v49, v43, s[0:3], 0 offen offset:12
	buffer_load_dword v50, v43, s[0:3], 0 offen
	buffer_load_dword v51, v43, s[0:3], 0 offen offset:4
	ds_read_b128 v[44:47], v42
	v_add_nc_u32_e32 v41, -1, v41
	v_add_nc_u32_e32 v42, 16, v42
	v_add_nc_u32_e32 v43, 16, v43
	v_cmp_eq_u32_e32 vcc_lo, 0, v41
	s_or_b32 s70, vcc_lo, s70
	s_waitcnt vmcnt(2) lgkmcnt(0)
	v_mul_f64 v[52:53], v[46:47], v[48:49]
	v_mul_f64 v[48:49], v[44:45], v[48:49]
	s_waitcnt vmcnt(0)
	v_fma_f64 v[44:45], v[44:45], v[50:51], -v[52:53]
	v_fma_f64 v[46:47], v[46:47], v[50:51], v[48:49]
	v_add_f64 v[1:2], v[1:2], v[44:45]
	v_add_f64 v[3:4], v[3:4], v[46:47]
	s_andn2_b32 exec_lo, exec_lo, s70
	s_cbranch_execnz .LBB60_589
; %bb.590:
	s_or_b32 exec_lo, exec_lo, s70
.LBB60_591:
	s_or_b32 exec_lo, exec_lo, s4
.LBB60_592:
	s_or_b32 exec_lo, exec_lo, s8
	v_mov_b32_e32 v41, 0
	ds_read_b128 v[41:44], v41 offset:272
	s_waitcnt lgkmcnt(0)
	v_mul_f64 v[45:46], v[3:4], v[43:44]
	v_mul_f64 v[43:44], v[1:2], v[43:44]
	v_fma_f64 v[1:2], v[1:2], v[41:42], -v[45:46]
	v_fma_f64 v[3:4], v[3:4], v[41:42], v[43:44]
	buffer_store_dword v2, off, s[0:3], 0 offset:276
	buffer_store_dword v1, off, s[0:3], 0 offset:272
	;; [unrolled: 1-line block ×4, first 2 shown]
.LBB60_593:
	s_or_b32 exec_lo, exec_lo, s6
	v_mov_b32_e32 v4, s54
	v_cmp_lt_u32_e64 s4, 16, v0
	s_clause 0x3
	buffer_load_dword v1, v4, s[0:3], 0 offen
	buffer_load_dword v2, v4, s[0:3], 0 offen offset:4
	buffer_load_dword v3, v4, s[0:3], 0 offen offset:8
	;; [unrolled: 1-line block ×3, first 2 shown]
	s_waitcnt vmcnt(0)
	ds_write_b128 v40, v[1:4]
	s_waitcnt lgkmcnt(0)
	s_waitcnt_vscnt null, 0x0
	s_barrier
	buffer_gl0_inv
	s_and_saveexec_b32 s6, s4
	s_cbranch_execz .LBB60_607
; %bb.594:
	ds_read_b128 v[1:4], v40
	s_andn2_b32 vcc_lo, exec_lo, s7
	s_cbranch_vccnz .LBB60_596
; %bb.595:
	s_clause 0x3
	buffer_load_dword v41, v39, s[0:3], 0 offen offset:8
	buffer_load_dword v42, v39, s[0:3], 0 offen offset:12
	buffer_load_dword v43, v39, s[0:3], 0 offen
	buffer_load_dword v44, v39, s[0:3], 0 offen offset:4
	s_waitcnt vmcnt(2) lgkmcnt(0)
	v_mul_f64 v[45:46], v[3:4], v[41:42]
	v_mul_f64 v[41:42], v[1:2], v[41:42]
	s_waitcnt vmcnt(0)
	v_fma_f64 v[1:2], v[1:2], v[43:44], -v[45:46]
	v_fma_f64 v[3:4], v[3:4], v[43:44], v[41:42]
.LBB60_596:
	s_and_saveexec_b32 s8, s5
	s_cbranch_execz .LBB60_606
; %bb.597:
	v_subrev_nc_u32_e32 v42, 18, v0
	v_mov_b32_e32 v43, 17
	v_subrev_nc_u32_e32 v41, 17, v0
	s_mov_b32 s5, exec_lo
	v_cmpx_lt_u32_e32 6, v42
	s_cbranch_execz .LBB60_601
; %bb.598:
	v_and_b32_e32 v42, -8, v41
	s_movk_i32 s71, 0x4e0
	s_mov_b32 s70, 0
	s_mov_b32 s72, s53
	;; [unrolled: 1-line block ×3, first 2 shown]
.LBB60_599:                             ; =>This Inner Loop Header: Depth=1
	v_mov_b32_e32 v43, s72
	v_mov_b32_e32 v91, s71
	s_add_i32 s74, s73, 8
	s_add_i32 s73, s73, 25
	v_cmp_eq_u32_e32 vcc_lo, s74, v42
	s_clause 0x1f
	buffer_load_dword v51, v43, s[0:3], 0 offen offset:8
	buffer_load_dword v52, v43, s[0:3], 0 offen offset:12
	buffer_load_dword v53, v43, s[0:3], 0 offen
	buffer_load_dword v54, v43, s[0:3], 0 offen offset:4
	buffer_load_dword v55, v43, s[0:3], 0 offen offset:24
	;; [unrolled: 1-line block ×29, first 2 shown]
	ds_read_b128 v[43:46], v91
	ds_read_b128 v[47:50], v91 offset:16
	s_addk_i32 s71, 0x80
	s_addk_i32 s72, 0x80
	s_or_b32 s70, vcc_lo, s70
	s_waitcnt vmcnt(30) lgkmcnt(1)
	v_mul_f64 v[83:84], v[45:46], v[51:52]
	v_mul_f64 v[51:52], v[43:44], v[51:52]
	s_waitcnt vmcnt(26) lgkmcnt(0)
	v_mul_f64 v[85:86], v[49:50], v[55:56]
	v_mul_f64 v[55:56], v[47:48], v[55:56]
	v_fma_f64 v[83:84], v[43:44], v[53:54], -v[83:84]
	v_fma_f64 v[87:88], v[45:46], v[53:54], v[51:52]
	ds_read_b128 v[43:46], v91 offset:32
	ds_read_b128 v[51:54], v91 offset:48
	s_waitcnt vmcnt(24)
	v_fma_f64 v[47:48], v[47:48], v[57:58], -v[85:86]
	v_fma_f64 v[49:50], v[49:50], v[57:58], v[55:56]
	s_waitcnt vmcnt(22) lgkmcnt(1)
	v_mul_f64 v[89:90], v[45:46], v[59:60]
	v_mul_f64 v[59:60], v[43:44], v[59:60]
	v_add_f64 v[1:2], v[1:2], v[83:84]
	v_add_f64 v[3:4], v[3:4], v[87:88]
	s_waitcnt vmcnt(18) lgkmcnt(0)
	v_mul_f64 v[55:56], v[53:54], v[63:64]
	v_mul_f64 v[57:58], v[51:52], v[63:64]
	v_fma_f64 v[63:64], v[43:44], v[61:62], -v[89:90]
	v_fma_f64 v[59:60], v[45:46], v[61:62], v[59:60]
	v_add_f64 v[47:48], v[1:2], v[47:48]
	v_add_f64 v[49:50], v[3:4], v[49:50]
	ds_read_b128 v[1:4], v91 offset:64
	ds_read_b128 v[43:46], v91 offset:80
	s_waitcnt vmcnt(16)
	v_fma_f64 v[51:52], v[51:52], v[65:66], -v[55:56]
	v_fma_f64 v[53:54], v[53:54], v[65:66], v[57:58]
	s_waitcnt vmcnt(12) lgkmcnt(1)
	v_mul_f64 v[61:62], v[3:4], v[67:68]
	v_mul_f64 v[67:68], v[1:2], v[67:68]
	v_add_f64 v[47:48], v[47:48], v[63:64]
	v_add_f64 v[49:50], v[49:50], v[59:60]
	s_waitcnt vmcnt(10) lgkmcnt(0)
	v_mul_f64 v[55:56], v[45:46], v[69:70]
	v_mul_f64 v[57:58], v[43:44], v[69:70]
	s_waitcnt vmcnt(8)
	v_fma_f64 v[59:60], v[1:2], v[73:74], -v[61:62]
	v_fma_f64 v[61:62], v[3:4], v[73:74], v[67:68]
	v_add_f64 v[51:52], v[47:48], v[51:52]
	v_add_f64 v[53:54], v[49:50], v[53:54]
	ds_read_b128 v[1:4], v91 offset:96
	ds_read_b128 v[47:50], v91 offset:112
	v_fma_f64 v[43:44], v[43:44], v[71:72], -v[55:56]
	v_fma_f64 v[45:46], v[45:46], v[71:72], v[57:58]
	s_waitcnt vmcnt(4) lgkmcnt(1)
	v_mul_f64 v[63:64], v[3:4], v[75:76]
	v_mul_f64 v[65:66], v[1:2], v[75:76]
	v_add_f64 v[51:52], v[51:52], v[59:60]
	v_add_f64 v[53:54], v[53:54], v[61:62]
	s_waitcnt vmcnt(2) lgkmcnt(0)
	v_mul_f64 v[55:56], v[49:50], v[77:78]
	v_mul_f64 v[57:58], v[47:48], v[77:78]
	s_waitcnt vmcnt(0)
	v_fma_f64 v[1:2], v[1:2], v[81:82], -v[63:64]
	v_fma_f64 v[3:4], v[3:4], v[81:82], v[65:66]
	v_add_f64 v[43:44], v[51:52], v[43:44]
	v_add_f64 v[45:46], v[53:54], v[45:46]
	v_fma_f64 v[47:48], v[47:48], v[79:80], -v[55:56]
	v_fma_f64 v[49:50], v[49:50], v[79:80], v[57:58]
	v_add_f64 v[1:2], v[43:44], v[1:2]
	v_add_f64 v[3:4], v[45:46], v[3:4]
	v_mov_b32_e32 v43, s73
	s_mov_b32 s73, s74
	v_add_f64 v[1:2], v[1:2], v[47:48]
	v_add_f64 v[3:4], v[3:4], v[49:50]
	s_andn2_b32 exec_lo, exec_lo, s70
	s_cbranch_execnz .LBB60_599
; %bb.600:
	s_or_b32 exec_lo, exec_lo, s70
.LBB60_601:
	s_or_b32 exec_lo, exec_lo, s5
	v_and_b32_e32 v41, 7, v41
	s_mov_b32 s70, 0
	s_mov_b32 s5, exec_lo
	v_cmpx_ne_u32_e32 0, v41
	s_cbranch_execz .LBB60_605
; %bb.602:
	v_lshlrev_b32_e32 v43, 4, v43
	v_add_nc_u32_e32 v42, 0x3d0, v43
	.p2align	6
.LBB60_603:                             ; =>This Inner Loop Header: Depth=1
	s_clause 0x3
	buffer_load_dword v48, v43, s[0:3], 0 offen offset:8
	buffer_load_dword v49, v43, s[0:3], 0 offen offset:12
	buffer_load_dword v50, v43, s[0:3], 0 offen
	buffer_load_dword v51, v43, s[0:3], 0 offen offset:4
	ds_read_b128 v[44:47], v42
	v_add_nc_u32_e32 v41, -1, v41
	v_add_nc_u32_e32 v42, 16, v42
	v_add_nc_u32_e32 v43, 16, v43
	v_cmp_eq_u32_e32 vcc_lo, 0, v41
	s_or_b32 s70, vcc_lo, s70
	s_waitcnt vmcnt(2) lgkmcnt(0)
	v_mul_f64 v[52:53], v[46:47], v[48:49]
	v_mul_f64 v[48:49], v[44:45], v[48:49]
	s_waitcnt vmcnt(0)
	v_fma_f64 v[44:45], v[44:45], v[50:51], -v[52:53]
	v_fma_f64 v[46:47], v[46:47], v[50:51], v[48:49]
	v_add_f64 v[1:2], v[1:2], v[44:45]
	v_add_f64 v[3:4], v[3:4], v[46:47]
	s_andn2_b32 exec_lo, exec_lo, s70
	s_cbranch_execnz .LBB60_603
; %bb.604:
	s_or_b32 exec_lo, exec_lo, s70
.LBB60_605:
	s_or_b32 exec_lo, exec_lo, s5
.LBB60_606:
	s_or_b32 exec_lo, exec_lo, s8
	v_mov_b32_e32 v41, 0
	ds_read_b128 v[41:44], v41 offset:256
	s_waitcnt lgkmcnt(0)
	v_mul_f64 v[45:46], v[3:4], v[43:44]
	v_mul_f64 v[43:44], v[1:2], v[43:44]
	v_fma_f64 v[1:2], v[1:2], v[41:42], -v[45:46]
	v_fma_f64 v[3:4], v[3:4], v[41:42], v[43:44]
	buffer_store_dword v2, off, s[0:3], 0 offset:260
	buffer_store_dword v1, off, s[0:3], 0 offset:256
	;; [unrolled: 1-line block ×4, first 2 shown]
.LBB60_607:
	s_or_b32 exec_lo, exec_lo, s6
	v_mov_b32_e32 v4, s55
	v_cmp_lt_u32_e64 s5, 15, v0
	s_clause 0x3
	buffer_load_dword v1, v4, s[0:3], 0 offen
	buffer_load_dword v2, v4, s[0:3], 0 offen offset:4
	buffer_load_dword v3, v4, s[0:3], 0 offen offset:8
	;; [unrolled: 1-line block ×3, first 2 shown]
	s_waitcnt vmcnt(0)
	ds_write_b128 v40, v[1:4]
	s_waitcnt lgkmcnt(0)
	s_waitcnt_vscnt null, 0x0
	s_barrier
	buffer_gl0_inv
	s_and_saveexec_b32 s6, s5
	s_cbranch_execz .LBB60_621
; %bb.608:
	ds_read_b128 v[1:4], v40
	s_andn2_b32 vcc_lo, exec_lo, s7
	s_cbranch_vccnz .LBB60_610
; %bb.609:
	s_clause 0x3
	buffer_load_dword v41, v39, s[0:3], 0 offen offset:8
	buffer_load_dword v42, v39, s[0:3], 0 offen offset:12
	buffer_load_dword v43, v39, s[0:3], 0 offen
	buffer_load_dword v44, v39, s[0:3], 0 offen offset:4
	s_waitcnt vmcnt(2) lgkmcnt(0)
	v_mul_f64 v[45:46], v[3:4], v[41:42]
	v_mul_f64 v[41:42], v[1:2], v[41:42]
	s_waitcnt vmcnt(0)
	v_fma_f64 v[1:2], v[1:2], v[43:44], -v[45:46]
	v_fma_f64 v[3:4], v[3:4], v[43:44], v[41:42]
.LBB60_610:
	s_and_saveexec_b32 s8, s4
	s_cbranch_execz .LBB60_620
; %bb.611:
	v_subrev_nc_u32_e32 v41, 17, v0
	v_cmp_lt_u32_e32 vcc_lo, 6, v41
	v_mov_b32_e32 v41, 16
	s_and_saveexec_b32 s4, vcc_lo
	s_cbranch_execz .LBB60_615
; %bb.612:
	v_and_b32_e32 v41, 56, v0
	s_mov_b32 s70, 16
	s_movk_i32 s72, 0x4d0
	s_mov_b32 s71, 0
	s_mov_b32 s73, s54
.LBB60_613:                             ; =>This Inner Loop Header: Depth=1
	v_mov_b32_e32 v42, s73
	v_mov_b32_e32 v90, s72
	s_add_i32 s70, s70, 8
	s_addk_i32 s72, 0x80
	v_cmp_eq_u32_e32 vcc_lo, s70, v41
	s_clause 0x1f
	buffer_load_dword v50, v42, s[0:3], 0 offen offset:8
	buffer_load_dword v51, v42, s[0:3], 0 offen offset:12
	buffer_load_dword v52, v42, s[0:3], 0 offen
	buffer_load_dword v53, v42, s[0:3], 0 offen offset:4
	buffer_load_dword v54, v42, s[0:3], 0 offen offset:24
	;; [unrolled: 1-line block ×29, first 2 shown]
	ds_read_b128 v[42:45], v90
	ds_read_b128 v[46:49], v90 offset:16
	s_addk_i32 s73, 0x80
	s_or_b32 s71, vcc_lo, s71
	s_waitcnt vmcnt(30) lgkmcnt(1)
	v_mul_f64 v[82:83], v[44:45], v[50:51]
	v_mul_f64 v[50:51], v[42:43], v[50:51]
	s_waitcnt vmcnt(26) lgkmcnt(0)
	v_mul_f64 v[84:85], v[48:49], v[54:55]
	v_mul_f64 v[54:55], v[46:47], v[54:55]
	v_fma_f64 v[82:83], v[42:43], v[52:53], -v[82:83]
	v_fma_f64 v[86:87], v[44:45], v[52:53], v[50:51]
	ds_read_b128 v[42:45], v90 offset:32
	ds_read_b128 v[50:53], v90 offset:48
	s_waitcnt vmcnt(24)
	v_fma_f64 v[46:47], v[46:47], v[56:57], -v[84:85]
	v_fma_f64 v[48:49], v[48:49], v[56:57], v[54:55]
	s_waitcnt vmcnt(22) lgkmcnt(1)
	v_mul_f64 v[88:89], v[44:45], v[58:59]
	v_mul_f64 v[58:59], v[42:43], v[58:59]
	v_add_f64 v[1:2], v[1:2], v[82:83]
	v_add_f64 v[3:4], v[3:4], v[86:87]
	s_waitcnt vmcnt(18) lgkmcnt(0)
	v_mul_f64 v[54:55], v[52:53], v[62:63]
	v_mul_f64 v[56:57], v[50:51], v[62:63]
	v_fma_f64 v[62:63], v[42:43], v[60:61], -v[88:89]
	v_fma_f64 v[58:59], v[44:45], v[60:61], v[58:59]
	v_add_f64 v[46:47], v[1:2], v[46:47]
	v_add_f64 v[48:49], v[3:4], v[48:49]
	ds_read_b128 v[1:4], v90 offset:64
	ds_read_b128 v[42:45], v90 offset:80
	s_waitcnt vmcnt(16)
	v_fma_f64 v[50:51], v[50:51], v[64:65], -v[54:55]
	v_fma_f64 v[52:53], v[52:53], v[64:65], v[56:57]
	s_waitcnt vmcnt(12) lgkmcnt(1)
	v_mul_f64 v[60:61], v[3:4], v[66:67]
	v_mul_f64 v[66:67], v[1:2], v[66:67]
	v_add_f64 v[46:47], v[46:47], v[62:63]
	v_add_f64 v[48:49], v[48:49], v[58:59]
	s_waitcnt vmcnt(10) lgkmcnt(0)
	v_mul_f64 v[54:55], v[44:45], v[68:69]
	v_mul_f64 v[56:57], v[42:43], v[68:69]
	s_waitcnt vmcnt(8)
	v_fma_f64 v[58:59], v[1:2], v[72:73], -v[60:61]
	v_fma_f64 v[60:61], v[3:4], v[72:73], v[66:67]
	v_add_f64 v[50:51], v[46:47], v[50:51]
	v_add_f64 v[52:53], v[48:49], v[52:53]
	ds_read_b128 v[1:4], v90 offset:96
	ds_read_b128 v[46:49], v90 offset:112
	v_fma_f64 v[42:43], v[42:43], v[70:71], -v[54:55]
	v_fma_f64 v[44:45], v[44:45], v[70:71], v[56:57]
	s_waitcnt vmcnt(4) lgkmcnt(1)
	v_mul_f64 v[62:63], v[3:4], v[74:75]
	v_mul_f64 v[64:65], v[1:2], v[74:75]
	v_add_f64 v[50:51], v[50:51], v[58:59]
	v_add_f64 v[52:53], v[52:53], v[60:61]
	s_waitcnt vmcnt(2) lgkmcnt(0)
	v_mul_f64 v[54:55], v[48:49], v[76:77]
	v_mul_f64 v[56:57], v[46:47], v[76:77]
	s_waitcnt vmcnt(0)
	v_fma_f64 v[1:2], v[1:2], v[80:81], -v[62:63]
	v_fma_f64 v[3:4], v[3:4], v[80:81], v[64:65]
	v_add_f64 v[42:43], v[50:51], v[42:43]
	v_add_f64 v[44:45], v[52:53], v[44:45]
	v_fma_f64 v[46:47], v[46:47], v[78:79], -v[54:55]
	v_fma_f64 v[48:49], v[48:49], v[78:79], v[56:57]
	v_add_f64 v[1:2], v[42:43], v[1:2]
	v_add_f64 v[3:4], v[44:45], v[3:4]
	;; [unrolled: 1-line block ×4, first 2 shown]
	s_andn2_b32 exec_lo, exec_lo, s71
	s_cbranch_execnz .LBB60_613
; %bb.614:
	s_or_b32 exec_lo, exec_lo, s71
.LBB60_615:
	s_or_b32 exec_lo, exec_lo, s4
	v_and_b32_e32 v42, 7, v0
	s_mov_b32 s70, 0
	s_mov_b32 s4, exec_lo
	v_cmpx_ne_u32_e32 0, v42
	s_cbranch_execz .LBB60_619
; %bb.616:
	v_lshlrev_b32_e32 v43, 4, v41
	v_add_nc_u32_e32 v41, 0x3d0, v43
	.p2align	6
.LBB60_617:                             ; =>This Inner Loop Header: Depth=1
	s_clause 0x3
	buffer_load_dword v48, v43, s[0:3], 0 offen offset:8
	buffer_load_dword v49, v43, s[0:3], 0 offen offset:12
	buffer_load_dword v50, v43, s[0:3], 0 offen
	buffer_load_dword v51, v43, s[0:3], 0 offen offset:4
	ds_read_b128 v[44:47], v41
	v_add_nc_u32_e32 v42, -1, v42
	v_add_nc_u32_e32 v41, 16, v41
	v_add_nc_u32_e32 v43, 16, v43
	v_cmp_eq_u32_e32 vcc_lo, 0, v42
	s_or_b32 s70, vcc_lo, s70
	s_waitcnt vmcnt(2) lgkmcnt(0)
	v_mul_f64 v[52:53], v[46:47], v[48:49]
	v_mul_f64 v[48:49], v[44:45], v[48:49]
	s_waitcnt vmcnt(0)
	v_fma_f64 v[44:45], v[44:45], v[50:51], -v[52:53]
	v_fma_f64 v[46:47], v[46:47], v[50:51], v[48:49]
	v_add_f64 v[1:2], v[1:2], v[44:45]
	v_add_f64 v[3:4], v[3:4], v[46:47]
	s_andn2_b32 exec_lo, exec_lo, s70
	s_cbranch_execnz .LBB60_617
; %bb.618:
	s_or_b32 exec_lo, exec_lo, s70
.LBB60_619:
	s_or_b32 exec_lo, exec_lo, s4
.LBB60_620:
	s_or_b32 exec_lo, exec_lo, s8
	v_mov_b32_e32 v41, 0
	ds_read_b128 v[41:44], v41 offset:240
	s_waitcnt lgkmcnt(0)
	v_mul_f64 v[45:46], v[3:4], v[43:44]
	v_mul_f64 v[43:44], v[1:2], v[43:44]
	v_fma_f64 v[1:2], v[1:2], v[41:42], -v[45:46]
	v_fma_f64 v[3:4], v[3:4], v[41:42], v[43:44]
	buffer_store_dword v2, off, s[0:3], 0 offset:244
	buffer_store_dword v1, off, s[0:3], 0 offset:240
	;; [unrolled: 1-line block ×4, first 2 shown]
.LBB60_621:
	s_or_b32 exec_lo, exec_lo, s6
	v_mov_b32_e32 v4, s56
	v_cmp_lt_u32_e64 s4, 14, v0
	s_clause 0x3
	buffer_load_dword v1, v4, s[0:3], 0 offen
	buffer_load_dword v2, v4, s[0:3], 0 offen offset:4
	buffer_load_dword v3, v4, s[0:3], 0 offen offset:8
	;; [unrolled: 1-line block ×3, first 2 shown]
	s_waitcnt vmcnt(0)
	ds_write_b128 v40, v[1:4]
	s_waitcnt lgkmcnt(0)
	s_waitcnt_vscnt null, 0x0
	s_barrier
	buffer_gl0_inv
	s_and_saveexec_b32 s6, s4
	s_cbranch_execz .LBB60_635
; %bb.622:
	ds_read_b128 v[1:4], v40
	s_andn2_b32 vcc_lo, exec_lo, s7
	s_cbranch_vccnz .LBB60_624
; %bb.623:
	s_clause 0x3
	buffer_load_dword v41, v39, s[0:3], 0 offen offset:8
	buffer_load_dword v42, v39, s[0:3], 0 offen offset:12
	buffer_load_dword v43, v39, s[0:3], 0 offen
	buffer_load_dword v44, v39, s[0:3], 0 offen offset:4
	s_waitcnt vmcnt(2) lgkmcnt(0)
	v_mul_f64 v[45:46], v[3:4], v[41:42]
	v_mul_f64 v[41:42], v[1:2], v[41:42]
	s_waitcnt vmcnt(0)
	v_fma_f64 v[1:2], v[1:2], v[43:44], -v[45:46]
	v_fma_f64 v[3:4], v[3:4], v[43:44], v[41:42]
.LBB60_624:
	s_and_saveexec_b32 s8, s5
	s_cbranch_execz .LBB60_634
; %bb.625:
	v_add_nc_u32_e32 v42, -16, v0
	v_add_nc_u32_e32 v41, -15, v0
	v_mov_b32_e32 v43, 15
	s_mov_b32 s5, exec_lo
	v_cmpx_lt_u32_e32 6, v42
	s_cbranch_execz .LBB60_629
; %bb.626:
	v_and_b32_e32 v42, -8, v41
	s_movk_i32 s71, 0x4c0
	s_mov_b32 s70, 0
	s_mov_b32 s72, s55
	;; [unrolled: 1-line block ×3, first 2 shown]
.LBB60_627:                             ; =>This Inner Loop Header: Depth=1
	v_mov_b32_e32 v43, s72
	v_mov_b32_e32 v91, s71
	s_add_i32 s74, s73, 8
	s_add_i32 s73, s73, 23
	v_cmp_eq_u32_e32 vcc_lo, s74, v42
	s_clause 0x1f
	buffer_load_dword v51, v43, s[0:3], 0 offen offset:8
	buffer_load_dword v52, v43, s[0:3], 0 offen offset:12
	buffer_load_dword v53, v43, s[0:3], 0 offen
	buffer_load_dword v54, v43, s[0:3], 0 offen offset:4
	buffer_load_dword v55, v43, s[0:3], 0 offen offset:24
	buffer_load_dword v56, v43, s[0:3], 0 offen offset:28
	buffer_load_dword v57, v43, s[0:3], 0 offen offset:16
	buffer_load_dword v58, v43, s[0:3], 0 offen offset:20
	buffer_load_dword v59, v43, s[0:3], 0 offen offset:40
	buffer_load_dword v60, v43, s[0:3], 0 offen offset:44
	buffer_load_dword v61, v43, s[0:3], 0 offen offset:32
	buffer_load_dword v62, v43, s[0:3], 0 offen offset:36
	buffer_load_dword v63, v43, s[0:3], 0 offen offset:56
	buffer_load_dword v64, v43, s[0:3], 0 offen offset:60
	buffer_load_dword v65, v43, s[0:3], 0 offen offset:48
	buffer_load_dword v66, v43, s[0:3], 0 offen offset:52
	buffer_load_dword v68, v43, s[0:3], 0 offen offset:76
	buffer_load_dword v69, v43, s[0:3], 0 offen offset:88
	buffer_load_dword v71, v43, s[0:3], 0 offen offset:80
	buffer_load_dword v67, v43, s[0:3], 0 offen offset:72
	buffer_load_dword v72, v43, s[0:3], 0 offen offset:84
	buffer_load_dword v70, v43, s[0:3], 0 offen offset:92
	buffer_load_dword v74, v43, s[0:3], 0 offen offset:68
	buffer_load_dword v73, v43, s[0:3], 0 offen offset:64
	buffer_load_dword v76, v43, s[0:3], 0 offen offset:108
	buffer_load_dword v77, v43, s[0:3], 0 offen offset:120
	buffer_load_dword v79, v43, s[0:3], 0 offen offset:112
	buffer_load_dword v75, v43, s[0:3], 0 offen offset:104
	buffer_load_dword v80, v43, s[0:3], 0 offen offset:116
	buffer_load_dword v78, v43, s[0:3], 0 offen offset:124
	buffer_load_dword v82, v43, s[0:3], 0 offen offset:100
	buffer_load_dword v81, v43, s[0:3], 0 offen offset:96
	ds_read_b128 v[43:46], v91
	ds_read_b128 v[47:50], v91 offset:16
	s_addk_i32 s71, 0x80
	s_addk_i32 s72, 0x80
	s_or_b32 s70, vcc_lo, s70
	s_waitcnt vmcnt(30) lgkmcnt(1)
	v_mul_f64 v[83:84], v[45:46], v[51:52]
	v_mul_f64 v[51:52], v[43:44], v[51:52]
	s_waitcnt vmcnt(26) lgkmcnt(0)
	v_mul_f64 v[85:86], v[49:50], v[55:56]
	v_mul_f64 v[55:56], v[47:48], v[55:56]
	v_fma_f64 v[83:84], v[43:44], v[53:54], -v[83:84]
	v_fma_f64 v[87:88], v[45:46], v[53:54], v[51:52]
	ds_read_b128 v[43:46], v91 offset:32
	ds_read_b128 v[51:54], v91 offset:48
	s_waitcnt vmcnt(24)
	v_fma_f64 v[47:48], v[47:48], v[57:58], -v[85:86]
	v_fma_f64 v[49:50], v[49:50], v[57:58], v[55:56]
	s_waitcnt vmcnt(22) lgkmcnt(1)
	v_mul_f64 v[89:90], v[45:46], v[59:60]
	v_mul_f64 v[59:60], v[43:44], v[59:60]
	v_add_f64 v[1:2], v[1:2], v[83:84]
	v_add_f64 v[3:4], v[3:4], v[87:88]
	s_waitcnt vmcnt(18) lgkmcnt(0)
	v_mul_f64 v[55:56], v[53:54], v[63:64]
	v_mul_f64 v[57:58], v[51:52], v[63:64]
	v_fma_f64 v[63:64], v[43:44], v[61:62], -v[89:90]
	v_fma_f64 v[59:60], v[45:46], v[61:62], v[59:60]
	v_add_f64 v[47:48], v[1:2], v[47:48]
	v_add_f64 v[49:50], v[3:4], v[49:50]
	ds_read_b128 v[1:4], v91 offset:64
	ds_read_b128 v[43:46], v91 offset:80
	s_waitcnt vmcnt(16)
	v_fma_f64 v[51:52], v[51:52], v[65:66], -v[55:56]
	v_fma_f64 v[53:54], v[53:54], v[65:66], v[57:58]
	s_waitcnt vmcnt(12) lgkmcnt(1)
	v_mul_f64 v[61:62], v[3:4], v[67:68]
	v_mul_f64 v[67:68], v[1:2], v[67:68]
	v_add_f64 v[47:48], v[47:48], v[63:64]
	v_add_f64 v[49:50], v[49:50], v[59:60]
	s_waitcnt vmcnt(10) lgkmcnt(0)
	v_mul_f64 v[55:56], v[45:46], v[69:70]
	v_mul_f64 v[57:58], v[43:44], v[69:70]
	s_waitcnt vmcnt(8)
	v_fma_f64 v[59:60], v[1:2], v[73:74], -v[61:62]
	v_fma_f64 v[61:62], v[3:4], v[73:74], v[67:68]
	v_add_f64 v[51:52], v[47:48], v[51:52]
	v_add_f64 v[53:54], v[49:50], v[53:54]
	ds_read_b128 v[1:4], v91 offset:96
	ds_read_b128 v[47:50], v91 offset:112
	v_fma_f64 v[43:44], v[43:44], v[71:72], -v[55:56]
	v_fma_f64 v[45:46], v[45:46], v[71:72], v[57:58]
	s_waitcnt vmcnt(4) lgkmcnt(1)
	v_mul_f64 v[63:64], v[3:4], v[75:76]
	v_mul_f64 v[65:66], v[1:2], v[75:76]
	v_add_f64 v[51:52], v[51:52], v[59:60]
	v_add_f64 v[53:54], v[53:54], v[61:62]
	s_waitcnt vmcnt(2) lgkmcnt(0)
	v_mul_f64 v[55:56], v[49:50], v[77:78]
	v_mul_f64 v[57:58], v[47:48], v[77:78]
	s_waitcnt vmcnt(0)
	v_fma_f64 v[1:2], v[1:2], v[81:82], -v[63:64]
	v_fma_f64 v[3:4], v[3:4], v[81:82], v[65:66]
	v_add_f64 v[43:44], v[51:52], v[43:44]
	v_add_f64 v[45:46], v[53:54], v[45:46]
	v_fma_f64 v[47:48], v[47:48], v[79:80], -v[55:56]
	v_fma_f64 v[49:50], v[49:50], v[79:80], v[57:58]
	v_add_f64 v[1:2], v[43:44], v[1:2]
	v_add_f64 v[3:4], v[45:46], v[3:4]
	v_mov_b32_e32 v43, s73
	s_mov_b32 s73, s74
	v_add_f64 v[1:2], v[1:2], v[47:48]
	v_add_f64 v[3:4], v[3:4], v[49:50]
	s_andn2_b32 exec_lo, exec_lo, s70
	s_cbranch_execnz .LBB60_627
; %bb.628:
	s_or_b32 exec_lo, exec_lo, s70
.LBB60_629:
	s_or_b32 exec_lo, exec_lo, s5
	v_and_b32_e32 v41, 7, v41
	s_mov_b32 s70, 0
	s_mov_b32 s5, exec_lo
	v_cmpx_ne_u32_e32 0, v41
	s_cbranch_execz .LBB60_633
; %bb.630:
	v_lshlrev_b32_e32 v43, 4, v43
	v_add_nc_u32_e32 v42, 0x3d0, v43
	.p2align	6
.LBB60_631:                             ; =>This Inner Loop Header: Depth=1
	s_clause 0x3
	buffer_load_dword v48, v43, s[0:3], 0 offen offset:8
	buffer_load_dword v49, v43, s[0:3], 0 offen offset:12
	buffer_load_dword v50, v43, s[0:3], 0 offen
	buffer_load_dword v51, v43, s[0:3], 0 offen offset:4
	ds_read_b128 v[44:47], v42
	v_add_nc_u32_e32 v41, -1, v41
	v_add_nc_u32_e32 v42, 16, v42
	v_add_nc_u32_e32 v43, 16, v43
	v_cmp_eq_u32_e32 vcc_lo, 0, v41
	s_or_b32 s70, vcc_lo, s70
	s_waitcnt vmcnt(2) lgkmcnt(0)
	v_mul_f64 v[52:53], v[46:47], v[48:49]
	v_mul_f64 v[48:49], v[44:45], v[48:49]
	s_waitcnt vmcnt(0)
	v_fma_f64 v[44:45], v[44:45], v[50:51], -v[52:53]
	v_fma_f64 v[46:47], v[46:47], v[50:51], v[48:49]
	v_add_f64 v[1:2], v[1:2], v[44:45]
	v_add_f64 v[3:4], v[3:4], v[46:47]
	s_andn2_b32 exec_lo, exec_lo, s70
	s_cbranch_execnz .LBB60_631
; %bb.632:
	s_or_b32 exec_lo, exec_lo, s70
.LBB60_633:
	s_or_b32 exec_lo, exec_lo, s5
.LBB60_634:
	s_or_b32 exec_lo, exec_lo, s8
	v_mov_b32_e32 v41, 0
	ds_read_b128 v[41:44], v41 offset:224
	s_waitcnt lgkmcnt(0)
	v_mul_f64 v[45:46], v[3:4], v[43:44]
	v_mul_f64 v[43:44], v[1:2], v[43:44]
	v_fma_f64 v[1:2], v[1:2], v[41:42], -v[45:46]
	v_fma_f64 v[3:4], v[3:4], v[41:42], v[43:44]
	buffer_store_dword v2, off, s[0:3], 0 offset:228
	buffer_store_dword v1, off, s[0:3], 0 offset:224
	;; [unrolled: 1-line block ×4, first 2 shown]
.LBB60_635:
	s_or_b32 exec_lo, exec_lo, s6
	v_mov_b32_e32 v4, s57
	v_cmp_lt_u32_e64 s5, 13, v0
	s_clause 0x3
	buffer_load_dword v1, v4, s[0:3], 0 offen
	buffer_load_dword v2, v4, s[0:3], 0 offen offset:4
	buffer_load_dword v3, v4, s[0:3], 0 offen offset:8
	;; [unrolled: 1-line block ×3, first 2 shown]
	s_waitcnt vmcnt(0)
	ds_write_b128 v40, v[1:4]
	s_waitcnt lgkmcnt(0)
	s_waitcnt_vscnt null, 0x0
	s_barrier
	buffer_gl0_inv
	s_and_saveexec_b32 s6, s5
	s_cbranch_execz .LBB60_649
; %bb.636:
	ds_read_b128 v[1:4], v40
	s_andn2_b32 vcc_lo, exec_lo, s7
	s_cbranch_vccnz .LBB60_638
; %bb.637:
	s_clause 0x3
	buffer_load_dword v41, v39, s[0:3], 0 offen offset:8
	buffer_load_dword v42, v39, s[0:3], 0 offen offset:12
	buffer_load_dword v43, v39, s[0:3], 0 offen
	buffer_load_dword v44, v39, s[0:3], 0 offen offset:4
	s_waitcnt vmcnt(2) lgkmcnt(0)
	v_mul_f64 v[45:46], v[3:4], v[41:42]
	v_mul_f64 v[41:42], v[1:2], v[41:42]
	s_waitcnt vmcnt(0)
	v_fma_f64 v[1:2], v[1:2], v[43:44], -v[45:46]
	v_fma_f64 v[3:4], v[3:4], v[43:44], v[41:42]
.LBB60_638:
	s_and_saveexec_b32 s8, s4
	s_cbranch_execz .LBB60_648
; %bb.639:
	v_add_nc_u32_e32 v42, -15, v0
	v_add_nc_u32_e32 v41, -14, v0
	v_mov_b32_e32 v43, 14
	s_mov_b32 s4, exec_lo
	v_cmpx_lt_u32_e32 6, v42
	s_cbranch_execz .LBB60_643
; %bb.640:
	v_and_b32_e32 v42, -8, v41
	s_movk_i32 s71, 0x4b0
	s_mov_b32 s70, 0
	s_mov_b32 s72, s56
	;; [unrolled: 1-line block ×3, first 2 shown]
.LBB60_641:                             ; =>This Inner Loop Header: Depth=1
	v_mov_b32_e32 v43, s72
	v_mov_b32_e32 v91, s71
	s_add_i32 s74, s73, 8
	s_add_i32 s73, s73, 22
	v_cmp_eq_u32_e32 vcc_lo, s74, v42
	s_clause 0x1f
	buffer_load_dword v51, v43, s[0:3], 0 offen offset:8
	buffer_load_dword v52, v43, s[0:3], 0 offen offset:12
	buffer_load_dword v53, v43, s[0:3], 0 offen
	buffer_load_dword v54, v43, s[0:3], 0 offen offset:4
	buffer_load_dword v55, v43, s[0:3], 0 offen offset:24
	buffer_load_dword v56, v43, s[0:3], 0 offen offset:28
	buffer_load_dword v57, v43, s[0:3], 0 offen offset:16
	buffer_load_dword v58, v43, s[0:3], 0 offen offset:20
	buffer_load_dword v59, v43, s[0:3], 0 offen offset:40
	buffer_load_dword v60, v43, s[0:3], 0 offen offset:44
	buffer_load_dword v61, v43, s[0:3], 0 offen offset:32
	buffer_load_dword v62, v43, s[0:3], 0 offen offset:36
	buffer_load_dword v63, v43, s[0:3], 0 offen offset:56
	buffer_load_dword v64, v43, s[0:3], 0 offen offset:60
	buffer_load_dword v65, v43, s[0:3], 0 offen offset:48
	buffer_load_dword v66, v43, s[0:3], 0 offen offset:52
	buffer_load_dword v68, v43, s[0:3], 0 offen offset:76
	buffer_load_dword v69, v43, s[0:3], 0 offen offset:88
	buffer_load_dword v71, v43, s[0:3], 0 offen offset:80
	buffer_load_dword v67, v43, s[0:3], 0 offen offset:72
	buffer_load_dword v72, v43, s[0:3], 0 offen offset:84
	buffer_load_dword v70, v43, s[0:3], 0 offen offset:92
	buffer_load_dword v74, v43, s[0:3], 0 offen offset:68
	buffer_load_dword v73, v43, s[0:3], 0 offen offset:64
	buffer_load_dword v76, v43, s[0:3], 0 offen offset:108
	buffer_load_dword v77, v43, s[0:3], 0 offen offset:120
	buffer_load_dword v79, v43, s[0:3], 0 offen offset:112
	buffer_load_dword v75, v43, s[0:3], 0 offen offset:104
	buffer_load_dword v80, v43, s[0:3], 0 offen offset:116
	buffer_load_dword v78, v43, s[0:3], 0 offen offset:124
	buffer_load_dword v82, v43, s[0:3], 0 offen offset:100
	buffer_load_dword v81, v43, s[0:3], 0 offen offset:96
	ds_read_b128 v[43:46], v91
	ds_read_b128 v[47:50], v91 offset:16
	s_addk_i32 s71, 0x80
	s_addk_i32 s72, 0x80
	s_or_b32 s70, vcc_lo, s70
	s_waitcnt vmcnt(30) lgkmcnt(1)
	v_mul_f64 v[83:84], v[45:46], v[51:52]
	v_mul_f64 v[51:52], v[43:44], v[51:52]
	s_waitcnt vmcnt(26) lgkmcnt(0)
	v_mul_f64 v[85:86], v[49:50], v[55:56]
	v_mul_f64 v[55:56], v[47:48], v[55:56]
	v_fma_f64 v[83:84], v[43:44], v[53:54], -v[83:84]
	v_fma_f64 v[87:88], v[45:46], v[53:54], v[51:52]
	ds_read_b128 v[43:46], v91 offset:32
	ds_read_b128 v[51:54], v91 offset:48
	s_waitcnt vmcnt(24)
	v_fma_f64 v[47:48], v[47:48], v[57:58], -v[85:86]
	v_fma_f64 v[49:50], v[49:50], v[57:58], v[55:56]
	s_waitcnt vmcnt(22) lgkmcnt(1)
	v_mul_f64 v[89:90], v[45:46], v[59:60]
	v_mul_f64 v[59:60], v[43:44], v[59:60]
	v_add_f64 v[1:2], v[1:2], v[83:84]
	v_add_f64 v[3:4], v[3:4], v[87:88]
	s_waitcnt vmcnt(18) lgkmcnt(0)
	v_mul_f64 v[55:56], v[53:54], v[63:64]
	v_mul_f64 v[57:58], v[51:52], v[63:64]
	v_fma_f64 v[63:64], v[43:44], v[61:62], -v[89:90]
	v_fma_f64 v[59:60], v[45:46], v[61:62], v[59:60]
	v_add_f64 v[47:48], v[1:2], v[47:48]
	v_add_f64 v[49:50], v[3:4], v[49:50]
	ds_read_b128 v[1:4], v91 offset:64
	ds_read_b128 v[43:46], v91 offset:80
	s_waitcnt vmcnt(16)
	v_fma_f64 v[51:52], v[51:52], v[65:66], -v[55:56]
	v_fma_f64 v[53:54], v[53:54], v[65:66], v[57:58]
	s_waitcnt vmcnt(12) lgkmcnt(1)
	v_mul_f64 v[61:62], v[3:4], v[67:68]
	v_mul_f64 v[67:68], v[1:2], v[67:68]
	v_add_f64 v[47:48], v[47:48], v[63:64]
	v_add_f64 v[49:50], v[49:50], v[59:60]
	s_waitcnt vmcnt(10) lgkmcnt(0)
	v_mul_f64 v[55:56], v[45:46], v[69:70]
	v_mul_f64 v[57:58], v[43:44], v[69:70]
	s_waitcnt vmcnt(8)
	v_fma_f64 v[59:60], v[1:2], v[73:74], -v[61:62]
	v_fma_f64 v[61:62], v[3:4], v[73:74], v[67:68]
	v_add_f64 v[51:52], v[47:48], v[51:52]
	v_add_f64 v[53:54], v[49:50], v[53:54]
	ds_read_b128 v[1:4], v91 offset:96
	ds_read_b128 v[47:50], v91 offset:112
	v_fma_f64 v[43:44], v[43:44], v[71:72], -v[55:56]
	v_fma_f64 v[45:46], v[45:46], v[71:72], v[57:58]
	s_waitcnt vmcnt(4) lgkmcnt(1)
	v_mul_f64 v[63:64], v[3:4], v[75:76]
	v_mul_f64 v[65:66], v[1:2], v[75:76]
	v_add_f64 v[51:52], v[51:52], v[59:60]
	v_add_f64 v[53:54], v[53:54], v[61:62]
	s_waitcnt vmcnt(2) lgkmcnt(0)
	v_mul_f64 v[55:56], v[49:50], v[77:78]
	v_mul_f64 v[57:58], v[47:48], v[77:78]
	s_waitcnt vmcnt(0)
	v_fma_f64 v[1:2], v[1:2], v[81:82], -v[63:64]
	v_fma_f64 v[3:4], v[3:4], v[81:82], v[65:66]
	v_add_f64 v[43:44], v[51:52], v[43:44]
	v_add_f64 v[45:46], v[53:54], v[45:46]
	v_fma_f64 v[47:48], v[47:48], v[79:80], -v[55:56]
	v_fma_f64 v[49:50], v[49:50], v[79:80], v[57:58]
	v_add_f64 v[1:2], v[43:44], v[1:2]
	v_add_f64 v[3:4], v[45:46], v[3:4]
	v_mov_b32_e32 v43, s73
	s_mov_b32 s73, s74
	v_add_f64 v[1:2], v[1:2], v[47:48]
	v_add_f64 v[3:4], v[3:4], v[49:50]
	s_andn2_b32 exec_lo, exec_lo, s70
	s_cbranch_execnz .LBB60_641
; %bb.642:
	s_or_b32 exec_lo, exec_lo, s70
.LBB60_643:
	s_or_b32 exec_lo, exec_lo, s4
	v_and_b32_e32 v41, 7, v41
	s_mov_b32 s70, 0
	s_mov_b32 s4, exec_lo
	v_cmpx_ne_u32_e32 0, v41
	s_cbranch_execz .LBB60_647
; %bb.644:
	v_lshlrev_b32_e32 v43, 4, v43
	v_add_nc_u32_e32 v42, 0x3d0, v43
	.p2align	6
.LBB60_645:                             ; =>This Inner Loop Header: Depth=1
	s_clause 0x3
	buffer_load_dword v48, v43, s[0:3], 0 offen offset:8
	buffer_load_dword v49, v43, s[0:3], 0 offen offset:12
	buffer_load_dword v50, v43, s[0:3], 0 offen
	buffer_load_dword v51, v43, s[0:3], 0 offen offset:4
	ds_read_b128 v[44:47], v42
	v_add_nc_u32_e32 v41, -1, v41
	v_add_nc_u32_e32 v42, 16, v42
	v_add_nc_u32_e32 v43, 16, v43
	v_cmp_eq_u32_e32 vcc_lo, 0, v41
	s_or_b32 s70, vcc_lo, s70
	s_waitcnt vmcnt(2) lgkmcnt(0)
	v_mul_f64 v[52:53], v[46:47], v[48:49]
	v_mul_f64 v[48:49], v[44:45], v[48:49]
	s_waitcnt vmcnt(0)
	v_fma_f64 v[44:45], v[44:45], v[50:51], -v[52:53]
	v_fma_f64 v[46:47], v[46:47], v[50:51], v[48:49]
	v_add_f64 v[1:2], v[1:2], v[44:45]
	v_add_f64 v[3:4], v[3:4], v[46:47]
	s_andn2_b32 exec_lo, exec_lo, s70
	s_cbranch_execnz .LBB60_645
; %bb.646:
	s_or_b32 exec_lo, exec_lo, s70
.LBB60_647:
	s_or_b32 exec_lo, exec_lo, s4
.LBB60_648:
	s_or_b32 exec_lo, exec_lo, s8
	v_mov_b32_e32 v41, 0
	ds_read_b128 v[41:44], v41 offset:208
	s_waitcnt lgkmcnt(0)
	v_mul_f64 v[45:46], v[3:4], v[43:44]
	v_mul_f64 v[43:44], v[1:2], v[43:44]
	v_fma_f64 v[1:2], v[1:2], v[41:42], -v[45:46]
	v_fma_f64 v[3:4], v[3:4], v[41:42], v[43:44]
	buffer_store_dword v2, off, s[0:3], 0 offset:212
	buffer_store_dword v1, off, s[0:3], 0 offset:208
	;; [unrolled: 1-line block ×4, first 2 shown]
.LBB60_649:
	s_or_b32 exec_lo, exec_lo, s6
	v_mov_b32_e32 v4, s58
	v_cmp_lt_u32_e64 s4, 12, v0
	s_clause 0x3
	buffer_load_dword v1, v4, s[0:3], 0 offen
	buffer_load_dword v2, v4, s[0:3], 0 offen offset:4
	buffer_load_dword v3, v4, s[0:3], 0 offen offset:8
	;; [unrolled: 1-line block ×3, first 2 shown]
	s_waitcnt vmcnt(0)
	ds_write_b128 v40, v[1:4]
	s_waitcnt lgkmcnt(0)
	s_waitcnt_vscnt null, 0x0
	s_barrier
	buffer_gl0_inv
	s_and_saveexec_b32 s6, s4
	s_cbranch_execz .LBB60_663
; %bb.650:
	ds_read_b128 v[1:4], v40
	s_andn2_b32 vcc_lo, exec_lo, s7
	s_cbranch_vccnz .LBB60_652
; %bb.651:
	s_clause 0x3
	buffer_load_dword v41, v39, s[0:3], 0 offen offset:8
	buffer_load_dword v42, v39, s[0:3], 0 offen offset:12
	buffer_load_dword v43, v39, s[0:3], 0 offen
	buffer_load_dword v44, v39, s[0:3], 0 offen offset:4
	s_waitcnt vmcnt(2) lgkmcnt(0)
	v_mul_f64 v[45:46], v[3:4], v[41:42]
	v_mul_f64 v[41:42], v[1:2], v[41:42]
	s_waitcnt vmcnt(0)
	v_fma_f64 v[1:2], v[1:2], v[43:44], -v[45:46]
	v_fma_f64 v[3:4], v[3:4], v[43:44], v[41:42]
.LBB60_652:
	s_and_saveexec_b32 s8, s5
	s_cbranch_execz .LBB60_662
; %bb.653:
	v_add_nc_u32_e32 v42, -14, v0
	v_add_nc_u32_e32 v41, -13, v0
	v_mov_b32_e32 v43, 13
	s_mov_b32 s5, exec_lo
	v_cmpx_lt_u32_e32 6, v42
	s_cbranch_execz .LBB60_657
; %bb.654:
	v_and_b32_e32 v42, -8, v41
	s_movk_i32 s71, 0x4a0
	s_mov_b32 s70, 0
	s_mov_b32 s72, s57
	;; [unrolled: 1-line block ×3, first 2 shown]
.LBB60_655:                             ; =>This Inner Loop Header: Depth=1
	v_mov_b32_e32 v43, s72
	v_mov_b32_e32 v91, s71
	s_add_i32 s74, s73, 8
	s_add_i32 s73, s73, 21
	v_cmp_eq_u32_e32 vcc_lo, s74, v42
	s_clause 0x1f
	buffer_load_dword v51, v43, s[0:3], 0 offen offset:8
	buffer_load_dword v52, v43, s[0:3], 0 offen offset:12
	buffer_load_dword v53, v43, s[0:3], 0 offen
	buffer_load_dword v54, v43, s[0:3], 0 offen offset:4
	buffer_load_dword v55, v43, s[0:3], 0 offen offset:24
	;; [unrolled: 1-line block ×29, first 2 shown]
	ds_read_b128 v[43:46], v91
	ds_read_b128 v[47:50], v91 offset:16
	s_addk_i32 s71, 0x80
	s_addk_i32 s72, 0x80
	s_or_b32 s70, vcc_lo, s70
	s_waitcnt vmcnt(30) lgkmcnt(1)
	v_mul_f64 v[83:84], v[45:46], v[51:52]
	v_mul_f64 v[51:52], v[43:44], v[51:52]
	s_waitcnt vmcnt(26) lgkmcnt(0)
	v_mul_f64 v[85:86], v[49:50], v[55:56]
	v_mul_f64 v[55:56], v[47:48], v[55:56]
	v_fma_f64 v[83:84], v[43:44], v[53:54], -v[83:84]
	v_fma_f64 v[87:88], v[45:46], v[53:54], v[51:52]
	ds_read_b128 v[43:46], v91 offset:32
	ds_read_b128 v[51:54], v91 offset:48
	s_waitcnt vmcnt(24)
	v_fma_f64 v[47:48], v[47:48], v[57:58], -v[85:86]
	v_fma_f64 v[49:50], v[49:50], v[57:58], v[55:56]
	s_waitcnt vmcnt(22) lgkmcnt(1)
	v_mul_f64 v[89:90], v[45:46], v[59:60]
	v_mul_f64 v[59:60], v[43:44], v[59:60]
	v_add_f64 v[1:2], v[1:2], v[83:84]
	v_add_f64 v[3:4], v[3:4], v[87:88]
	s_waitcnt vmcnt(18) lgkmcnt(0)
	v_mul_f64 v[55:56], v[53:54], v[63:64]
	v_mul_f64 v[57:58], v[51:52], v[63:64]
	v_fma_f64 v[63:64], v[43:44], v[61:62], -v[89:90]
	v_fma_f64 v[59:60], v[45:46], v[61:62], v[59:60]
	v_add_f64 v[47:48], v[1:2], v[47:48]
	v_add_f64 v[49:50], v[3:4], v[49:50]
	ds_read_b128 v[1:4], v91 offset:64
	ds_read_b128 v[43:46], v91 offset:80
	s_waitcnt vmcnt(16)
	v_fma_f64 v[51:52], v[51:52], v[65:66], -v[55:56]
	v_fma_f64 v[53:54], v[53:54], v[65:66], v[57:58]
	s_waitcnt vmcnt(12) lgkmcnt(1)
	v_mul_f64 v[61:62], v[3:4], v[67:68]
	v_mul_f64 v[67:68], v[1:2], v[67:68]
	v_add_f64 v[47:48], v[47:48], v[63:64]
	v_add_f64 v[49:50], v[49:50], v[59:60]
	s_waitcnt vmcnt(10) lgkmcnt(0)
	v_mul_f64 v[55:56], v[45:46], v[69:70]
	v_mul_f64 v[57:58], v[43:44], v[69:70]
	s_waitcnt vmcnt(8)
	v_fma_f64 v[59:60], v[1:2], v[73:74], -v[61:62]
	v_fma_f64 v[61:62], v[3:4], v[73:74], v[67:68]
	v_add_f64 v[51:52], v[47:48], v[51:52]
	v_add_f64 v[53:54], v[49:50], v[53:54]
	ds_read_b128 v[1:4], v91 offset:96
	ds_read_b128 v[47:50], v91 offset:112
	v_fma_f64 v[43:44], v[43:44], v[71:72], -v[55:56]
	v_fma_f64 v[45:46], v[45:46], v[71:72], v[57:58]
	s_waitcnt vmcnt(4) lgkmcnt(1)
	v_mul_f64 v[63:64], v[3:4], v[75:76]
	v_mul_f64 v[65:66], v[1:2], v[75:76]
	v_add_f64 v[51:52], v[51:52], v[59:60]
	v_add_f64 v[53:54], v[53:54], v[61:62]
	s_waitcnt vmcnt(2) lgkmcnt(0)
	v_mul_f64 v[55:56], v[49:50], v[77:78]
	v_mul_f64 v[57:58], v[47:48], v[77:78]
	s_waitcnt vmcnt(0)
	v_fma_f64 v[1:2], v[1:2], v[81:82], -v[63:64]
	v_fma_f64 v[3:4], v[3:4], v[81:82], v[65:66]
	v_add_f64 v[43:44], v[51:52], v[43:44]
	v_add_f64 v[45:46], v[53:54], v[45:46]
	v_fma_f64 v[47:48], v[47:48], v[79:80], -v[55:56]
	v_fma_f64 v[49:50], v[49:50], v[79:80], v[57:58]
	v_add_f64 v[1:2], v[43:44], v[1:2]
	v_add_f64 v[3:4], v[45:46], v[3:4]
	v_mov_b32_e32 v43, s73
	s_mov_b32 s73, s74
	v_add_f64 v[1:2], v[1:2], v[47:48]
	v_add_f64 v[3:4], v[3:4], v[49:50]
	s_andn2_b32 exec_lo, exec_lo, s70
	s_cbranch_execnz .LBB60_655
; %bb.656:
	s_or_b32 exec_lo, exec_lo, s70
.LBB60_657:
	s_or_b32 exec_lo, exec_lo, s5
	v_and_b32_e32 v41, 7, v41
	s_mov_b32 s70, 0
	s_mov_b32 s5, exec_lo
	v_cmpx_ne_u32_e32 0, v41
	s_cbranch_execz .LBB60_661
; %bb.658:
	v_lshlrev_b32_e32 v43, 4, v43
	v_add_nc_u32_e32 v42, 0x3d0, v43
	.p2align	6
.LBB60_659:                             ; =>This Inner Loop Header: Depth=1
	s_clause 0x3
	buffer_load_dword v48, v43, s[0:3], 0 offen offset:8
	buffer_load_dword v49, v43, s[0:3], 0 offen offset:12
	buffer_load_dword v50, v43, s[0:3], 0 offen
	buffer_load_dword v51, v43, s[0:3], 0 offen offset:4
	ds_read_b128 v[44:47], v42
	v_add_nc_u32_e32 v41, -1, v41
	v_add_nc_u32_e32 v42, 16, v42
	v_add_nc_u32_e32 v43, 16, v43
	v_cmp_eq_u32_e32 vcc_lo, 0, v41
	s_or_b32 s70, vcc_lo, s70
	s_waitcnt vmcnt(2) lgkmcnt(0)
	v_mul_f64 v[52:53], v[46:47], v[48:49]
	v_mul_f64 v[48:49], v[44:45], v[48:49]
	s_waitcnt vmcnt(0)
	v_fma_f64 v[44:45], v[44:45], v[50:51], -v[52:53]
	v_fma_f64 v[46:47], v[46:47], v[50:51], v[48:49]
	v_add_f64 v[1:2], v[1:2], v[44:45]
	v_add_f64 v[3:4], v[3:4], v[46:47]
	s_andn2_b32 exec_lo, exec_lo, s70
	s_cbranch_execnz .LBB60_659
; %bb.660:
	s_or_b32 exec_lo, exec_lo, s70
.LBB60_661:
	s_or_b32 exec_lo, exec_lo, s5
.LBB60_662:
	s_or_b32 exec_lo, exec_lo, s8
	v_mov_b32_e32 v41, 0
	ds_read_b128 v[41:44], v41 offset:192
	s_waitcnt lgkmcnt(0)
	v_mul_f64 v[45:46], v[3:4], v[43:44]
	v_mul_f64 v[43:44], v[1:2], v[43:44]
	v_fma_f64 v[1:2], v[1:2], v[41:42], -v[45:46]
	v_fma_f64 v[3:4], v[3:4], v[41:42], v[43:44]
	buffer_store_dword v2, off, s[0:3], 0 offset:196
	buffer_store_dword v1, off, s[0:3], 0 offset:192
	;; [unrolled: 1-line block ×4, first 2 shown]
.LBB60_663:
	s_or_b32 exec_lo, exec_lo, s6
	v_mov_b32_e32 v4, s59
	v_cmp_lt_u32_e64 s5, 11, v0
	s_clause 0x3
	buffer_load_dword v1, v4, s[0:3], 0 offen
	buffer_load_dword v2, v4, s[0:3], 0 offen offset:4
	buffer_load_dword v3, v4, s[0:3], 0 offen offset:8
	;; [unrolled: 1-line block ×3, first 2 shown]
	s_waitcnt vmcnt(0)
	ds_write_b128 v40, v[1:4]
	s_waitcnt lgkmcnt(0)
	s_waitcnt_vscnt null, 0x0
	s_barrier
	buffer_gl0_inv
	s_and_saveexec_b32 s6, s5
	s_cbranch_execz .LBB60_677
; %bb.664:
	ds_read_b128 v[1:4], v40
	s_andn2_b32 vcc_lo, exec_lo, s7
	s_cbranch_vccnz .LBB60_666
; %bb.665:
	s_clause 0x3
	buffer_load_dword v41, v39, s[0:3], 0 offen offset:8
	buffer_load_dword v42, v39, s[0:3], 0 offen offset:12
	buffer_load_dword v43, v39, s[0:3], 0 offen
	buffer_load_dword v44, v39, s[0:3], 0 offen offset:4
	s_waitcnt vmcnt(2) lgkmcnt(0)
	v_mul_f64 v[45:46], v[3:4], v[41:42]
	v_mul_f64 v[41:42], v[1:2], v[41:42]
	s_waitcnt vmcnt(0)
	v_fma_f64 v[1:2], v[1:2], v[43:44], -v[45:46]
	v_fma_f64 v[3:4], v[3:4], v[43:44], v[41:42]
.LBB60_666:
	s_and_saveexec_b32 s8, s4
	s_cbranch_execz .LBB60_676
; %bb.667:
	v_add_nc_u32_e32 v42, -13, v0
	v_add_nc_u32_e32 v41, -12, v0
	v_mov_b32_e32 v43, 12
	s_mov_b32 s4, exec_lo
	v_cmpx_lt_u32_e32 6, v42
	s_cbranch_execz .LBB60_671
; %bb.668:
	v_and_b32_e32 v42, -8, v41
	s_movk_i32 s71, 0x490
	s_mov_b32 s70, 0
	s_mov_b32 s72, s58
	;; [unrolled: 1-line block ×3, first 2 shown]
.LBB60_669:                             ; =>This Inner Loop Header: Depth=1
	v_mov_b32_e32 v43, s72
	v_mov_b32_e32 v91, s71
	s_add_i32 s74, s73, 8
	s_add_i32 s73, s73, 20
	v_cmp_eq_u32_e32 vcc_lo, s74, v42
	s_clause 0x1f
	buffer_load_dword v51, v43, s[0:3], 0 offen offset:8
	buffer_load_dword v52, v43, s[0:3], 0 offen offset:12
	buffer_load_dword v53, v43, s[0:3], 0 offen
	buffer_load_dword v54, v43, s[0:3], 0 offen offset:4
	buffer_load_dword v55, v43, s[0:3], 0 offen offset:24
	buffer_load_dword v56, v43, s[0:3], 0 offen offset:28
	buffer_load_dword v57, v43, s[0:3], 0 offen offset:16
	buffer_load_dword v58, v43, s[0:3], 0 offen offset:20
	buffer_load_dword v59, v43, s[0:3], 0 offen offset:40
	buffer_load_dword v60, v43, s[0:3], 0 offen offset:44
	buffer_load_dword v61, v43, s[0:3], 0 offen offset:32
	buffer_load_dword v62, v43, s[0:3], 0 offen offset:36
	buffer_load_dword v63, v43, s[0:3], 0 offen offset:56
	buffer_load_dword v64, v43, s[0:3], 0 offen offset:60
	buffer_load_dword v65, v43, s[0:3], 0 offen offset:48
	buffer_load_dword v66, v43, s[0:3], 0 offen offset:52
	buffer_load_dword v68, v43, s[0:3], 0 offen offset:76
	buffer_load_dword v69, v43, s[0:3], 0 offen offset:88
	buffer_load_dword v71, v43, s[0:3], 0 offen offset:80
	buffer_load_dword v67, v43, s[0:3], 0 offen offset:72
	buffer_load_dword v72, v43, s[0:3], 0 offen offset:84
	buffer_load_dword v70, v43, s[0:3], 0 offen offset:92
	buffer_load_dword v74, v43, s[0:3], 0 offen offset:68
	buffer_load_dword v73, v43, s[0:3], 0 offen offset:64
	buffer_load_dword v76, v43, s[0:3], 0 offen offset:108
	buffer_load_dword v77, v43, s[0:3], 0 offen offset:120
	buffer_load_dword v79, v43, s[0:3], 0 offen offset:112
	buffer_load_dword v75, v43, s[0:3], 0 offen offset:104
	buffer_load_dword v80, v43, s[0:3], 0 offen offset:116
	buffer_load_dword v78, v43, s[0:3], 0 offen offset:124
	buffer_load_dword v82, v43, s[0:3], 0 offen offset:100
	buffer_load_dword v81, v43, s[0:3], 0 offen offset:96
	ds_read_b128 v[43:46], v91
	ds_read_b128 v[47:50], v91 offset:16
	s_addk_i32 s71, 0x80
	s_addk_i32 s72, 0x80
	s_or_b32 s70, vcc_lo, s70
	s_waitcnt vmcnt(30) lgkmcnt(1)
	v_mul_f64 v[83:84], v[45:46], v[51:52]
	v_mul_f64 v[51:52], v[43:44], v[51:52]
	s_waitcnt vmcnt(26) lgkmcnt(0)
	v_mul_f64 v[85:86], v[49:50], v[55:56]
	v_mul_f64 v[55:56], v[47:48], v[55:56]
	v_fma_f64 v[83:84], v[43:44], v[53:54], -v[83:84]
	v_fma_f64 v[87:88], v[45:46], v[53:54], v[51:52]
	ds_read_b128 v[43:46], v91 offset:32
	ds_read_b128 v[51:54], v91 offset:48
	s_waitcnt vmcnt(24)
	v_fma_f64 v[47:48], v[47:48], v[57:58], -v[85:86]
	v_fma_f64 v[49:50], v[49:50], v[57:58], v[55:56]
	s_waitcnt vmcnt(22) lgkmcnt(1)
	v_mul_f64 v[89:90], v[45:46], v[59:60]
	v_mul_f64 v[59:60], v[43:44], v[59:60]
	v_add_f64 v[1:2], v[1:2], v[83:84]
	v_add_f64 v[3:4], v[3:4], v[87:88]
	s_waitcnt vmcnt(18) lgkmcnt(0)
	v_mul_f64 v[55:56], v[53:54], v[63:64]
	v_mul_f64 v[57:58], v[51:52], v[63:64]
	v_fma_f64 v[63:64], v[43:44], v[61:62], -v[89:90]
	v_fma_f64 v[59:60], v[45:46], v[61:62], v[59:60]
	v_add_f64 v[47:48], v[1:2], v[47:48]
	v_add_f64 v[49:50], v[3:4], v[49:50]
	ds_read_b128 v[1:4], v91 offset:64
	ds_read_b128 v[43:46], v91 offset:80
	s_waitcnt vmcnt(16)
	v_fma_f64 v[51:52], v[51:52], v[65:66], -v[55:56]
	v_fma_f64 v[53:54], v[53:54], v[65:66], v[57:58]
	s_waitcnt vmcnt(12) lgkmcnt(1)
	v_mul_f64 v[61:62], v[3:4], v[67:68]
	v_mul_f64 v[67:68], v[1:2], v[67:68]
	v_add_f64 v[47:48], v[47:48], v[63:64]
	v_add_f64 v[49:50], v[49:50], v[59:60]
	s_waitcnt vmcnt(10) lgkmcnt(0)
	v_mul_f64 v[55:56], v[45:46], v[69:70]
	v_mul_f64 v[57:58], v[43:44], v[69:70]
	s_waitcnt vmcnt(8)
	v_fma_f64 v[59:60], v[1:2], v[73:74], -v[61:62]
	v_fma_f64 v[61:62], v[3:4], v[73:74], v[67:68]
	v_add_f64 v[51:52], v[47:48], v[51:52]
	v_add_f64 v[53:54], v[49:50], v[53:54]
	ds_read_b128 v[1:4], v91 offset:96
	ds_read_b128 v[47:50], v91 offset:112
	v_fma_f64 v[43:44], v[43:44], v[71:72], -v[55:56]
	v_fma_f64 v[45:46], v[45:46], v[71:72], v[57:58]
	s_waitcnt vmcnt(4) lgkmcnt(1)
	v_mul_f64 v[63:64], v[3:4], v[75:76]
	v_mul_f64 v[65:66], v[1:2], v[75:76]
	v_add_f64 v[51:52], v[51:52], v[59:60]
	v_add_f64 v[53:54], v[53:54], v[61:62]
	s_waitcnt vmcnt(2) lgkmcnt(0)
	v_mul_f64 v[55:56], v[49:50], v[77:78]
	v_mul_f64 v[57:58], v[47:48], v[77:78]
	s_waitcnt vmcnt(0)
	v_fma_f64 v[1:2], v[1:2], v[81:82], -v[63:64]
	v_fma_f64 v[3:4], v[3:4], v[81:82], v[65:66]
	v_add_f64 v[43:44], v[51:52], v[43:44]
	v_add_f64 v[45:46], v[53:54], v[45:46]
	v_fma_f64 v[47:48], v[47:48], v[79:80], -v[55:56]
	v_fma_f64 v[49:50], v[49:50], v[79:80], v[57:58]
	v_add_f64 v[1:2], v[43:44], v[1:2]
	v_add_f64 v[3:4], v[45:46], v[3:4]
	v_mov_b32_e32 v43, s73
	s_mov_b32 s73, s74
	v_add_f64 v[1:2], v[1:2], v[47:48]
	v_add_f64 v[3:4], v[3:4], v[49:50]
	s_andn2_b32 exec_lo, exec_lo, s70
	s_cbranch_execnz .LBB60_669
; %bb.670:
	s_or_b32 exec_lo, exec_lo, s70
.LBB60_671:
	s_or_b32 exec_lo, exec_lo, s4
	v_and_b32_e32 v41, 7, v41
	s_mov_b32 s70, 0
	s_mov_b32 s4, exec_lo
	v_cmpx_ne_u32_e32 0, v41
	s_cbranch_execz .LBB60_675
; %bb.672:
	v_lshlrev_b32_e32 v43, 4, v43
	v_add_nc_u32_e32 v42, 0x3d0, v43
	.p2align	6
.LBB60_673:                             ; =>This Inner Loop Header: Depth=1
	s_clause 0x3
	buffer_load_dword v48, v43, s[0:3], 0 offen offset:8
	buffer_load_dword v49, v43, s[0:3], 0 offen offset:12
	buffer_load_dword v50, v43, s[0:3], 0 offen
	buffer_load_dword v51, v43, s[0:3], 0 offen offset:4
	ds_read_b128 v[44:47], v42
	v_add_nc_u32_e32 v41, -1, v41
	v_add_nc_u32_e32 v42, 16, v42
	v_add_nc_u32_e32 v43, 16, v43
	v_cmp_eq_u32_e32 vcc_lo, 0, v41
	s_or_b32 s70, vcc_lo, s70
	s_waitcnt vmcnt(2) lgkmcnt(0)
	v_mul_f64 v[52:53], v[46:47], v[48:49]
	v_mul_f64 v[48:49], v[44:45], v[48:49]
	s_waitcnt vmcnt(0)
	v_fma_f64 v[44:45], v[44:45], v[50:51], -v[52:53]
	v_fma_f64 v[46:47], v[46:47], v[50:51], v[48:49]
	v_add_f64 v[1:2], v[1:2], v[44:45]
	v_add_f64 v[3:4], v[3:4], v[46:47]
	s_andn2_b32 exec_lo, exec_lo, s70
	s_cbranch_execnz .LBB60_673
; %bb.674:
	s_or_b32 exec_lo, exec_lo, s70
.LBB60_675:
	s_or_b32 exec_lo, exec_lo, s4
.LBB60_676:
	s_or_b32 exec_lo, exec_lo, s8
	v_mov_b32_e32 v41, 0
	ds_read_b128 v[41:44], v41 offset:176
	s_waitcnt lgkmcnt(0)
	v_mul_f64 v[45:46], v[3:4], v[43:44]
	v_mul_f64 v[43:44], v[1:2], v[43:44]
	v_fma_f64 v[1:2], v[1:2], v[41:42], -v[45:46]
	v_fma_f64 v[3:4], v[3:4], v[41:42], v[43:44]
	buffer_store_dword v2, off, s[0:3], 0 offset:180
	buffer_store_dword v1, off, s[0:3], 0 offset:176
	;; [unrolled: 1-line block ×4, first 2 shown]
.LBB60_677:
	s_or_b32 exec_lo, exec_lo, s6
	v_mov_b32_e32 v4, s60
	v_cmp_lt_u32_e64 s4, 10, v0
	s_clause 0x3
	buffer_load_dword v1, v4, s[0:3], 0 offen
	buffer_load_dword v2, v4, s[0:3], 0 offen offset:4
	buffer_load_dword v3, v4, s[0:3], 0 offen offset:8
	;; [unrolled: 1-line block ×3, first 2 shown]
	s_waitcnt vmcnt(0)
	ds_write_b128 v40, v[1:4]
	s_waitcnt lgkmcnt(0)
	s_waitcnt_vscnt null, 0x0
	s_barrier
	buffer_gl0_inv
	s_and_saveexec_b32 s6, s4
	s_cbranch_execz .LBB60_691
; %bb.678:
	ds_read_b128 v[1:4], v40
	s_andn2_b32 vcc_lo, exec_lo, s7
	s_cbranch_vccnz .LBB60_680
; %bb.679:
	s_clause 0x3
	buffer_load_dword v41, v39, s[0:3], 0 offen offset:8
	buffer_load_dword v42, v39, s[0:3], 0 offen offset:12
	buffer_load_dword v43, v39, s[0:3], 0 offen
	buffer_load_dword v44, v39, s[0:3], 0 offen offset:4
	s_waitcnt vmcnt(2) lgkmcnt(0)
	v_mul_f64 v[45:46], v[3:4], v[41:42]
	v_mul_f64 v[41:42], v[1:2], v[41:42]
	s_waitcnt vmcnt(0)
	v_fma_f64 v[1:2], v[1:2], v[43:44], -v[45:46]
	v_fma_f64 v[3:4], v[3:4], v[43:44], v[41:42]
.LBB60_680:
	s_and_saveexec_b32 s8, s5
	s_cbranch_execz .LBB60_690
; %bb.681:
	v_add_nc_u32_e32 v42, -12, v0
	v_add_nc_u32_e32 v41, -11, v0
	v_mov_b32_e32 v43, 11
	s_mov_b32 s5, exec_lo
	v_cmpx_lt_u32_e32 6, v42
	s_cbranch_execz .LBB60_685
; %bb.682:
	v_and_b32_e32 v42, -8, v41
	s_movk_i32 s71, 0x480
	s_mov_b32 s70, 0
	s_mov_b32 s72, s59
	;; [unrolled: 1-line block ×3, first 2 shown]
.LBB60_683:                             ; =>This Inner Loop Header: Depth=1
	v_mov_b32_e32 v43, s72
	v_mov_b32_e32 v91, s71
	s_add_i32 s74, s73, 8
	s_add_i32 s73, s73, 19
	v_cmp_eq_u32_e32 vcc_lo, s74, v42
	s_clause 0x1f
	buffer_load_dword v51, v43, s[0:3], 0 offen offset:8
	buffer_load_dword v52, v43, s[0:3], 0 offen offset:12
	buffer_load_dword v53, v43, s[0:3], 0 offen
	buffer_load_dword v54, v43, s[0:3], 0 offen offset:4
	buffer_load_dword v55, v43, s[0:3], 0 offen offset:24
	;; [unrolled: 1-line block ×29, first 2 shown]
	ds_read_b128 v[43:46], v91
	ds_read_b128 v[47:50], v91 offset:16
	s_addk_i32 s71, 0x80
	s_addk_i32 s72, 0x80
	s_or_b32 s70, vcc_lo, s70
	s_waitcnt vmcnt(30) lgkmcnt(1)
	v_mul_f64 v[83:84], v[45:46], v[51:52]
	v_mul_f64 v[51:52], v[43:44], v[51:52]
	s_waitcnt vmcnt(26) lgkmcnt(0)
	v_mul_f64 v[85:86], v[49:50], v[55:56]
	v_mul_f64 v[55:56], v[47:48], v[55:56]
	v_fma_f64 v[83:84], v[43:44], v[53:54], -v[83:84]
	v_fma_f64 v[87:88], v[45:46], v[53:54], v[51:52]
	ds_read_b128 v[43:46], v91 offset:32
	ds_read_b128 v[51:54], v91 offset:48
	s_waitcnt vmcnt(24)
	v_fma_f64 v[47:48], v[47:48], v[57:58], -v[85:86]
	v_fma_f64 v[49:50], v[49:50], v[57:58], v[55:56]
	s_waitcnt vmcnt(22) lgkmcnt(1)
	v_mul_f64 v[89:90], v[45:46], v[59:60]
	v_mul_f64 v[59:60], v[43:44], v[59:60]
	v_add_f64 v[1:2], v[1:2], v[83:84]
	v_add_f64 v[3:4], v[3:4], v[87:88]
	s_waitcnt vmcnt(18) lgkmcnt(0)
	v_mul_f64 v[55:56], v[53:54], v[63:64]
	v_mul_f64 v[57:58], v[51:52], v[63:64]
	v_fma_f64 v[63:64], v[43:44], v[61:62], -v[89:90]
	v_fma_f64 v[59:60], v[45:46], v[61:62], v[59:60]
	v_add_f64 v[47:48], v[1:2], v[47:48]
	v_add_f64 v[49:50], v[3:4], v[49:50]
	ds_read_b128 v[1:4], v91 offset:64
	ds_read_b128 v[43:46], v91 offset:80
	s_waitcnt vmcnt(16)
	v_fma_f64 v[51:52], v[51:52], v[65:66], -v[55:56]
	v_fma_f64 v[53:54], v[53:54], v[65:66], v[57:58]
	s_waitcnt vmcnt(12) lgkmcnt(1)
	v_mul_f64 v[61:62], v[3:4], v[67:68]
	v_mul_f64 v[67:68], v[1:2], v[67:68]
	v_add_f64 v[47:48], v[47:48], v[63:64]
	v_add_f64 v[49:50], v[49:50], v[59:60]
	s_waitcnt vmcnt(10) lgkmcnt(0)
	v_mul_f64 v[55:56], v[45:46], v[69:70]
	v_mul_f64 v[57:58], v[43:44], v[69:70]
	s_waitcnt vmcnt(8)
	v_fma_f64 v[59:60], v[1:2], v[73:74], -v[61:62]
	v_fma_f64 v[61:62], v[3:4], v[73:74], v[67:68]
	v_add_f64 v[51:52], v[47:48], v[51:52]
	v_add_f64 v[53:54], v[49:50], v[53:54]
	ds_read_b128 v[1:4], v91 offset:96
	ds_read_b128 v[47:50], v91 offset:112
	v_fma_f64 v[43:44], v[43:44], v[71:72], -v[55:56]
	v_fma_f64 v[45:46], v[45:46], v[71:72], v[57:58]
	s_waitcnt vmcnt(4) lgkmcnt(1)
	v_mul_f64 v[63:64], v[3:4], v[75:76]
	v_mul_f64 v[65:66], v[1:2], v[75:76]
	v_add_f64 v[51:52], v[51:52], v[59:60]
	v_add_f64 v[53:54], v[53:54], v[61:62]
	s_waitcnt vmcnt(2) lgkmcnt(0)
	v_mul_f64 v[55:56], v[49:50], v[77:78]
	v_mul_f64 v[57:58], v[47:48], v[77:78]
	s_waitcnt vmcnt(0)
	v_fma_f64 v[1:2], v[1:2], v[81:82], -v[63:64]
	v_fma_f64 v[3:4], v[3:4], v[81:82], v[65:66]
	v_add_f64 v[43:44], v[51:52], v[43:44]
	v_add_f64 v[45:46], v[53:54], v[45:46]
	v_fma_f64 v[47:48], v[47:48], v[79:80], -v[55:56]
	v_fma_f64 v[49:50], v[49:50], v[79:80], v[57:58]
	v_add_f64 v[1:2], v[43:44], v[1:2]
	v_add_f64 v[3:4], v[45:46], v[3:4]
	v_mov_b32_e32 v43, s73
	s_mov_b32 s73, s74
	v_add_f64 v[1:2], v[1:2], v[47:48]
	v_add_f64 v[3:4], v[3:4], v[49:50]
	s_andn2_b32 exec_lo, exec_lo, s70
	s_cbranch_execnz .LBB60_683
; %bb.684:
	s_or_b32 exec_lo, exec_lo, s70
.LBB60_685:
	s_or_b32 exec_lo, exec_lo, s5
	v_and_b32_e32 v41, 7, v41
	s_mov_b32 s70, 0
	s_mov_b32 s5, exec_lo
	v_cmpx_ne_u32_e32 0, v41
	s_cbranch_execz .LBB60_689
; %bb.686:
	v_lshlrev_b32_e32 v43, 4, v43
	v_add_nc_u32_e32 v42, 0x3d0, v43
	.p2align	6
.LBB60_687:                             ; =>This Inner Loop Header: Depth=1
	s_clause 0x3
	buffer_load_dword v48, v43, s[0:3], 0 offen offset:8
	buffer_load_dword v49, v43, s[0:3], 0 offen offset:12
	buffer_load_dword v50, v43, s[0:3], 0 offen
	buffer_load_dword v51, v43, s[0:3], 0 offen offset:4
	ds_read_b128 v[44:47], v42
	v_add_nc_u32_e32 v41, -1, v41
	v_add_nc_u32_e32 v42, 16, v42
	v_add_nc_u32_e32 v43, 16, v43
	v_cmp_eq_u32_e32 vcc_lo, 0, v41
	s_or_b32 s70, vcc_lo, s70
	s_waitcnt vmcnt(2) lgkmcnt(0)
	v_mul_f64 v[52:53], v[46:47], v[48:49]
	v_mul_f64 v[48:49], v[44:45], v[48:49]
	s_waitcnt vmcnt(0)
	v_fma_f64 v[44:45], v[44:45], v[50:51], -v[52:53]
	v_fma_f64 v[46:47], v[46:47], v[50:51], v[48:49]
	v_add_f64 v[1:2], v[1:2], v[44:45]
	v_add_f64 v[3:4], v[3:4], v[46:47]
	s_andn2_b32 exec_lo, exec_lo, s70
	s_cbranch_execnz .LBB60_687
; %bb.688:
	s_or_b32 exec_lo, exec_lo, s70
.LBB60_689:
	s_or_b32 exec_lo, exec_lo, s5
.LBB60_690:
	s_or_b32 exec_lo, exec_lo, s8
	v_mov_b32_e32 v41, 0
	ds_read_b128 v[41:44], v41 offset:160
	s_waitcnt lgkmcnt(0)
	v_mul_f64 v[45:46], v[3:4], v[43:44]
	v_mul_f64 v[43:44], v[1:2], v[43:44]
	v_fma_f64 v[1:2], v[1:2], v[41:42], -v[45:46]
	v_fma_f64 v[3:4], v[3:4], v[41:42], v[43:44]
	buffer_store_dword v2, off, s[0:3], 0 offset:164
	buffer_store_dword v1, off, s[0:3], 0 offset:160
	;; [unrolled: 1-line block ×4, first 2 shown]
.LBB60_691:
	s_or_b32 exec_lo, exec_lo, s6
	v_mov_b32_e32 v4, s61
	v_cmp_lt_u32_e64 s5, 9, v0
	s_clause 0x3
	buffer_load_dword v1, v4, s[0:3], 0 offen
	buffer_load_dword v2, v4, s[0:3], 0 offen offset:4
	buffer_load_dword v3, v4, s[0:3], 0 offen offset:8
	;; [unrolled: 1-line block ×3, first 2 shown]
	s_waitcnt vmcnt(0)
	ds_write_b128 v40, v[1:4]
	s_waitcnt lgkmcnt(0)
	s_waitcnt_vscnt null, 0x0
	s_barrier
	buffer_gl0_inv
	s_and_saveexec_b32 s6, s5
	s_cbranch_execz .LBB60_705
; %bb.692:
	ds_read_b128 v[1:4], v40
	s_andn2_b32 vcc_lo, exec_lo, s7
	s_cbranch_vccnz .LBB60_694
; %bb.693:
	s_clause 0x3
	buffer_load_dword v41, v39, s[0:3], 0 offen offset:8
	buffer_load_dword v42, v39, s[0:3], 0 offen offset:12
	buffer_load_dword v43, v39, s[0:3], 0 offen
	buffer_load_dword v44, v39, s[0:3], 0 offen offset:4
	s_waitcnt vmcnt(2) lgkmcnt(0)
	v_mul_f64 v[45:46], v[3:4], v[41:42]
	v_mul_f64 v[41:42], v[1:2], v[41:42]
	s_waitcnt vmcnt(0)
	v_fma_f64 v[1:2], v[1:2], v[43:44], -v[45:46]
	v_fma_f64 v[3:4], v[3:4], v[43:44], v[41:42]
.LBB60_694:
	s_and_saveexec_b32 s8, s4
	s_cbranch_execz .LBB60_704
; %bb.695:
	v_add_nc_u32_e32 v42, -11, v0
	v_add_nc_u32_e32 v41, -10, v0
	v_mov_b32_e32 v43, 10
	s_mov_b32 s4, exec_lo
	v_cmpx_lt_u32_e32 6, v42
	s_cbranch_execz .LBB60_699
; %bb.696:
	v_and_b32_e32 v42, -8, v41
	s_movk_i32 s71, 0x470
	s_mov_b32 s70, 0
	s_mov_b32 s72, s60
	;; [unrolled: 1-line block ×3, first 2 shown]
.LBB60_697:                             ; =>This Inner Loop Header: Depth=1
	v_mov_b32_e32 v43, s72
	v_mov_b32_e32 v91, s71
	s_add_i32 s74, s73, 8
	s_add_i32 s73, s73, 18
	v_cmp_eq_u32_e32 vcc_lo, s74, v42
	s_clause 0x1f
	buffer_load_dword v51, v43, s[0:3], 0 offen offset:8
	buffer_load_dword v52, v43, s[0:3], 0 offen offset:12
	buffer_load_dword v53, v43, s[0:3], 0 offen
	buffer_load_dword v54, v43, s[0:3], 0 offen offset:4
	buffer_load_dword v55, v43, s[0:3], 0 offen offset:24
	;; [unrolled: 1-line block ×29, first 2 shown]
	ds_read_b128 v[43:46], v91
	ds_read_b128 v[47:50], v91 offset:16
	s_addk_i32 s71, 0x80
	s_addk_i32 s72, 0x80
	s_or_b32 s70, vcc_lo, s70
	s_waitcnt vmcnt(30) lgkmcnt(1)
	v_mul_f64 v[83:84], v[45:46], v[51:52]
	v_mul_f64 v[51:52], v[43:44], v[51:52]
	s_waitcnt vmcnt(26) lgkmcnt(0)
	v_mul_f64 v[85:86], v[49:50], v[55:56]
	v_mul_f64 v[55:56], v[47:48], v[55:56]
	v_fma_f64 v[83:84], v[43:44], v[53:54], -v[83:84]
	v_fma_f64 v[87:88], v[45:46], v[53:54], v[51:52]
	ds_read_b128 v[43:46], v91 offset:32
	ds_read_b128 v[51:54], v91 offset:48
	s_waitcnt vmcnt(24)
	v_fma_f64 v[47:48], v[47:48], v[57:58], -v[85:86]
	v_fma_f64 v[49:50], v[49:50], v[57:58], v[55:56]
	s_waitcnt vmcnt(22) lgkmcnt(1)
	v_mul_f64 v[89:90], v[45:46], v[59:60]
	v_mul_f64 v[59:60], v[43:44], v[59:60]
	v_add_f64 v[1:2], v[1:2], v[83:84]
	v_add_f64 v[3:4], v[3:4], v[87:88]
	s_waitcnt vmcnt(18) lgkmcnt(0)
	v_mul_f64 v[55:56], v[53:54], v[63:64]
	v_mul_f64 v[57:58], v[51:52], v[63:64]
	v_fma_f64 v[63:64], v[43:44], v[61:62], -v[89:90]
	v_fma_f64 v[59:60], v[45:46], v[61:62], v[59:60]
	v_add_f64 v[47:48], v[1:2], v[47:48]
	v_add_f64 v[49:50], v[3:4], v[49:50]
	ds_read_b128 v[1:4], v91 offset:64
	ds_read_b128 v[43:46], v91 offset:80
	s_waitcnt vmcnt(16)
	v_fma_f64 v[51:52], v[51:52], v[65:66], -v[55:56]
	v_fma_f64 v[53:54], v[53:54], v[65:66], v[57:58]
	s_waitcnt vmcnt(12) lgkmcnt(1)
	v_mul_f64 v[61:62], v[3:4], v[67:68]
	v_mul_f64 v[67:68], v[1:2], v[67:68]
	v_add_f64 v[47:48], v[47:48], v[63:64]
	v_add_f64 v[49:50], v[49:50], v[59:60]
	s_waitcnt vmcnt(10) lgkmcnt(0)
	v_mul_f64 v[55:56], v[45:46], v[69:70]
	v_mul_f64 v[57:58], v[43:44], v[69:70]
	s_waitcnt vmcnt(8)
	v_fma_f64 v[59:60], v[1:2], v[73:74], -v[61:62]
	v_fma_f64 v[61:62], v[3:4], v[73:74], v[67:68]
	v_add_f64 v[51:52], v[47:48], v[51:52]
	v_add_f64 v[53:54], v[49:50], v[53:54]
	ds_read_b128 v[1:4], v91 offset:96
	ds_read_b128 v[47:50], v91 offset:112
	v_fma_f64 v[43:44], v[43:44], v[71:72], -v[55:56]
	v_fma_f64 v[45:46], v[45:46], v[71:72], v[57:58]
	s_waitcnt vmcnt(4) lgkmcnt(1)
	v_mul_f64 v[63:64], v[3:4], v[75:76]
	v_mul_f64 v[65:66], v[1:2], v[75:76]
	v_add_f64 v[51:52], v[51:52], v[59:60]
	v_add_f64 v[53:54], v[53:54], v[61:62]
	s_waitcnt vmcnt(2) lgkmcnt(0)
	v_mul_f64 v[55:56], v[49:50], v[77:78]
	v_mul_f64 v[57:58], v[47:48], v[77:78]
	s_waitcnt vmcnt(0)
	v_fma_f64 v[1:2], v[1:2], v[81:82], -v[63:64]
	v_fma_f64 v[3:4], v[3:4], v[81:82], v[65:66]
	v_add_f64 v[43:44], v[51:52], v[43:44]
	v_add_f64 v[45:46], v[53:54], v[45:46]
	v_fma_f64 v[47:48], v[47:48], v[79:80], -v[55:56]
	v_fma_f64 v[49:50], v[49:50], v[79:80], v[57:58]
	v_add_f64 v[1:2], v[43:44], v[1:2]
	v_add_f64 v[3:4], v[45:46], v[3:4]
	v_mov_b32_e32 v43, s73
	s_mov_b32 s73, s74
	v_add_f64 v[1:2], v[1:2], v[47:48]
	v_add_f64 v[3:4], v[3:4], v[49:50]
	s_andn2_b32 exec_lo, exec_lo, s70
	s_cbranch_execnz .LBB60_697
; %bb.698:
	s_or_b32 exec_lo, exec_lo, s70
.LBB60_699:
	s_or_b32 exec_lo, exec_lo, s4
	v_and_b32_e32 v41, 7, v41
	s_mov_b32 s70, 0
	s_mov_b32 s4, exec_lo
	v_cmpx_ne_u32_e32 0, v41
	s_cbranch_execz .LBB60_703
; %bb.700:
	v_lshlrev_b32_e32 v43, 4, v43
	v_add_nc_u32_e32 v42, 0x3d0, v43
	.p2align	6
.LBB60_701:                             ; =>This Inner Loop Header: Depth=1
	s_clause 0x3
	buffer_load_dword v48, v43, s[0:3], 0 offen offset:8
	buffer_load_dword v49, v43, s[0:3], 0 offen offset:12
	buffer_load_dword v50, v43, s[0:3], 0 offen
	buffer_load_dword v51, v43, s[0:3], 0 offen offset:4
	ds_read_b128 v[44:47], v42
	v_add_nc_u32_e32 v41, -1, v41
	v_add_nc_u32_e32 v42, 16, v42
	v_add_nc_u32_e32 v43, 16, v43
	v_cmp_eq_u32_e32 vcc_lo, 0, v41
	s_or_b32 s70, vcc_lo, s70
	s_waitcnt vmcnt(2) lgkmcnt(0)
	v_mul_f64 v[52:53], v[46:47], v[48:49]
	v_mul_f64 v[48:49], v[44:45], v[48:49]
	s_waitcnt vmcnt(0)
	v_fma_f64 v[44:45], v[44:45], v[50:51], -v[52:53]
	v_fma_f64 v[46:47], v[46:47], v[50:51], v[48:49]
	v_add_f64 v[1:2], v[1:2], v[44:45]
	v_add_f64 v[3:4], v[3:4], v[46:47]
	s_andn2_b32 exec_lo, exec_lo, s70
	s_cbranch_execnz .LBB60_701
; %bb.702:
	s_or_b32 exec_lo, exec_lo, s70
.LBB60_703:
	s_or_b32 exec_lo, exec_lo, s4
.LBB60_704:
	s_or_b32 exec_lo, exec_lo, s8
	v_mov_b32_e32 v41, 0
	ds_read_b128 v[41:44], v41 offset:144
	s_waitcnt lgkmcnt(0)
	v_mul_f64 v[45:46], v[3:4], v[43:44]
	v_mul_f64 v[43:44], v[1:2], v[43:44]
	v_fma_f64 v[1:2], v[1:2], v[41:42], -v[45:46]
	v_fma_f64 v[3:4], v[3:4], v[41:42], v[43:44]
	buffer_store_dword v2, off, s[0:3], 0 offset:148
	buffer_store_dword v1, off, s[0:3], 0 offset:144
	;; [unrolled: 1-line block ×4, first 2 shown]
.LBB60_705:
	s_or_b32 exec_lo, exec_lo, s6
	v_mov_b32_e32 v4, s62
	v_cmp_lt_u32_e64 s4, 8, v0
	s_clause 0x3
	buffer_load_dword v1, v4, s[0:3], 0 offen
	buffer_load_dword v2, v4, s[0:3], 0 offen offset:4
	buffer_load_dword v3, v4, s[0:3], 0 offen offset:8
	;; [unrolled: 1-line block ×3, first 2 shown]
	s_waitcnt vmcnt(0)
	ds_write_b128 v40, v[1:4]
	s_waitcnt lgkmcnt(0)
	s_waitcnt_vscnt null, 0x0
	s_barrier
	buffer_gl0_inv
	s_and_saveexec_b32 s6, s4
	s_cbranch_execz .LBB60_719
; %bb.706:
	ds_read_b128 v[1:4], v40
	s_andn2_b32 vcc_lo, exec_lo, s7
	s_cbranch_vccnz .LBB60_708
; %bb.707:
	s_clause 0x3
	buffer_load_dword v41, v39, s[0:3], 0 offen offset:8
	buffer_load_dword v42, v39, s[0:3], 0 offen offset:12
	buffer_load_dword v43, v39, s[0:3], 0 offen
	buffer_load_dword v44, v39, s[0:3], 0 offen offset:4
	s_waitcnt vmcnt(2) lgkmcnt(0)
	v_mul_f64 v[45:46], v[3:4], v[41:42]
	v_mul_f64 v[41:42], v[1:2], v[41:42]
	s_waitcnt vmcnt(0)
	v_fma_f64 v[1:2], v[1:2], v[43:44], -v[45:46]
	v_fma_f64 v[3:4], v[3:4], v[43:44], v[41:42]
.LBB60_708:
	s_and_saveexec_b32 s8, s5
	s_cbranch_execz .LBB60_718
; %bb.709:
	v_add_nc_u32_e32 v42, -10, v0
	v_add_nc_u32_e32 v41, -9, v0
	v_mov_b32_e32 v43, 9
	s_mov_b32 s5, exec_lo
	v_cmpx_lt_u32_e32 6, v42
	s_cbranch_execz .LBB60_713
; %bb.710:
	v_and_b32_e32 v42, -8, v41
	s_movk_i32 s71, 0x460
	s_mov_b32 s70, 0
	s_mov_b32 s72, s61
	s_mov_b32 s73, 0
.LBB60_711:                             ; =>This Inner Loop Header: Depth=1
	v_mov_b32_e32 v43, s72
	v_mov_b32_e32 v91, s71
	s_add_i32 s74, s73, 8
	s_add_i32 s73, s73, 17
	v_cmp_eq_u32_e32 vcc_lo, s74, v42
	s_clause 0x1f
	buffer_load_dword v51, v43, s[0:3], 0 offen offset:8
	buffer_load_dword v52, v43, s[0:3], 0 offen offset:12
	buffer_load_dword v53, v43, s[0:3], 0 offen
	buffer_load_dword v54, v43, s[0:3], 0 offen offset:4
	buffer_load_dword v55, v43, s[0:3], 0 offen offset:24
	buffer_load_dword v56, v43, s[0:3], 0 offen offset:28
	buffer_load_dword v57, v43, s[0:3], 0 offen offset:16
	buffer_load_dword v58, v43, s[0:3], 0 offen offset:20
	buffer_load_dword v59, v43, s[0:3], 0 offen offset:40
	buffer_load_dword v60, v43, s[0:3], 0 offen offset:44
	buffer_load_dword v61, v43, s[0:3], 0 offen offset:32
	buffer_load_dword v62, v43, s[0:3], 0 offen offset:36
	buffer_load_dword v63, v43, s[0:3], 0 offen offset:56
	buffer_load_dword v64, v43, s[0:3], 0 offen offset:60
	buffer_load_dword v65, v43, s[0:3], 0 offen offset:48
	buffer_load_dword v66, v43, s[0:3], 0 offen offset:52
	buffer_load_dword v68, v43, s[0:3], 0 offen offset:76
	buffer_load_dword v69, v43, s[0:3], 0 offen offset:88
	buffer_load_dword v71, v43, s[0:3], 0 offen offset:80
	buffer_load_dword v67, v43, s[0:3], 0 offen offset:72
	buffer_load_dword v72, v43, s[0:3], 0 offen offset:84
	buffer_load_dword v70, v43, s[0:3], 0 offen offset:92
	buffer_load_dword v74, v43, s[0:3], 0 offen offset:68
	buffer_load_dword v73, v43, s[0:3], 0 offen offset:64
	buffer_load_dword v76, v43, s[0:3], 0 offen offset:108
	buffer_load_dword v77, v43, s[0:3], 0 offen offset:120
	buffer_load_dword v79, v43, s[0:3], 0 offen offset:112
	buffer_load_dword v75, v43, s[0:3], 0 offen offset:104
	buffer_load_dword v80, v43, s[0:3], 0 offen offset:116
	buffer_load_dword v78, v43, s[0:3], 0 offen offset:124
	buffer_load_dword v82, v43, s[0:3], 0 offen offset:100
	buffer_load_dword v81, v43, s[0:3], 0 offen offset:96
	ds_read_b128 v[43:46], v91
	ds_read_b128 v[47:50], v91 offset:16
	s_addk_i32 s71, 0x80
	s_addk_i32 s72, 0x80
	s_or_b32 s70, vcc_lo, s70
	s_waitcnt vmcnt(30) lgkmcnt(1)
	v_mul_f64 v[83:84], v[45:46], v[51:52]
	v_mul_f64 v[51:52], v[43:44], v[51:52]
	s_waitcnt vmcnt(26) lgkmcnt(0)
	v_mul_f64 v[85:86], v[49:50], v[55:56]
	v_mul_f64 v[55:56], v[47:48], v[55:56]
	v_fma_f64 v[83:84], v[43:44], v[53:54], -v[83:84]
	v_fma_f64 v[87:88], v[45:46], v[53:54], v[51:52]
	ds_read_b128 v[43:46], v91 offset:32
	ds_read_b128 v[51:54], v91 offset:48
	s_waitcnt vmcnt(24)
	v_fma_f64 v[47:48], v[47:48], v[57:58], -v[85:86]
	v_fma_f64 v[49:50], v[49:50], v[57:58], v[55:56]
	s_waitcnt vmcnt(22) lgkmcnt(1)
	v_mul_f64 v[89:90], v[45:46], v[59:60]
	v_mul_f64 v[59:60], v[43:44], v[59:60]
	v_add_f64 v[1:2], v[1:2], v[83:84]
	v_add_f64 v[3:4], v[3:4], v[87:88]
	s_waitcnt vmcnt(18) lgkmcnt(0)
	v_mul_f64 v[55:56], v[53:54], v[63:64]
	v_mul_f64 v[57:58], v[51:52], v[63:64]
	v_fma_f64 v[63:64], v[43:44], v[61:62], -v[89:90]
	v_fma_f64 v[59:60], v[45:46], v[61:62], v[59:60]
	v_add_f64 v[47:48], v[1:2], v[47:48]
	v_add_f64 v[49:50], v[3:4], v[49:50]
	ds_read_b128 v[1:4], v91 offset:64
	ds_read_b128 v[43:46], v91 offset:80
	s_waitcnt vmcnt(16)
	v_fma_f64 v[51:52], v[51:52], v[65:66], -v[55:56]
	v_fma_f64 v[53:54], v[53:54], v[65:66], v[57:58]
	s_waitcnt vmcnt(12) lgkmcnt(1)
	v_mul_f64 v[61:62], v[3:4], v[67:68]
	v_mul_f64 v[67:68], v[1:2], v[67:68]
	v_add_f64 v[47:48], v[47:48], v[63:64]
	v_add_f64 v[49:50], v[49:50], v[59:60]
	s_waitcnt vmcnt(10) lgkmcnt(0)
	v_mul_f64 v[55:56], v[45:46], v[69:70]
	v_mul_f64 v[57:58], v[43:44], v[69:70]
	s_waitcnt vmcnt(8)
	v_fma_f64 v[59:60], v[1:2], v[73:74], -v[61:62]
	v_fma_f64 v[61:62], v[3:4], v[73:74], v[67:68]
	v_add_f64 v[51:52], v[47:48], v[51:52]
	v_add_f64 v[53:54], v[49:50], v[53:54]
	ds_read_b128 v[1:4], v91 offset:96
	ds_read_b128 v[47:50], v91 offset:112
	v_fma_f64 v[43:44], v[43:44], v[71:72], -v[55:56]
	v_fma_f64 v[45:46], v[45:46], v[71:72], v[57:58]
	s_waitcnt vmcnt(4) lgkmcnt(1)
	v_mul_f64 v[63:64], v[3:4], v[75:76]
	v_mul_f64 v[65:66], v[1:2], v[75:76]
	v_add_f64 v[51:52], v[51:52], v[59:60]
	v_add_f64 v[53:54], v[53:54], v[61:62]
	s_waitcnt vmcnt(2) lgkmcnt(0)
	v_mul_f64 v[55:56], v[49:50], v[77:78]
	v_mul_f64 v[57:58], v[47:48], v[77:78]
	s_waitcnt vmcnt(0)
	v_fma_f64 v[1:2], v[1:2], v[81:82], -v[63:64]
	v_fma_f64 v[3:4], v[3:4], v[81:82], v[65:66]
	v_add_f64 v[43:44], v[51:52], v[43:44]
	v_add_f64 v[45:46], v[53:54], v[45:46]
	v_fma_f64 v[47:48], v[47:48], v[79:80], -v[55:56]
	v_fma_f64 v[49:50], v[49:50], v[79:80], v[57:58]
	v_add_f64 v[1:2], v[43:44], v[1:2]
	v_add_f64 v[3:4], v[45:46], v[3:4]
	v_mov_b32_e32 v43, s73
	s_mov_b32 s73, s74
	v_add_f64 v[1:2], v[1:2], v[47:48]
	v_add_f64 v[3:4], v[3:4], v[49:50]
	s_andn2_b32 exec_lo, exec_lo, s70
	s_cbranch_execnz .LBB60_711
; %bb.712:
	s_or_b32 exec_lo, exec_lo, s70
.LBB60_713:
	s_or_b32 exec_lo, exec_lo, s5
	v_and_b32_e32 v41, 7, v41
	s_mov_b32 s70, 0
	s_mov_b32 s5, exec_lo
	v_cmpx_ne_u32_e32 0, v41
	s_cbranch_execz .LBB60_717
; %bb.714:
	v_lshlrev_b32_e32 v43, 4, v43
	v_add_nc_u32_e32 v42, 0x3d0, v43
	.p2align	6
.LBB60_715:                             ; =>This Inner Loop Header: Depth=1
	s_clause 0x3
	buffer_load_dword v48, v43, s[0:3], 0 offen offset:8
	buffer_load_dword v49, v43, s[0:3], 0 offen offset:12
	buffer_load_dword v50, v43, s[0:3], 0 offen
	buffer_load_dword v51, v43, s[0:3], 0 offen offset:4
	ds_read_b128 v[44:47], v42
	v_add_nc_u32_e32 v41, -1, v41
	v_add_nc_u32_e32 v42, 16, v42
	v_add_nc_u32_e32 v43, 16, v43
	v_cmp_eq_u32_e32 vcc_lo, 0, v41
	s_or_b32 s70, vcc_lo, s70
	s_waitcnt vmcnt(2) lgkmcnt(0)
	v_mul_f64 v[52:53], v[46:47], v[48:49]
	v_mul_f64 v[48:49], v[44:45], v[48:49]
	s_waitcnt vmcnt(0)
	v_fma_f64 v[44:45], v[44:45], v[50:51], -v[52:53]
	v_fma_f64 v[46:47], v[46:47], v[50:51], v[48:49]
	v_add_f64 v[1:2], v[1:2], v[44:45]
	v_add_f64 v[3:4], v[3:4], v[46:47]
	s_andn2_b32 exec_lo, exec_lo, s70
	s_cbranch_execnz .LBB60_715
; %bb.716:
	s_or_b32 exec_lo, exec_lo, s70
.LBB60_717:
	s_or_b32 exec_lo, exec_lo, s5
.LBB60_718:
	s_or_b32 exec_lo, exec_lo, s8
	v_mov_b32_e32 v41, 0
	ds_read_b128 v[41:44], v41 offset:128
	s_waitcnt lgkmcnt(0)
	v_mul_f64 v[45:46], v[3:4], v[43:44]
	v_mul_f64 v[43:44], v[1:2], v[43:44]
	v_fma_f64 v[1:2], v[1:2], v[41:42], -v[45:46]
	v_fma_f64 v[3:4], v[3:4], v[41:42], v[43:44]
	buffer_store_dword v2, off, s[0:3], 0 offset:132
	buffer_store_dword v1, off, s[0:3], 0 offset:128
	;; [unrolled: 1-line block ×4, first 2 shown]
.LBB60_719:
	s_or_b32 exec_lo, exec_lo, s6
	v_mov_b32_e32 v4, s63
	v_cmp_lt_u32_e64 s5, 7, v0
	s_clause 0x3
	buffer_load_dword v1, v4, s[0:3], 0 offen
	buffer_load_dword v2, v4, s[0:3], 0 offen offset:4
	buffer_load_dword v3, v4, s[0:3], 0 offen offset:8
	;; [unrolled: 1-line block ×3, first 2 shown]
	s_waitcnt vmcnt(0)
	ds_write_b128 v40, v[1:4]
	s_waitcnt lgkmcnt(0)
	s_waitcnt_vscnt null, 0x0
	s_barrier
	buffer_gl0_inv
	s_and_saveexec_b32 s6, s5
	s_cbranch_execz .LBB60_733
; %bb.720:
	ds_read_b128 v[1:4], v40
	s_andn2_b32 vcc_lo, exec_lo, s7
	s_cbranch_vccnz .LBB60_722
; %bb.721:
	s_clause 0x3
	buffer_load_dword v41, v39, s[0:3], 0 offen offset:8
	buffer_load_dword v42, v39, s[0:3], 0 offen offset:12
	buffer_load_dword v43, v39, s[0:3], 0 offen
	buffer_load_dword v44, v39, s[0:3], 0 offen offset:4
	s_waitcnt vmcnt(2) lgkmcnt(0)
	v_mul_f64 v[45:46], v[3:4], v[41:42]
	v_mul_f64 v[41:42], v[1:2], v[41:42]
	s_waitcnt vmcnt(0)
	v_fma_f64 v[1:2], v[1:2], v[43:44], -v[45:46]
	v_fma_f64 v[3:4], v[3:4], v[43:44], v[41:42]
.LBB60_722:
	s_and_saveexec_b32 s8, s4
	s_cbranch_execz .LBB60_732
; %bb.723:
	v_add_nc_u32_e32 v41, -9, v0
	v_cmp_lt_u32_e32 vcc_lo, 6, v41
	v_mov_b32_e32 v41, 8
	s_and_saveexec_b32 s4, vcc_lo
	s_cbranch_execz .LBB60_727
; %bb.724:
	v_and_b32_e32 v41, 56, v0
	s_mov_b32 s70, 8
	s_movk_i32 s72, 0x450
	s_mov_b32 s71, 0
	s_mov_b32 s73, s62
.LBB60_725:                             ; =>This Inner Loop Header: Depth=1
	v_mov_b32_e32 v42, s73
	v_mov_b32_e32 v90, s72
	s_add_i32 s70, s70, 8
	s_addk_i32 s72, 0x80
	v_cmp_eq_u32_e32 vcc_lo, s70, v41
	s_clause 0x1f
	buffer_load_dword v50, v42, s[0:3], 0 offen offset:8
	buffer_load_dword v51, v42, s[0:3], 0 offen offset:12
	buffer_load_dword v52, v42, s[0:3], 0 offen
	buffer_load_dword v53, v42, s[0:3], 0 offen offset:4
	buffer_load_dword v54, v42, s[0:3], 0 offen offset:24
	;; [unrolled: 1-line block ×29, first 2 shown]
	ds_read_b128 v[42:45], v90
	ds_read_b128 v[46:49], v90 offset:16
	s_addk_i32 s73, 0x80
	s_or_b32 s71, vcc_lo, s71
	s_waitcnt vmcnt(30) lgkmcnt(1)
	v_mul_f64 v[82:83], v[44:45], v[50:51]
	v_mul_f64 v[50:51], v[42:43], v[50:51]
	s_waitcnt vmcnt(26) lgkmcnt(0)
	v_mul_f64 v[84:85], v[48:49], v[54:55]
	v_mul_f64 v[54:55], v[46:47], v[54:55]
	v_fma_f64 v[82:83], v[42:43], v[52:53], -v[82:83]
	v_fma_f64 v[86:87], v[44:45], v[52:53], v[50:51]
	ds_read_b128 v[42:45], v90 offset:32
	ds_read_b128 v[50:53], v90 offset:48
	s_waitcnt vmcnt(24)
	v_fma_f64 v[46:47], v[46:47], v[56:57], -v[84:85]
	v_fma_f64 v[48:49], v[48:49], v[56:57], v[54:55]
	s_waitcnt vmcnt(22) lgkmcnt(1)
	v_mul_f64 v[88:89], v[44:45], v[58:59]
	v_mul_f64 v[58:59], v[42:43], v[58:59]
	v_add_f64 v[1:2], v[1:2], v[82:83]
	v_add_f64 v[3:4], v[3:4], v[86:87]
	s_waitcnt vmcnt(18) lgkmcnt(0)
	v_mul_f64 v[54:55], v[52:53], v[62:63]
	v_mul_f64 v[56:57], v[50:51], v[62:63]
	v_fma_f64 v[62:63], v[42:43], v[60:61], -v[88:89]
	v_fma_f64 v[58:59], v[44:45], v[60:61], v[58:59]
	v_add_f64 v[46:47], v[1:2], v[46:47]
	v_add_f64 v[48:49], v[3:4], v[48:49]
	ds_read_b128 v[1:4], v90 offset:64
	ds_read_b128 v[42:45], v90 offset:80
	s_waitcnt vmcnt(16)
	v_fma_f64 v[50:51], v[50:51], v[64:65], -v[54:55]
	v_fma_f64 v[52:53], v[52:53], v[64:65], v[56:57]
	s_waitcnt vmcnt(12) lgkmcnt(1)
	v_mul_f64 v[60:61], v[3:4], v[66:67]
	v_mul_f64 v[66:67], v[1:2], v[66:67]
	v_add_f64 v[46:47], v[46:47], v[62:63]
	v_add_f64 v[48:49], v[48:49], v[58:59]
	s_waitcnt vmcnt(10) lgkmcnt(0)
	v_mul_f64 v[54:55], v[44:45], v[68:69]
	v_mul_f64 v[56:57], v[42:43], v[68:69]
	s_waitcnt vmcnt(8)
	v_fma_f64 v[58:59], v[1:2], v[72:73], -v[60:61]
	v_fma_f64 v[60:61], v[3:4], v[72:73], v[66:67]
	v_add_f64 v[50:51], v[46:47], v[50:51]
	v_add_f64 v[52:53], v[48:49], v[52:53]
	ds_read_b128 v[1:4], v90 offset:96
	ds_read_b128 v[46:49], v90 offset:112
	v_fma_f64 v[42:43], v[42:43], v[70:71], -v[54:55]
	v_fma_f64 v[44:45], v[44:45], v[70:71], v[56:57]
	s_waitcnt vmcnt(4) lgkmcnt(1)
	v_mul_f64 v[62:63], v[3:4], v[74:75]
	v_mul_f64 v[64:65], v[1:2], v[74:75]
	v_add_f64 v[50:51], v[50:51], v[58:59]
	v_add_f64 v[52:53], v[52:53], v[60:61]
	s_waitcnt vmcnt(2) lgkmcnt(0)
	v_mul_f64 v[54:55], v[48:49], v[76:77]
	v_mul_f64 v[56:57], v[46:47], v[76:77]
	s_waitcnt vmcnt(0)
	v_fma_f64 v[1:2], v[1:2], v[80:81], -v[62:63]
	v_fma_f64 v[3:4], v[3:4], v[80:81], v[64:65]
	v_add_f64 v[42:43], v[50:51], v[42:43]
	v_add_f64 v[44:45], v[52:53], v[44:45]
	v_fma_f64 v[46:47], v[46:47], v[78:79], -v[54:55]
	v_fma_f64 v[48:49], v[48:49], v[78:79], v[56:57]
	v_add_f64 v[1:2], v[42:43], v[1:2]
	v_add_f64 v[3:4], v[44:45], v[3:4]
	v_add_f64 v[1:2], v[1:2], v[46:47]
	v_add_f64 v[3:4], v[3:4], v[48:49]
	s_andn2_b32 exec_lo, exec_lo, s71
	s_cbranch_execnz .LBB60_725
; %bb.726:
	s_or_b32 exec_lo, exec_lo, s71
.LBB60_727:
	s_or_b32 exec_lo, exec_lo, s4
	v_and_b32_e32 v42, 7, v0
	s_mov_b32 s70, 0
	s_mov_b32 s4, exec_lo
	v_cmpx_ne_u32_e32 0, v42
	s_cbranch_execz .LBB60_731
; %bb.728:
	v_lshlrev_b32_e32 v43, 4, v41
	v_add_nc_u32_e32 v41, 0x3d0, v43
	.p2align	6
.LBB60_729:                             ; =>This Inner Loop Header: Depth=1
	s_clause 0x3
	buffer_load_dword v48, v43, s[0:3], 0 offen offset:8
	buffer_load_dword v49, v43, s[0:3], 0 offen offset:12
	buffer_load_dword v50, v43, s[0:3], 0 offen
	buffer_load_dword v51, v43, s[0:3], 0 offen offset:4
	ds_read_b128 v[44:47], v41
	v_add_nc_u32_e32 v42, -1, v42
	v_add_nc_u32_e32 v41, 16, v41
	v_add_nc_u32_e32 v43, 16, v43
	v_cmp_eq_u32_e32 vcc_lo, 0, v42
	s_or_b32 s70, vcc_lo, s70
	s_waitcnt vmcnt(2) lgkmcnt(0)
	v_mul_f64 v[52:53], v[46:47], v[48:49]
	v_mul_f64 v[48:49], v[44:45], v[48:49]
	s_waitcnt vmcnt(0)
	v_fma_f64 v[44:45], v[44:45], v[50:51], -v[52:53]
	v_fma_f64 v[46:47], v[46:47], v[50:51], v[48:49]
	v_add_f64 v[1:2], v[1:2], v[44:45]
	v_add_f64 v[3:4], v[3:4], v[46:47]
	s_andn2_b32 exec_lo, exec_lo, s70
	s_cbranch_execnz .LBB60_729
; %bb.730:
	s_or_b32 exec_lo, exec_lo, s70
.LBB60_731:
	s_or_b32 exec_lo, exec_lo, s4
.LBB60_732:
	s_or_b32 exec_lo, exec_lo, s8
	v_mov_b32_e32 v41, 0
	ds_read_b128 v[41:44], v41 offset:112
	s_waitcnt lgkmcnt(0)
	v_mul_f64 v[45:46], v[3:4], v[43:44]
	v_mul_f64 v[43:44], v[1:2], v[43:44]
	v_fma_f64 v[1:2], v[1:2], v[41:42], -v[45:46]
	v_fma_f64 v[3:4], v[3:4], v[41:42], v[43:44]
	buffer_store_dword v2, off, s[0:3], 0 offset:116
	buffer_store_dword v1, off, s[0:3], 0 offset:112
	;; [unrolled: 1-line block ×4, first 2 shown]
.LBB60_733:
	s_or_b32 exec_lo, exec_lo, s6
	v_mov_b32_e32 v4, s64
	v_cmp_lt_u32_e64 s4, 6, v0
	s_clause 0x3
	buffer_load_dword v1, v4, s[0:3], 0 offen
	buffer_load_dword v2, v4, s[0:3], 0 offen offset:4
	buffer_load_dword v3, v4, s[0:3], 0 offen offset:8
	buffer_load_dword v4, v4, s[0:3], 0 offen offset:12
	s_waitcnt vmcnt(0)
	ds_write_b128 v40, v[1:4]
	s_waitcnt lgkmcnt(0)
	s_waitcnt_vscnt null, 0x0
	s_barrier
	buffer_gl0_inv
	s_and_saveexec_b32 s6, s4
	s_cbranch_execz .LBB60_747
; %bb.734:
	ds_read_b128 v[1:4], v40
	s_andn2_b32 vcc_lo, exec_lo, s7
	s_cbranch_vccnz .LBB60_736
; %bb.735:
	s_clause 0x3
	buffer_load_dword v41, v39, s[0:3], 0 offen offset:8
	buffer_load_dword v42, v39, s[0:3], 0 offen offset:12
	buffer_load_dword v43, v39, s[0:3], 0 offen
	buffer_load_dword v44, v39, s[0:3], 0 offen offset:4
	s_waitcnt vmcnt(2) lgkmcnt(0)
	v_mul_f64 v[45:46], v[3:4], v[41:42]
	v_mul_f64 v[41:42], v[1:2], v[41:42]
	s_waitcnt vmcnt(0)
	v_fma_f64 v[1:2], v[1:2], v[43:44], -v[45:46]
	v_fma_f64 v[3:4], v[3:4], v[43:44], v[41:42]
.LBB60_736:
	s_and_saveexec_b32 s8, s5
	s_cbranch_execz .LBB60_746
; %bb.737:
	v_add_nc_u32_e32 v42, -8, v0
	v_add_nc_u32_e32 v41, -7, v0
	v_mov_b32_e32 v43, 7
	s_mov_b32 s5, exec_lo
	v_cmpx_lt_u32_e32 6, v42
	s_cbranch_execz .LBB60_741
; %bb.738:
	v_and_b32_e32 v42, -8, v41
	s_movk_i32 s71, 0x440
	s_mov_b32 s70, 0
	s_mov_b32 s72, s63
	;; [unrolled: 1-line block ×3, first 2 shown]
.LBB60_739:                             ; =>This Inner Loop Header: Depth=1
	v_mov_b32_e32 v43, s72
	v_mov_b32_e32 v91, s71
	s_add_i32 s74, s73, 8
	s_add_i32 s73, s73, 15
	v_cmp_eq_u32_e32 vcc_lo, s74, v42
	s_clause 0x1f
	buffer_load_dword v51, v43, s[0:3], 0 offen offset:8
	buffer_load_dword v52, v43, s[0:3], 0 offen offset:12
	buffer_load_dword v53, v43, s[0:3], 0 offen
	buffer_load_dword v54, v43, s[0:3], 0 offen offset:4
	buffer_load_dword v55, v43, s[0:3], 0 offen offset:24
	buffer_load_dword v56, v43, s[0:3], 0 offen offset:28
	buffer_load_dword v57, v43, s[0:3], 0 offen offset:16
	buffer_load_dword v58, v43, s[0:3], 0 offen offset:20
	buffer_load_dword v59, v43, s[0:3], 0 offen offset:40
	buffer_load_dword v60, v43, s[0:3], 0 offen offset:44
	buffer_load_dword v61, v43, s[0:3], 0 offen offset:32
	buffer_load_dword v62, v43, s[0:3], 0 offen offset:36
	buffer_load_dword v63, v43, s[0:3], 0 offen offset:56
	buffer_load_dword v64, v43, s[0:3], 0 offen offset:60
	buffer_load_dword v65, v43, s[0:3], 0 offen offset:48
	buffer_load_dword v66, v43, s[0:3], 0 offen offset:52
	buffer_load_dword v68, v43, s[0:3], 0 offen offset:76
	buffer_load_dword v69, v43, s[0:3], 0 offen offset:88
	buffer_load_dword v71, v43, s[0:3], 0 offen offset:80
	buffer_load_dword v67, v43, s[0:3], 0 offen offset:72
	buffer_load_dword v72, v43, s[0:3], 0 offen offset:84
	buffer_load_dword v70, v43, s[0:3], 0 offen offset:92
	buffer_load_dword v74, v43, s[0:3], 0 offen offset:68
	buffer_load_dword v73, v43, s[0:3], 0 offen offset:64
	buffer_load_dword v76, v43, s[0:3], 0 offen offset:108
	buffer_load_dword v77, v43, s[0:3], 0 offen offset:120
	buffer_load_dword v79, v43, s[0:3], 0 offen offset:112
	buffer_load_dword v75, v43, s[0:3], 0 offen offset:104
	buffer_load_dword v80, v43, s[0:3], 0 offen offset:116
	buffer_load_dword v78, v43, s[0:3], 0 offen offset:124
	buffer_load_dword v82, v43, s[0:3], 0 offen offset:100
	buffer_load_dword v81, v43, s[0:3], 0 offen offset:96
	ds_read_b128 v[43:46], v91
	ds_read_b128 v[47:50], v91 offset:16
	s_addk_i32 s71, 0x80
	s_addk_i32 s72, 0x80
	s_or_b32 s70, vcc_lo, s70
	s_waitcnt vmcnt(30) lgkmcnt(1)
	v_mul_f64 v[83:84], v[45:46], v[51:52]
	v_mul_f64 v[51:52], v[43:44], v[51:52]
	s_waitcnt vmcnt(26) lgkmcnt(0)
	v_mul_f64 v[85:86], v[49:50], v[55:56]
	v_mul_f64 v[55:56], v[47:48], v[55:56]
	v_fma_f64 v[83:84], v[43:44], v[53:54], -v[83:84]
	v_fma_f64 v[87:88], v[45:46], v[53:54], v[51:52]
	ds_read_b128 v[43:46], v91 offset:32
	ds_read_b128 v[51:54], v91 offset:48
	s_waitcnt vmcnt(24)
	v_fma_f64 v[47:48], v[47:48], v[57:58], -v[85:86]
	v_fma_f64 v[49:50], v[49:50], v[57:58], v[55:56]
	s_waitcnt vmcnt(22) lgkmcnt(1)
	v_mul_f64 v[89:90], v[45:46], v[59:60]
	v_mul_f64 v[59:60], v[43:44], v[59:60]
	v_add_f64 v[1:2], v[1:2], v[83:84]
	v_add_f64 v[3:4], v[3:4], v[87:88]
	s_waitcnt vmcnt(18) lgkmcnt(0)
	v_mul_f64 v[55:56], v[53:54], v[63:64]
	v_mul_f64 v[57:58], v[51:52], v[63:64]
	v_fma_f64 v[63:64], v[43:44], v[61:62], -v[89:90]
	v_fma_f64 v[59:60], v[45:46], v[61:62], v[59:60]
	v_add_f64 v[47:48], v[1:2], v[47:48]
	v_add_f64 v[49:50], v[3:4], v[49:50]
	ds_read_b128 v[1:4], v91 offset:64
	ds_read_b128 v[43:46], v91 offset:80
	s_waitcnt vmcnt(16)
	v_fma_f64 v[51:52], v[51:52], v[65:66], -v[55:56]
	v_fma_f64 v[53:54], v[53:54], v[65:66], v[57:58]
	s_waitcnt vmcnt(12) lgkmcnt(1)
	v_mul_f64 v[61:62], v[3:4], v[67:68]
	v_mul_f64 v[67:68], v[1:2], v[67:68]
	v_add_f64 v[47:48], v[47:48], v[63:64]
	v_add_f64 v[49:50], v[49:50], v[59:60]
	s_waitcnt vmcnt(10) lgkmcnt(0)
	v_mul_f64 v[55:56], v[45:46], v[69:70]
	v_mul_f64 v[57:58], v[43:44], v[69:70]
	s_waitcnt vmcnt(8)
	v_fma_f64 v[59:60], v[1:2], v[73:74], -v[61:62]
	v_fma_f64 v[61:62], v[3:4], v[73:74], v[67:68]
	v_add_f64 v[51:52], v[47:48], v[51:52]
	v_add_f64 v[53:54], v[49:50], v[53:54]
	ds_read_b128 v[1:4], v91 offset:96
	ds_read_b128 v[47:50], v91 offset:112
	v_fma_f64 v[43:44], v[43:44], v[71:72], -v[55:56]
	v_fma_f64 v[45:46], v[45:46], v[71:72], v[57:58]
	s_waitcnt vmcnt(4) lgkmcnt(1)
	v_mul_f64 v[63:64], v[3:4], v[75:76]
	v_mul_f64 v[65:66], v[1:2], v[75:76]
	v_add_f64 v[51:52], v[51:52], v[59:60]
	v_add_f64 v[53:54], v[53:54], v[61:62]
	s_waitcnt vmcnt(2) lgkmcnt(0)
	v_mul_f64 v[55:56], v[49:50], v[77:78]
	v_mul_f64 v[57:58], v[47:48], v[77:78]
	s_waitcnt vmcnt(0)
	v_fma_f64 v[1:2], v[1:2], v[81:82], -v[63:64]
	v_fma_f64 v[3:4], v[3:4], v[81:82], v[65:66]
	v_add_f64 v[43:44], v[51:52], v[43:44]
	v_add_f64 v[45:46], v[53:54], v[45:46]
	v_fma_f64 v[47:48], v[47:48], v[79:80], -v[55:56]
	v_fma_f64 v[49:50], v[49:50], v[79:80], v[57:58]
	v_add_f64 v[1:2], v[43:44], v[1:2]
	v_add_f64 v[3:4], v[45:46], v[3:4]
	v_mov_b32_e32 v43, s73
	s_mov_b32 s73, s74
	v_add_f64 v[1:2], v[1:2], v[47:48]
	v_add_f64 v[3:4], v[3:4], v[49:50]
	s_andn2_b32 exec_lo, exec_lo, s70
	s_cbranch_execnz .LBB60_739
; %bb.740:
	s_or_b32 exec_lo, exec_lo, s70
.LBB60_741:
	s_or_b32 exec_lo, exec_lo, s5
	v_and_b32_e32 v41, 7, v41
	s_mov_b32 s70, 0
	s_mov_b32 s5, exec_lo
	v_cmpx_ne_u32_e32 0, v41
	s_cbranch_execz .LBB60_745
; %bb.742:
	v_lshlrev_b32_e32 v43, 4, v43
	v_add_nc_u32_e32 v42, 0x3d0, v43
	.p2align	6
.LBB60_743:                             ; =>This Inner Loop Header: Depth=1
	s_clause 0x3
	buffer_load_dword v48, v43, s[0:3], 0 offen offset:8
	buffer_load_dword v49, v43, s[0:3], 0 offen offset:12
	buffer_load_dword v50, v43, s[0:3], 0 offen
	buffer_load_dword v51, v43, s[0:3], 0 offen offset:4
	ds_read_b128 v[44:47], v42
	v_add_nc_u32_e32 v41, -1, v41
	v_add_nc_u32_e32 v42, 16, v42
	v_add_nc_u32_e32 v43, 16, v43
	v_cmp_eq_u32_e32 vcc_lo, 0, v41
	s_or_b32 s70, vcc_lo, s70
	s_waitcnt vmcnt(2) lgkmcnt(0)
	v_mul_f64 v[52:53], v[46:47], v[48:49]
	v_mul_f64 v[48:49], v[44:45], v[48:49]
	s_waitcnt vmcnt(0)
	v_fma_f64 v[44:45], v[44:45], v[50:51], -v[52:53]
	v_fma_f64 v[46:47], v[46:47], v[50:51], v[48:49]
	v_add_f64 v[1:2], v[1:2], v[44:45]
	v_add_f64 v[3:4], v[3:4], v[46:47]
	s_andn2_b32 exec_lo, exec_lo, s70
	s_cbranch_execnz .LBB60_743
; %bb.744:
	s_or_b32 exec_lo, exec_lo, s70
.LBB60_745:
	s_or_b32 exec_lo, exec_lo, s5
.LBB60_746:
	s_or_b32 exec_lo, exec_lo, s8
	v_mov_b32_e32 v41, 0
	ds_read_b128 v[41:44], v41 offset:96
	s_waitcnt lgkmcnt(0)
	v_mul_f64 v[45:46], v[3:4], v[43:44]
	v_mul_f64 v[43:44], v[1:2], v[43:44]
	v_fma_f64 v[1:2], v[1:2], v[41:42], -v[45:46]
	v_fma_f64 v[3:4], v[3:4], v[41:42], v[43:44]
	buffer_store_dword v2, off, s[0:3], 0 offset:100
	buffer_store_dword v1, off, s[0:3], 0 offset:96
	buffer_store_dword v4, off, s[0:3], 0 offset:108
	buffer_store_dword v3, off, s[0:3], 0 offset:104
.LBB60_747:
	s_or_b32 exec_lo, exec_lo, s6
	v_mov_b32_e32 v4, s65
	v_cmp_lt_u32_e64 s5, 5, v0
	s_clause 0x3
	buffer_load_dword v1, v4, s[0:3], 0 offen
	buffer_load_dword v2, v4, s[0:3], 0 offen offset:4
	buffer_load_dword v3, v4, s[0:3], 0 offen offset:8
	;; [unrolled: 1-line block ×3, first 2 shown]
	s_waitcnt vmcnt(0)
	ds_write_b128 v40, v[1:4]
	s_waitcnt lgkmcnt(0)
	s_waitcnt_vscnt null, 0x0
	s_barrier
	buffer_gl0_inv
	s_and_saveexec_b32 s6, s5
	s_cbranch_execz .LBB60_761
; %bb.748:
	ds_read_b128 v[1:4], v40
	s_andn2_b32 vcc_lo, exec_lo, s7
	s_cbranch_vccnz .LBB60_750
; %bb.749:
	s_clause 0x3
	buffer_load_dword v41, v39, s[0:3], 0 offen offset:8
	buffer_load_dword v42, v39, s[0:3], 0 offen offset:12
	buffer_load_dword v43, v39, s[0:3], 0 offen
	buffer_load_dword v44, v39, s[0:3], 0 offen offset:4
	s_waitcnt vmcnt(2) lgkmcnt(0)
	v_mul_f64 v[45:46], v[3:4], v[41:42]
	v_mul_f64 v[41:42], v[1:2], v[41:42]
	s_waitcnt vmcnt(0)
	v_fma_f64 v[1:2], v[1:2], v[43:44], -v[45:46]
	v_fma_f64 v[3:4], v[3:4], v[43:44], v[41:42]
.LBB60_750:
	s_and_saveexec_b32 s8, s4
	s_cbranch_execz .LBB60_760
; %bb.751:
	v_add_nc_u32_e32 v42, -7, v0
	v_add_nc_u32_e32 v41, -6, v0
	v_mov_b32_e32 v43, 6
	s_mov_b32 s4, exec_lo
	v_cmpx_lt_u32_e32 6, v42
	s_cbranch_execz .LBB60_755
; %bb.752:
	v_and_b32_e32 v42, -8, v41
	s_movk_i32 s71, 0x430
	s_mov_b32 s70, 0
	s_mov_b32 s72, s64
	;; [unrolled: 1-line block ×3, first 2 shown]
.LBB60_753:                             ; =>This Inner Loop Header: Depth=1
	v_mov_b32_e32 v43, s72
	v_mov_b32_e32 v91, s71
	s_add_i32 s74, s73, 8
	s_add_i32 s73, s73, 14
	v_cmp_eq_u32_e32 vcc_lo, s74, v42
	s_clause 0x1f
	buffer_load_dword v51, v43, s[0:3], 0 offen offset:8
	buffer_load_dword v52, v43, s[0:3], 0 offen offset:12
	buffer_load_dword v53, v43, s[0:3], 0 offen
	buffer_load_dword v54, v43, s[0:3], 0 offen offset:4
	buffer_load_dword v55, v43, s[0:3], 0 offen offset:24
	;; [unrolled: 1-line block ×29, first 2 shown]
	ds_read_b128 v[43:46], v91
	ds_read_b128 v[47:50], v91 offset:16
	s_addk_i32 s71, 0x80
	s_addk_i32 s72, 0x80
	s_or_b32 s70, vcc_lo, s70
	s_waitcnt vmcnt(30) lgkmcnt(1)
	v_mul_f64 v[83:84], v[45:46], v[51:52]
	v_mul_f64 v[51:52], v[43:44], v[51:52]
	s_waitcnt vmcnt(26) lgkmcnt(0)
	v_mul_f64 v[85:86], v[49:50], v[55:56]
	v_mul_f64 v[55:56], v[47:48], v[55:56]
	v_fma_f64 v[83:84], v[43:44], v[53:54], -v[83:84]
	v_fma_f64 v[87:88], v[45:46], v[53:54], v[51:52]
	ds_read_b128 v[43:46], v91 offset:32
	ds_read_b128 v[51:54], v91 offset:48
	s_waitcnt vmcnt(24)
	v_fma_f64 v[47:48], v[47:48], v[57:58], -v[85:86]
	v_fma_f64 v[49:50], v[49:50], v[57:58], v[55:56]
	s_waitcnt vmcnt(22) lgkmcnt(1)
	v_mul_f64 v[89:90], v[45:46], v[59:60]
	v_mul_f64 v[59:60], v[43:44], v[59:60]
	v_add_f64 v[1:2], v[1:2], v[83:84]
	v_add_f64 v[3:4], v[3:4], v[87:88]
	s_waitcnt vmcnt(18) lgkmcnt(0)
	v_mul_f64 v[55:56], v[53:54], v[63:64]
	v_mul_f64 v[57:58], v[51:52], v[63:64]
	v_fma_f64 v[63:64], v[43:44], v[61:62], -v[89:90]
	v_fma_f64 v[59:60], v[45:46], v[61:62], v[59:60]
	v_add_f64 v[47:48], v[1:2], v[47:48]
	v_add_f64 v[49:50], v[3:4], v[49:50]
	ds_read_b128 v[1:4], v91 offset:64
	ds_read_b128 v[43:46], v91 offset:80
	s_waitcnt vmcnt(16)
	v_fma_f64 v[51:52], v[51:52], v[65:66], -v[55:56]
	v_fma_f64 v[53:54], v[53:54], v[65:66], v[57:58]
	s_waitcnt vmcnt(12) lgkmcnt(1)
	v_mul_f64 v[61:62], v[3:4], v[67:68]
	v_mul_f64 v[67:68], v[1:2], v[67:68]
	v_add_f64 v[47:48], v[47:48], v[63:64]
	v_add_f64 v[49:50], v[49:50], v[59:60]
	s_waitcnt vmcnt(10) lgkmcnt(0)
	v_mul_f64 v[55:56], v[45:46], v[69:70]
	v_mul_f64 v[57:58], v[43:44], v[69:70]
	s_waitcnt vmcnt(8)
	v_fma_f64 v[59:60], v[1:2], v[73:74], -v[61:62]
	v_fma_f64 v[61:62], v[3:4], v[73:74], v[67:68]
	v_add_f64 v[51:52], v[47:48], v[51:52]
	v_add_f64 v[53:54], v[49:50], v[53:54]
	ds_read_b128 v[1:4], v91 offset:96
	ds_read_b128 v[47:50], v91 offset:112
	v_fma_f64 v[43:44], v[43:44], v[71:72], -v[55:56]
	v_fma_f64 v[45:46], v[45:46], v[71:72], v[57:58]
	s_waitcnt vmcnt(4) lgkmcnt(1)
	v_mul_f64 v[63:64], v[3:4], v[75:76]
	v_mul_f64 v[65:66], v[1:2], v[75:76]
	v_add_f64 v[51:52], v[51:52], v[59:60]
	v_add_f64 v[53:54], v[53:54], v[61:62]
	s_waitcnt vmcnt(2) lgkmcnt(0)
	v_mul_f64 v[55:56], v[49:50], v[77:78]
	v_mul_f64 v[57:58], v[47:48], v[77:78]
	s_waitcnt vmcnt(0)
	v_fma_f64 v[1:2], v[1:2], v[81:82], -v[63:64]
	v_fma_f64 v[3:4], v[3:4], v[81:82], v[65:66]
	v_add_f64 v[43:44], v[51:52], v[43:44]
	v_add_f64 v[45:46], v[53:54], v[45:46]
	v_fma_f64 v[47:48], v[47:48], v[79:80], -v[55:56]
	v_fma_f64 v[49:50], v[49:50], v[79:80], v[57:58]
	v_add_f64 v[1:2], v[43:44], v[1:2]
	v_add_f64 v[3:4], v[45:46], v[3:4]
	v_mov_b32_e32 v43, s73
	s_mov_b32 s73, s74
	v_add_f64 v[1:2], v[1:2], v[47:48]
	v_add_f64 v[3:4], v[3:4], v[49:50]
	s_andn2_b32 exec_lo, exec_lo, s70
	s_cbranch_execnz .LBB60_753
; %bb.754:
	s_or_b32 exec_lo, exec_lo, s70
.LBB60_755:
	s_or_b32 exec_lo, exec_lo, s4
	v_and_b32_e32 v41, 7, v41
	s_mov_b32 s70, 0
	s_mov_b32 s4, exec_lo
	v_cmpx_ne_u32_e32 0, v41
	s_cbranch_execz .LBB60_759
; %bb.756:
	v_lshlrev_b32_e32 v43, 4, v43
	v_add_nc_u32_e32 v42, 0x3d0, v43
	.p2align	6
.LBB60_757:                             ; =>This Inner Loop Header: Depth=1
	s_clause 0x3
	buffer_load_dword v48, v43, s[0:3], 0 offen offset:8
	buffer_load_dword v49, v43, s[0:3], 0 offen offset:12
	buffer_load_dword v50, v43, s[0:3], 0 offen
	buffer_load_dword v51, v43, s[0:3], 0 offen offset:4
	ds_read_b128 v[44:47], v42
	v_add_nc_u32_e32 v41, -1, v41
	v_add_nc_u32_e32 v42, 16, v42
	v_add_nc_u32_e32 v43, 16, v43
	v_cmp_eq_u32_e32 vcc_lo, 0, v41
	s_or_b32 s70, vcc_lo, s70
	s_waitcnt vmcnt(2) lgkmcnt(0)
	v_mul_f64 v[52:53], v[46:47], v[48:49]
	v_mul_f64 v[48:49], v[44:45], v[48:49]
	s_waitcnt vmcnt(0)
	v_fma_f64 v[44:45], v[44:45], v[50:51], -v[52:53]
	v_fma_f64 v[46:47], v[46:47], v[50:51], v[48:49]
	v_add_f64 v[1:2], v[1:2], v[44:45]
	v_add_f64 v[3:4], v[3:4], v[46:47]
	s_andn2_b32 exec_lo, exec_lo, s70
	s_cbranch_execnz .LBB60_757
; %bb.758:
	s_or_b32 exec_lo, exec_lo, s70
.LBB60_759:
	s_or_b32 exec_lo, exec_lo, s4
.LBB60_760:
	s_or_b32 exec_lo, exec_lo, s8
	v_mov_b32_e32 v41, 0
	ds_read_b128 v[41:44], v41 offset:80
	s_waitcnt lgkmcnt(0)
	v_mul_f64 v[45:46], v[3:4], v[43:44]
	v_mul_f64 v[43:44], v[1:2], v[43:44]
	v_fma_f64 v[1:2], v[1:2], v[41:42], -v[45:46]
	v_fma_f64 v[3:4], v[3:4], v[41:42], v[43:44]
	buffer_store_dword v2, off, s[0:3], 0 offset:84
	buffer_store_dword v1, off, s[0:3], 0 offset:80
	;; [unrolled: 1-line block ×4, first 2 shown]
.LBB60_761:
	s_or_b32 exec_lo, exec_lo, s6
	v_mov_b32_e32 v4, s66
	v_cmp_lt_u32_e64 s4, 4, v0
	s_clause 0x3
	buffer_load_dword v1, v4, s[0:3], 0 offen
	buffer_load_dword v2, v4, s[0:3], 0 offen offset:4
	buffer_load_dword v3, v4, s[0:3], 0 offen offset:8
	buffer_load_dword v4, v4, s[0:3], 0 offen offset:12
	s_waitcnt vmcnt(0)
	ds_write_b128 v40, v[1:4]
	s_waitcnt lgkmcnt(0)
	s_waitcnt_vscnt null, 0x0
	s_barrier
	buffer_gl0_inv
	s_and_saveexec_b32 s6, s4
	s_cbranch_execz .LBB60_775
; %bb.762:
	ds_read_b128 v[1:4], v40
	s_andn2_b32 vcc_lo, exec_lo, s7
	s_cbranch_vccnz .LBB60_764
; %bb.763:
	s_clause 0x3
	buffer_load_dword v41, v39, s[0:3], 0 offen offset:8
	buffer_load_dword v42, v39, s[0:3], 0 offen offset:12
	buffer_load_dword v43, v39, s[0:3], 0 offen
	buffer_load_dword v44, v39, s[0:3], 0 offen offset:4
	s_waitcnt vmcnt(2) lgkmcnt(0)
	v_mul_f64 v[45:46], v[3:4], v[41:42]
	v_mul_f64 v[41:42], v[1:2], v[41:42]
	s_waitcnt vmcnt(0)
	v_fma_f64 v[1:2], v[1:2], v[43:44], -v[45:46]
	v_fma_f64 v[3:4], v[3:4], v[43:44], v[41:42]
.LBB60_764:
	s_and_saveexec_b32 s8, s5
	s_cbranch_execz .LBB60_774
; %bb.765:
	v_add_nc_u32_e32 v42, -6, v0
	v_add_nc_u32_e32 v41, -5, v0
	v_mov_b32_e32 v43, 5
	s_mov_b32 s5, exec_lo
	v_cmpx_lt_u32_e32 6, v42
	s_cbranch_execz .LBB60_769
; %bb.766:
	v_and_b32_e32 v42, -8, v41
	s_movk_i32 s71, 0x420
	s_mov_b32 s70, 0
	s_mov_b32 s72, s65
	;; [unrolled: 1-line block ×3, first 2 shown]
.LBB60_767:                             ; =>This Inner Loop Header: Depth=1
	v_mov_b32_e32 v43, s72
	v_mov_b32_e32 v91, s71
	s_add_i32 s74, s73, 8
	s_add_i32 s73, s73, 13
	v_cmp_eq_u32_e32 vcc_lo, s74, v42
	s_clause 0x1f
	buffer_load_dword v51, v43, s[0:3], 0 offen offset:8
	buffer_load_dword v52, v43, s[0:3], 0 offen offset:12
	buffer_load_dword v53, v43, s[0:3], 0 offen
	buffer_load_dword v54, v43, s[0:3], 0 offen offset:4
	buffer_load_dword v55, v43, s[0:3], 0 offen offset:24
	;; [unrolled: 1-line block ×29, first 2 shown]
	ds_read_b128 v[43:46], v91
	ds_read_b128 v[47:50], v91 offset:16
	s_addk_i32 s71, 0x80
	s_addk_i32 s72, 0x80
	s_or_b32 s70, vcc_lo, s70
	s_waitcnt vmcnt(30) lgkmcnt(1)
	v_mul_f64 v[83:84], v[45:46], v[51:52]
	v_mul_f64 v[51:52], v[43:44], v[51:52]
	s_waitcnt vmcnt(26) lgkmcnt(0)
	v_mul_f64 v[85:86], v[49:50], v[55:56]
	v_mul_f64 v[55:56], v[47:48], v[55:56]
	v_fma_f64 v[83:84], v[43:44], v[53:54], -v[83:84]
	v_fma_f64 v[87:88], v[45:46], v[53:54], v[51:52]
	ds_read_b128 v[43:46], v91 offset:32
	ds_read_b128 v[51:54], v91 offset:48
	s_waitcnt vmcnt(24)
	v_fma_f64 v[47:48], v[47:48], v[57:58], -v[85:86]
	v_fma_f64 v[49:50], v[49:50], v[57:58], v[55:56]
	s_waitcnt vmcnt(22) lgkmcnt(1)
	v_mul_f64 v[89:90], v[45:46], v[59:60]
	v_mul_f64 v[59:60], v[43:44], v[59:60]
	v_add_f64 v[1:2], v[1:2], v[83:84]
	v_add_f64 v[3:4], v[3:4], v[87:88]
	s_waitcnt vmcnt(18) lgkmcnt(0)
	v_mul_f64 v[55:56], v[53:54], v[63:64]
	v_mul_f64 v[57:58], v[51:52], v[63:64]
	v_fma_f64 v[63:64], v[43:44], v[61:62], -v[89:90]
	v_fma_f64 v[59:60], v[45:46], v[61:62], v[59:60]
	v_add_f64 v[47:48], v[1:2], v[47:48]
	v_add_f64 v[49:50], v[3:4], v[49:50]
	ds_read_b128 v[1:4], v91 offset:64
	ds_read_b128 v[43:46], v91 offset:80
	s_waitcnt vmcnt(16)
	v_fma_f64 v[51:52], v[51:52], v[65:66], -v[55:56]
	v_fma_f64 v[53:54], v[53:54], v[65:66], v[57:58]
	s_waitcnt vmcnt(12) lgkmcnt(1)
	v_mul_f64 v[61:62], v[3:4], v[67:68]
	v_mul_f64 v[67:68], v[1:2], v[67:68]
	v_add_f64 v[47:48], v[47:48], v[63:64]
	v_add_f64 v[49:50], v[49:50], v[59:60]
	s_waitcnt vmcnt(10) lgkmcnt(0)
	v_mul_f64 v[55:56], v[45:46], v[69:70]
	v_mul_f64 v[57:58], v[43:44], v[69:70]
	s_waitcnt vmcnt(8)
	v_fma_f64 v[59:60], v[1:2], v[73:74], -v[61:62]
	v_fma_f64 v[61:62], v[3:4], v[73:74], v[67:68]
	v_add_f64 v[51:52], v[47:48], v[51:52]
	v_add_f64 v[53:54], v[49:50], v[53:54]
	ds_read_b128 v[1:4], v91 offset:96
	ds_read_b128 v[47:50], v91 offset:112
	v_fma_f64 v[43:44], v[43:44], v[71:72], -v[55:56]
	v_fma_f64 v[45:46], v[45:46], v[71:72], v[57:58]
	s_waitcnt vmcnt(4) lgkmcnt(1)
	v_mul_f64 v[63:64], v[3:4], v[75:76]
	v_mul_f64 v[65:66], v[1:2], v[75:76]
	v_add_f64 v[51:52], v[51:52], v[59:60]
	v_add_f64 v[53:54], v[53:54], v[61:62]
	s_waitcnt vmcnt(2) lgkmcnt(0)
	v_mul_f64 v[55:56], v[49:50], v[77:78]
	v_mul_f64 v[57:58], v[47:48], v[77:78]
	s_waitcnt vmcnt(0)
	v_fma_f64 v[1:2], v[1:2], v[81:82], -v[63:64]
	v_fma_f64 v[3:4], v[3:4], v[81:82], v[65:66]
	v_add_f64 v[43:44], v[51:52], v[43:44]
	v_add_f64 v[45:46], v[53:54], v[45:46]
	v_fma_f64 v[47:48], v[47:48], v[79:80], -v[55:56]
	v_fma_f64 v[49:50], v[49:50], v[79:80], v[57:58]
	v_add_f64 v[1:2], v[43:44], v[1:2]
	v_add_f64 v[3:4], v[45:46], v[3:4]
	v_mov_b32_e32 v43, s73
	s_mov_b32 s73, s74
	v_add_f64 v[1:2], v[1:2], v[47:48]
	v_add_f64 v[3:4], v[3:4], v[49:50]
	s_andn2_b32 exec_lo, exec_lo, s70
	s_cbranch_execnz .LBB60_767
; %bb.768:
	s_or_b32 exec_lo, exec_lo, s70
.LBB60_769:
	s_or_b32 exec_lo, exec_lo, s5
	v_and_b32_e32 v41, 7, v41
	s_mov_b32 s70, 0
	s_mov_b32 s5, exec_lo
	v_cmpx_ne_u32_e32 0, v41
	s_cbranch_execz .LBB60_773
; %bb.770:
	v_lshlrev_b32_e32 v43, 4, v43
	v_add_nc_u32_e32 v42, 0x3d0, v43
	.p2align	6
.LBB60_771:                             ; =>This Inner Loop Header: Depth=1
	s_clause 0x3
	buffer_load_dword v48, v43, s[0:3], 0 offen offset:8
	buffer_load_dword v49, v43, s[0:3], 0 offen offset:12
	buffer_load_dword v50, v43, s[0:3], 0 offen
	buffer_load_dword v51, v43, s[0:3], 0 offen offset:4
	ds_read_b128 v[44:47], v42
	v_add_nc_u32_e32 v41, -1, v41
	v_add_nc_u32_e32 v42, 16, v42
	v_add_nc_u32_e32 v43, 16, v43
	v_cmp_eq_u32_e32 vcc_lo, 0, v41
	s_or_b32 s70, vcc_lo, s70
	s_waitcnt vmcnt(2) lgkmcnt(0)
	v_mul_f64 v[52:53], v[46:47], v[48:49]
	v_mul_f64 v[48:49], v[44:45], v[48:49]
	s_waitcnt vmcnt(0)
	v_fma_f64 v[44:45], v[44:45], v[50:51], -v[52:53]
	v_fma_f64 v[46:47], v[46:47], v[50:51], v[48:49]
	v_add_f64 v[1:2], v[1:2], v[44:45]
	v_add_f64 v[3:4], v[3:4], v[46:47]
	s_andn2_b32 exec_lo, exec_lo, s70
	s_cbranch_execnz .LBB60_771
; %bb.772:
	s_or_b32 exec_lo, exec_lo, s70
.LBB60_773:
	s_or_b32 exec_lo, exec_lo, s5
.LBB60_774:
	s_or_b32 exec_lo, exec_lo, s8
	v_mov_b32_e32 v41, 0
	ds_read_b128 v[41:44], v41 offset:64
	s_waitcnt lgkmcnt(0)
	v_mul_f64 v[45:46], v[3:4], v[43:44]
	v_mul_f64 v[43:44], v[1:2], v[43:44]
	v_fma_f64 v[1:2], v[1:2], v[41:42], -v[45:46]
	v_fma_f64 v[3:4], v[3:4], v[41:42], v[43:44]
	buffer_store_dword v2, off, s[0:3], 0 offset:68
	buffer_store_dword v1, off, s[0:3], 0 offset:64
	;; [unrolled: 1-line block ×4, first 2 shown]
.LBB60_775:
	s_or_b32 exec_lo, exec_lo, s6
	v_mov_b32_e32 v4, s67
	v_cmp_lt_u32_e64 s5, 3, v0
	s_clause 0x3
	buffer_load_dword v1, v4, s[0:3], 0 offen
	buffer_load_dword v2, v4, s[0:3], 0 offen offset:4
	buffer_load_dword v3, v4, s[0:3], 0 offen offset:8
	;; [unrolled: 1-line block ×3, first 2 shown]
	s_waitcnt vmcnt(0)
	ds_write_b128 v40, v[1:4]
	s_waitcnt lgkmcnt(0)
	s_waitcnt_vscnt null, 0x0
	s_barrier
	buffer_gl0_inv
	s_and_saveexec_b32 s6, s5
	s_cbranch_execz .LBB60_789
; %bb.776:
	ds_read_b128 v[1:4], v40
	s_andn2_b32 vcc_lo, exec_lo, s7
	s_cbranch_vccnz .LBB60_778
; %bb.777:
	s_clause 0x3
	buffer_load_dword v41, v39, s[0:3], 0 offen offset:8
	buffer_load_dword v42, v39, s[0:3], 0 offen offset:12
	buffer_load_dword v43, v39, s[0:3], 0 offen
	buffer_load_dword v44, v39, s[0:3], 0 offen offset:4
	s_waitcnt vmcnt(2) lgkmcnt(0)
	v_mul_f64 v[45:46], v[3:4], v[41:42]
	v_mul_f64 v[41:42], v[1:2], v[41:42]
	s_waitcnt vmcnt(0)
	v_fma_f64 v[1:2], v[1:2], v[43:44], -v[45:46]
	v_fma_f64 v[3:4], v[3:4], v[43:44], v[41:42]
.LBB60_778:
	s_and_saveexec_b32 s8, s4
	s_cbranch_execz .LBB60_788
; %bb.779:
	v_add_nc_u32_e32 v42, -5, v0
	v_add_nc_u32_e32 v41, -4, v0
	v_mov_b32_e32 v43, 4
	s_mov_b32 s4, exec_lo
	v_cmpx_lt_u32_e32 6, v42
	s_cbranch_execz .LBB60_783
; %bb.780:
	v_and_b32_e32 v42, -8, v41
	s_movk_i32 s71, 0x410
	s_mov_b32 s70, 0
	s_mov_b32 s72, s66
	;; [unrolled: 1-line block ×3, first 2 shown]
.LBB60_781:                             ; =>This Inner Loop Header: Depth=1
	v_mov_b32_e32 v43, s72
	v_mov_b32_e32 v91, s71
	s_add_i32 s74, s73, 8
	s_add_i32 s73, s73, 12
	v_cmp_eq_u32_e32 vcc_lo, s74, v42
	s_clause 0x1f
	buffer_load_dword v51, v43, s[0:3], 0 offen offset:8
	buffer_load_dword v52, v43, s[0:3], 0 offen offset:12
	buffer_load_dword v53, v43, s[0:3], 0 offen
	buffer_load_dword v54, v43, s[0:3], 0 offen offset:4
	buffer_load_dword v55, v43, s[0:3], 0 offen offset:24
	;; [unrolled: 1-line block ×29, first 2 shown]
	ds_read_b128 v[43:46], v91
	ds_read_b128 v[47:50], v91 offset:16
	s_addk_i32 s71, 0x80
	s_addk_i32 s72, 0x80
	s_or_b32 s70, vcc_lo, s70
	s_waitcnt vmcnt(30) lgkmcnt(1)
	v_mul_f64 v[83:84], v[45:46], v[51:52]
	v_mul_f64 v[51:52], v[43:44], v[51:52]
	s_waitcnt vmcnt(26) lgkmcnt(0)
	v_mul_f64 v[85:86], v[49:50], v[55:56]
	v_mul_f64 v[55:56], v[47:48], v[55:56]
	v_fma_f64 v[83:84], v[43:44], v[53:54], -v[83:84]
	v_fma_f64 v[87:88], v[45:46], v[53:54], v[51:52]
	ds_read_b128 v[43:46], v91 offset:32
	ds_read_b128 v[51:54], v91 offset:48
	s_waitcnt vmcnt(24)
	v_fma_f64 v[47:48], v[47:48], v[57:58], -v[85:86]
	v_fma_f64 v[49:50], v[49:50], v[57:58], v[55:56]
	s_waitcnt vmcnt(22) lgkmcnt(1)
	v_mul_f64 v[89:90], v[45:46], v[59:60]
	v_mul_f64 v[59:60], v[43:44], v[59:60]
	v_add_f64 v[1:2], v[1:2], v[83:84]
	v_add_f64 v[3:4], v[3:4], v[87:88]
	s_waitcnt vmcnt(18) lgkmcnt(0)
	v_mul_f64 v[55:56], v[53:54], v[63:64]
	v_mul_f64 v[57:58], v[51:52], v[63:64]
	v_fma_f64 v[63:64], v[43:44], v[61:62], -v[89:90]
	v_fma_f64 v[59:60], v[45:46], v[61:62], v[59:60]
	v_add_f64 v[47:48], v[1:2], v[47:48]
	v_add_f64 v[49:50], v[3:4], v[49:50]
	ds_read_b128 v[1:4], v91 offset:64
	ds_read_b128 v[43:46], v91 offset:80
	s_waitcnt vmcnt(16)
	v_fma_f64 v[51:52], v[51:52], v[65:66], -v[55:56]
	v_fma_f64 v[53:54], v[53:54], v[65:66], v[57:58]
	s_waitcnt vmcnt(12) lgkmcnt(1)
	v_mul_f64 v[61:62], v[3:4], v[67:68]
	v_mul_f64 v[67:68], v[1:2], v[67:68]
	v_add_f64 v[47:48], v[47:48], v[63:64]
	v_add_f64 v[49:50], v[49:50], v[59:60]
	s_waitcnt vmcnt(10) lgkmcnt(0)
	v_mul_f64 v[55:56], v[45:46], v[69:70]
	v_mul_f64 v[57:58], v[43:44], v[69:70]
	s_waitcnt vmcnt(8)
	v_fma_f64 v[59:60], v[1:2], v[73:74], -v[61:62]
	v_fma_f64 v[61:62], v[3:4], v[73:74], v[67:68]
	v_add_f64 v[51:52], v[47:48], v[51:52]
	v_add_f64 v[53:54], v[49:50], v[53:54]
	ds_read_b128 v[1:4], v91 offset:96
	ds_read_b128 v[47:50], v91 offset:112
	v_fma_f64 v[43:44], v[43:44], v[71:72], -v[55:56]
	v_fma_f64 v[45:46], v[45:46], v[71:72], v[57:58]
	s_waitcnt vmcnt(4) lgkmcnt(1)
	v_mul_f64 v[63:64], v[3:4], v[75:76]
	v_mul_f64 v[65:66], v[1:2], v[75:76]
	v_add_f64 v[51:52], v[51:52], v[59:60]
	v_add_f64 v[53:54], v[53:54], v[61:62]
	s_waitcnt vmcnt(2) lgkmcnt(0)
	v_mul_f64 v[55:56], v[49:50], v[77:78]
	v_mul_f64 v[57:58], v[47:48], v[77:78]
	s_waitcnt vmcnt(0)
	v_fma_f64 v[1:2], v[1:2], v[81:82], -v[63:64]
	v_fma_f64 v[3:4], v[3:4], v[81:82], v[65:66]
	v_add_f64 v[43:44], v[51:52], v[43:44]
	v_add_f64 v[45:46], v[53:54], v[45:46]
	v_fma_f64 v[47:48], v[47:48], v[79:80], -v[55:56]
	v_fma_f64 v[49:50], v[49:50], v[79:80], v[57:58]
	v_add_f64 v[1:2], v[43:44], v[1:2]
	v_add_f64 v[3:4], v[45:46], v[3:4]
	v_mov_b32_e32 v43, s73
	s_mov_b32 s73, s74
	v_add_f64 v[1:2], v[1:2], v[47:48]
	v_add_f64 v[3:4], v[3:4], v[49:50]
	s_andn2_b32 exec_lo, exec_lo, s70
	s_cbranch_execnz .LBB60_781
; %bb.782:
	s_or_b32 exec_lo, exec_lo, s70
.LBB60_783:
	s_or_b32 exec_lo, exec_lo, s4
	v_and_b32_e32 v41, 7, v41
	s_mov_b32 s70, 0
	s_mov_b32 s4, exec_lo
	v_cmpx_ne_u32_e32 0, v41
	s_cbranch_execz .LBB60_787
; %bb.784:
	v_lshlrev_b32_e32 v43, 4, v43
	v_add_nc_u32_e32 v42, 0x3d0, v43
	.p2align	6
.LBB60_785:                             ; =>This Inner Loop Header: Depth=1
	s_clause 0x3
	buffer_load_dword v48, v43, s[0:3], 0 offen offset:8
	buffer_load_dword v49, v43, s[0:3], 0 offen offset:12
	buffer_load_dword v50, v43, s[0:3], 0 offen
	buffer_load_dword v51, v43, s[0:3], 0 offen offset:4
	ds_read_b128 v[44:47], v42
	v_add_nc_u32_e32 v41, -1, v41
	v_add_nc_u32_e32 v42, 16, v42
	v_add_nc_u32_e32 v43, 16, v43
	v_cmp_eq_u32_e32 vcc_lo, 0, v41
	s_or_b32 s70, vcc_lo, s70
	s_waitcnt vmcnt(2) lgkmcnt(0)
	v_mul_f64 v[52:53], v[46:47], v[48:49]
	v_mul_f64 v[48:49], v[44:45], v[48:49]
	s_waitcnt vmcnt(0)
	v_fma_f64 v[44:45], v[44:45], v[50:51], -v[52:53]
	v_fma_f64 v[46:47], v[46:47], v[50:51], v[48:49]
	v_add_f64 v[1:2], v[1:2], v[44:45]
	v_add_f64 v[3:4], v[3:4], v[46:47]
	s_andn2_b32 exec_lo, exec_lo, s70
	s_cbranch_execnz .LBB60_785
; %bb.786:
	s_or_b32 exec_lo, exec_lo, s70
.LBB60_787:
	s_or_b32 exec_lo, exec_lo, s4
.LBB60_788:
	s_or_b32 exec_lo, exec_lo, s8
	v_mov_b32_e32 v41, 0
	ds_read_b128 v[41:44], v41 offset:48
	s_waitcnt lgkmcnt(0)
	v_mul_f64 v[45:46], v[3:4], v[43:44]
	v_mul_f64 v[43:44], v[1:2], v[43:44]
	v_fma_f64 v[1:2], v[1:2], v[41:42], -v[45:46]
	v_fma_f64 v[3:4], v[3:4], v[41:42], v[43:44]
	buffer_store_dword v2, off, s[0:3], 0 offset:52
	buffer_store_dword v1, off, s[0:3], 0 offset:48
	;; [unrolled: 1-line block ×4, first 2 shown]
.LBB60_789:
	s_or_b32 exec_lo, exec_lo, s6
	v_mov_b32_e32 v4, s68
	v_cmp_lt_u32_e64 s6, 2, v0
	s_clause 0x3
	buffer_load_dword v1, v4, s[0:3], 0 offen
	buffer_load_dword v2, v4, s[0:3], 0 offen offset:4
	buffer_load_dword v3, v4, s[0:3], 0 offen offset:8
	;; [unrolled: 1-line block ×3, first 2 shown]
	s_waitcnt vmcnt(0)
	ds_write_b128 v40, v[1:4]
	s_waitcnt lgkmcnt(0)
	s_waitcnt_vscnt null, 0x0
	s_barrier
	buffer_gl0_inv
	s_and_saveexec_b32 s4, s6
	s_cbranch_execz .LBB60_803
; %bb.790:
	ds_read_b128 v[1:4], v40
	s_andn2_b32 vcc_lo, exec_lo, s7
	s_cbranch_vccnz .LBB60_792
; %bb.791:
	s_clause 0x3
	buffer_load_dword v41, v39, s[0:3], 0 offen offset:8
	buffer_load_dword v42, v39, s[0:3], 0 offen offset:12
	buffer_load_dword v43, v39, s[0:3], 0 offen
	buffer_load_dword v44, v39, s[0:3], 0 offen offset:4
	s_waitcnt vmcnt(2) lgkmcnt(0)
	v_mul_f64 v[45:46], v[3:4], v[41:42]
	v_mul_f64 v[41:42], v[1:2], v[41:42]
	s_waitcnt vmcnt(0)
	v_fma_f64 v[1:2], v[1:2], v[43:44], -v[45:46]
	v_fma_f64 v[3:4], v[3:4], v[43:44], v[41:42]
.LBB60_792:
	s_and_saveexec_b32 s8, s5
	s_cbranch_execz .LBB60_802
; %bb.793:
	v_add_nc_u32_e32 v42, -4, v0
	v_add_nc_u32_e32 v41, -3, v0
	v_mov_b32_e32 v43, 3
	s_mov_b32 s5, exec_lo
	v_cmpx_lt_u32_e32 6, v42
	s_cbranch_execz .LBB60_797
; %bb.794:
	v_and_b32_e32 v42, -8, v41
	s_movk_i32 s71, 0x400
	s_mov_b32 s70, 0
	s_mov_b32 s72, s67
	;; [unrolled: 1-line block ×3, first 2 shown]
.LBB60_795:                             ; =>This Inner Loop Header: Depth=1
	v_mov_b32_e32 v43, s72
	v_mov_b32_e32 v91, s71
	s_add_i32 s74, s73, 8
	s_add_i32 s73, s73, 11
	v_cmp_eq_u32_e32 vcc_lo, s74, v42
	s_clause 0x1f
	buffer_load_dword v51, v43, s[0:3], 0 offen offset:8
	buffer_load_dword v52, v43, s[0:3], 0 offen offset:12
	buffer_load_dword v53, v43, s[0:3], 0 offen
	buffer_load_dword v54, v43, s[0:3], 0 offen offset:4
	buffer_load_dword v55, v43, s[0:3], 0 offen offset:24
	;; [unrolled: 1-line block ×29, first 2 shown]
	ds_read_b128 v[43:46], v91
	ds_read_b128 v[47:50], v91 offset:16
	s_addk_i32 s71, 0x80
	s_addk_i32 s72, 0x80
	s_or_b32 s70, vcc_lo, s70
	s_waitcnt vmcnt(30) lgkmcnt(1)
	v_mul_f64 v[83:84], v[45:46], v[51:52]
	v_mul_f64 v[51:52], v[43:44], v[51:52]
	s_waitcnt vmcnt(26) lgkmcnt(0)
	v_mul_f64 v[85:86], v[49:50], v[55:56]
	v_mul_f64 v[55:56], v[47:48], v[55:56]
	v_fma_f64 v[83:84], v[43:44], v[53:54], -v[83:84]
	v_fma_f64 v[87:88], v[45:46], v[53:54], v[51:52]
	ds_read_b128 v[43:46], v91 offset:32
	ds_read_b128 v[51:54], v91 offset:48
	s_waitcnt vmcnt(24)
	v_fma_f64 v[47:48], v[47:48], v[57:58], -v[85:86]
	v_fma_f64 v[49:50], v[49:50], v[57:58], v[55:56]
	s_waitcnt vmcnt(22) lgkmcnt(1)
	v_mul_f64 v[89:90], v[45:46], v[59:60]
	v_mul_f64 v[59:60], v[43:44], v[59:60]
	v_add_f64 v[1:2], v[1:2], v[83:84]
	v_add_f64 v[3:4], v[3:4], v[87:88]
	s_waitcnt vmcnt(18) lgkmcnt(0)
	v_mul_f64 v[55:56], v[53:54], v[63:64]
	v_mul_f64 v[57:58], v[51:52], v[63:64]
	v_fma_f64 v[63:64], v[43:44], v[61:62], -v[89:90]
	v_fma_f64 v[59:60], v[45:46], v[61:62], v[59:60]
	v_add_f64 v[47:48], v[1:2], v[47:48]
	v_add_f64 v[49:50], v[3:4], v[49:50]
	ds_read_b128 v[1:4], v91 offset:64
	ds_read_b128 v[43:46], v91 offset:80
	s_waitcnt vmcnt(16)
	v_fma_f64 v[51:52], v[51:52], v[65:66], -v[55:56]
	v_fma_f64 v[53:54], v[53:54], v[65:66], v[57:58]
	s_waitcnt vmcnt(12) lgkmcnt(1)
	v_mul_f64 v[61:62], v[3:4], v[67:68]
	v_mul_f64 v[67:68], v[1:2], v[67:68]
	v_add_f64 v[47:48], v[47:48], v[63:64]
	v_add_f64 v[49:50], v[49:50], v[59:60]
	s_waitcnt vmcnt(10) lgkmcnt(0)
	v_mul_f64 v[55:56], v[45:46], v[69:70]
	v_mul_f64 v[57:58], v[43:44], v[69:70]
	s_waitcnt vmcnt(8)
	v_fma_f64 v[59:60], v[1:2], v[73:74], -v[61:62]
	v_fma_f64 v[61:62], v[3:4], v[73:74], v[67:68]
	v_add_f64 v[51:52], v[47:48], v[51:52]
	v_add_f64 v[53:54], v[49:50], v[53:54]
	ds_read_b128 v[1:4], v91 offset:96
	ds_read_b128 v[47:50], v91 offset:112
	v_fma_f64 v[43:44], v[43:44], v[71:72], -v[55:56]
	v_fma_f64 v[45:46], v[45:46], v[71:72], v[57:58]
	s_waitcnt vmcnt(4) lgkmcnt(1)
	v_mul_f64 v[63:64], v[3:4], v[75:76]
	v_mul_f64 v[65:66], v[1:2], v[75:76]
	v_add_f64 v[51:52], v[51:52], v[59:60]
	v_add_f64 v[53:54], v[53:54], v[61:62]
	s_waitcnt vmcnt(2) lgkmcnt(0)
	v_mul_f64 v[55:56], v[49:50], v[77:78]
	v_mul_f64 v[57:58], v[47:48], v[77:78]
	s_waitcnt vmcnt(0)
	v_fma_f64 v[1:2], v[1:2], v[81:82], -v[63:64]
	v_fma_f64 v[3:4], v[3:4], v[81:82], v[65:66]
	v_add_f64 v[43:44], v[51:52], v[43:44]
	v_add_f64 v[45:46], v[53:54], v[45:46]
	v_fma_f64 v[47:48], v[47:48], v[79:80], -v[55:56]
	v_fma_f64 v[49:50], v[49:50], v[79:80], v[57:58]
	v_add_f64 v[1:2], v[43:44], v[1:2]
	v_add_f64 v[3:4], v[45:46], v[3:4]
	v_mov_b32_e32 v43, s73
	s_mov_b32 s73, s74
	v_add_f64 v[1:2], v[1:2], v[47:48]
	v_add_f64 v[3:4], v[3:4], v[49:50]
	s_andn2_b32 exec_lo, exec_lo, s70
	s_cbranch_execnz .LBB60_795
; %bb.796:
	s_or_b32 exec_lo, exec_lo, s70
.LBB60_797:
	s_or_b32 exec_lo, exec_lo, s5
	v_and_b32_e32 v41, 7, v41
	s_mov_b32 s70, 0
	s_mov_b32 s5, exec_lo
	v_cmpx_ne_u32_e32 0, v41
	s_cbranch_execz .LBB60_801
; %bb.798:
	v_lshlrev_b32_e32 v43, 4, v43
	v_add_nc_u32_e32 v42, 0x3d0, v43
	.p2align	6
.LBB60_799:                             ; =>This Inner Loop Header: Depth=1
	s_clause 0x3
	buffer_load_dword v48, v43, s[0:3], 0 offen offset:8
	buffer_load_dword v49, v43, s[0:3], 0 offen offset:12
	buffer_load_dword v50, v43, s[0:3], 0 offen
	buffer_load_dword v51, v43, s[0:3], 0 offen offset:4
	ds_read_b128 v[44:47], v42
	v_add_nc_u32_e32 v41, -1, v41
	v_add_nc_u32_e32 v42, 16, v42
	v_add_nc_u32_e32 v43, 16, v43
	v_cmp_eq_u32_e32 vcc_lo, 0, v41
	s_or_b32 s70, vcc_lo, s70
	s_waitcnt vmcnt(2) lgkmcnt(0)
	v_mul_f64 v[52:53], v[46:47], v[48:49]
	v_mul_f64 v[48:49], v[44:45], v[48:49]
	s_waitcnt vmcnt(0)
	v_fma_f64 v[44:45], v[44:45], v[50:51], -v[52:53]
	v_fma_f64 v[46:47], v[46:47], v[50:51], v[48:49]
	v_add_f64 v[1:2], v[1:2], v[44:45]
	v_add_f64 v[3:4], v[3:4], v[46:47]
	s_andn2_b32 exec_lo, exec_lo, s70
	s_cbranch_execnz .LBB60_799
; %bb.800:
	s_or_b32 exec_lo, exec_lo, s70
.LBB60_801:
	s_or_b32 exec_lo, exec_lo, s5
.LBB60_802:
	s_or_b32 exec_lo, exec_lo, s8
	v_mov_b32_e32 v41, 0
	ds_read_b128 v[41:44], v41 offset:32
	s_waitcnt lgkmcnt(0)
	v_mul_f64 v[45:46], v[3:4], v[43:44]
	v_mul_f64 v[43:44], v[1:2], v[43:44]
	v_fma_f64 v[1:2], v[1:2], v[41:42], -v[45:46]
	v_fma_f64 v[3:4], v[3:4], v[41:42], v[43:44]
	buffer_store_dword v2, off, s[0:3], 0 offset:36
	buffer_store_dword v1, off, s[0:3], 0 offset:32
	;; [unrolled: 1-line block ×4, first 2 shown]
.LBB60_803:
	s_or_b32 exec_lo, exec_lo, s4
	v_mov_b32_e32 v4, s69
	v_cmp_lt_u32_e64 s4, 1, v0
	s_clause 0x3
	buffer_load_dword v1, v4, s[0:3], 0 offen
	buffer_load_dword v2, v4, s[0:3], 0 offen offset:4
	buffer_load_dword v3, v4, s[0:3], 0 offen offset:8
	;; [unrolled: 1-line block ×3, first 2 shown]
	s_waitcnt vmcnt(0)
	ds_write_b128 v40, v[1:4]
	s_waitcnt lgkmcnt(0)
	s_waitcnt_vscnt null, 0x0
	s_barrier
	buffer_gl0_inv
	s_and_saveexec_b32 s5, s4
	s_cbranch_execz .LBB60_817
; %bb.804:
	ds_read_b128 v[1:4], v40
	s_andn2_b32 vcc_lo, exec_lo, s7
	s_cbranch_vccnz .LBB60_806
; %bb.805:
	s_clause 0x3
	buffer_load_dword v41, v39, s[0:3], 0 offen offset:8
	buffer_load_dword v42, v39, s[0:3], 0 offen offset:12
	buffer_load_dword v43, v39, s[0:3], 0 offen
	buffer_load_dword v44, v39, s[0:3], 0 offen offset:4
	s_waitcnt vmcnt(2) lgkmcnt(0)
	v_mul_f64 v[45:46], v[3:4], v[41:42]
	v_mul_f64 v[41:42], v[1:2], v[41:42]
	s_waitcnt vmcnt(0)
	v_fma_f64 v[1:2], v[1:2], v[43:44], -v[45:46]
	v_fma_f64 v[3:4], v[3:4], v[43:44], v[41:42]
.LBB60_806:
	s_and_saveexec_b32 s8, s6
	s_cbranch_execz .LBB60_816
; %bb.807:
	v_add_nc_u32_e32 v42, -3, v0
	v_add_nc_u32_e32 v41, -2, v0
	v_mov_b32_e32 v43, 2
	s_mov_b32 s6, exec_lo
	v_cmpx_lt_u32_e32 6, v42
	s_cbranch_execz .LBB60_811
; %bb.808:
	v_and_b32_e32 v42, -8, v41
	s_movk_i32 s71, 0x3f0
	s_mov_b32 s70, 0
	s_mov_b32 s72, s68
	;; [unrolled: 1-line block ×3, first 2 shown]
.LBB60_809:                             ; =>This Inner Loop Header: Depth=1
	v_mov_b32_e32 v43, s72
	v_mov_b32_e32 v91, s71
	s_add_i32 s74, s73, 8
	s_add_i32 s73, s73, 10
	v_cmp_eq_u32_e32 vcc_lo, s74, v42
	s_clause 0x1f
	buffer_load_dword v51, v43, s[0:3], 0 offen offset:8
	buffer_load_dword v52, v43, s[0:3], 0 offen offset:12
	buffer_load_dword v53, v43, s[0:3], 0 offen
	buffer_load_dword v54, v43, s[0:3], 0 offen offset:4
	buffer_load_dword v55, v43, s[0:3], 0 offen offset:24
	;; [unrolled: 1-line block ×29, first 2 shown]
	ds_read_b128 v[43:46], v91
	ds_read_b128 v[47:50], v91 offset:16
	s_addk_i32 s71, 0x80
	s_addk_i32 s72, 0x80
	s_or_b32 s70, vcc_lo, s70
	s_waitcnt vmcnt(30) lgkmcnt(1)
	v_mul_f64 v[83:84], v[45:46], v[51:52]
	v_mul_f64 v[51:52], v[43:44], v[51:52]
	s_waitcnt vmcnt(26) lgkmcnt(0)
	v_mul_f64 v[85:86], v[49:50], v[55:56]
	v_mul_f64 v[55:56], v[47:48], v[55:56]
	v_fma_f64 v[83:84], v[43:44], v[53:54], -v[83:84]
	v_fma_f64 v[87:88], v[45:46], v[53:54], v[51:52]
	ds_read_b128 v[43:46], v91 offset:32
	ds_read_b128 v[51:54], v91 offset:48
	s_waitcnt vmcnt(24)
	v_fma_f64 v[47:48], v[47:48], v[57:58], -v[85:86]
	v_fma_f64 v[49:50], v[49:50], v[57:58], v[55:56]
	s_waitcnt vmcnt(22) lgkmcnt(1)
	v_mul_f64 v[89:90], v[45:46], v[59:60]
	v_mul_f64 v[59:60], v[43:44], v[59:60]
	v_add_f64 v[1:2], v[1:2], v[83:84]
	v_add_f64 v[3:4], v[3:4], v[87:88]
	s_waitcnt vmcnt(18) lgkmcnt(0)
	v_mul_f64 v[55:56], v[53:54], v[63:64]
	v_mul_f64 v[57:58], v[51:52], v[63:64]
	v_fma_f64 v[63:64], v[43:44], v[61:62], -v[89:90]
	v_fma_f64 v[59:60], v[45:46], v[61:62], v[59:60]
	v_add_f64 v[47:48], v[1:2], v[47:48]
	v_add_f64 v[49:50], v[3:4], v[49:50]
	ds_read_b128 v[1:4], v91 offset:64
	ds_read_b128 v[43:46], v91 offset:80
	s_waitcnt vmcnt(16)
	v_fma_f64 v[51:52], v[51:52], v[65:66], -v[55:56]
	v_fma_f64 v[53:54], v[53:54], v[65:66], v[57:58]
	s_waitcnt vmcnt(12) lgkmcnt(1)
	v_mul_f64 v[61:62], v[3:4], v[67:68]
	v_mul_f64 v[67:68], v[1:2], v[67:68]
	v_add_f64 v[47:48], v[47:48], v[63:64]
	v_add_f64 v[49:50], v[49:50], v[59:60]
	s_waitcnt vmcnt(10) lgkmcnt(0)
	v_mul_f64 v[55:56], v[45:46], v[69:70]
	v_mul_f64 v[57:58], v[43:44], v[69:70]
	s_waitcnt vmcnt(8)
	v_fma_f64 v[59:60], v[1:2], v[73:74], -v[61:62]
	v_fma_f64 v[61:62], v[3:4], v[73:74], v[67:68]
	v_add_f64 v[51:52], v[47:48], v[51:52]
	v_add_f64 v[53:54], v[49:50], v[53:54]
	ds_read_b128 v[1:4], v91 offset:96
	ds_read_b128 v[47:50], v91 offset:112
	v_fma_f64 v[43:44], v[43:44], v[71:72], -v[55:56]
	v_fma_f64 v[45:46], v[45:46], v[71:72], v[57:58]
	s_waitcnt vmcnt(4) lgkmcnt(1)
	v_mul_f64 v[63:64], v[3:4], v[75:76]
	v_mul_f64 v[65:66], v[1:2], v[75:76]
	v_add_f64 v[51:52], v[51:52], v[59:60]
	v_add_f64 v[53:54], v[53:54], v[61:62]
	s_waitcnt vmcnt(2) lgkmcnt(0)
	v_mul_f64 v[55:56], v[49:50], v[77:78]
	v_mul_f64 v[57:58], v[47:48], v[77:78]
	s_waitcnt vmcnt(0)
	v_fma_f64 v[1:2], v[1:2], v[81:82], -v[63:64]
	v_fma_f64 v[3:4], v[3:4], v[81:82], v[65:66]
	v_add_f64 v[43:44], v[51:52], v[43:44]
	v_add_f64 v[45:46], v[53:54], v[45:46]
	v_fma_f64 v[47:48], v[47:48], v[79:80], -v[55:56]
	v_fma_f64 v[49:50], v[49:50], v[79:80], v[57:58]
	v_add_f64 v[1:2], v[43:44], v[1:2]
	v_add_f64 v[3:4], v[45:46], v[3:4]
	v_mov_b32_e32 v43, s73
	s_mov_b32 s73, s74
	v_add_f64 v[1:2], v[1:2], v[47:48]
	v_add_f64 v[3:4], v[3:4], v[49:50]
	s_andn2_b32 exec_lo, exec_lo, s70
	s_cbranch_execnz .LBB60_809
; %bb.810:
	s_or_b32 exec_lo, exec_lo, s70
.LBB60_811:
	s_or_b32 exec_lo, exec_lo, s6
	v_and_b32_e32 v41, 7, v41
	s_mov_b32 s70, 0
	s_mov_b32 s6, exec_lo
	v_cmpx_ne_u32_e32 0, v41
	s_cbranch_execz .LBB60_815
; %bb.812:
	v_lshlrev_b32_e32 v43, 4, v43
	v_add_nc_u32_e32 v42, 0x3d0, v43
	.p2align	6
.LBB60_813:                             ; =>This Inner Loop Header: Depth=1
	s_clause 0x3
	buffer_load_dword v48, v43, s[0:3], 0 offen offset:8
	buffer_load_dword v49, v43, s[0:3], 0 offen offset:12
	buffer_load_dword v50, v43, s[0:3], 0 offen
	buffer_load_dword v51, v43, s[0:3], 0 offen offset:4
	ds_read_b128 v[44:47], v42
	v_add_nc_u32_e32 v41, -1, v41
	v_add_nc_u32_e32 v42, 16, v42
	v_add_nc_u32_e32 v43, 16, v43
	v_cmp_eq_u32_e32 vcc_lo, 0, v41
	s_or_b32 s70, vcc_lo, s70
	s_waitcnt vmcnt(2) lgkmcnt(0)
	v_mul_f64 v[52:53], v[46:47], v[48:49]
	v_mul_f64 v[48:49], v[44:45], v[48:49]
	s_waitcnt vmcnt(0)
	v_fma_f64 v[44:45], v[44:45], v[50:51], -v[52:53]
	v_fma_f64 v[46:47], v[46:47], v[50:51], v[48:49]
	v_add_f64 v[1:2], v[1:2], v[44:45]
	v_add_f64 v[3:4], v[3:4], v[46:47]
	s_andn2_b32 exec_lo, exec_lo, s70
	s_cbranch_execnz .LBB60_813
; %bb.814:
	s_or_b32 exec_lo, exec_lo, s70
.LBB60_815:
	s_or_b32 exec_lo, exec_lo, s6
.LBB60_816:
	s_or_b32 exec_lo, exec_lo, s8
	v_mov_b32_e32 v41, 0
	ds_read_b128 v[41:44], v41 offset:16
	s_waitcnt lgkmcnt(0)
	v_mul_f64 v[45:46], v[3:4], v[43:44]
	v_mul_f64 v[43:44], v[1:2], v[43:44]
	v_fma_f64 v[1:2], v[1:2], v[41:42], -v[45:46]
	v_fma_f64 v[3:4], v[3:4], v[41:42], v[43:44]
	buffer_store_dword v2, off, s[0:3], 0 offset:20
	buffer_store_dword v1, off, s[0:3], 0 offset:16
	;; [unrolled: 1-line block ×4, first 2 shown]
.LBB60_817:
	s_or_b32 exec_lo, exec_lo, s5
	s_clause 0x3
	buffer_load_dword v1, off, s[0:3], 0
	buffer_load_dword v2, off, s[0:3], 0 offset:4
	buffer_load_dword v3, off, s[0:3], 0 offset:8
	;; [unrolled: 1-line block ×3, first 2 shown]
	s_mov_b32 s5, 0
	s_mov_b32 s8, 0
	s_mov_b32 s6, exec_lo
                                        ; implicit-def: $sgpr70
	s_waitcnt vmcnt(0)
	ds_write_b128 v40, v[1:4]
	s_waitcnt lgkmcnt(0)
	s_waitcnt_vscnt null, 0x0
	s_barrier
	buffer_gl0_inv
                                        ; implicit-def: $vgpr1_vgpr2
	v_cmpx_ne_u32_e32 0, v0
	s_cbranch_execz .LBB60_831
; %bb.818:
	ds_read_b128 v[1:4], v40
	s_andn2_b32 vcc_lo, exec_lo, s7
	s_cbranch_vccnz .LBB60_820
; %bb.819:
	s_clause 0x3
	buffer_load_dword v41, v39, s[0:3], 0 offen offset:8
	buffer_load_dword v42, v39, s[0:3], 0 offen offset:12
	buffer_load_dword v43, v39, s[0:3], 0 offen
	buffer_load_dword v44, v39, s[0:3], 0 offen offset:4
	s_waitcnt vmcnt(2) lgkmcnt(0)
	v_mul_f64 v[45:46], v[3:4], v[41:42]
	v_mul_f64 v[41:42], v[1:2], v[41:42]
	s_waitcnt vmcnt(0)
	v_fma_f64 v[1:2], v[1:2], v[43:44], -v[45:46]
	v_fma_f64 v[3:4], v[3:4], v[43:44], v[41:42]
.LBB60_820:
	s_and_saveexec_b32 s8, s4
	s_cbranch_execz .LBB60_830
; %bb.821:
	v_add_nc_u32_e32 v42, -2, v0
	v_add_nc_u32_e32 v41, -1, v0
	v_mov_b32_e32 v43, 1
	s_mov_b32 s4, exec_lo
	v_cmpx_lt_u32_e32 6, v42
	s_cbranch_execz .LBB60_825
; %bb.822:
	v_and_b32_e32 v42, -8, v41
	s_movk_i32 s71, 0x3e0
	s_mov_b32 s70, 0
	s_mov_b32 s72, s69
	;; [unrolled: 1-line block ×3, first 2 shown]
.LBB60_823:                             ; =>This Inner Loop Header: Depth=1
	v_mov_b32_e32 v43, s72
	v_mov_b32_e32 v91, s71
	s_add_i32 s74, s73, 8
	s_add_i32 s73, s73, 9
	v_cmp_eq_u32_e32 vcc_lo, s74, v42
	s_clause 0x1f
	buffer_load_dword v51, v43, s[0:3], 0 offen offset:8
	buffer_load_dword v52, v43, s[0:3], 0 offen offset:12
	buffer_load_dword v53, v43, s[0:3], 0 offen
	buffer_load_dword v54, v43, s[0:3], 0 offen offset:4
	buffer_load_dword v55, v43, s[0:3], 0 offen offset:24
	;; [unrolled: 1-line block ×29, first 2 shown]
	ds_read_b128 v[43:46], v91
	ds_read_b128 v[47:50], v91 offset:16
	s_addk_i32 s71, 0x80
	s_addk_i32 s72, 0x80
	s_or_b32 s70, vcc_lo, s70
	s_waitcnt vmcnt(30) lgkmcnt(1)
	v_mul_f64 v[83:84], v[45:46], v[51:52]
	v_mul_f64 v[51:52], v[43:44], v[51:52]
	s_waitcnt vmcnt(26) lgkmcnt(0)
	v_mul_f64 v[85:86], v[49:50], v[55:56]
	v_mul_f64 v[55:56], v[47:48], v[55:56]
	v_fma_f64 v[83:84], v[43:44], v[53:54], -v[83:84]
	v_fma_f64 v[87:88], v[45:46], v[53:54], v[51:52]
	ds_read_b128 v[43:46], v91 offset:32
	ds_read_b128 v[51:54], v91 offset:48
	s_waitcnt vmcnt(24)
	v_fma_f64 v[47:48], v[47:48], v[57:58], -v[85:86]
	v_fma_f64 v[49:50], v[49:50], v[57:58], v[55:56]
	s_waitcnt vmcnt(22) lgkmcnt(1)
	v_mul_f64 v[89:90], v[45:46], v[59:60]
	v_mul_f64 v[59:60], v[43:44], v[59:60]
	v_add_f64 v[1:2], v[1:2], v[83:84]
	v_add_f64 v[3:4], v[3:4], v[87:88]
	s_waitcnt vmcnt(18) lgkmcnt(0)
	v_mul_f64 v[55:56], v[53:54], v[63:64]
	v_mul_f64 v[57:58], v[51:52], v[63:64]
	v_fma_f64 v[63:64], v[43:44], v[61:62], -v[89:90]
	v_fma_f64 v[59:60], v[45:46], v[61:62], v[59:60]
	v_add_f64 v[47:48], v[1:2], v[47:48]
	v_add_f64 v[49:50], v[3:4], v[49:50]
	ds_read_b128 v[1:4], v91 offset:64
	ds_read_b128 v[43:46], v91 offset:80
	s_waitcnt vmcnt(16)
	v_fma_f64 v[51:52], v[51:52], v[65:66], -v[55:56]
	v_fma_f64 v[53:54], v[53:54], v[65:66], v[57:58]
	s_waitcnt vmcnt(12) lgkmcnt(1)
	v_mul_f64 v[61:62], v[3:4], v[67:68]
	v_mul_f64 v[67:68], v[1:2], v[67:68]
	v_add_f64 v[47:48], v[47:48], v[63:64]
	v_add_f64 v[49:50], v[49:50], v[59:60]
	s_waitcnt vmcnt(10) lgkmcnt(0)
	v_mul_f64 v[55:56], v[45:46], v[69:70]
	v_mul_f64 v[57:58], v[43:44], v[69:70]
	s_waitcnt vmcnt(8)
	v_fma_f64 v[59:60], v[1:2], v[73:74], -v[61:62]
	v_fma_f64 v[61:62], v[3:4], v[73:74], v[67:68]
	v_add_f64 v[51:52], v[47:48], v[51:52]
	v_add_f64 v[53:54], v[49:50], v[53:54]
	ds_read_b128 v[1:4], v91 offset:96
	ds_read_b128 v[47:50], v91 offset:112
	v_fma_f64 v[43:44], v[43:44], v[71:72], -v[55:56]
	v_fma_f64 v[45:46], v[45:46], v[71:72], v[57:58]
	s_waitcnt vmcnt(4) lgkmcnt(1)
	v_mul_f64 v[63:64], v[3:4], v[75:76]
	v_mul_f64 v[65:66], v[1:2], v[75:76]
	v_add_f64 v[51:52], v[51:52], v[59:60]
	v_add_f64 v[53:54], v[53:54], v[61:62]
	s_waitcnt vmcnt(2) lgkmcnt(0)
	v_mul_f64 v[55:56], v[49:50], v[77:78]
	v_mul_f64 v[57:58], v[47:48], v[77:78]
	s_waitcnt vmcnt(0)
	v_fma_f64 v[1:2], v[1:2], v[81:82], -v[63:64]
	v_fma_f64 v[3:4], v[3:4], v[81:82], v[65:66]
	v_add_f64 v[43:44], v[51:52], v[43:44]
	v_add_f64 v[45:46], v[53:54], v[45:46]
	v_fma_f64 v[47:48], v[47:48], v[79:80], -v[55:56]
	v_fma_f64 v[49:50], v[49:50], v[79:80], v[57:58]
	v_add_f64 v[1:2], v[43:44], v[1:2]
	v_add_f64 v[3:4], v[45:46], v[3:4]
	v_mov_b32_e32 v43, s73
	s_mov_b32 s73, s74
	v_add_f64 v[1:2], v[1:2], v[47:48]
	v_add_f64 v[3:4], v[3:4], v[49:50]
	s_andn2_b32 exec_lo, exec_lo, s70
	s_cbranch_execnz .LBB60_823
; %bb.824:
	s_or_b32 exec_lo, exec_lo, s70
.LBB60_825:
	s_or_b32 exec_lo, exec_lo, s4
	v_and_b32_e32 v41, 7, v41
	s_mov_b32 s70, 0
	s_mov_b32 s4, exec_lo
	v_cmpx_ne_u32_e32 0, v41
	s_cbranch_execz .LBB60_829
; %bb.826:
	v_lshlrev_b32_e32 v43, 4, v43
	v_add_nc_u32_e32 v42, 0x3d0, v43
	.p2align	6
.LBB60_827:                             ; =>This Inner Loop Header: Depth=1
	s_clause 0x3
	buffer_load_dword v48, v43, s[0:3], 0 offen offset:8
	buffer_load_dword v49, v43, s[0:3], 0 offen offset:12
	buffer_load_dword v50, v43, s[0:3], 0 offen
	buffer_load_dword v51, v43, s[0:3], 0 offen offset:4
	ds_read_b128 v[44:47], v42
	v_add_nc_u32_e32 v41, -1, v41
	v_add_nc_u32_e32 v42, 16, v42
	v_add_nc_u32_e32 v43, 16, v43
	v_cmp_eq_u32_e32 vcc_lo, 0, v41
	s_or_b32 s70, vcc_lo, s70
	s_waitcnt vmcnt(2) lgkmcnt(0)
	v_mul_f64 v[52:53], v[46:47], v[48:49]
	v_mul_f64 v[48:49], v[44:45], v[48:49]
	s_waitcnt vmcnt(0)
	v_fma_f64 v[44:45], v[44:45], v[50:51], -v[52:53]
	v_fma_f64 v[46:47], v[46:47], v[50:51], v[48:49]
	v_add_f64 v[1:2], v[1:2], v[44:45]
	v_add_f64 v[3:4], v[3:4], v[46:47]
	s_andn2_b32 exec_lo, exec_lo, s70
	s_cbranch_execnz .LBB60_827
; %bb.828:
	s_or_b32 exec_lo, exec_lo, s70
.LBB60_829:
	s_or_b32 exec_lo, exec_lo, s4
.LBB60_830:
	s_or_b32 exec_lo, exec_lo, s8
	v_mov_b32_e32 v41, 0
	s_mov_b32 s8, exec_lo
	s_or_b32 s70, 0, 8
	ds_read_b128 v[41:44], v41
	s_waitcnt lgkmcnt(0)
	v_mul_f64 v[45:46], v[3:4], v[43:44]
	v_mul_f64 v[43:44], v[1:2], v[43:44]
	v_fma_f64 v[45:46], v[1:2], v[41:42], -v[45:46]
	v_fma_f64 v[1:2], v[3:4], v[41:42], v[43:44]
	buffer_store_dword v46, off, s[0:3], 0 offset:4
	buffer_store_dword v45, off, s[0:3], 0
.LBB60_831:
	s_or_b32 exec_lo, exec_lo, s6
	s_and_b32 vcc_lo, exec_lo, s5
	s_cbranch_vccnz .LBB60_833
	s_branch .LBB60_1320
.LBB60_832:
	s_mov_b32 s8, 0
                                        ; implicit-def: $vgpr1_vgpr2
                                        ; implicit-def: $sgpr70
	s_cbranch_execz .LBB60_1320
.LBB60_833:
	v_mov_b32_e32 v4, s69
	v_cmp_eq_u32_e64 s4, 0, v0
	v_cndmask_b32_e64 v41, 0, 1, s7
	s_clause 0x3
	buffer_load_dword v1, v4, s[0:3], 0 offen
	buffer_load_dword v2, v4, s[0:3], 0 offen offset:4
	buffer_load_dword v3, v4, s[0:3], 0 offen offset:8
	;; [unrolled: 1-line block ×3, first 2 shown]
	s_waitcnt vmcnt(0)
	ds_write_b128 v40, v[1:4]
	s_waitcnt lgkmcnt(0)
	s_waitcnt_vscnt null, 0x0
	s_barrier
	buffer_gl0_inv
	s_and_saveexec_b32 s5, s4
	s_cbranch_execz .LBB60_837
; %bb.834:
	ds_read_b128 v[1:4], v40
	s_andn2_b32 vcc_lo, exec_lo, s7
	s_cbranch_vccnz .LBB60_836
; %bb.835:
	s_clause 0x3
	buffer_load_dword v42, v39, s[0:3], 0 offen offset:8
	buffer_load_dword v43, v39, s[0:3], 0 offen offset:12
	buffer_load_dword v44, v39, s[0:3], 0 offen
	buffer_load_dword v45, v39, s[0:3], 0 offen offset:4
	s_waitcnt vmcnt(2) lgkmcnt(0)
	v_mul_f64 v[46:47], v[3:4], v[42:43]
	v_mul_f64 v[42:43], v[1:2], v[42:43]
	s_waitcnt vmcnt(0)
	v_fma_f64 v[1:2], v[1:2], v[44:45], -v[46:47]
	v_fma_f64 v[3:4], v[3:4], v[44:45], v[42:43]
.LBB60_836:
	v_mov_b32_e32 v42, 0
	ds_read_b128 v[42:45], v42 offset:16
	s_waitcnt lgkmcnt(0)
	v_mul_f64 v[46:47], v[3:4], v[44:45]
	v_mul_f64 v[44:45], v[1:2], v[44:45]
	v_fma_f64 v[1:2], v[1:2], v[42:43], -v[46:47]
	v_fma_f64 v[3:4], v[3:4], v[42:43], v[44:45]
	buffer_store_dword v2, off, s[0:3], 0 offset:20
	buffer_store_dword v1, off, s[0:3], 0 offset:16
	;; [unrolled: 1-line block ×4, first 2 shown]
.LBB60_837:
	s_or_b32 exec_lo, exec_lo, s5
	v_mov_b32_e32 v4, s68
	s_mov_b32 s5, exec_lo
	s_clause 0x3
	buffer_load_dword v1, v4, s[0:3], 0 offen
	buffer_load_dword v2, v4, s[0:3], 0 offen offset:4
	buffer_load_dword v3, v4, s[0:3], 0 offen offset:8
	buffer_load_dword v4, v4, s[0:3], 0 offen offset:12
	s_waitcnt vmcnt(0)
	ds_write_b128 v40, v[1:4]
	s_waitcnt lgkmcnt(0)
	s_waitcnt_vscnt null, 0x0
	s_barrier
	buffer_gl0_inv
	v_cmpx_gt_u32_e32 2, v0
	s_cbranch_execz .LBB60_843
; %bb.838:
	ds_read_b128 v[1:4], v40
	v_cmp_ne_u32_e32 vcc_lo, 1, v41
	s_cbranch_vccnz .LBB60_840
; %bb.839:
	s_clause 0x3
	buffer_load_dword v42, v39, s[0:3], 0 offen offset:8
	buffer_load_dword v43, v39, s[0:3], 0 offen offset:12
	buffer_load_dword v44, v39, s[0:3], 0 offen
	buffer_load_dword v45, v39, s[0:3], 0 offen offset:4
	s_waitcnt vmcnt(2) lgkmcnt(0)
	v_mul_f64 v[46:47], v[3:4], v[42:43]
	v_mul_f64 v[42:43], v[1:2], v[42:43]
	s_waitcnt vmcnt(0)
	v_fma_f64 v[1:2], v[1:2], v[44:45], -v[46:47]
	v_fma_f64 v[3:4], v[3:4], v[44:45], v[42:43]
.LBB60_840:
	s_and_saveexec_b32 s6, s4
	s_cbranch_execz .LBB60_842
; %bb.841:
	s_clause 0x3
	buffer_load_dword v46, off, s[0:3], 0 offset:24
	buffer_load_dword v47, off, s[0:3], 0 offset:28
	;; [unrolled: 1-line block ×4, first 2 shown]
	v_mov_b32_e32 v42, 0
	ds_read_b128 v[42:45], v42 offset:992
	s_waitcnt vmcnt(2) lgkmcnt(0)
	v_mul_f64 v[50:51], v[44:45], v[46:47]
	v_mul_f64 v[46:47], v[42:43], v[46:47]
	s_waitcnt vmcnt(0)
	v_fma_f64 v[42:43], v[42:43], v[48:49], -v[50:51]
	v_fma_f64 v[44:45], v[44:45], v[48:49], v[46:47]
	v_add_f64 v[1:2], v[1:2], v[42:43]
	v_add_f64 v[3:4], v[3:4], v[44:45]
.LBB60_842:
	s_or_b32 exec_lo, exec_lo, s6
	v_mov_b32_e32 v42, 0
	ds_read_b128 v[42:45], v42 offset:32
	s_waitcnt lgkmcnt(0)
	v_mul_f64 v[46:47], v[3:4], v[44:45]
	v_mul_f64 v[44:45], v[1:2], v[44:45]
	v_fma_f64 v[1:2], v[1:2], v[42:43], -v[46:47]
	v_fma_f64 v[3:4], v[3:4], v[42:43], v[44:45]
	buffer_store_dword v2, off, s[0:3], 0 offset:36
	buffer_store_dword v1, off, s[0:3], 0 offset:32
	;; [unrolled: 1-line block ×4, first 2 shown]
.LBB60_843:
	s_or_b32 exec_lo, exec_lo, s5
	v_mov_b32_e32 v4, s67
	v_cmp_gt_u32_e64 s5, 3, v0
	s_clause 0x3
	buffer_load_dword v1, v4, s[0:3], 0 offen
	buffer_load_dword v2, v4, s[0:3], 0 offen offset:4
	buffer_load_dword v3, v4, s[0:3], 0 offen offset:8
	;; [unrolled: 1-line block ×3, first 2 shown]
	s_waitcnt vmcnt(0)
	ds_write_b128 v40, v[1:4]
	s_waitcnt lgkmcnt(0)
	s_waitcnt_vscnt null, 0x0
	s_barrier
	buffer_gl0_inv
	s_and_saveexec_b32 s6, s5
	s_cbranch_execz .LBB60_851
; %bb.844:
	ds_read_b128 v[1:4], v40
	v_cmp_ne_u32_e32 vcc_lo, 1, v41
	s_cbranch_vccnz .LBB60_846
; %bb.845:
	s_clause 0x3
	buffer_load_dword v42, v39, s[0:3], 0 offen offset:8
	buffer_load_dword v43, v39, s[0:3], 0 offen offset:12
	buffer_load_dword v44, v39, s[0:3], 0 offen
	buffer_load_dword v45, v39, s[0:3], 0 offen offset:4
	s_waitcnt vmcnt(2) lgkmcnt(0)
	v_mul_f64 v[46:47], v[3:4], v[42:43]
	v_mul_f64 v[42:43], v[1:2], v[42:43]
	s_waitcnt vmcnt(0)
	v_fma_f64 v[1:2], v[1:2], v[44:45], -v[46:47]
	v_fma_f64 v[3:4], v[3:4], v[44:45], v[42:43]
.LBB60_846:
	s_mov_b32 s7, exec_lo
	v_cmpx_ne_u32_e32 2, v0
	s_cbranch_execz .LBB60_850
; %bb.847:
	s_clause 0x3
	buffer_load_dword v46, v39, s[0:3], 0 offen offset:24
	buffer_load_dword v47, v39, s[0:3], 0 offen offset:28
	;; [unrolled: 1-line block ×4, first 2 shown]
	ds_read_b128 v[42:45], v40 offset:16
	s_waitcnt vmcnt(2) lgkmcnt(0)
	v_mul_f64 v[50:51], v[44:45], v[46:47]
	v_mul_f64 v[46:47], v[42:43], v[46:47]
	s_waitcnt vmcnt(0)
	v_fma_f64 v[42:43], v[42:43], v[48:49], -v[50:51]
	v_fma_f64 v[44:45], v[44:45], v[48:49], v[46:47]
	v_add_f64 v[1:2], v[1:2], v[42:43]
	v_add_f64 v[3:4], v[3:4], v[44:45]
	s_and_saveexec_b32 s70, s4
	s_cbranch_execz .LBB60_849
; %bb.848:
	s_clause 0x3
	buffer_load_dword v46, off, s[0:3], 0 offset:40
	buffer_load_dword v47, off, s[0:3], 0 offset:44
	;; [unrolled: 1-line block ×4, first 2 shown]
	v_mov_b32_e32 v42, 0
	ds_read_b128 v[42:45], v42 offset:1008
	s_waitcnt vmcnt(2) lgkmcnt(0)
	v_mul_f64 v[50:51], v[42:43], v[46:47]
	v_mul_f64 v[46:47], v[44:45], v[46:47]
	s_waitcnt vmcnt(0)
	v_fma_f64 v[44:45], v[44:45], v[48:49], v[50:51]
	v_fma_f64 v[42:43], v[42:43], v[48:49], -v[46:47]
	v_add_f64 v[3:4], v[3:4], v[44:45]
	v_add_f64 v[1:2], v[1:2], v[42:43]
.LBB60_849:
	s_or_b32 exec_lo, exec_lo, s70
.LBB60_850:
	s_or_b32 exec_lo, exec_lo, s7
	v_mov_b32_e32 v42, 0
	ds_read_b128 v[42:45], v42 offset:48
	s_waitcnt lgkmcnt(0)
	v_mul_f64 v[46:47], v[3:4], v[44:45]
	v_mul_f64 v[44:45], v[1:2], v[44:45]
	v_fma_f64 v[1:2], v[1:2], v[42:43], -v[46:47]
	v_fma_f64 v[3:4], v[3:4], v[42:43], v[44:45]
	buffer_store_dword v2, off, s[0:3], 0 offset:52
	buffer_store_dword v1, off, s[0:3], 0 offset:48
	;; [unrolled: 1-line block ×4, first 2 shown]
.LBB60_851:
	s_or_b32 exec_lo, exec_lo, s6
	v_mov_b32_e32 v4, s66
	s_mov_b32 s6, exec_lo
	s_clause 0x3
	buffer_load_dword v1, v4, s[0:3], 0 offen
	buffer_load_dword v2, v4, s[0:3], 0 offen offset:4
	buffer_load_dword v3, v4, s[0:3], 0 offen offset:8
	;; [unrolled: 1-line block ×3, first 2 shown]
	s_waitcnt vmcnt(0)
	ds_write_b128 v40, v[1:4]
	s_waitcnt lgkmcnt(0)
	s_waitcnt_vscnt null, 0x0
	s_barrier
	buffer_gl0_inv
	v_cmpx_gt_u32_e32 4, v0
	s_cbranch_execz .LBB60_859
; %bb.852:
	ds_read_b128 v[1:4], v40
	v_cmp_ne_u32_e32 vcc_lo, 1, v41
	s_cbranch_vccnz .LBB60_854
; %bb.853:
	s_clause 0x3
	buffer_load_dword v42, v39, s[0:3], 0 offen offset:8
	buffer_load_dword v43, v39, s[0:3], 0 offen offset:12
	buffer_load_dword v44, v39, s[0:3], 0 offen
	buffer_load_dword v45, v39, s[0:3], 0 offen offset:4
	s_waitcnt vmcnt(2) lgkmcnt(0)
	v_mul_f64 v[46:47], v[3:4], v[42:43]
	v_mul_f64 v[42:43], v[1:2], v[42:43]
	s_waitcnt vmcnt(0)
	v_fma_f64 v[1:2], v[1:2], v[44:45], -v[46:47]
	v_fma_f64 v[3:4], v[3:4], v[44:45], v[42:43]
.LBB60_854:
	s_mov_b32 s7, exec_lo
	v_cmpx_ne_u32_e32 3, v0
	s_cbranch_execz .LBB60_858
; %bb.855:
	v_add_nc_u32_e32 v42, 0x3e0, v181
	v_add3_u32 v43, 0, v181, 16
	v_mov_b32_e32 v44, v0
	s_mov_b32 s70, 0
	.p2align	6
.LBB60_856:                             ; =>This Inner Loop Header: Depth=1
	s_clause 0x3
	buffer_load_dword v49, v43, s[0:3], 0 offen offset:8
	buffer_load_dword v50, v43, s[0:3], 0 offen offset:12
	buffer_load_dword v51, v43, s[0:3], 0 offen
	buffer_load_dword v52, v43, s[0:3], 0 offen offset:4
	ds_read_b128 v[45:48], v42
	v_add_nc_u32_e32 v44, 1, v44
	v_add_nc_u32_e32 v42, 16, v42
	v_add_nc_u32_e32 v43, 16, v43
	v_cmp_lt_u32_e32 vcc_lo, 2, v44
	s_or_b32 s70, vcc_lo, s70
	s_waitcnt vmcnt(2) lgkmcnt(0)
	v_mul_f64 v[53:54], v[47:48], v[49:50]
	v_mul_f64 v[49:50], v[45:46], v[49:50]
	s_waitcnt vmcnt(0)
	v_fma_f64 v[45:46], v[45:46], v[51:52], -v[53:54]
	v_fma_f64 v[47:48], v[47:48], v[51:52], v[49:50]
	v_add_f64 v[1:2], v[1:2], v[45:46]
	v_add_f64 v[3:4], v[3:4], v[47:48]
	s_andn2_b32 exec_lo, exec_lo, s70
	s_cbranch_execnz .LBB60_856
; %bb.857:
	s_or_b32 exec_lo, exec_lo, s70
.LBB60_858:
	s_or_b32 exec_lo, exec_lo, s7
	v_mov_b32_e32 v42, 0
	ds_read_b128 v[42:45], v42 offset:64
	s_waitcnt lgkmcnt(0)
	v_mul_f64 v[46:47], v[3:4], v[44:45]
	v_mul_f64 v[44:45], v[1:2], v[44:45]
	v_fma_f64 v[1:2], v[1:2], v[42:43], -v[46:47]
	v_fma_f64 v[3:4], v[3:4], v[42:43], v[44:45]
	buffer_store_dword v2, off, s[0:3], 0 offset:68
	buffer_store_dword v1, off, s[0:3], 0 offset:64
	;; [unrolled: 1-line block ×4, first 2 shown]
.LBB60_859:
	s_or_b32 exec_lo, exec_lo, s6
	v_mov_b32_e32 v4, s65
	v_cmp_gt_u32_e64 s6, 5, v0
	s_clause 0x3
	buffer_load_dword v1, v4, s[0:3], 0 offen
	buffer_load_dword v2, v4, s[0:3], 0 offen offset:4
	buffer_load_dword v3, v4, s[0:3], 0 offen offset:8
	buffer_load_dword v4, v4, s[0:3], 0 offen offset:12
	s_waitcnt vmcnt(0)
	ds_write_b128 v40, v[1:4]
	s_waitcnt lgkmcnt(0)
	s_waitcnt_vscnt null, 0x0
	s_barrier
	buffer_gl0_inv
	s_and_saveexec_b32 s7, s6
	s_cbranch_execz .LBB60_867
; %bb.860:
	ds_read_b128 v[1:4], v40
	v_cmp_ne_u32_e32 vcc_lo, 1, v41
	s_cbranch_vccnz .LBB60_862
; %bb.861:
	s_clause 0x3
	buffer_load_dword v42, v39, s[0:3], 0 offen offset:8
	buffer_load_dword v43, v39, s[0:3], 0 offen offset:12
	buffer_load_dword v44, v39, s[0:3], 0 offen
	buffer_load_dword v45, v39, s[0:3], 0 offen offset:4
	s_waitcnt vmcnt(2) lgkmcnt(0)
	v_mul_f64 v[46:47], v[3:4], v[42:43]
	v_mul_f64 v[42:43], v[1:2], v[42:43]
	s_waitcnt vmcnt(0)
	v_fma_f64 v[1:2], v[1:2], v[44:45], -v[46:47]
	v_fma_f64 v[3:4], v[3:4], v[44:45], v[42:43]
.LBB60_862:
	s_mov_b32 s70, exec_lo
	v_cmpx_ne_u32_e32 4, v0
	s_cbranch_execz .LBB60_866
; %bb.863:
	v_add_nc_u32_e32 v42, 0x3e0, v181
	v_add3_u32 v43, 0, v181, 16
	v_mov_b32_e32 v44, v0
	s_mov_b32 s71, 0
	.p2align	6
.LBB60_864:                             ; =>This Inner Loop Header: Depth=1
	s_clause 0x3
	buffer_load_dword v49, v43, s[0:3], 0 offen offset:8
	buffer_load_dword v50, v43, s[0:3], 0 offen offset:12
	buffer_load_dword v51, v43, s[0:3], 0 offen
	buffer_load_dword v52, v43, s[0:3], 0 offen offset:4
	ds_read_b128 v[45:48], v42
	v_add_nc_u32_e32 v44, 1, v44
	v_add_nc_u32_e32 v42, 16, v42
	;; [unrolled: 1-line block ×3, first 2 shown]
	v_cmp_lt_u32_e32 vcc_lo, 3, v44
	s_or_b32 s71, vcc_lo, s71
	s_waitcnt vmcnt(2) lgkmcnt(0)
	v_mul_f64 v[53:54], v[47:48], v[49:50]
	v_mul_f64 v[49:50], v[45:46], v[49:50]
	s_waitcnt vmcnt(0)
	v_fma_f64 v[45:46], v[45:46], v[51:52], -v[53:54]
	v_fma_f64 v[47:48], v[47:48], v[51:52], v[49:50]
	v_add_f64 v[1:2], v[1:2], v[45:46]
	v_add_f64 v[3:4], v[3:4], v[47:48]
	s_andn2_b32 exec_lo, exec_lo, s71
	s_cbranch_execnz .LBB60_864
; %bb.865:
	s_or_b32 exec_lo, exec_lo, s71
.LBB60_866:
	s_or_b32 exec_lo, exec_lo, s70
	v_mov_b32_e32 v42, 0
	ds_read_b128 v[42:45], v42 offset:80
	s_waitcnt lgkmcnt(0)
	v_mul_f64 v[46:47], v[3:4], v[44:45]
	v_mul_f64 v[44:45], v[1:2], v[44:45]
	v_fma_f64 v[1:2], v[1:2], v[42:43], -v[46:47]
	v_fma_f64 v[3:4], v[3:4], v[42:43], v[44:45]
	buffer_store_dword v2, off, s[0:3], 0 offset:84
	buffer_store_dword v1, off, s[0:3], 0 offset:80
	buffer_store_dword v4, off, s[0:3], 0 offset:92
	buffer_store_dword v3, off, s[0:3], 0 offset:88
.LBB60_867:
	s_or_b32 exec_lo, exec_lo, s7
	v_mov_b32_e32 v4, s64
	s_mov_b32 s7, exec_lo
	s_clause 0x3
	buffer_load_dword v1, v4, s[0:3], 0 offen
	buffer_load_dword v2, v4, s[0:3], 0 offen offset:4
	buffer_load_dword v3, v4, s[0:3], 0 offen offset:8
	buffer_load_dword v4, v4, s[0:3], 0 offen offset:12
	s_waitcnt vmcnt(0)
	ds_write_b128 v40, v[1:4]
	s_waitcnt lgkmcnt(0)
	s_waitcnt_vscnt null, 0x0
	s_barrier
	buffer_gl0_inv
	v_cmpx_gt_u32_e32 6, v0
	s_cbranch_execz .LBB60_875
; %bb.868:
	ds_read_b128 v[1:4], v40
	v_cmp_ne_u32_e32 vcc_lo, 1, v41
	s_cbranch_vccnz .LBB60_870
; %bb.869:
	s_clause 0x3
	buffer_load_dword v42, v39, s[0:3], 0 offen offset:8
	buffer_load_dword v43, v39, s[0:3], 0 offen offset:12
	buffer_load_dword v44, v39, s[0:3], 0 offen
	buffer_load_dword v45, v39, s[0:3], 0 offen offset:4
	s_waitcnt vmcnt(2) lgkmcnt(0)
	v_mul_f64 v[46:47], v[3:4], v[42:43]
	v_mul_f64 v[42:43], v[1:2], v[42:43]
	s_waitcnt vmcnt(0)
	v_fma_f64 v[1:2], v[1:2], v[44:45], -v[46:47]
	v_fma_f64 v[3:4], v[3:4], v[44:45], v[42:43]
.LBB60_870:
	s_mov_b32 s70, exec_lo
	v_cmpx_ne_u32_e32 5, v0
	s_cbranch_execz .LBB60_874
; %bb.871:
	v_add_nc_u32_e32 v42, 0x3e0, v181
	v_add3_u32 v43, 0, v181, 16
	v_mov_b32_e32 v44, v0
	s_mov_b32 s71, 0
	.p2align	6
.LBB60_872:                             ; =>This Inner Loop Header: Depth=1
	s_clause 0x3
	buffer_load_dword v49, v43, s[0:3], 0 offen offset:8
	buffer_load_dword v50, v43, s[0:3], 0 offen offset:12
	buffer_load_dword v51, v43, s[0:3], 0 offen
	buffer_load_dword v52, v43, s[0:3], 0 offen offset:4
	ds_read_b128 v[45:48], v42
	v_add_nc_u32_e32 v44, 1, v44
	v_add_nc_u32_e32 v42, 16, v42
	v_add_nc_u32_e32 v43, 16, v43
	v_cmp_lt_u32_e32 vcc_lo, 4, v44
	s_or_b32 s71, vcc_lo, s71
	s_waitcnt vmcnt(2) lgkmcnt(0)
	v_mul_f64 v[53:54], v[47:48], v[49:50]
	v_mul_f64 v[49:50], v[45:46], v[49:50]
	s_waitcnt vmcnt(0)
	v_fma_f64 v[45:46], v[45:46], v[51:52], -v[53:54]
	v_fma_f64 v[47:48], v[47:48], v[51:52], v[49:50]
	v_add_f64 v[1:2], v[1:2], v[45:46]
	v_add_f64 v[3:4], v[3:4], v[47:48]
	s_andn2_b32 exec_lo, exec_lo, s71
	s_cbranch_execnz .LBB60_872
; %bb.873:
	s_or_b32 exec_lo, exec_lo, s71
.LBB60_874:
	s_or_b32 exec_lo, exec_lo, s70
	v_mov_b32_e32 v42, 0
	ds_read_b128 v[42:45], v42 offset:96
	s_waitcnt lgkmcnt(0)
	v_mul_f64 v[46:47], v[3:4], v[44:45]
	v_mul_f64 v[44:45], v[1:2], v[44:45]
	v_fma_f64 v[1:2], v[1:2], v[42:43], -v[46:47]
	v_fma_f64 v[3:4], v[3:4], v[42:43], v[44:45]
	buffer_store_dword v2, off, s[0:3], 0 offset:100
	buffer_store_dword v1, off, s[0:3], 0 offset:96
	;; [unrolled: 1-line block ×4, first 2 shown]
.LBB60_875:
	s_or_b32 exec_lo, exec_lo, s7
	v_mov_b32_e32 v4, s63
	v_cmp_gt_u32_e64 s7, 7, v0
	s_clause 0x3
	buffer_load_dword v1, v4, s[0:3], 0 offen
	buffer_load_dword v2, v4, s[0:3], 0 offen offset:4
	buffer_load_dword v3, v4, s[0:3], 0 offen offset:8
	;; [unrolled: 1-line block ×3, first 2 shown]
	s_waitcnt vmcnt(0)
	ds_write_b128 v40, v[1:4]
	s_waitcnt lgkmcnt(0)
	s_waitcnt_vscnt null, 0x0
	s_barrier
	buffer_gl0_inv
	s_and_saveexec_b32 s70, s7
	s_cbranch_execz .LBB60_883
; %bb.876:
	ds_read_b128 v[1:4], v40
	v_cmp_ne_u32_e32 vcc_lo, 1, v41
	s_cbranch_vccnz .LBB60_878
; %bb.877:
	s_clause 0x3
	buffer_load_dword v42, v39, s[0:3], 0 offen offset:8
	buffer_load_dword v43, v39, s[0:3], 0 offen offset:12
	buffer_load_dword v44, v39, s[0:3], 0 offen
	buffer_load_dword v45, v39, s[0:3], 0 offen offset:4
	s_waitcnt vmcnt(2) lgkmcnt(0)
	v_mul_f64 v[46:47], v[3:4], v[42:43]
	v_mul_f64 v[42:43], v[1:2], v[42:43]
	s_waitcnt vmcnt(0)
	v_fma_f64 v[1:2], v[1:2], v[44:45], -v[46:47]
	v_fma_f64 v[3:4], v[3:4], v[44:45], v[42:43]
.LBB60_878:
	s_mov_b32 s71, exec_lo
	v_cmpx_ne_u32_e32 6, v0
	s_cbranch_execz .LBB60_882
; %bb.879:
	v_add_nc_u32_e32 v42, 0x3e0, v181
	v_add3_u32 v43, 0, v181, 16
	v_mov_b32_e32 v44, v0
	s_mov_b32 s72, 0
	.p2align	6
.LBB60_880:                             ; =>This Inner Loop Header: Depth=1
	s_clause 0x3
	buffer_load_dword v49, v43, s[0:3], 0 offen offset:8
	buffer_load_dword v50, v43, s[0:3], 0 offen offset:12
	buffer_load_dword v51, v43, s[0:3], 0 offen
	buffer_load_dword v52, v43, s[0:3], 0 offen offset:4
	ds_read_b128 v[45:48], v42
	v_add_nc_u32_e32 v44, 1, v44
	v_add_nc_u32_e32 v42, 16, v42
	;; [unrolled: 1-line block ×3, first 2 shown]
	v_cmp_lt_u32_e32 vcc_lo, 5, v44
	s_or_b32 s72, vcc_lo, s72
	s_waitcnt vmcnt(2) lgkmcnt(0)
	v_mul_f64 v[53:54], v[47:48], v[49:50]
	v_mul_f64 v[49:50], v[45:46], v[49:50]
	s_waitcnt vmcnt(0)
	v_fma_f64 v[45:46], v[45:46], v[51:52], -v[53:54]
	v_fma_f64 v[47:48], v[47:48], v[51:52], v[49:50]
	v_add_f64 v[1:2], v[1:2], v[45:46]
	v_add_f64 v[3:4], v[3:4], v[47:48]
	s_andn2_b32 exec_lo, exec_lo, s72
	s_cbranch_execnz .LBB60_880
; %bb.881:
	s_or_b32 exec_lo, exec_lo, s72
.LBB60_882:
	s_or_b32 exec_lo, exec_lo, s71
	v_mov_b32_e32 v42, 0
	ds_read_b128 v[42:45], v42 offset:112
	s_waitcnt lgkmcnt(0)
	v_mul_f64 v[46:47], v[3:4], v[44:45]
	v_mul_f64 v[44:45], v[1:2], v[44:45]
	v_fma_f64 v[1:2], v[1:2], v[42:43], -v[46:47]
	v_fma_f64 v[3:4], v[3:4], v[42:43], v[44:45]
	buffer_store_dword v2, off, s[0:3], 0 offset:116
	buffer_store_dword v1, off, s[0:3], 0 offset:112
	;; [unrolled: 1-line block ×4, first 2 shown]
.LBB60_883:
	s_or_b32 exec_lo, exec_lo, s70
	v_mov_b32_e32 v4, s62
	s_mov_b32 s70, exec_lo
	s_clause 0x3
	buffer_load_dword v1, v4, s[0:3], 0 offen
	buffer_load_dword v2, v4, s[0:3], 0 offen offset:4
	buffer_load_dword v3, v4, s[0:3], 0 offen offset:8
	;; [unrolled: 1-line block ×3, first 2 shown]
	s_waitcnt vmcnt(0)
	ds_write_b128 v40, v[1:4]
	s_waitcnt lgkmcnt(0)
	s_waitcnt_vscnt null, 0x0
	s_barrier
	buffer_gl0_inv
	v_cmpx_gt_u32_e32 8, v0
	s_cbranch_execz .LBB60_891
; %bb.884:
	ds_read_b128 v[1:4], v40
	v_cmp_ne_u32_e32 vcc_lo, 1, v41
	s_cbranch_vccnz .LBB60_886
; %bb.885:
	s_clause 0x3
	buffer_load_dword v42, v39, s[0:3], 0 offen offset:8
	buffer_load_dword v43, v39, s[0:3], 0 offen offset:12
	buffer_load_dword v44, v39, s[0:3], 0 offen
	buffer_load_dword v45, v39, s[0:3], 0 offen offset:4
	s_waitcnt vmcnt(2) lgkmcnt(0)
	v_mul_f64 v[46:47], v[3:4], v[42:43]
	v_mul_f64 v[42:43], v[1:2], v[42:43]
	s_waitcnt vmcnt(0)
	v_fma_f64 v[1:2], v[1:2], v[44:45], -v[46:47]
	v_fma_f64 v[3:4], v[3:4], v[44:45], v[42:43]
.LBB60_886:
	s_mov_b32 s71, exec_lo
	v_cmpx_ne_u32_e32 7, v0
	s_cbranch_execz .LBB60_890
; %bb.887:
	v_add_nc_u32_e32 v42, 0x3e0, v181
	v_add3_u32 v43, 0, v181, 16
	v_mov_b32_e32 v44, v0
	s_mov_b32 s72, 0
	.p2align	6
.LBB60_888:                             ; =>This Inner Loop Header: Depth=1
	s_clause 0x3
	buffer_load_dword v49, v43, s[0:3], 0 offen offset:8
	buffer_load_dword v50, v43, s[0:3], 0 offen offset:12
	buffer_load_dword v51, v43, s[0:3], 0 offen
	buffer_load_dword v52, v43, s[0:3], 0 offen offset:4
	ds_read_b128 v[45:48], v42
	v_add_nc_u32_e32 v44, 1, v44
	v_add_nc_u32_e32 v42, 16, v42
	;; [unrolled: 1-line block ×3, first 2 shown]
	v_cmp_lt_u32_e32 vcc_lo, 6, v44
	s_or_b32 s72, vcc_lo, s72
	s_waitcnt vmcnt(2) lgkmcnt(0)
	v_mul_f64 v[53:54], v[47:48], v[49:50]
	v_mul_f64 v[49:50], v[45:46], v[49:50]
	s_waitcnt vmcnt(0)
	v_fma_f64 v[45:46], v[45:46], v[51:52], -v[53:54]
	v_fma_f64 v[47:48], v[47:48], v[51:52], v[49:50]
	v_add_f64 v[1:2], v[1:2], v[45:46]
	v_add_f64 v[3:4], v[3:4], v[47:48]
	s_andn2_b32 exec_lo, exec_lo, s72
	s_cbranch_execnz .LBB60_888
; %bb.889:
	s_or_b32 exec_lo, exec_lo, s72
.LBB60_890:
	s_or_b32 exec_lo, exec_lo, s71
	v_mov_b32_e32 v42, 0
	ds_read_b128 v[42:45], v42 offset:128
	s_waitcnt lgkmcnt(0)
	v_mul_f64 v[46:47], v[3:4], v[44:45]
	v_mul_f64 v[44:45], v[1:2], v[44:45]
	v_fma_f64 v[1:2], v[1:2], v[42:43], -v[46:47]
	v_fma_f64 v[3:4], v[3:4], v[42:43], v[44:45]
	buffer_store_dword v2, off, s[0:3], 0 offset:132
	buffer_store_dword v1, off, s[0:3], 0 offset:128
	;; [unrolled: 1-line block ×4, first 2 shown]
.LBB60_891:
	s_or_b32 exec_lo, exec_lo, s70
	v_mov_b32_e32 v4, s61
	s_mov_b32 s70, exec_lo
	s_clause 0x3
	buffer_load_dword v1, v4, s[0:3], 0 offen
	buffer_load_dword v2, v4, s[0:3], 0 offen offset:4
	buffer_load_dword v3, v4, s[0:3], 0 offen offset:8
	;; [unrolled: 1-line block ×3, first 2 shown]
	s_waitcnt vmcnt(0)
	ds_write_b128 v40, v[1:4]
	s_waitcnt lgkmcnt(0)
	s_waitcnt_vscnt null, 0x0
	s_barrier
	buffer_gl0_inv
	v_cmpx_gt_u32_e32 9, v0
	s_cbranch_execz .LBB60_911
; %bb.892:
	ds_read_b128 v[1:4], v40
	v_cmp_ne_u32_e32 vcc_lo, 1, v41
	s_cbranch_vccnz .LBB60_894
; %bb.893:
	s_clause 0x3
	buffer_load_dword v42, v39, s[0:3], 0 offen offset:8
	buffer_load_dword v43, v39, s[0:3], 0 offen offset:12
	buffer_load_dword v44, v39, s[0:3], 0 offen
	buffer_load_dword v45, v39, s[0:3], 0 offen offset:4
	s_waitcnt vmcnt(2) lgkmcnt(0)
	v_mul_f64 v[46:47], v[3:4], v[42:43]
	v_mul_f64 v[42:43], v[1:2], v[42:43]
	s_waitcnt vmcnt(0)
	v_fma_f64 v[1:2], v[1:2], v[44:45], -v[46:47]
	v_fma_f64 v[3:4], v[3:4], v[44:45], v[42:43]
.LBB60_894:
	s_mov_b32 s71, exec_lo
	v_cmpx_ne_u32_e32 8, v0
	s_cbranch_execz .LBB60_910
; %bb.895:
	s_clause 0x3
	buffer_load_dword v46, v39, s[0:3], 0 offen offset:24
	buffer_load_dword v47, v39, s[0:3], 0 offen offset:28
	buffer_load_dword v48, v39, s[0:3], 0 offen offset:16
	buffer_load_dword v49, v39, s[0:3], 0 offen offset:20
	ds_read_b128 v[42:45], v40 offset:16
	s_waitcnt vmcnt(2) lgkmcnt(0)
	v_mul_f64 v[50:51], v[44:45], v[46:47]
	v_mul_f64 v[46:47], v[42:43], v[46:47]
	s_waitcnt vmcnt(0)
	v_fma_f64 v[42:43], v[42:43], v[48:49], -v[50:51]
	v_fma_f64 v[44:45], v[44:45], v[48:49], v[46:47]
	v_add_f64 v[1:2], v[1:2], v[42:43]
	v_add_f64 v[3:4], v[3:4], v[44:45]
	s_and_saveexec_b32 s72, s7
	s_cbranch_execz .LBB60_909
; %bb.896:
	s_clause 0x3
	buffer_load_dword v46, v39, s[0:3], 0 offen offset:40
	buffer_load_dword v47, v39, s[0:3], 0 offen offset:44
	buffer_load_dword v48, v39, s[0:3], 0 offen offset:32
	buffer_load_dword v49, v39, s[0:3], 0 offen offset:36
	ds_read_b128 v[42:45], v40 offset:32
	s_mov_b32 s7, exec_lo
	s_waitcnt vmcnt(2) lgkmcnt(0)
	v_mul_f64 v[50:51], v[44:45], v[46:47]
	v_mul_f64 v[46:47], v[42:43], v[46:47]
	s_waitcnt vmcnt(0)
	v_fma_f64 v[42:43], v[42:43], v[48:49], -v[50:51]
	v_fma_f64 v[44:45], v[44:45], v[48:49], v[46:47]
	v_add_f64 v[1:2], v[1:2], v[42:43]
	v_add_f64 v[3:4], v[3:4], v[44:45]
	v_cmpx_ne_u32_e32 6, v0
	s_cbranch_execz .LBB60_908
; %bb.897:
	s_clause 0x3
	buffer_load_dword v46, v39, s[0:3], 0 offen offset:56
	buffer_load_dword v47, v39, s[0:3], 0 offen offset:60
	buffer_load_dword v48, v39, s[0:3], 0 offen offset:48
	buffer_load_dword v49, v39, s[0:3], 0 offen offset:52
	ds_read_b128 v[42:45], v40 offset:48
	s_waitcnt vmcnt(2) lgkmcnt(0)
	v_mul_f64 v[50:51], v[44:45], v[46:47]
	v_mul_f64 v[46:47], v[42:43], v[46:47]
	s_waitcnt vmcnt(0)
	v_fma_f64 v[42:43], v[42:43], v[48:49], -v[50:51]
	v_fma_f64 v[44:45], v[44:45], v[48:49], v[46:47]
	v_add_f64 v[1:2], v[1:2], v[42:43]
	v_add_f64 v[3:4], v[3:4], v[44:45]
	s_and_saveexec_b32 s73, s6
	s_cbranch_execz .LBB60_907
; %bb.898:
	s_clause 0x3
	buffer_load_dword v46, v39, s[0:3], 0 offen offset:72
	buffer_load_dword v47, v39, s[0:3], 0 offen offset:76
	buffer_load_dword v48, v39, s[0:3], 0 offen offset:64
	buffer_load_dword v49, v39, s[0:3], 0 offen offset:68
	ds_read_b128 v[42:45], v40 offset:64
	s_mov_b32 s6, exec_lo
	s_waitcnt vmcnt(2) lgkmcnt(0)
	v_mul_f64 v[50:51], v[44:45], v[46:47]
	v_mul_f64 v[46:47], v[42:43], v[46:47]
	s_waitcnt vmcnt(0)
	v_fma_f64 v[42:43], v[42:43], v[48:49], -v[50:51]
	v_fma_f64 v[44:45], v[44:45], v[48:49], v[46:47]
	v_add_f64 v[1:2], v[1:2], v[42:43]
	v_add_f64 v[3:4], v[3:4], v[44:45]
	;; [unrolled: 35-line block ×3, first 2 shown]
	v_cmpx_ne_u32_e32 2, v0
	s_cbranch_execz .LBB60_904
; %bb.901:
	s_clause 0x3
	buffer_load_dword v46, v39, s[0:3], 0 offen offset:120
	buffer_load_dword v47, v39, s[0:3], 0 offen offset:124
	;; [unrolled: 1-line block ×4, first 2 shown]
	ds_read_b128 v[42:45], v40 offset:112
	s_waitcnt vmcnt(2) lgkmcnt(0)
	v_mul_f64 v[50:51], v[44:45], v[46:47]
	v_mul_f64 v[46:47], v[42:43], v[46:47]
	s_waitcnt vmcnt(0)
	v_fma_f64 v[42:43], v[42:43], v[48:49], -v[50:51]
	v_fma_f64 v[44:45], v[44:45], v[48:49], v[46:47]
	v_add_f64 v[1:2], v[1:2], v[42:43]
	v_add_f64 v[3:4], v[3:4], v[44:45]
	s_and_saveexec_b32 s75, s4
	s_cbranch_execz .LBB60_903
; %bb.902:
	s_clause 0x3
	buffer_load_dword v46, v39, s[0:3], 0 offen offset:136
	buffer_load_dword v47, v39, s[0:3], 0 offen offset:140
	;; [unrolled: 1-line block ×4, first 2 shown]
	ds_read_b128 v[42:45], v40 offset:128
	s_waitcnt vmcnt(2) lgkmcnt(0)
	v_mul_f64 v[50:51], v[44:45], v[46:47]
	v_mul_f64 v[46:47], v[42:43], v[46:47]
	s_waitcnt vmcnt(0)
	v_fma_f64 v[42:43], v[42:43], v[48:49], -v[50:51]
	v_fma_f64 v[44:45], v[44:45], v[48:49], v[46:47]
	v_add_f64 v[1:2], v[1:2], v[42:43]
	v_add_f64 v[3:4], v[3:4], v[44:45]
.LBB60_903:
	s_or_b32 exec_lo, exec_lo, s75
.LBB60_904:
	s_or_b32 exec_lo, exec_lo, s5
.LBB60_905:
	s_or_b32 exec_lo, exec_lo, s74
.LBB60_906:
	s_or_b32 exec_lo, exec_lo, s6
.LBB60_907:
	s_or_b32 exec_lo, exec_lo, s73
.LBB60_908:
	s_or_b32 exec_lo, exec_lo, s7
.LBB60_909:
	s_or_b32 exec_lo, exec_lo, s72
.LBB60_910:
	s_or_b32 exec_lo, exec_lo, s71
	v_mov_b32_e32 v42, 0
	ds_read_b128 v[42:45], v42 offset:144
	s_waitcnt lgkmcnt(0)
	v_mul_f64 v[46:47], v[3:4], v[44:45]
	v_mul_f64 v[44:45], v[1:2], v[44:45]
	v_fma_f64 v[1:2], v[1:2], v[42:43], -v[46:47]
	v_fma_f64 v[3:4], v[3:4], v[42:43], v[44:45]
	buffer_store_dword v2, off, s[0:3], 0 offset:148
	buffer_store_dword v1, off, s[0:3], 0 offset:144
	;; [unrolled: 1-line block ×4, first 2 shown]
.LBB60_911:
	s_or_b32 exec_lo, exec_lo, s70
	v_mov_b32_e32 v4, s60
	s_mov_b32 s4, exec_lo
	s_clause 0x3
	buffer_load_dword v1, v4, s[0:3], 0 offen
	buffer_load_dword v2, v4, s[0:3], 0 offen offset:4
	buffer_load_dword v3, v4, s[0:3], 0 offen offset:8
	;; [unrolled: 1-line block ×3, first 2 shown]
	s_waitcnt vmcnt(0)
	ds_write_b128 v40, v[1:4]
	s_waitcnt lgkmcnt(0)
	s_waitcnt_vscnt null, 0x0
	s_barrier
	buffer_gl0_inv
	v_cmpx_gt_u32_e32 10, v0
	s_cbranch_execz .LBB60_919
; %bb.912:
	ds_read_b128 v[1:4], v40
	v_cmp_ne_u32_e32 vcc_lo, 1, v41
	s_cbranch_vccnz .LBB60_914
; %bb.913:
	s_clause 0x3
	buffer_load_dword v42, v39, s[0:3], 0 offen offset:8
	buffer_load_dword v43, v39, s[0:3], 0 offen offset:12
	buffer_load_dword v44, v39, s[0:3], 0 offen
	buffer_load_dword v45, v39, s[0:3], 0 offen offset:4
	s_waitcnt vmcnt(2) lgkmcnt(0)
	v_mul_f64 v[46:47], v[3:4], v[42:43]
	v_mul_f64 v[42:43], v[1:2], v[42:43]
	s_waitcnt vmcnt(0)
	v_fma_f64 v[1:2], v[1:2], v[44:45], -v[46:47]
	v_fma_f64 v[3:4], v[3:4], v[44:45], v[42:43]
.LBB60_914:
	s_mov_b32 s5, exec_lo
	v_cmpx_ne_u32_e32 9, v0
	s_cbranch_execz .LBB60_918
; %bb.915:
	v_add_nc_u32_e32 v42, 0x3e0, v181
	v_add3_u32 v43, 0, v181, 16
	v_mov_b32_e32 v44, v0
	s_mov_b32 s6, 0
	.p2align	6
.LBB60_916:                             ; =>This Inner Loop Header: Depth=1
	s_clause 0x3
	buffer_load_dword v49, v43, s[0:3], 0 offen offset:8
	buffer_load_dword v50, v43, s[0:3], 0 offen offset:12
	buffer_load_dword v51, v43, s[0:3], 0 offen
	buffer_load_dword v52, v43, s[0:3], 0 offen offset:4
	ds_read_b128 v[45:48], v42
	v_add_nc_u32_e32 v44, 1, v44
	v_add_nc_u32_e32 v42, 16, v42
	;; [unrolled: 1-line block ×3, first 2 shown]
	v_cmp_lt_u32_e32 vcc_lo, 8, v44
	s_or_b32 s6, vcc_lo, s6
	s_waitcnt vmcnt(2) lgkmcnt(0)
	v_mul_f64 v[53:54], v[47:48], v[49:50]
	v_mul_f64 v[49:50], v[45:46], v[49:50]
	s_waitcnt vmcnt(0)
	v_fma_f64 v[45:46], v[45:46], v[51:52], -v[53:54]
	v_fma_f64 v[47:48], v[47:48], v[51:52], v[49:50]
	v_add_f64 v[1:2], v[1:2], v[45:46]
	v_add_f64 v[3:4], v[3:4], v[47:48]
	s_andn2_b32 exec_lo, exec_lo, s6
	s_cbranch_execnz .LBB60_916
; %bb.917:
	s_or_b32 exec_lo, exec_lo, s6
.LBB60_918:
	s_or_b32 exec_lo, exec_lo, s5
	v_mov_b32_e32 v42, 0
	ds_read_b128 v[42:45], v42 offset:160
	s_waitcnt lgkmcnt(0)
	v_mul_f64 v[46:47], v[3:4], v[44:45]
	v_mul_f64 v[44:45], v[1:2], v[44:45]
	v_fma_f64 v[1:2], v[1:2], v[42:43], -v[46:47]
	v_fma_f64 v[3:4], v[3:4], v[42:43], v[44:45]
	buffer_store_dword v2, off, s[0:3], 0 offset:164
	buffer_store_dword v1, off, s[0:3], 0 offset:160
	;; [unrolled: 1-line block ×4, first 2 shown]
.LBB60_919:
	s_or_b32 exec_lo, exec_lo, s4
	v_mov_b32_e32 v4, s59
	s_mov_b32 s4, exec_lo
	s_clause 0x3
	buffer_load_dword v1, v4, s[0:3], 0 offen
	buffer_load_dword v2, v4, s[0:3], 0 offen offset:4
	buffer_load_dword v3, v4, s[0:3], 0 offen offset:8
	;; [unrolled: 1-line block ×3, first 2 shown]
	s_waitcnt vmcnt(0)
	ds_write_b128 v40, v[1:4]
	s_waitcnt lgkmcnt(0)
	s_waitcnt_vscnt null, 0x0
	s_barrier
	buffer_gl0_inv
	v_cmpx_gt_u32_e32 11, v0
	s_cbranch_execz .LBB60_927
; %bb.920:
	ds_read_b128 v[1:4], v40
	v_cmp_ne_u32_e32 vcc_lo, 1, v41
	s_cbranch_vccnz .LBB60_922
; %bb.921:
	s_clause 0x3
	buffer_load_dword v42, v39, s[0:3], 0 offen offset:8
	buffer_load_dword v43, v39, s[0:3], 0 offen offset:12
	buffer_load_dword v44, v39, s[0:3], 0 offen
	buffer_load_dword v45, v39, s[0:3], 0 offen offset:4
	s_waitcnt vmcnt(2) lgkmcnt(0)
	v_mul_f64 v[46:47], v[3:4], v[42:43]
	v_mul_f64 v[42:43], v[1:2], v[42:43]
	s_waitcnt vmcnt(0)
	v_fma_f64 v[1:2], v[1:2], v[44:45], -v[46:47]
	v_fma_f64 v[3:4], v[3:4], v[44:45], v[42:43]
.LBB60_922:
	s_mov_b32 s5, exec_lo
	v_cmpx_ne_u32_e32 10, v0
	s_cbranch_execz .LBB60_926
; %bb.923:
	v_add_nc_u32_e32 v42, 0x3e0, v181
	v_add3_u32 v43, 0, v181, 16
	v_mov_b32_e32 v44, v0
	s_mov_b32 s6, 0
	.p2align	6
.LBB60_924:                             ; =>This Inner Loop Header: Depth=1
	s_clause 0x3
	buffer_load_dword v49, v43, s[0:3], 0 offen offset:8
	buffer_load_dword v50, v43, s[0:3], 0 offen offset:12
	buffer_load_dword v51, v43, s[0:3], 0 offen
	buffer_load_dword v52, v43, s[0:3], 0 offen offset:4
	ds_read_b128 v[45:48], v42
	v_add_nc_u32_e32 v44, 1, v44
	v_add_nc_u32_e32 v42, 16, v42
	v_add_nc_u32_e32 v43, 16, v43
	v_cmp_lt_u32_e32 vcc_lo, 9, v44
	s_or_b32 s6, vcc_lo, s6
	s_waitcnt vmcnt(2) lgkmcnt(0)
	v_mul_f64 v[53:54], v[47:48], v[49:50]
	v_mul_f64 v[49:50], v[45:46], v[49:50]
	s_waitcnt vmcnt(0)
	v_fma_f64 v[45:46], v[45:46], v[51:52], -v[53:54]
	v_fma_f64 v[47:48], v[47:48], v[51:52], v[49:50]
	v_add_f64 v[1:2], v[1:2], v[45:46]
	v_add_f64 v[3:4], v[3:4], v[47:48]
	s_andn2_b32 exec_lo, exec_lo, s6
	s_cbranch_execnz .LBB60_924
; %bb.925:
	s_or_b32 exec_lo, exec_lo, s6
.LBB60_926:
	s_or_b32 exec_lo, exec_lo, s5
	v_mov_b32_e32 v42, 0
	ds_read_b128 v[42:45], v42 offset:176
	s_waitcnt lgkmcnt(0)
	v_mul_f64 v[46:47], v[3:4], v[44:45]
	v_mul_f64 v[44:45], v[1:2], v[44:45]
	v_fma_f64 v[1:2], v[1:2], v[42:43], -v[46:47]
	v_fma_f64 v[3:4], v[3:4], v[42:43], v[44:45]
	buffer_store_dword v2, off, s[0:3], 0 offset:180
	buffer_store_dword v1, off, s[0:3], 0 offset:176
	;; [unrolled: 1-line block ×4, first 2 shown]
.LBB60_927:
	s_or_b32 exec_lo, exec_lo, s4
	v_mov_b32_e32 v4, s58
	s_mov_b32 s4, exec_lo
	s_clause 0x3
	buffer_load_dword v1, v4, s[0:3], 0 offen
	buffer_load_dword v2, v4, s[0:3], 0 offen offset:4
	buffer_load_dword v3, v4, s[0:3], 0 offen offset:8
	;; [unrolled: 1-line block ×3, first 2 shown]
	s_waitcnt vmcnt(0)
	ds_write_b128 v40, v[1:4]
	s_waitcnt lgkmcnt(0)
	s_waitcnt_vscnt null, 0x0
	s_barrier
	buffer_gl0_inv
	v_cmpx_gt_u32_e32 12, v0
	s_cbranch_execz .LBB60_935
; %bb.928:
	ds_read_b128 v[1:4], v40
	v_cmp_ne_u32_e32 vcc_lo, 1, v41
	s_cbranch_vccnz .LBB60_930
; %bb.929:
	s_clause 0x3
	buffer_load_dword v42, v39, s[0:3], 0 offen offset:8
	buffer_load_dword v43, v39, s[0:3], 0 offen offset:12
	buffer_load_dword v44, v39, s[0:3], 0 offen
	buffer_load_dword v45, v39, s[0:3], 0 offen offset:4
	s_waitcnt vmcnt(2) lgkmcnt(0)
	v_mul_f64 v[46:47], v[3:4], v[42:43]
	v_mul_f64 v[42:43], v[1:2], v[42:43]
	s_waitcnt vmcnt(0)
	v_fma_f64 v[1:2], v[1:2], v[44:45], -v[46:47]
	v_fma_f64 v[3:4], v[3:4], v[44:45], v[42:43]
.LBB60_930:
	s_mov_b32 s5, exec_lo
	v_cmpx_ne_u32_e32 11, v0
	s_cbranch_execz .LBB60_934
; %bb.931:
	v_add_nc_u32_e32 v42, 0x3e0, v181
	v_add3_u32 v43, 0, v181, 16
	v_mov_b32_e32 v44, v0
	s_mov_b32 s6, 0
	.p2align	6
.LBB60_932:                             ; =>This Inner Loop Header: Depth=1
	s_clause 0x3
	buffer_load_dword v49, v43, s[0:3], 0 offen offset:8
	buffer_load_dword v50, v43, s[0:3], 0 offen offset:12
	buffer_load_dword v51, v43, s[0:3], 0 offen
	buffer_load_dword v52, v43, s[0:3], 0 offen offset:4
	ds_read_b128 v[45:48], v42
	v_add_nc_u32_e32 v44, 1, v44
	v_add_nc_u32_e32 v42, 16, v42
	;; [unrolled: 1-line block ×3, first 2 shown]
	v_cmp_lt_u32_e32 vcc_lo, 10, v44
	s_or_b32 s6, vcc_lo, s6
	s_waitcnt vmcnt(2) lgkmcnt(0)
	v_mul_f64 v[53:54], v[47:48], v[49:50]
	v_mul_f64 v[49:50], v[45:46], v[49:50]
	s_waitcnt vmcnt(0)
	v_fma_f64 v[45:46], v[45:46], v[51:52], -v[53:54]
	v_fma_f64 v[47:48], v[47:48], v[51:52], v[49:50]
	v_add_f64 v[1:2], v[1:2], v[45:46]
	v_add_f64 v[3:4], v[3:4], v[47:48]
	s_andn2_b32 exec_lo, exec_lo, s6
	s_cbranch_execnz .LBB60_932
; %bb.933:
	s_or_b32 exec_lo, exec_lo, s6
.LBB60_934:
	s_or_b32 exec_lo, exec_lo, s5
	v_mov_b32_e32 v42, 0
	ds_read_b128 v[42:45], v42 offset:192
	s_waitcnt lgkmcnt(0)
	v_mul_f64 v[46:47], v[3:4], v[44:45]
	v_mul_f64 v[44:45], v[1:2], v[44:45]
	v_fma_f64 v[1:2], v[1:2], v[42:43], -v[46:47]
	v_fma_f64 v[3:4], v[3:4], v[42:43], v[44:45]
	buffer_store_dword v2, off, s[0:3], 0 offset:196
	buffer_store_dword v1, off, s[0:3], 0 offset:192
	;; [unrolled: 1-line block ×4, first 2 shown]
.LBB60_935:
	s_or_b32 exec_lo, exec_lo, s4
	v_mov_b32_e32 v4, s57
	s_mov_b32 s4, exec_lo
	s_clause 0x3
	buffer_load_dword v1, v4, s[0:3], 0 offen
	buffer_load_dword v2, v4, s[0:3], 0 offen offset:4
	buffer_load_dword v3, v4, s[0:3], 0 offen offset:8
	;; [unrolled: 1-line block ×3, first 2 shown]
	s_waitcnt vmcnt(0)
	ds_write_b128 v40, v[1:4]
	s_waitcnt lgkmcnt(0)
	s_waitcnt_vscnt null, 0x0
	s_barrier
	buffer_gl0_inv
	v_cmpx_gt_u32_e32 13, v0
	s_cbranch_execz .LBB60_943
; %bb.936:
	ds_read_b128 v[1:4], v40
	v_cmp_ne_u32_e32 vcc_lo, 1, v41
	s_cbranch_vccnz .LBB60_938
; %bb.937:
	s_clause 0x3
	buffer_load_dword v42, v39, s[0:3], 0 offen offset:8
	buffer_load_dword v43, v39, s[0:3], 0 offen offset:12
	buffer_load_dword v44, v39, s[0:3], 0 offen
	buffer_load_dword v45, v39, s[0:3], 0 offen offset:4
	s_waitcnt vmcnt(2) lgkmcnt(0)
	v_mul_f64 v[46:47], v[3:4], v[42:43]
	v_mul_f64 v[42:43], v[1:2], v[42:43]
	s_waitcnt vmcnt(0)
	v_fma_f64 v[1:2], v[1:2], v[44:45], -v[46:47]
	v_fma_f64 v[3:4], v[3:4], v[44:45], v[42:43]
.LBB60_938:
	s_mov_b32 s5, exec_lo
	v_cmpx_ne_u32_e32 12, v0
	s_cbranch_execz .LBB60_942
; %bb.939:
	v_add_nc_u32_e32 v42, 0x3e0, v181
	v_add3_u32 v43, 0, v181, 16
	v_mov_b32_e32 v44, v0
	s_mov_b32 s6, 0
	.p2align	6
.LBB60_940:                             ; =>This Inner Loop Header: Depth=1
	s_clause 0x3
	buffer_load_dword v49, v43, s[0:3], 0 offen offset:8
	buffer_load_dword v50, v43, s[0:3], 0 offen offset:12
	buffer_load_dword v51, v43, s[0:3], 0 offen
	buffer_load_dword v52, v43, s[0:3], 0 offen offset:4
	ds_read_b128 v[45:48], v42
	v_add_nc_u32_e32 v44, 1, v44
	v_add_nc_u32_e32 v42, 16, v42
	;; [unrolled: 1-line block ×3, first 2 shown]
	v_cmp_lt_u32_e32 vcc_lo, 11, v44
	s_or_b32 s6, vcc_lo, s6
	s_waitcnt vmcnt(2) lgkmcnt(0)
	v_mul_f64 v[53:54], v[47:48], v[49:50]
	v_mul_f64 v[49:50], v[45:46], v[49:50]
	s_waitcnt vmcnt(0)
	v_fma_f64 v[45:46], v[45:46], v[51:52], -v[53:54]
	v_fma_f64 v[47:48], v[47:48], v[51:52], v[49:50]
	v_add_f64 v[1:2], v[1:2], v[45:46]
	v_add_f64 v[3:4], v[3:4], v[47:48]
	s_andn2_b32 exec_lo, exec_lo, s6
	s_cbranch_execnz .LBB60_940
; %bb.941:
	s_or_b32 exec_lo, exec_lo, s6
.LBB60_942:
	s_or_b32 exec_lo, exec_lo, s5
	v_mov_b32_e32 v42, 0
	ds_read_b128 v[42:45], v42 offset:208
	s_waitcnt lgkmcnt(0)
	v_mul_f64 v[46:47], v[3:4], v[44:45]
	v_mul_f64 v[44:45], v[1:2], v[44:45]
	v_fma_f64 v[1:2], v[1:2], v[42:43], -v[46:47]
	v_fma_f64 v[3:4], v[3:4], v[42:43], v[44:45]
	buffer_store_dword v2, off, s[0:3], 0 offset:212
	buffer_store_dword v1, off, s[0:3], 0 offset:208
	buffer_store_dword v4, off, s[0:3], 0 offset:220
	buffer_store_dword v3, off, s[0:3], 0 offset:216
.LBB60_943:
	s_or_b32 exec_lo, exec_lo, s4
	v_mov_b32_e32 v4, s56
	s_mov_b32 s4, exec_lo
	s_clause 0x3
	buffer_load_dword v1, v4, s[0:3], 0 offen
	buffer_load_dword v2, v4, s[0:3], 0 offen offset:4
	buffer_load_dword v3, v4, s[0:3], 0 offen offset:8
	;; [unrolled: 1-line block ×3, first 2 shown]
	s_waitcnt vmcnt(0)
	ds_write_b128 v40, v[1:4]
	s_waitcnt lgkmcnt(0)
	s_waitcnt_vscnt null, 0x0
	s_barrier
	buffer_gl0_inv
	v_cmpx_gt_u32_e32 14, v0
	s_cbranch_execz .LBB60_951
; %bb.944:
	ds_read_b128 v[1:4], v40
	v_cmp_ne_u32_e32 vcc_lo, 1, v41
	s_cbranch_vccnz .LBB60_946
; %bb.945:
	s_clause 0x3
	buffer_load_dword v42, v39, s[0:3], 0 offen offset:8
	buffer_load_dword v43, v39, s[0:3], 0 offen offset:12
	buffer_load_dword v44, v39, s[0:3], 0 offen
	buffer_load_dword v45, v39, s[0:3], 0 offen offset:4
	s_waitcnt vmcnt(2) lgkmcnt(0)
	v_mul_f64 v[46:47], v[3:4], v[42:43]
	v_mul_f64 v[42:43], v[1:2], v[42:43]
	s_waitcnt vmcnt(0)
	v_fma_f64 v[1:2], v[1:2], v[44:45], -v[46:47]
	v_fma_f64 v[3:4], v[3:4], v[44:45], v[42:43]
.LBB60_946:
	s_mov_b32 s5, exec_lo
	v_cmpx_ne_u32_e32 13, v0
	s_cbranch_execz .LBB60_950
; %bb.947:
	v_add_nc_u32_e32 v42, 0x3e0, v181
	v_add3_u32 v43, 0, v181, 16
	v_mov_b32_e32 v44, v0
	s_mov_b32 s6, 0
	.p2align	6
.LBB60_948:                             ; =>This Inner Loop Header: Depth=1
	s_clause 0x3
	buffer_load_dword v49, v43, s[0:3], 0 offen offset:8
	buffer_load_dword v50, v43, s[0:3], 0 offen offset:12
	buffer_load_dword v51, v43, s[0:3], 0 offen
	buffer_load_dword v52, v43, s[0:3], 0 offen offset:4
	ds_read_b128 v[45:48], v42
	v_add_nc_u32_e32 v44, 1, v44
	v_add_nc_u32_e32 v42, 16, v42
	;; [unrolled: 1-line block ×3, first 2 shown]
	v_cmp_lt_u32_e32 vcc_lo, 12, v44
	s_or_b32 s6, vcc_lo, s6
	s_waitcnt vmcnt(2) lgkmcnt(0)
	v_mul_f64 v[53:54], v[47:48], v[49:50]
	v_mul_f64 v[49:50], v[45:46], v[49:50]
	s_waitcnt vmcnt(0)
	v_fma_f64 v[45:46], v[45:46], v[51:52], -v[53:54]
	v_fma_f64 v[47:48], v[47:48], v[51:52], v[49:50]
	v_add_f64 v[1:2], v[1:2], v[45:46]
	v_add_f64 v[3:4], v[3:4], v[47:48]
	s_andn2_b32 exec_lo, exec_lo, s6
	s_cbranch_execnz .LBB60_948
; %bb.949:
	s_or_b32 exec_lo, exec_lo, s6
.LBB60_950:
	s_or_b32 exec_lo, exec_lo, s5
	v_mov_b32_e32 v42, 0
	ds_read_b128 v[42:45], v42 offset:224
	s_waitcnt lgkmcnt(0)
	v_mul_f64 v[46:47], v[3:4], v[44:45]
	v_mul_f64 v[44:45], v[1:2], v[44:45]
	v_fma_f64 v[1:2], v[1:2], v[42:43], -v[46:47]
	v_fma_f64 v[3:4], v[3:4], v[42:43], v[44:45]
	buffer_store_dword v2, off, s[0:3], 0 offset:228
	buffer_store_dword v1, off, s[0:3], 0 offset:224
	;; [unrolled: 1-line block ×4, first 2 shown]
.LBB60_951:
	s_or_b32 exec_lo, exec_lo, s4
	v_mov_b32_e32 v4, s55
	s_mov_b32 s4, exec_lo
	s_clause 0x3
	buffer_load_dword v1, v4, s[0:3], 0 offen
	buffer_load_dword v2, v4, s[0:3], 0 offen offset:4
	buffer_load_dword v3, v4, s[0:3], 0 offen offset:8
	;; [unrolled: 1-line block ×3, first 2 shown]
	s_waitcnt vmcnt(0)
	ds_write_b128 v40, v[1:4]
	s_waitcnt lgkmcnt(0)
	s_waitcnt_vscnt null, 0x0
	s_barrier
	buffer_gl0_inv
	v_cmpx_gt_u32_e32 15, v0
	s_cbranch_execz .LBB60_959
; %bb.952:
	ds_read_b128 v[1:4], v40
	v_cmp_ne_u32_e32 vcc_lo, 1, v41
	s_cbranch_vccnz .LBB60_954
; %bb.953:
	s_clause 0x3
	buffer_load_dword v42, v39, s[0:3], 0 offen offset:8
	buffer_load_dword v43, v39, s[0:3], 0 offen offset:12
	buffer_load_dword v44, v39, s[0:3], 0 offen
	buffer_load_dword v45, v39, s[0:3], 0 offen offset:4
	s_waitcnt vmcnt(2) lgkmcnt(0)
	v_mul_f64 v[46:47], v[3:4], v[42:43]
	v_mul_f64 v[42:43], v[1:2], v[42:43]
	s_waitcnt vmcnt(0)
	v_fma_f64 v[1:2], v[1:2], v[44:45], -v[46:47]
	v_fma_f64 v[3:4], v[3:4], v[44:45], v[42:43]
.LBB60_954:
	s_mov_b32 s5, exec_lo
	v_cmpx_ne_u32_e32 14, v0
	s_cbranch_execz .LBB60_958
; %bb.955:
	v_add_nc_u32_e32 v42, 0x3e0, v181
	v_add3_u32 v43, 0, v181, 16
	v_mov_b32_e32 v44, v0
	s_mov_b32 s6, 0
	.p2align	6
.LBB60_956:                             ; =>This Inner Loop Header: Depth=1
	s_clause 0x3
	buffer_load_dword v49, v43, s[0:3], 0 offen offset:8
	buffer_load_dword v50, v43, s[0:3], 0 offen offset:12
	buffer_load_dword v51, v43, s[0:3], 0 offen
	buffer_load_dword v52, v43, s[0:3], 0 offen offset:4
	ds_read_b128 v[45:48], v42
	v_add_nc_u32_e32 v44, 1, v44
	v_add_nc_u32_e32 v42, 16, v42
	;; [unrolled: 1-line block ×3, first 2 shown]
	v_cmp_lt_u32_e32 vcc_lo, 13, v44
	s_or_b32 s6, vcc_lo, s6
	s_waitcnt vmcnt(2) lgkmcnt(0)
	v_mul_f64 v[53:54], v[47:48], v[49:50]
	v_mul_f64 v[49:50], v[45:46], v[49:50]
	s_waitcnt vmcnt(0)
	v_fma_f64 v[45:46], v[45:46], v[51:52], -v[53:54]
	v_fma_f64 v[47:48], v[47:48], v[51:52], v[49:50]
	v_add_f64 v[1:2], v[1:2], v[45:46]
	v_add_f64 v[3:4], v[3:4], v[47:48]
	s_andn2_b32 exec_lo, exec_lo, s6
	s_cbranch_execnz .LBB60_956
; %bb.957:
	s_or_b32 exec_lo, exec_lo, s6
.LBB60_958:
	s_or_b32 exec_lo, exec_lo, s5
	v_mov_b32_e32 v42, 0
	ds_read_b128 v[42:45], v42 offset:240
	s_waitcnt lgkmcnt(0)
	v_mul_f64 v[46:47], v[3:4], v[44:45]
	v_mul_f64 v[44:45], v[1:2], v[44:45]
	v_fma_f64 v[1:2], v[1:2], v[42:43], -v[46:47]
	v_fma_f64 v[3:4], v[3:4], v[42:43], v[44:45]
	buffer_store_dword v2, off, s[0:3], 0 offset:244
	buffer_store_dword v1, off, s[0:3], 0 offset:240
	buffer_store_dword v4, off, s[0:3], 0 offset:252
	buffer_store_dword v3, off, s[0:3], 0 offset:248
.LBB60_959:
	s_or_b32 exec_lo, exec_lo, s4
	v_mov_b32_e32 v4, s54
	s_mov_b32 s4, exec_lo
	s_clause 0x3
	buffer_load_dword v1, v4, s[0:3], 0 offen
	buffer_load_dword v2, v4, s[0:3], 0 offen offset:4
	buffer_load_dword v3, v4, s[0:3], 0 offen offset:8
	;; [unrolled: 1-line block ×3, first 2 shown]
	s_waitcnt vmcnt(0)
	ds_write_b128 v40, v[1:4]
	s_waitcnt lgkmcnt(0)
	s_waitcnt_vscnt null, 0x0
	s_barrier
	buffer_gl0_inv
	v_cmpx_gt_u32_e32 16, v0
	s_cbranch_execz .LBB60_967
; %bb.960:
	ds_read_b128 v[1:4], v40
	v_cmp_ne_u32_e32 vcc_lo, 1, v41
	s_cbranch_vccnz .LBB60_962
; %bb.961:
	s_clause 0x3
	buffer_load_dword v42, v39, s[0:3], 0 offen offset:8
	buffer_load_dword v43, v39, s[0:3], 0 offen offset:12
	buffer_load_dword v44, v39, s[0:3], 0 offen
	buffer_load_dword v45, v39, s[0:3], 0 offen offset:4
	s_waitcnt vmcnt(2) lgkmcnt(0)
	v_mul_f64 v[46:47], v[3:4], v[42:43]
	v_mul_f64 v[42:43], v[1:2], v[42:43]
	s_waitcnt vmcnt(0)
	v_fma_f64 v[1:2], v[1:2], v[44:45], -v[46:47]
	v_fma_f64 v[3:4], v[3:4], v[44:45], v[42:43]
.LBB60_962:
	s_mov_b32 s5, exec_lo
	v_cmpx_ne_u32_e32 15, v0
	s_cbranch_execz .LBB60_966
; %bb.963:
	v_add_nc_u32_e32 v42, 0x3e0, v181
	v_add3_u32 v43, 0, v181, 16
	v_mov_b32_e32 v44, v0
	s_mov_b32 s6, 0
	.p2align	6
.LBB60_964:                             ; =>This Inner Loop Header: Depth=1
	s_clause 0x3
	buffer_load_dword v49, v43, s[0:3], 0 offen offset:8
	buffer_load_dword v50, v43, s[0:3], 0 offen offset:12
	buffer_load_dword v51, v43, s[0:3], 0 offen
	buffer_load_dword v52, v43, s[0:3], 0 offen offset:4
	ds_read_b128 v[45:48], v42
	v_add_nc_u32_e32 v44, 1, v44
	v_add_nc_u32_e32 v42, 16, v42
	;; [unrolled: 1-line block ×3, first 2 shown]
	v_cmp_lt_u32_e32 vcc_lo, 14, v44
	s_or_b32 s6, vcc_lo, s6
	s_waitcnt vmcnt(2) lgkmcnt(0)
	v_mul_f64 v[53:54], v[47:48], v[49:50]
	v_mul_f64 v[49:50], v[45:46], v[49:50]
	s_waitcnt vmcnt(0)
	v_fma_f64 v[45:46], v[45:46], v[51:52], -v[53:54]
	v_fma_f64 v[47:48], v[47:48], v[51:52], v[49:50]
	v_add_f64 v[1:2], v[1:2], v[45:46]
	v_add_f64 v[3:4], v[3:4], v[47:48]
	s_andn2_b32 exec_lo, exec_lo, s6
	s_cbranch_execnz .LBB60_964
; %bb.965:
	s_or_b32 exec_lo, exec_lo, s6
.LBB60_966:
	s_or_b32 exec_lo, exec_lo, s5
	v_mov_b32_e32 v42, 0
	ds_read_b128 v[42:45], v42 offset:256
	s_waitcnt lgkmcnt(0)
	v_mul_f64 v[46:47], v[3:4], v[44:45]
	v_mul_f64 v[44:45], v[1:2], v[44:45]
	v_fma_f64 v[1:2], v[1:2], v[42:43], -v[46:47]
	v_fma_f64 v[3:4], v[3:4], v[42:43], v[44:45]
	buffer_store_dword v2, off, s[0:3], 0 offset:260
	buffer_store_dword v1, off, s[0:3], 0 offset:256
	;; [unrolled: 1-line block ×4, first 2 shown]
.LBB60_967:
	s_or_b32 exec_lo, exec_lo, s4
	v_mov_b32_e32 v4, s53
	s_mov_b32 s4, exec_lo
	s_clause 0x3
	buffer_load_dword v1, v4, s[0:3], 0 offen
	buffer_load_dword v2, v4, s[0:3], 0 offen offset:4
	buffer_load_dword v3, v4, s[0:3], 0 offen offset:8
	;; [unrolled: 1-line block ×3, first 2 shown]
	s_waitcnt vmcnt(0)
	ds_write_b128 v40, v[1:4]
	s_waitcnt lgkmcnt(0)
	s_waitcnt_vscnt null, 0x0
	s_barrier
	buffer_gl0_inv
	v_cmpx_gt_u32_e32 17, v0
	s_cbranch_execz .LBB60_975
; %bb.968:
	ds_read_b128 v[1:4], v40
	v_cmp_ne_u32_e32 vcc_lo, 1, v41
	s_cbranch_vccnz .LBB60_970
; %bb.969:
	s_clause 0x3
	buffer_load_dword v42, v39, s[0:3], 0 offen offset:8
	buffer_load_dword v43, v39, s[0:3], 0 offen offset:12
	buffer_load_dword v44, v39, s[0:3], 0 offen
	buffer_load_dword v45, v39, s[0:3], 0 offen offset:4
	s_waitcnt vmcnt(2) lgkmcnt(0)
	v_mul_f64 v[46:47], v[3:4], v[42:43]
	v_mul_f64 v[42:43], v[1:2], v[42:43]
	s_waitcnt vmcnt(0)
	v_fma_f64 v[1:2], v[1:2], v[44:45], -v[46:47]
	v_fma_f64 v[3:4], v[3:4], v[44:45], v[42:43]
.LBB60_970:
	s_mov_b32 s5, exec_lo
	v_cmpx_ne_u32_e32 16, v0
	s_cbranch_execz .LBB60_974
; %bb.971:
	v_add_nc_u32_e32 v42, 0x3e0, v181
	v_add3_u32 v43, 0, v181, 16
	v_mov_b32_e32 v44, v0
	s_mov_b32 s6, 0
	.p2align	6
.LBB60_972:                             ; =>This Inner Loop Header: Depth=1
	s_clause 0x3
	buffer_load_dword v49, v43, s[0:3], 0 offen offset:8
	buffer_load_dword v50, v43, s[0:3], 0 offen offset:12
	buffer_load_dword v51, v43, s[0:3], 0 offen
	buffer_load_dword v52, v43, s[0:3], 0 offen offset:4
	ds_read_b128 v[45:48], v42
	v_add_nc_u32_e32 v44, 1, v44
	v_add_nc_u32_e32 v42, 16, v42
	;; [unrolled: 1-line block ×3, first 2 shown]
	v_cmp_lt_u32_e32 vcc_lo, 15, v44
	s_or_b32 s6, vcc_lo, s6
	s_waitcnt vmcnt(2) lgkmcnt(0)
	v_mul_f64 v[53:54], v[47:48], v[49:50]
	v_mul_f64 v[49:50], v[45:46], v[49:50]
	s_waitcnt vmcnt(0)
	v_fma_f64 v[45:46], v[45:46], v[51:52], -v[53:54]
	v_fma_f64 v[47:48], v[47:48], v[51:52], v[49:50]
	v_add_f64 v[1:2], v[1:2], v[45:46]
	v_add_f64 v[3:4], v[3:4], v[47:48]
	s_andn2_b32 exec_lo, exec_lo, s6
	s_cbranch_execnz .LBB60_972
; %bb.973:
	s_or_b32 exec_lo, exec_lo, s6
.LBB60_974:
	s_or_b32 exec_lo, exec_lo, s5
	v_mov_b32_e32 v42, 0
	ds_read_b128 v[42:45], v42 offset:272
	s_waitcnt lgkmcnt(0)
	v_mul_f64 v[46:47], v[3:4], v[44:45]
	v_mul_f64 v[44:45], v[1:2], v[44:45]
	v_fma_f64 v[1:2], v[1:2], v[42:43], -v[46:47]
	v_fma_f64 v[3:4], v[3:4], v[42:43], v[44:45]
	buffer_store_dword v2, off, s[0:3], 0 offset:276
	buffer_store_dword v1, off, s[0:3], 0 offset:272
	;; [unrolled: 1-line block ×4, first 2 shown]
.LBB60_975:
	s_or_b32 exec_lo, exec_lo, s4
	v_mov_b32_e32 v4, s52
	s_mov_b32 s4, exec_lo
	s_clause 0x3
	buffer_load_dword v1, v4, s[0:3], 0 offen
	buffer_load_dword v2, v4, s[0:3], 0 offen offset:4
	buffer_load_dword v3, v4, s[0:3], 0 offen offset:8
	;; [unrolled: 1-line block ×3, first 2 shown]
	s_waitcnt vmcnt(0)
	ds_write_b128 v40, v[1:4]
	s_waitcnt lgkmcnt(0)
	s_waitcnt_vscnt null, 0x0
	s_barrier
	buffer_gl0_inv
	v_cmpx_gt_u32_e32 18, v0
	s_cbranch_execz .LBB60_983
; %bb.976:
	ds_read_b128 v[1:4], v40
	v_cmp_ne_u32_e32 vcc_lo, 1, v41
	s_cbranch_vccnz .LBB60_978
; %bb.977:
	s_clause 0x3
	buffer_load_dword v42, v39, s[0:3], 0 offen offset:8
	buffer_load_dword v43, v39, s[0:3], 0 offen offset:12
	buffer_load_dword v44, v39, s[0:3], 0 offen
	buffer_load_dword v45, v39, s[0:3], 0 offen offset:4
	s_waitcnt vmcnt(2) lgkmcnt(0)
	v_mul_f64 v[46:47], v[3:4], v[42:43]
	v_mul_f64 v[42:43], v[1:2], v[42:43]
	s_waitcnt vmcnt(0)
	v_fma_f64 v[1:2], v[1:2], v[44:45], -v[46:47]
	v_fma_f64 v[3:4], v[3:4], v[44:45], v[42:43]
.LBB60_978:
	s_mov_b32 s5, exec_lo
	v_cmpx_ne_u32_e32 17, v0
	s_cbranch_execz .LBB60_982
; %bb.979:
	v_add_nc_u32_e32 v42, 0x3e0, v181
	v_add3_u32 v43, 0, v181, 16
	v_mov_b32_e32 v44, v0
	s_mov_b32 s6, 0
	.p2align	6
.LBB60_980:                             ; =>This Inner Loop Header: Depth=1
	s_clause 0x3
	buffer_load_dword v49, v43, s[0:3], 0 offen offset:8
	buffer_load_dword v50, v43, s[0:3], 0 offen offset:12
	buffer_load_dword v51, v43, s[0:3], 0 offen
	buffer_load_dword v52, v43, s[0:3], 0 offen offset:4
	ds_read_b128 v[45:48], v42
	v_add_nc_u32_e32 v44, 1, v44
	v_add_nc_u32_e32 v42, 16, v42
	;; [unrolled: 1-line block ×3, first 2 shown]
	v_cmp_lt_u32_e32 vcc_lo, 16, v44
	s_or_b32 s6, vcc_lo, s6
	s_waitcnt vmcnt(2) lgkmcnt(0)
	v_mul_f64 v[53:54], v[47:48], v[49:50]
	v_mul_f64 v[49:50], v[45:46], v[49:50]
	s_waitcnt vmcnt(0)
	v_fma_f64 v[45:46], v[45:46], v[51:52], -v[53:54]
	v_fma_f64 v[47:48], v[47:48], v[51:52], v[49:50]
	v_add_f64 v[1:2], v[1:2], v[45:46]
	v_add_f64 v[3:4], v[3:4], v[47:48]
	s_andn2_b32 exec_lo, exec_lo, s6
	s_cbranch_execnz .LBB60_980
; %bb.981:
	s_or_b32 exec_lo, exec_lo, s6
.LBB60_982:
	s_or_b32 exec_lo, exec_lo, s5
	v_mov_b32_e32 v42, 0
	ds_read_b128 v[42:45], v42 offset:288
	s_waitcnt lgkmcnt(0)
	v_mul_f64 v[46:47], v[3:4], v[44:45]
	v_mul_f64 v[44:45], v[1:2], v[44:45]
	v_fma_f64 v[1:2], v[1:2], v[42:43], -v[46:47]
	v_fma_f64 v[3:4], v[3:4], v[42:43], v[44:45]
	buffer_store_dword v2, off, s[0:3], 0 offset:292
	buffer_store_dword v1, off, s[0:3], 0 offset:288
	;; [unrolled: 1-line block ×4, first 2 shown]
.LBB60_983:
	s_or_b32 exec_lo, exec_lo, s4
	v_mov_b32_e32 v4, s51
	s_mov_b32 s4, exec_lo
	s_clause 0x3
	buffer_load_dword v1, v4, s[0:3], 0 offen
	buffer_load_dword v2, v4, s[0:3], 0 offen offset:4
	buffer_load_dword v3, v4, s[0:3], 0 offen offset:8
	;; [unrolled: 1-line block ×3, first 2 shown]
	s_waitcnt vmcnt(0)
	ds_write_b128 v40, v[1:4]
	s_waitcnt lgkmcnt(0)
	s_waitcnt_vscnt null, 0x0
	s_barrier
	buffer_gl0_inv
	v_cmpx_gt_u32_e32 19, v0
	s_cbranch_execz .LBB60_991
; %bb.984:
	ds_read_b128 v[1:4], v40
	v_cmp_ne_u32_e32 vcc_lo, 1, v41
	s_cbranch_vccnz .LBB60_986
; %bb.985:
	s_clause 0x3
	buffer_load_dword v42, v39, s[0:3], 0 offen offset:8
	buffer_load_dword v43, v39, s[0:3], 0 offen offset:12
	buffer_load_dword v44, v39, s[0:3], 0 offen
	buffer_load_dword v45, v39, s[0:3], 0 offen offset:4
	s_waitcnt vmcnt(2) lgkmcnt(0)
	v_mul_f64 v[46:47], v[3:4], v[42:43]
	v_mul_f64 v[42:43], v[1:2], v[42:43]
	s_waitcnt vmcnt(0)
	v_fma_f64 v[1:2], v[1:2], v[44:45], -v[46:47]
	v_fma_f64 v[3:4], v[3:4], v[44:45], v[42:43]
.LBB60_986:
	s_mov_b32 s5, exec_lo
	v_cmpx_ne_u32_e32 18, v0
	s_cbranch_execz .LBB60_990
; %bb.987:
	v_add_nc_u32_e32 v42, 0x3e0, v181
	v_add3_u32 v43, 0, v181, 16
	v_mov_b32_e32 v44, v0
	s_mov_b32 s6, 0
	.p2align	6
.LBB60_988:                             ; =>This Inner Loop Header: Depth=1
	s_clause 0x3
	buffer_load_dword v49, v43, s[0:3], 0 offen offset:8
	buffer_load_dword v50, v43, s[0:3], 0 offen offset:12
	buffer_load_dword v51, v43, s[0:3], 0 offen
	buffer_load_dword v52, v43, s[0:3], 0 offen offset:4
	ds_read_b128 v[45:48], v42
	v_add_nc_u32_e32 v44, 1, v44
	v_add_nc_u32_e32 v42, 16, v42
	v_add_nc_u32_e32 v43, 16, v43
	v_cmp_lt_u32_e32 vcc_lo, 17, v44
	s_or_b32 s6, vcc_lo, s6
	s_waitcnt vmcnt(2) lgkmcnt(0)
	v_mul_f64 v[53:54], v[47:48], v[49:50]
	v_mul_f64 v[49:50], v[45:46], v[49:50]
	s_waitcnt vmcnt(0)
	v_fma_f64 v[45:46], v[45:46], v[51:52], -v[53:54]
	v_fma_f64 v[47:48], v[47:48], v[51:52], v[49:50]
	v_add_f64 v[1:2], v[1:2], v[45:46]
	v_add_f64 v[3:4], v[3:4], v[47:48]
	s_andn2_b32 exec_lo, exec_lo, s6
	s_cbranch_execnz .LBB60_988
; %bb.989:
	s_or_b32 exec_lo, exec_lo, s6
.LBB60_990:
	s_or_b32 exec_lo, exec_lo, s5
	v_mov_b32_e32 v42, 0
	ds_read_b128 v[42:45], v42 offset:304
	s_waitcnt lgkmcnt(0)
	v_mul_f64 v[46:47], v[3:4], v[44:45]
	v_mul_f64 v[44:45], v[1:2], v[44:45]
	v_fma_f64 v[1:2], v[1:2], v[42:43], -v[46:47]
	v_fma_f64 v[3:4], v[3:4], v[42:43], v[44:45]
	buffer_store_dword v2, off, s[0:3], 0 offset:308
	buffer_store_dword v1, off, s[0:3], 0 offset:304
	;; [unrolled: 1-line block ×4, first 2 shown]
.LBB60_991:
	s_or_b32 exec_lo, exec_lo, s4
	v_mov_b32_e32 v4, s50
	s_mov_b32 s4, exec_lo
	s_clause 0x3
	buffer_load_dword v1, v4, s[0:3], 0 offen
	buffer_load_dword v2, v4, s[0:3], 0 offen offset:4
	buffer_load_dword v3, v4, s[0:3], 0 offen offset:8
	;; [unrolled: 1-line block ×3, first 2 shown]
	s_waitcnt vmcnt(0)
	ds_write_b128 v40, v[1:4]
	s_waitcnt lgkmcnt(0)
	s_waitcnt_vscnt null, 0x0
	s_barrier
	buffer_gl0_inv
	v_cmpx_gt_u32_e32 20, v0
	s_cbranch_execz .LBB60_999
; %bb.992:
	ds_read_b128 v[1:4], v40
	v_cmp_ne_u32_e32 vcc_lo, 1, v41
	s_cbranch_vccnz .LBB60_994
; %bb.993:
	s_clause 0x3
	buffer_load_dword v42, v39, s[0:3], 0 offen offset:8
	buffer_load_dword v43, v39, s[0:3], 0 offen offset:12
	buffer_load_dword v44, v39, s[0:3], 0 offen
	buffer_load_dword v45, v39, s[0:3], 0 offen offset:4
	s_waitcnt vmcnt(2) lgkmcnt(0)
	v_mul_f64 v[46:47], v[3:4], v[42:43]
	v_mul_f64 v[42:43], v[1:2], v[42:43]
	s_waitcnt vmcnt(0)
	v_fma_f64 v[1:2], v[1:2], v[44:45], -v[46:47]
	v_fma_f64 v[3:4], v[3:4], v[44:45], v[42:43]
.LBB60_994:
	s_mov_b32 s5, exec_lo
	v_cmpx_ne_u32_e32 19, v0
	s_cbranch_execz .LBB60_998
; %bb.995:
	v_add_nc_u32_e32 v42, 0x3e0, v181
	v_add3_u32 v43, 0, v181, 16
	v_mov_b32_e32 v44, v0
	s_mov_b32 s6, 0
	.p2align	6
.LBB60_996:                             ; =>This Inner Loop Header: Depth=1
	s_clause 0x3
	buffer_load_dword v49, v43, s[0:3], 0 offen offset:8
	buffer_load_dword v50, v43, s[0:3], 0 offen offset:12
	buffer_load_dword v51, v43, s[0:3], 0 offen
	buffer_load_dword v52, v43, s[0:3], 0 offen offset:4
	ds_read_b128 v[45:48], v42
	v_add_nc_u32_e32 v44, 1, v44
	v_add_nc_u32_e32 v42, 16, v42
	;; [unrolled: 1-line block ×3, first 2 shown]
	v_cmp_lt_u32_e32 vcc_lo, 18, v44
	s_or_b32 s6, vcc_lo, s6
	s_waitcnt vmcnt(2) lgkmcnt(0)
	v_mul_f64 v[53:54], v[47:48], v[49:50]
	v_mul_f64 v[49:50], v[45:46], v[49:50]
	s_waitcnt vmcnt(0)
	v_fma_f64 v[45:46], v[45:46], v[51:52], -v[53:54]
	v_fma_f64 v[47:48], v[47:48], v[51:52], v[49:50]
	v_add_f64 v[1:2], v[1:2], v[45:46]
	v_add_f64 v[3:4], v[3:4], v[47:48]
	s_andn2_b32 exec_lo, exec_lo, s6
	s_cbranch_execnz .LBB60_996
; %bb.997:
	s_or_b32 exec_lo, exec_lo, s6
.LBB60_998:
	s_or_b32 exec_lo, exec_lo, s5
	v_mov_b32_e32 v42, 0
	ds_read_b128 v[42:45], v42 offset:320
	s_waitcnt lgkmcnt(0)
	v_mul_f64 v[46:47], v[3:4], v[44:45]
	v_mul_f64 v[44:45], v[1:2], v[44:45]
	v_fma_f64 v[1:2], v[1:2], v[42:43], -v[46:47]
	v_fma_f64 v[3:4], v[3:4], v[42:43], v[44:45]
	buffer_store_dword v2, off, s[0:3], 0 offset:324
	buffer_store_dword v1, off, s[0:3], 0 offset:320
	;; [unrolled: 1-line block ×4, first 2 shown]
.LBB60_999:
	s_or_b32 exec_lo, exec_lo, s4
	v_mov_b32_e32 v4, s49
	s_mov_b32 s4, exec_lo
	s_clause 0x3
	buffer_load_dword v1, v4, s[0:3], 0 offen
	buffer_load_dword v2, v4, s[0:3], 0 offen offset:4
	buffer_load_dword v3, v4, s[0:3], 0 offen offset:8
	;; [unrolled: 1-line block ×3, first 2 shown]
	s_waitcnt vmcnt(0)
	ds_write_b128 v40, v[1:4]
	s_waitcnt lgkmcnt(0)
	s_waitcnt_vscnt null, 0x0
	s_barrier
	buffer_gl0_inv
	v_cmpx_gt_u32_e32 21, v0
	s_cbranch_execz .LBB60_1007
; %bb.1000:
	ds_read_b128 v[1:4], v40
	v_cmp_ne_u32_e32 vcc_lo, 1, v41
	s_cbranch_vccnz .LBB60_1002
; %bb.1001:
	s_clause 0x3
	buffer_load_dword v42, v39, s[0:3], 0 offen offset:8
	buffer_load_dword v43, v39, s[0:3], 0 offen offset:12
	buffer_load_dword v44, v39, s[0:3], 0 offen
	buffer_load_dword v45, v39, s[0:3], 0 offen offset:4
	s_waitcnt vmcnt(2) lgkmcnt(0)
	v_mul_f64 v[46:47], v[3:4], v[42:43]
	v_mul_f64 v[42:43], v[1:2], v[42:43]
	s_waitcnt vmcnt(0)
	v_fma_f64 v[1:2], v[1:2], v[44:45], -v[46:47]
	v_fma_f64 v[3:4], v[3:4], v[44:45], v[42:43]
.LBB60_1002:
	s_mov_b32 s5, exec_lo
	v_cmpx_ne_u32_e32 20, v0
	s_cbranch_execz .LBB60_1006
; %bb.1003:
	v_add_nc_u32_e32 v42, 0x3e0, v181
	v_add3_u32 v43, 0, v181, 16
	v_mov_b32_e32 v44, v0
	s_mov_b32 s6, 0
	.p2align	6
.LBB60_1004:                            ; =>This Inner Loop Header: Depth=1
	s_clause 0x3
	buffer_load_dword v49, v43, s[0:3], 0 offen offset:8
	buffer_load_dword v50, v43, s[0:3], 0 offen offset:12
	buffer_load_dword v51, v43, s[0:3], 0 offen
	buffer_load_dword v52, v43, s[0:3], 0 offen offset:4
	ds_read_b128 v[45:48], v42
	v_add_nc_u32_e32 v44, 1, v44
	v_add_nc_u32_e32 v42, 16, v42
	;; [unrolled: 1-line block ×3, first 2 shown]
	v_cmp_lt_u32_e32 vcc_lo, 19, v44
	s_or_b32 s6, vcc_lo, s6
	s_waitcnt vmcnt(2) lgkmcnt(0)
	v_mul_f64 v[53:54], v[47:48], v[49:50]
	v_mul_f64 v[49:50], v[45:46], v[49:50]
	s_waitcnt vmcnt(0)
	v_fma_f64 v[45:46], v[45:46], v[51:52], -v[53:54]
	v_fma_f64 v[47:48], v[47:48], v[51:52], v[49:50]
	v_add_f64 v[1:2], v[1:2], v[45:46]
	v_add_f64 v[3:4], v[3:4], v[47:48]
	s_andn2_b32 exec_lo, exec_lo, s6
	s_cbranch_execnz .LBB60_1004
; %bb.1005:
	s_or_b32 exec_lo, exec_lo, s6
.LBB60_1006:
	s_or_b32 exec_lo, exec_lo, s5
	v_mov_b32_e32 v42, 0
	ds_read_b128 v[42:45], v42 offset:336
	s_waitcnt lgkmcnt(0)
	v_mul_f64 v[46:47], v[3:4], v[44:45]
	v_mul_f64 v[44:45], v[1:2], v[44:45]
	v_fma_f64 v[1:2], v[1:2], v[42:43], -v[46:47]
	v_fma_f64 v[3:4], v[3:4], v[42:43], v[44:45]
	buffer_store_dword v2, off, s[0:3], 0 offset:340
	buffer_store_dword v1, off, s[0:3], 0 offset:336
	;; [unrolled: 1-line block ×4, first 2 shown]
.LBB60_1007:
	s_or_b32 exec_lo, exec_lo, s4
	v_mov_b32_e32 v4, s48
	s_mov_b32 s4, exec_lo
	s_clause 0x3
	buffer_load_dword v1, v4, s[0:3], 0 offen
	buffer_load_dword v2, v4, s[0:3], 0 offen offset:4
	buffer_load_dword v3, v4, s[0:3], 0 offen offset:8
	;; [unrolled: 1-line block ×3, first 2 shown]
	s_waitcnt vmcnt(0)
	ds_write_b128 v40, v[1:4]
	s_waitcnt lgkmcnt(0)
	s_waitcnt_vscnt null, 0x0
	s_barrier
	buffer_gl0_inv
	v_cmpx_gt_u32_e32 22, v0
	s_cbranch_execz .LBB60_1015
; %bb.1008:
	ds_read_b128 v[1:4], v40
	v_cmp_ne_u32_e32 vcc_lo, 1, v41
	s_cbranch_vccnz .LBB60_1010
; %bb.1009:
	s_clause 0x3
	buffer_load_dword v42, v39, s[0:3], 0 offen offset:8
	buffer_load_dword v43, v39, s[0:3], 0 offen offset:12
	buffer_load_dword v44, v39, s[0:3], 0 offen
	buffer_load_dword v45, v39, s[0:3], 0 offen offset:4
	s_waitcnt vmcnt(2) lgkmcnt(0)
	v_mul_f64 v[46:47], v[3:4], v[42:43]
	v_mul_f64 v[42:43], v[1:2], v[42:43]
	s_waitcnt vmcnt(0)
	v_fma_f64 v[1:2], v[1:2], v[44:45], -v[46:47]
	v_fma_f64 v[3:4], v[3:4], v[44:45], v[42:43]
.LBB60_1010:
	s_mov_b32 s5, exec_lo
	v_cmpx_ne_u32_e32 21, v0
	s_cbranch_execz .LBB60_1014
; %bb.1011:
	v_add_nc_u32_e32 v42, 0x3e0, v181
	v_add3_u32 v43, 0, v181, 16
	v_mov_b32_e32 v44, v0
	s_mov_b32 s6, 0
	.p2align	6
.LBB60_1012:                            ; =>This Inner Loop Header: Depth=1
	s_clause 0x3
	buffer_load_dword v49, v43, s[0:3], 0 offen offset:8
	buffer_load_dword v50, v43, s[0:3], 0 offen offset:12
	buffer_load_dword v51, v43, s[0:3], 0 offen
	buffer_load_dword v52, v43, s[0:3], 0 offen offset:4
	ds_read_b128 v[45:48], v42
	v_add_nc_u32_e32 v44, 1, v44
	v_add_nc_u32_e32 v42, 16, v42
	;; [unrolled: 1-line block ×3, first 2 shown]
	v_cmp_lt_u32_e32 vcc_lo, 20, v44
	s_or_b32 s6, vcc_lo, s6
	s_waitcnt vmcnt(2) lgkmcnt(0)
	v_mul_f64 v[53:54], v[47:48], v[49:50]
	v_mul_f64 v[49:50], v[45:46], v[49:50]
	s_waitcnt vmcnt(0)
	v_fma_f64 v[45:46], v[45:46], v[51:52], -v[53:54]
	v_fma_f64 v[47:48], v[47:48], v[51:52], v[49:50]
	v_add_f64 v[1:2], v[1:2], v[45:46]
	v_add_f64 v[3:4], v[3:4], v[47:48]
	s_andn2_b32 exec_lo, exec_lo, s6
	s_cbranch_execnz .LBB60_1012
; %bb.1013:
	s_or_b32 exec_lo, exec_lo, s6
.LBB60_1014:
	s_or_b32 exec_lo, exec_lo, s5
	v_mov_b32_e32 v42, 0
	ds_read_b128 v[42:45], v42 offset:352
	s_waitcnt lgkmcnt(0)
	v_mul_f64 v[46:47], v[3:4], v[44:45]
	v_mul_f64 v[44:45], v[1:2], v[44:45]
	v_fma_f64 v[1:2], v[1:2], v[42:43], -v[46:47]
	v_fma_f64 v[3:4], v[3:4], v[42:43], v[44:45]
	buffer_store_dword v2, off, s[0:3], 0 offset:356
	buffer_store_dword v1, off, s[0:3], 0 offset:352
	;; [unrolled: 1-line block ×4, first 2 shown]
.LBB60_1015:
	s_or_b32 exec_lo, exec_lo, s4
	v_mov_b32_e32 v4, s47
	s_mov_b32 s4, exec_lo
	s_clause 0x3
	buffer_load_dword v1, v4, s[0:3], 0 offen
	buffer_load_dword v2, v4, s[0:3], 0 offen offset:4
	buffer_load_dword v3, v4, s[0:3], 0 offen offset:8
	;; [unrolled: 1-line block ×3, first 2 shown]
	s_waitcnt vmcnt(0)
	ds_write_b128 v40, v[1:4]
	s_waitcnt lgkmcnt(0)
	s_waitcnt_vscnt null, 0x0
	s_barrier
	buffer_gl0_inv
	v_cmpx_gt_u32_e32 23, v0
	s_cbranch_execz .LBB60_1023
; %bb.1016:
	ds_read_b128 v[1:4], v40
	v_cmp_ne_u32_e32 vcc_lo, 1, v41
	s_cbranch_vccnz .LBB60_1018
; %bb.1017:
	s_clause 0x3
	buffer_load_dword v42, v39, s[0:3], 0 offen offset:8
	buffer_load_dword v43, v39, s[0:3], 0 offen offset:12
	buffer_load_dword v44, v39, s[0:3], 0 offen
	buffer_load_dword v45, v39, s[0:3], 0 offen offset:4
	s_waitcnt vmcnt(2) lgkmcnt(0)
	v_mul_f64 v[46:47], v[3:4], v[42:43]
	v_mul_f64 v[42:43], v[1:2], v[42:43]
	s_waitcnt vmcnt(0)
	v_fma_f64 v[1:2], v[1:2], v[44:45], -v[46:47]
	v_fma_f64 v[3:4], v[3:4], v[44:45], v[42:43]
.LBB60_1018:
	s_mov_b32 s5, exec_lo
	v_cmpx_ne_u32_e32 22, v0
	s_cbranch_execz .LBB60_1022
; %bb.1019:
	v_add_nc_u32_e32 v42, 0x3e0, v181
	v_add3_u32 v43, 0, v181, 16
	v_mov_b32_e32 v44, v0
	s_mov_b32 s6, 0
	.p2align	6
.LBB60_1020:                            ; =>This Inner Loop Header: Depth=1
	s_clause 0x3
	buffer_load_dword v49, v43, s[0:3], 0 offen offset:8
	buffer_load_dword v50, v43, s[0:3], 0 offen offset:12
	buffer_load_dword v51, v43, s[0:3], 0 offen
	buffer_load_dword v52, v43, s[0:3], 0 offen offset:4
	ds_read_b128 v[45:48], v42
	v_add_nc_u32_e32 v44, 1, v44
	v_add_nc_u32_e32 v42, 16, v42
	;; [unrolled: 1-line block ×3, first 2 shown]
	v_cmp_lt_u32_e32 vcc_lo, 21, v44
	s_or_b32 s6, vcc_lo, s6
	s_waitcnt vmcnt(2) lgkmcnt(0)
	v_mul_f64 v[53:54], v[47:48], v[49:50]
	v_mul_f64 v[49:50], v[45:46], v[49:50]
	s_waitcnt vmcnt(0)
	v_fma_f64 v[45:46], v[45:46], v[51:52], -v[53:54]
	v_fma_f64 v[47:48], v[47:48], v[51:52], v[49:50]
	v_add_f64 v[1:2], v[1:2], v[45:46]
	v_add_f64 v[3:4], v[3:4], v[47:48]
	s_andn2_b32 exec_lo, exec_lo, s6
	s_cbranch_execnz .LBB60_1020
; %bb.1021:
	s_or_b32 exec_lo, exec_lo, s6
.LBB60_1022:
	s_or_b32 exec_lo, exec_lo, s5
	v_mov_b32_e32 v42, 0
	ds_read_b128 v[42:45], v42 offset:368
	s_waitcnt lgkmcnt(0)
	v_mul_f64 v[46:47], v[3:4], v[44:45]
	v_mul_f64 v[44:45], v[1:2], v[44:45]
	v_fma_f64 v[1:2], v[1:2], v[42:43], -v[46:47]
	v_fma_f64 v[3:4], v[3:4], v[42:43], v[44:45]
	buffer_store_dword v2, off, s[0:3], 0 offset:372
	buffer_store_dword v1, off, s[0:3], 0 offset:368
	;; [unrolled: 1-line block ×4, first 2 shown]
.LBB60_1023:
	s_or_b32 exec_lo, exec_lo, s4
	v_mov_b32_e32 v4, s46
	s_mov_b32 s4, exec_lo
	s_clause 0x3
	buffer_load_dword v1, v4, s[0:3], 0 offen
	buffer_load_dword v2, v4, s[0:3], 0 offen offset:4
	buffer_load_dword v3, v4, s[0:3], 0 offen offset:8
	;; [unrolled: 1-line block ×3, first 2 shown]
	s_waitcnt vmcnt(0)
	ds_write_b128 v40, v[1:4]
	s_waitcnt lgkmcnt(0)
	s_waitcnt_vscnt null, 0x0
	s_barrier
	buffer_gl0_inv
	v_cmpx_gt_u32_e32 24, v0
	s_cbranch_execz .LBB60_1031
; %bb.1024:
	ds_read_b128 v[1:4], v40
	v_cmp_ne_u32_e32 vcc_lo, 1, v41
	s_cbranch_vccnz .LBB60_1026
; %bb.1025:
	s_clause 0x3
	buffer_load_dword v42, v39, s[0:3], 0 offen offset:8
	buffer_load_dword v43, v39, s[0:3], 0 offen offset:12
	buffer_load_dword v44, v39, s[0:3], 0 offen
	buffer_load_dword v45, v39, s[0:3], 0 offen offset:4
	s_waitcnt vmcnt(2) lgkmcnt(0)
	v_mul_f64 v[46:47], v[3:4], v[42:43]
	v_mul_f64 v[42:43], v[1:2], v[42:43]
	s_waitcnt vmcnt(0)
	v_fma_f64 v[1:2], v[1:2], v[44:45], -v[46:47]
	v_fma_f64 v[3:4], v[3:4], v[44:45], v[42:43]
.LBB60_1026:
	s_mov_b32 s5, exec_lo
	v_cmpx_ne_u32_e32 23, v0
	s_cbranch_execz .LBB60_1030
; %bb.1027:
	v_add_nc_u32_e32 v42, 0x3e0, v181
	v_add3_u32 v43, 0, v181, 16
	v_mov_b32_e32 v44, v0
	s_mov_b32 s6, 0
	.p2align	6
.LBB60_1028:                            ; =>This Inner Loop Header: Depth=1
	s_clause 0x3
	buffer_load_dword v49, v43, s[0:3], 0 offen offset:8
	buffer_load_dword v50, v43, s[0:3], 0 offen offset:12
	buffer_load_dword v51, v43, s[0:3], 0 offen
	buffer_load_dword v52, v43, s[0:3], 0 offen offset:4
	ds_read_b128 v[45:48], v42
	v_add_nc_u32_e32 v44, 1, v44
	v_add_nc_u32_e32 v42, 16, v42
	;; [unrolled: 1-line block ×3, first 2 shown]
	v_cmp_lt_u32_e32 vcc_lo, 22, v44
	s_or_b32 s6, vcc_lo, s6
	s_waitcnt vmcnt(2) lgkmcnt(0)
	v_mul_f64 v[53:54], v[47:48], v[49:50]
	v_mul_f64 v[49:50], v[45:46], v[49:50]
	s_waitcnt vmcnt(0)
	v_fma_f64 v[45:46], v[45:46], v[51:52], -v[53:54]
	v_fma_f64 v[47:48], v[47:48], v[51:52], v[49:50]
	v_add_f64 v[1:2], v[1:2], v[45:46]
	v_add_f64 v[3:4], v[3:4], v[47:48]
	s_andn2_b32 exec_lo, exec_lo, s6
	s_cbranch_execnz .LBB60_1028
; %bb.1029:
	s_or_b32 exec_lo, exec_lo, s6
.LBB60_1030:
	s_or_b32 exec_lo, exec_lo, s5
	v_mov_b32_e32 v42, 0
	ds_read_b128 v[42:45], v42 offset:384
	s_waitcnt lgkmcnt(0)
	v_mul_f64 v[46:47], v[3:4], v[44:45]
	v_mul_f64 v[44:45], v[1:2], v[44:45]
	v_fma_f64 v[1:2], v[1:2], v[42:43], -v[46:47]
	v_fma_f64 v[3:4], v[3:4], v[42:43], v[44:45]
	buffer_store_dword v2, off, s[0:3], 0 offset:388
	buffer_store_dword v1, off, s[0:3], 0 offset:384
	;; [unrolled: 1-line block ×4, first 2 shown]
.LBB60_1031:
	s_or_b32 exec_lo, exec_lo, s4
	v_mov_b32_e32 v4, s45
	s_mov_b32 s4, exec_lo
	s_clause 0x3
	buffer_load_dword v1, v4, s[0:3], 0 offen
	buffer_load_dword v2, v4, s[0:3], 0 offen offset:4
	buffer_load_dword v3, v4, s[0:3], 0 offen offset:8
	;; [unrolled: 1-line block ×3, first 2 shown]
	s_waitcnt vmcnt(0)
	ds_write_b128 v40, v[1:4]
	s_waitcnt lgkmcnt(0)
	s_waitcnt_vscnt null, 0x0
	s_barrier
	buffer_gl0_inv
	v_cmpx_gt_u32_e32 25, v0
	s_cbranch_execz .LBB60_1039
; %bb.1032:
	ds_read_b128 v[1:4], v40
	v_cmp_ne_u32_e32 vcc_lo, 1, v41
	s_cbranch_vccnz .LBB60_1034
; %bb.1033:
	s_clause 0x3
	buffer_load_dword v42, v39, s[0:3], 0 offen offset:8
	buffer_load_dword v43, v39, s[0:3], 0 offen offset:12
	buffer_load_dword v44, v39, s[0:3], 0 offen
	buffer_load_dword v45, v39, s[0:3], 0 offen offset:4
	s_waitcnt vmcnt(2) lgkmcnt(0)
	v_mul_f64 v[46:47], v[3:4], v[42:43]
	v_mul_f64 v[42:43], v[1:2], v[42:43]
	s_waitcnt vmcnt(0)
	v_fma_f64 v[1:2], v[1:2], v[44:45], -v[46:47]
	v_fma_f64 v[3:4], v[3:4], v[44:45], v[42:43]
.LBB60_1034:
	s_mov_b32 s5, exec_lo
	v_cmpx_ne_u32_e32 24, v0
	s_cbranch_execz .LBB60_1038
; %bb.1035:
	v_add_nc_u32_e32 v42, 0x3e0, v181
	v_add3_u32 v43, 0, v181, 16
	v_mov_b32_e32 v44, v0
	s_mov_b32 s6, 0
	.p2align	6
.LBB60_1036:                            ; =>This Inner Loop Header: Depth=1
	s_clause 0x3
	buffer_load_dword v49, v43, s[0:3], 0 offen offset:8
	buffer_load_dword v50, v43, s[0:3], 0 offen offset:12
	buffer_load_dword v51, v43, s[0:3], 0 offen
	buffer_load_dword v52, v43, s[0:3], 0 offen offset:4
	ds_read_b128 v[45:48], v42
	v_add_nc_u32_e32 v44, 1, v44
	v_add_nc_u32_e32 v42, 16, v42
	;; [unrolled: 1-line block ×3, first 2 shown]
	v_cmp_lt_u32_e32 vcc_lo, 23, v44
	s_or_b32 s6, vcc_lo, s6
	s_waitcnt vmcnt(2) lgkmcnt(0)
	v_mul_f64 v[53:54], v[47:48], v[49:50]
	v_mul_f64 v[49:50], v[45:46], v[49:50]
	s_waitcnt vmcnt(0)
	v_fma_f64 v[45:46], v[45:46], v[51:52], -v[53:54]
	v_fma_f64 v[47:48], v[47:48], v[51:52], v[49:50]
	v_add_f64 v[1:2], v[1:2], v[45:46]
	v_add_f64 v[3:4], v[3:4], v[47:48]
	s_andn2_b32 exec_lo, exec_lo, s6
	s_cbranch_execnz .LBB60_1036
; %bb.1037:
	s_or_b32 exec_lo, exec_lo, s6
.LBB60_1038:
	s_or_b32 exec_lo, exec_lo, s5
	v_mov_b32_e32 v42, 0
	ds_read_b128 v[42:45], v42 offset:400
	s_waitcnt lgkmcnt(0)
	v_mul_f64 v[46:47], v[3:4], v[44:45]
	v_mul_f64 v[44:45], v[1:2], v[44:45]
	v_fma_f64 v[1:2], v[1:2], v[42:43], -v[46:47]
	v_fma_f64 v[3:4], v[3:4], v[42:43], v[44:45]
	buffer_store_dword v2, off, s[0:3], 0 offset:404
	buffer_store_dword v1, off, s[0:3], 0 offset:400
	;; [unrolled: 1-line block ×4, first 2 shown]
.LBB60_1039:
	s_or_b32 exec_lo, exec_lo, s4
	v_mov_b32_e32 v4, s44
	s_mov_b32 s4, exec_lo
	s_clause 0x3
	buffer_load_dword v1, v4, s[0:3], 0 offen
	buffer_load_dword v2, v4, s[0:3], 0 offen offset:4
	buffer_load_dword v3, v4, s[0:3], 0 offen offset:8
	;; [unrolled: 1-line block ×3, first 2 shown]
	s_waitcnt vmcnt(0)
	ds_write_b128 v40, v[1:4]
	s_waitcnt lgkmcnt(0)
	s_waitcnt_vscnt null, 0x0
	s_barrier
	buffer_gl0_inv
	v_cmpx_gt_u32_e32 26, v0
	s_cbranch_execz .LBB60_1047
; %bb.1040:
	ds_read_b128 v[1:4], v40
	v_cmp_ne_u32_e32 vcc_lo, 1, v41
	s_cbranch_vccnz .LBB60_1042
; %bb.1041:
	s_clause 0x3
	buffer_load_dword v42, v39, s[0:3], 0 offen offset:8
	buffer_load_dword v43, v39, s[0:3], 0 offen offset:12
	buffer_load_dword v44, v39, s[0:3], 0 offen
	buffer_load_dword v45, v39, s[0:3], 0 offen offset:4
	s_waitcnt vmcnt(2) lgkmcnt(0)
	v_mul_f64 v[46:47], v[3:4], v[42:43]
	v_mul_f64 v[42:43], v[1:2], v[42:43]
	s_waitcnt vmcnt(0)
	v_fma_f64 v[1:2], v[1:2], v[44:45], -v[46:47]
	v_fma_f64 v[3:4], v[3:4], v[44:45], v[42:43]
.LBB60_1042:
	s_mov_b32 s5, exec_lo
	v_cmpx_ne_u32_e32 25, v0
	s_cbranch_execz .LBB60_1046
; %bb.1043:
	v_add_nc_u32_e32 v42, 0x3e0, v181
	v_add3_u32 v43, 0, v181, 16
	v_mov_b32_e32 v44, v0
	s_mov_b32 s6, 0
	.p2align	6
.LBB60_1044:                            ; =>This Inner Loop Header: Depth=1
	s_clause 0x3
	buffer_load_dword v49, v43, s[0:3], 0 offen offset:8
	buffer_load_dword v50, v43, s[0:3], 0 offen offset:12
	buffer_load_dword v51, v43, s[0:3], 0 offen
	buffer_load_dword v52, v43, s[0:3], 0 offen offset:4
	ds_read_b128 v[45:48], v42
	v_add_nc_u32_e32 v44, 1, v44
	v_add_nc_u32_e32 v42, 16, v42
	;; [unrolled: 1-line block ×3, first 2 shown]
	v_cmp_lt_u32_e32 vcc_lo, 24, v44
	s_or_b32 s6, vcc_lo, s6
	s_waitcnt vmcnt(2) lgkmcnt(0)
	v_mul_f64 v[53:54], v[47:48], v[49:50]
	v_mul_f64 v[49:50], v[45:46], v[49:50]
	s_waitcnt vmcnt(0)
	v_fma_f64 v[45:46], v[45:46], v[51:52], -v[53:54]
	v_fma_f64 v[47:48], v[47:48], v[51:52], v[49:50]
	v_add_f64 v[1:2], v[1:2], v[45:46]
	v_add_f64 v[3:4], v[3:4], v[47:48]
	s_andn2_b32 exec_lo, exec_lo, s6
	s_cbranch_execnz .LBB60_1044
; %bb.1045:
	s_or_b32 exec_lo, exec_lo, s6
.LBB60_1046:
	s_or_b32 exec_lo, exec_lo, s5
	v_mov_b32_e32 v42, 0
	ds_read_b128 v[42:45], v42 offset:416
	s_waitcnt lgkmcnt(0)
	v_mul_f64 v[46:47], v[3:4], v[44:45]
	v_mul_f64 v[44:45], v[1:2], v[44:45]
	v_fma_f64 v[1:2], v[1:2], v[42:43], -v[46:47]
	v_fma_f64 v[3:4], v[3:4], v[42:43], v[44:45]
	buffer_store_dword v2, off, s[0:3], 0 offset:420
	buffer_store_dword v1, off, s[0:3], 0 offset:416
	;; [unrolled: 1-line block ×4, first 2 shown]
.LBB60_1047:
	s_or_b32 exec_lo, exec_lo, s4
	v_mov_b32_e32 v4, s43
	s_mov_b32 s4, exec_lo
	s_clause 0x3
	buffer_load_dword v1, v4, s[0:3], 0 offen
	buffer_load_dword v2, v4, s[0:3], 0 offen offset:4
	buffer_load_dword v3, v4, s[0:3], 0 offen offset:8
	buffer_load_dword v4, v4, s[0:3], 0 offen offset:12
	s_waitcnt vmcnt(0)
	ds_write_b128 v40, v[1:4]
	s_waitcnt lgkmcnt(0)
	s_waitcnt_vscnt null, 0x0
	s_barrier
	buffer_gl0_inv
	v_cmpx_gt_u32_e32 27, v0
	s_cbranch_execz .LBB60_1055
; %bb.1048:
	ds_read_b128 v[1:4], v40
	v_cmp_ne_u32_e32 vcc_lo, 1, v41
	s_cbranch_vccnz .LBB60_1050
; %bb.1049:
	s_clause 0x3
	buffer_load_dword v42, v39, s[0:3], 0 offen offset:8
	buffer_load_dword v43, v39, s[0:3], 0 offen offset:12
	buffer_load_dword v44, v39, s[0:3], 0 offen
	buffer_load_dword v45, v39, s[0:3], 0 offen offset:4
	s_waitcnt vmcnt(2) lgkmcnt(0)
	v_mul_f64 v[46:47], v[3:4], v[42:43]
	v_mul_f64 v[42:43], v[1:2], v[42:43]
	s_waitcnt vmcnt(0)
	v_fma_f64 v[1:2], v[1:2], v[44:45], -v[46:47]
	v_fma_f64 v[3:4], v[3:4], v[44:45], v[42:43]
.LBB60_1050:
	s_mov_b32 s5, exec_lo
	v_cmpx_ne_u32_e32 26, v0
	s_cbranch_execz .LBB60_1054
; %bb.1051:
	v_add_nc_u32_e32 v42, 0x3e0, v181
	v_add3_u32 v43, 0, v181, 16
	v_mov_b32_e32 v44, v0
	s_mov_b32 s6, 0
	.p2align	6
.LBB60_1052:                            ; =>This Inner Loop Header: Depth=1
	s_clause 0x3
	buffer_load_dword v49, v43, s[0:3], 0 offen offset:8
	buffer_load_dword v50, v43, s[0:3], 0 offen offset:12
	buffer_load_dword v51, v43, s[0:3], 0 offen
	buffer_load_dword v52, v43, s[0:3], 0 offen offset:4
	ds_read_b128 v[45:48], v42
	v_add_nc_u32_e32 v44, 1, v44
	v_add_nc_u32_e32 v42, 16, v42
	;; [unrolled: 1-line block ×3, first 2 shown]
	v_cmp_lt_u32_e32 vcc_lo, 25, v44
	s_or_b32 s6, vcc_lo, s6
	s_waitcnt vmcnt(2) lgkmcnt(0)
	v_mul_f64 v[53:54], v[47:48], v[49:50]
	v_mul_f64 v[49:50], v[45:46], v[49:50]
	s_waitcnt vmcnt(0)
	v_fma_f64 v[45:46], v[45:46], v[51:52], -v[53:54]
	v_fma_f64 v[47:48], v[47:48], v[51:52], v[49:50]
	v_add_f64 v[1:2], v[1:2], v[45:46]
	v_add_f64 v[3:4], v[3:4], v[47:48]
	s_andn2_b32 exec_lo, exec_lo, s6
	s_cbranch_execnz .LBB60_1052
; %bb.1053:
	s_or_b32 exec_lo, exec_lo, s6
.LBB60_1054:
	s_or_b32 exec_lo, exec_lo, s5
	v_mov_b32_e32 v42, 0
	ds_read_b128 v[42:45], v42 offset:432
	s_waitcnt lgkmcnt(0)
	v_mul_f64 v[46:47], v[3:4], v[44:45]
	v_mul_f64 v[44:45], v[1:2], v[44:45]
	v_fma_f64 v[1:2], v[1:2], v[42:43], -v[46:47]
	v_fma_f64 v[3:4], v[3:4], v[42:43], v[44:45]
	buffer_store_dword v2, off, s[0:3], 0 offset:436
	buffer_store_dword v1, off, s[0:3], 0 offset:432
	;; [unrolled: 1-line block ×4, first 2 shown]
.LBB60_1055:
	s_or_b32 exec_lo, exec_lo, s4
	v_mov_b32_e32 v4, s42
	s_mov_b32 s4, exec_lo
	s_clause 0x3
	buffer_load_dword v1, v4, s[0:3], 0 offen
	buffer_load_dword v2, v4, s[0:3], 0 offen offset:4
	buffer_load_dword v3, v4, s[0:3], 0 offen offset:8
	;; [unrolled: 1-line block ×3, first 2 shown]
	s_waitcnt vmcnt(0)
	ds_write_b128 v40, v[1:4]
	s_waitcnt lgkmcnt(0)
	s_waitcnt_vscnt null, 0x0
	s_barrier
	buffer_gl0_inv
	v_cmpx_gt_u32_e32 28, v0
	s_cbranch_execz .LBB60_1063
; %bb.1056:
	ds_read_b128 v[1:4], v40
	v_cmp_ne_u32_e32 vcc_lo, 1, v41
	s_cbranch_vccnz .LBB60_1058
; %bb.1057:
	s_clause 0x3
	buffer_load_dword v42, v39, s[0:3], 0 offen offset:8
	buffer_load_dword v43, v39, s[0:3], 0 offen offset:12
	buffer_load_dword v44, v39, s[0:3], 0 offen
	buffer_load_dword v45, v39, s[0:3], 0 offen offset:4
	s_waitcnt vmcnt(2) lgkmcnt(0)
	v_mul_f64 v[46:47], v[3:4], v[42:43]
	v_mul_f64 v[42:43], v[1:2], v[42:43]
	s_waitcnt vmcnt(0)
	v_fma_f64 v[1:2], v[1:2], v[44:45], -v[46:47]
	v_fma_f64 v[3:4], v[3:4], v[44:45], v[42:43]
.LBB60_1058:
	s_mov_b32 s5, exec_lo
	v_cmpx_ne_u32_e32 27, v0
	s_cbranch_execz .LBB60_1062
; %bb.1059:
	v_add_nc_u32_e32 v42, 0x3e0, v181
	v_add3_u32 v43, 0, v181, 16
	v_mov_b32_e32 v44, v0
	s_mov_b32 s6, 0
	.p2align	6
.LBB60_1060:                            ; =>This Inner Loop Header: Depth=1
	s_clause 0x3
	buffer_load_dword v49, v43, s[0:3], 0 offen offset:8
	buffer_load_dword v50, v43, s[0:3], 0 offen offset:12
	buffer_load_dword v51, v43, s[0:3], 0 offen
	buffer_load_dword v52, v43, s[0:3], 0 offen offset:4
	ds_read_b128 v[45:48], v42
	v_add_nc_u32_e32 v44, 1, v44
	v_add_nc_u32_e32 v42, 16, v42
	v_add_nc_u32_e32 v43, 16, v43
	v_cmp_lt_u32_e32 vcc_lo, 26, v44
	s_or_b32 s6, vcc_lo, s6
	s_waitcnt vmcnt(2) lgkmcnt(0)
	v_mul_f64 v[53:54], v[47:48], v[49:50]
	v_mul_f64 v[49:50], v[45:46], v[49:50]
	s_waitcnt vmcnt(0)
	v_fma_f64 v[45:46], v[45:46], v[51:52], -v[53:54]
	v_fma_f64 v[47:48], v[47:48], v[51:52], v[49:50]
	v_add_f64 v[1:2], v[1:2], v[45:46]
	v_add_f64 v[3:4], v[3:4], v[47:48]
	s_andn2_b32 exec_lo, exec_lo, s6
	s_cbranch_execnz .LBB60_1060
; %bb.1061:
	s_or_b32 exec_lo, exec_lo, s6
.LBB60_1062:
	s_or_b32 exec_lo, exec_lo, s5
	v_mov_b32_e32 v42, 0
	ds_read_b128 v[42:45], v42 offset:448
	s_waitcnt lgkmcnt(0)
	v_mul_f64 v[46:47], v[3:4], v[44:45]
	v_mul_f64 v[44:45], v[1:2], v[44:45]
	v_fma_f64 v[1:2], v[1:2], v[42:43], -v[46:47]
	v_fma_f64 v[3:4], v[3:4], v[42:43], v[44:45]
	buffer_store_dword v2, off, s[0:3], 0 offset:452
	buffer_store_dword v1, off, s[0:3], 0 offset:448
	;; [unrolled: 1-line block ×4, first 2 shown]
.LBB60_1063:
	s_or_b32 exec_lo, exec_lo, s4
	v_mov_b32_e32 v4, s41
	s_mov_b32 s4, exec_lo
	s_clause 0x3
	buffer_load_dword v1, v4, s[0:3], 0 offen
	buffer_load_dword v2, v4, s[0:3], 0 offen offset:4
	buffer_load_dword v3, v4, s[0:3], 0 offen offset:8
	;; [unrolled: 1-line block ×3, first 2 shown]
	s_waitcnt vmcnt(0)
	ds_write_b128 v40, v[1:4]
	s_waitcnt lgkmcnt(0)
	s_waitcnt_vscnt null, 0x0
	s_barrier
	buffer_gl0_inv
	v_cmpx_gt_u32_e32 29, v0
	s_cbranch_execz .LBB60_1071
; %bb.1064:
	ds_read_b128 v[1:4], v40
	v_cmp_ne_u32_e32 vcc_lo, 1, v41
	s_cbranch_vccnz .LBB60_1066
; %bb.1065:
	s_clause 0x3
	buffer_load_dword v42, v39, s[0:3], 0 offen offset:8
	buffer_load_dword v43, v39, s[0:3], 0 offen offset:12
	buffer_load_dword v44, v39, s[0:3], 0 offen
	buffer_load_dword v45, v39, s[0:3], 0 offen offset:4
	s_waitcnt vmcnt(2) lgkmcnt(0)
	v_mul_f64 v[46:47], v[3:4], v[42:43]
	v_mul_f64 v[42:43], v[1:2], v[42:43]
	s_waitcnt vmcnt(0)
	v_fma_f64 v[1:2], v[1:2], v[44:45], -v[46:47]
	v_fma_f64 v[3:4], v[3:4], v[44:45], v[42:43]
.LBB60_1066:
	s_mov_b32 s5, exec_lo
	v_cmpx_ne_u32_e32 28, v0
	s_cbranch_execz .LBB60_1070
; %bb.1067:
	v_add_nc_u32_e32 v42, 0x3e0, v181
	v_add3_u32 v43, 0, v181, 16
	v_mov_b32_e32 v44, v0
	s_mov_b32 s6, 0
	.p2align	6
.LBB60_1068:                            ; =>This Inner Loop Header: Depth=1
	s_clause 0x3
	buffer_load_dword v49, v43, s[0:3], 0 offen offset:8
	buffer_load_dword v50, v43, s[0:3], 0 offen offset:12
	buffer_load_dword v51, v43, s[0:3], 0 offen
	buffer_load_dword v52, v43, s[0:3], 0 offen offset:4
	ds_read_b128 v[45:48], v42
	v_add_nc_u32_e32 v44, 1, v44
	v_add_nc_u32_e32 v42, 16, v42
	;; [unrolled: 1-line block ×3, first 2 shown]
	v_cmp_lt_u32_e32 vcc_lo, 27, v44
	s_or_b32 s6, vcc_lo, s6
	s_waitcnt vmcnt(2) lgkmcnt(0)
	v_mul_f64 v[53:54], v[47:48], v[49:50]
	v_mul_f64 v[49:50], v[45:46], v[49:50]
	s_waitcnt vmcnt(0)
	v_fma_f64 v[45:46], v[45:46], v[51:52], -v[53:54]
	v_fma_f64 v[47:48], v[47:48], v[51:52], v[49:50]
	v_add_f64 v[1:2], v[1:2], v[45:46]
	v_add_f64 v[3:4], v[3:4], v[47:48]
	s_andn2_b32 exec_lo, exec_lo, s6
	s_cbranch_execnz .LBB60_1068
; %bb.1069:
	s_or_b32 exec_lo, exec_lo, s6
.LBB60_1070:
	s_or_b32 exec_lo, exec_lo, s5
	v_mov_b32_e32 v42, 0
	ds_read_b128 v[42:45], v42 offset:464
	s_waitcnt lgkmcnt(0)
	v_mul_f64 v[46:47], v[3:4], v[44:45]
	v_mul_f64 v[44:45], v[1:2], v[44:45]
	v_fma_f64 v[1:2], v[1:2], v[42:43], -v[46:47]
	v_fma_f64 v[3:4], v[3:4], v[42:43], v[44:45]
	buffer_store_dword v2, off, s[0:3], 0 offset:468
	buffer_store_dword v1, off, s[0:3], 0 offset:464
	;; [unrolled: 1-line block ×4, first 2 shown]
.LBB60_1071:
	s_or_b32 exec_lo, exec_lo, s4
	v_mov_b32_e32 v4, s40
	s_mov_b32 s4, exec_lo
	s_clause 0x3
	buffer_load_dword v1, v4, s[0:3], 0 offen
	buffer_load_dword v2, v4, s[0:3], 0 offen offset:4
	buffer_load_dword v3, v4, s[0:3], 0 offen offset:8
	;; [unrolled: 1-line block ×3, first 2 shown]
	s_waitcnt vmcnt(0)
	ds_write_b128 v40, v[1:4]
	s_waitcnt lgkmcnt(0)
	s_waitcnt_vscnt null, 0x0
	s_barrier
	buffer_gl0_inv
	v_cmpx_gt_u32_e32 30, v0
	s_cbranch_execz .LBB60_1079
; %bb.1072:
	ds_read_b128 v[1:4], v40
	v_cmp_ne_u32_e32 vcc_lo, 1, v41
	s_cbranch_vccnz .LBB60_1074
; %bb.1073:
	s_clause 0x3
	buffer_load_dword v42, v39, s[0:3], 0 offen offset:8
	buffer_load_dword v43, v39, s[0:3], 0 offen offset:12
	buffer_load_dword v44, v39, s[0:3], 0 offen
	buffer_load_dword v45, v39, s[0:3], 0 offen offset:4
	s_waitcnt vmcnt(2) lgkmcnt(0)
	v_mul_f64 v[46:47], v[3:4], v[42:43]
	v_mul_f64 v[42:43], v[1:2], v[42:43]
	s_waitcnt vmcnt(0)
	v_fma_f64 v[1:2], v[1:2], v[44:45], -v[46:47]
	v_fma_f64 v[3:4], v[3:4], v[44:45], v[42:43]
.LBB60_1074:
	s_mov_b32 s5, exec_lo
	v_cmpx_ne_u32_e32 29, v0
	s_cbranch_execz .LBB60_1078
; %bb.1075:
	v_add_nc_u32_e32 v42, 0x3e0, v181
	v_add3_u32 v43, 0, v181, 16
	v_mov_b32_e32 v44, v0
	s_mov_b32 s6, 0
	.p2align	6
.LBB60_1076:                            ; =>This Inner Loop Header: Depth=1
	s_clause 0x3
	buffer_load_dword v49, v43, s[0:3], 0 offen offset:8
	buffer_load_dword v50, v43, s[0:3], 0 offen offset:12
	buffer_load_dword v51, v43, s[0:3], 0 offen
	buffer_load_dword v52, v43, s[0:3], 0 offen offset:4
	ds_read_b128 v[45:48], v42
	v_add_nc_u32_e32 v44, 1, v44
	v_add_nc_u32_e32 v42, 16, v42
	v_add_nc_u32_e32 v43, 16, v43
	v_cmp_lt_u32_e32 vcc_lo, 28, v44
	s_or_b32 s6, vcc_lo, s6
	s_waitcnt vmcnt(2) lgkmcnt(0)
	v_mul_f64 v[53:54], v[47:48], v[49:50]
	v_mul_f64 v[49:50], v[45:46], v[49:50]
	s_waitcnt vmcnt(0)
	v_fma_f64 v[45:46], v[45:46], v[51:52], -v[53:54]
	v_fma_f64 v[47:48], v[47:48], v[51:52], v[49:50]
	v_add_f64 v[1:2], v[1:2], v[45:46]
	v_add_f64 v[3:4], v[3:4], v[47:48]
	s_andn2_b32 exec_lo, exec_lo, s6
	s_cbranch_execnz .LBB60_1076
; %bb.1077:
	s_or_b32 exec_lo, exec_lo, s6
.LBB60_1078:
	s_or_b32 exec_lo, exec_lo, s5
	v_mov_b32_e32 v42, 0
	ds_read_b128 v[42:45], v42 offset:480
	s_waitcnt lgkmcnt(0)
	v_mul_f64 v[46:47], v[3:4], v[44:45]
	v_mul_f64 v[44:45], v[1:2], v[44:45]
	v_fma_f64 v[1:2], v[1:2], v[42:43], -v[46:47]
	v_fma_f64 v[3:4], v[3:4], v[42:43], v[44:45]
	buffer_store_dword v2, off, s[0:3], 0 offset:484
	buffer_store_dword v1, off, s[0:3], 0 offset:480
	;; [unrolled: 1-line block ×4, first 2 shown]
.LBB60_1079:
	s_or_b32 exec_lo, exec_lo, s4
	v_mov_b32_e32 v4, s39
	s_mov_b32 s4, exec_lo
	s_clause 0x3
	buffer_load_dword v1, v4, s[0:3], 0 offen
	buffer_load_dword v2, v4, s[0:3], 0 offen offset:4
	buffer_load_dword v3, v4, s[0:3], 0 offen offset:8
	;; [unrolled: 1-line block ×3, first 2 shown]
	s_waitcnt vmcnt(0)
	ds_write_b128 v40, v[1:4]
	s_waitcnt lgkmcnt(0)
	s_waitcnt_vscnt null, 0x0
	s_barrier
	buffer_gl0_inv
	v_cmpx_gt_u32_e32 31, v0
	s_cbranch_execz .LBB60_1087
; %bb.1080:
	ds_read_b128 v[1:4], v40
	v_cmp_ne_u32_e32 vcc_lo, 1, v41
	s_cbranch_vccnz .LBB60_1082
; %bb.1081:
	s_clause 0x3
	buffer_load_dword v42, v39, s[0:3], 0 offen offset:8
	buffer_load_dword v43, v39, s[0:3], 0 offen offset:12
	buffer_load_dword v44, v39, s[0:3], 0 offen
	buffer_load_dword v45, v39, s[0:3], 0 offen offset:4
	s_waitcnt vmcnt(2) lgkmcnt(0)
	v_mul_f64 v[46:47], v[3:4], v[42:43]
	v_mul_f64 v[42:43], v[1:2], v[42:43]
	s_waitcnt vmcnt(0)
	v_fma_f64 v[1:2], v[1:2], v[44:45], -v[46:47]
	v_fma_f64 v[3:4], v[3:4], v[44:45], v[42:43]
.LBB60_1082:
	s_mov_b32 s5, exec_lo
	v_cmpx_ne_u32_e32 30, v0
	s_cbranch_execz .LBB60_1086
; %bb.1083:
	v_add_nc_u32_e32 v42, 0x3e0, v181
	v_add3_u32 v43, 0, v181, 16
	v_mov_b32_e32 v44, v0
	s_mov_b32 s6, 0
	.p2align	6
.LBB60_1084:                            ; =>This Inner Loop Header: Depth=1
	s_clause 0x3
	buffer_load_dword v49, v43, s[0:3], 0 offen offset:8
	buffer_load_dword v50, v43, s[0:3], 0 offen offset:12
	buffer_load_dword v51, v43, s[0:3], 0 offen
	buffer_load_dword v52, v43, s[0:3], 0 offen offset:4
	ds_read_b128 v[45:48], v42
	v_add_nc_u32_e32 v44, 1, v44
	v_add_nc_u32_e32 v42, 16, v42
	;; [unrolled: 1-line block ×3, first 2 shown]
	v_cmp_lt_u32_e32 vcc_lo, 29, v44
	s_or_b32 s6, vcc_lo, s6
	s_waitcnt vmcnt(2) lgkmcnt(0)
	v_mul_f64 v[53:54], v[47:48], v[49:50]
	v_mul_f64 v[49:50], v[45:46], v[49:50]
	s_waitcnt vmcnt(0)
	v_fma_f64 v[45:46], v[45:46], v[51:52], -v[53:54]
	v_fma_f64 v[47:48], v[47:48], v[51:52], v[49:50]
	v_add_f64 v[1:2], v[1:2], v[45:46]
	v_add_f64 v[3:4], v[3:4], v[47:48]
	s_andn2_b32 exec_lo, exec_lo, s6
	s_cbranch_execnz .LBB60_1084
; %bb.1085:
	s_or_b32 exec_lo, exec_lo, s6
.LBB60_1086:
	s_or_b32 exec_lo, exec_lo, s5
	v_mov_b32_e32 v42, 0
	ds_read_b128 v[42:45], v42 offset:496
	s_waitcnt lgkmcnt(0)
	v_mul_f64 v[46:47], v[3:4], v[44:45]
	v_mul_f64 v[44:45], v[1:2], v[44:45]
	v_fma_f64 v[1:2], v[1:2], v[42:43], -v[46:47]
	v_fma_f64 v[3:4], v[3:4], v[42:43], v[44:45]
	buffer_store_dword v2, off, s[0:3], 0 offset:500
	buffer_store_dword v1, off, s[0:3], 0 offset:496
	;; [unrolled: 1-line block ×4, first 2 shown]
.LBB60_1087:
	s_or_b32 exec_lo, exec_lo, s4
	v_mov_b32_e32 v4, s38
	s_mov_b32 s4, exec_lo
	s_clause 0x3
	buffer_load_dword v1, v4, s[0:3], 0 offen
	buffer_load_dword v2, v4, s[0:3], 0 offen offset:4
	buffer_load_dword v3, v4, s[0:3], 0 offen offset:8
	;; [unrolled: 1-line block ×3, first 2 shown]
	s_waitcnt vmcnt(0)
	ds_write_b128 v40, v[1:4]
	s_waitcnt lgkmcnt(0)
	s_waitcnt_vscnt null, 0x0
	s_barrier
	buffer_gl0_inv
	v_cmpx_gt_u32_e32 32, v0
	s_cbranch_execz .LBB60_1095
; %bb.1088:
	ds_read_b128 v[1:4], v40
	v_cmp_ne_u32_e32 vcc_lo, 1, v41
	s_cbranch_vccnz .LBB60_1090
; %bb.1089:
	s_clause 0x3
	buffer_load_dword v42, v39, s[0:3], 0 offen offset:8
	buffer_load_dword v43, v39, s[0:3], 0 offen offset:12
	buffer_load_dword v44, v39, s[0:3], 0 offen
	buffer_load_dword v45, v39, s[0:3], 0 offen offset:4
	s_waitcnt vmcnt(2) lgkmcnt(0)
	v_mul_f64 v[46:47], v[3:4], v[42:43]
	v_mul_f64 v[42:43], v[1:2], v[42:43]
	s_waitcnt vmcnt(0)
	v_fma_f64 v[1:2], v[1:2], v[44:45], -v[46:47]
	v_fma_f64 v[3:4], v[3:4], v[44:45], v[42:43]
.LBB60_1090:
	s_mov_b32 s5, exec_lo
	v_cmpx_ne_u32_e32 31, v0
	s_cbranch_execz .LBB60_1094
; %bb.1091:
	v_add_nc_u32_e32 v42, 0x3e0, v181
	v_add3_u32 v43, 0, v181, 16
	v_mov_b32_e32 v44, v0
	s_mov_b32 s6, 0
	.p2align	6
.LBB60_1092:                            ; =>This Inner Loop Header: Depth=1
	s_clause 0x3
	buffer_load_dword v49, v43, s[0:3], 0 offen offset:8
	buffer_load_dword v50, v43, s[0:3], 0 offen offset:12
	buffer_load_dword v51, v43, s[0:3], 0 offen
	buffer_load_dword v52, v43, s[0:3], 0 offen offset:4
	ds_read_b128 v[45:48], v42
	v_add_nc_u32_e32 v44, 1, v44
	v_add_nc_u32_e32 v42, 16, v42
	;; [unrolled: 1-line block ×3, first 2 shown]
	v_cmp_lt_u32_e32 vcc_lo, 30, v44
	s_or_b32 s6, vcc_lo, s6
	s_waitcnt vmcnt(2) lgkmcnt(0)
	v_mul_f64 v[53:54], v[47:48], v[49:50]
	v_mul_f64 v[49:50], v[45:46], v[49:50]
	s_waitcnt vmcnt(0)
	v_fma_f64 v[45:46], v[45:46], v[51:52], -v[53:54]
	v_fma_f64 v[47:48], v[47:48], v[51:52], v[49:50]
	v_add_f64 v[1:2], v[1:2], v[45:46]
	v_add_f64 v[3:4], v[3:4], v[47:48]
	s_andn2_b32 exec_lo, exec_lo, s6
	s_cbranch_execnz .LBB60_1092
; %bb.1093:
	s_or_b32 exec_lo, exec_lo, s6
.LBB60_1094:
	s_or_b32 exec_lo, exec_lo, s5
	v_mov_b32_e32 v42, 0
	ds_read_b128 v[42:45], v42 offset:512
	s_waitcnt lgkmcnt(0)
	v_mul_f64 v[46:47], v[3:4], v[44:45]
	v_mul_f64 v[44:45], v[1:2], v[44:45]
	v_fma_f64 v[1:2], v[1:2], v[42:43], -v[46:47]
	v_fma_f64 v[3:4], v[3:4], v[42:43], v[44:45]
	buffer_store_dword v2, off, s[0:3], 0 offset:516
	buffer_store_dword v1, off, s[0:3], 0 offset:512
	;; [unrolled: 1-line block ×4, first 2 shown]
.LBB60_1095:
	s_or_b32 exec_lo, exec_lo, s4
	v_mov_b32_e32 v4, s37
	s_mov_b32 s4, exec_lo
	s_clause 0x3
	buffer_load_dword v1, v4, s[0:3], 0 offen
	buffer_load_dword v2, v4, s[0:3], 0 offen offset:4
	buffer_load_dword v3, v4, s[0:3], 0 offen offset:8
	;; [unrolled: 1-line block ×3, first 2 shown]
	s_waitcnt vmcnt(0)
	ds_write_b128 v40, v[1:4]
	s_waitcnt lgkmcnt(0)
	s_waitcnt_vscnt null, 0x0
	s_barrier
	buffer_gl0_inv
	v_cmpx_gt_u32_e32 33, v0
	s_cbranch_execz .LBB60_1103
; %bb.1096:
	ds_read_b128 v[1:4], v40
	v_cmp_ne_u32_e32 vcc_lo, 1, v41
	s_cbranch_vccnz .LBB60_1098
; %bb.1097:
	s_clause 0x3
	buffer_load_dword v42, v39, s[0:3], 0 offen offset:8
	buffer_load_dword v43, v39, s[0:3], 0 offen offset:12
	buffer_load_dword v44, v39, s[0:3], 0 offen
	buffer_load_dword v45, v39, s[0:3], 0 offen offset:4
	s_waitcnt vmcnt(2) lgkmcnt(0)
	v_mul_f64 v[46:47], v[3:4], v[42:43]
	v_mul_f64 v[42:43], v[1:2], v[42:43]
	s_waitcnt vmcnt(0)
	v_fma_f64 v[1:2], v[1:2], v[44:45], -v[46:47]
	v_fma_f64 v[3:4], v[3:4], v[44:45], v[42:43]
.LBB60_1098:
	s_mov_b32 s5, exec_lo
	v_cmpx_ne_u32_e32 32, v0
	s_cbranch_execz .LBB60_1102
; %bb.1099:
	v_add_nc_u32_e32 v42, 0x3e0, v181
	v_add3_u32 v43, 0, v181, 16
	v_mov_b32_e32 v44, v0
	s_mov_b32 s6, 0
	.p2align	6
.LBB60_1100:                            ; =>This Inner Loop Header: Depth=1
	s_clause 0x3
	buffer_load_dword v49, v43, s[0:3], 0 offen offset:8
	buffer_load_dword v50, v43, s[0:3], 0 offen offset:12
	buffer_load_dword v51, v43, s[0:3], 0 offen
	buffer_load_dword v52, v43, s[0:3], 0 offen offset:4
	ds_read_b128 v[45:48], v42
	v_add_nc_u32_e32 v44, 1, v44
	v_add_nc_u32_e32 v42, 16, v42
	v_add_nc_u32_e32 v43, 16, v43
	v_cmp_lt_u32_e32 vcc_lo, 31, v44
	s_or_b32 s6, vcc_lo, s6
	s_waitcnt vmcnt(2) lgkmcnt(0)
	v_mul_f64 v[53:54], v[47:48], v[49:50]
	v_mul_f64 v[49:50], v[45:46], v[49:50]
	s_waitcnt vmcnt(0)
	v_fma_f64 v[45:46], v[45:46], v[51:52], -v[53:54]
	v_fma_f64 v[47:48], v[47:48], v[51:52], v[49:50]
	v_add_f64 v[1:2], v[1:2], v[45:46]
	v_add_f64 v[3:4], v[3:4], v[47:48]
	s_andn2_b32 exec_lo, exec_lo, s6
	s_cbranch_execnz .LBB60_1100
; %bb.1101:
	s_or_b32 exec_lo, exec_lo, s6
.LBB60_1102:
	s_or_b32 exec_lo, exec_lo, s5
	v_mov_b32_e32 v42, 0
	ds_read_b128 v[42:45], v42 offset:528
	s_waitcnt lgkmcnt(0)
	v_mul_f64 v[46:47], v[3:4], v[44:45]
	v_mul_f64 v[44:45], v[1:2], v[44:45]
	v_fma_f64 v[1:2], v[1:2], v[42:43], -v[46:47]
	v_fma_f64 v[3:4], v[3:4], v[42:43], v[44:45]
	buffer_store_dword v2, off, s[0:3], 0 offset:532
	buffer_store_dword v1, off, s[0:3], 0 offset:528
	;; [unrolled: 1-line block ×4, first 2 shown]
.LBB60_1103:
	s_or_b32 exec_lo, exec_lo, s4
	v_mov_b32_e32 v4, s36
	s_mov_b32 s4, exec_lo
	s_clause 0x3
	buffer_load_dword v1, v4, s[0:3], 0 offen
	buffer_load_dword v2, v4, s[0:3], 0 offen offset:4
	buffer_load_dword v3, v4, s[0:3], 0 offen offset:8
	;; [unrolled: 1-line block ×3, first 2 shown]
	s_waitcnt vmcnt(0)
	ds_write_b128 v40, v[1:4]
	s_waitcnt lgkmcnt(0)
	s_waitcnt_vscnt null, 0x0
	s_barrier
	buffer_gl0_inv
	v_cmpx_gt_u32_e32 34, v0
	s_cbranch_execz .LBB60_1111
; %bb.1104:
	ds_read_b128 v[1:4], v40
	v_cmp_ne_u32_e32 vcc_lo, 1, v41
	s_cbranch_vccnz .LBB60_1106
; %bb.1105:
	s_clause 0x3
	buffer_load_dword v42, v39, s[0:3], 0 offen offset:8
	buffer_load_dword v43, v39, s[0:3], 0 offen offset:12
	buffer_load_dword v44, v39, s[0:3], 0 offen
	buffer_load_dword v45, v39, s[0:3], 0 offen offset:4
	s_waitcnt vmcnt(2) lgkmcnt(0)
	v_mul_f64 v[46:47], v[3:4], v[42:43]
	v_mul_f64 v[42:43], v[1:2], v[42:43]
	s_waitcnt vmcnt(0)
	v_fma_f64 v[1:2], v[1:2], v[44:45], -v[46:47]
	v_fma_f64 v[3:4], v[3:4], v[44:45], v[42:43]
.LBB60_1106:
	s_mov_b32 s5, exec_lo
	v_cmpx_ne_u32_e32 33, v0
	s_cbranch_execz .LBB60_1110
; %bb.1107:
	v_add_nc_u32_e32 v42, 0x3e0, v181
	v_add3_u32 v43, 0, v181, 16
	v_mov_b32_e32 v44, v0
	s_mov_b32 s6, 0
	.p2align	6
.LBB60_1108:                            ; =>This Inner Loop Header: Depth=1
	s_clause 0x3
	buffer_load_dword v49, v43, s[0:3], 0 offen offset:8
	buffer_load_dword v50, v43, s[0:3], 0 offen offset:12
	buffer_load_dword v51, v43, s[0:3], 0 offen
	buffer_load_dword v52, v43, s[0:3], 0 offen offset:4
	ds_read_b128 v[45:48], v42
	v_add_nc_u32_e32 v44, 1, v44
	v_add_nc_u32_e32 v42, 16, v42
	;; [unrolled: 1-line block ×3, first 2 shown]
	v_cmp_lt_u32_e32 vcc_lo, 32, v44
	s_or_b32 s6, vcc_lo, s6
	s_waitcnt vmcnt(2) lgkmcnt(0)
	v_mul_f64 v[53:54], v[47:48], v[49:50]
	v_mul_f64 v[49:50], v[45:46], v[49:50]
	s_waitcnt vmcnt(0)
	v_fma_f64 v[45:46], v[45:46], v[51:52], -v[53:54]
	v_fma_f64 v[47:48], v[47:48], v[51:52], v[49:50]
	v_add_f64 v[1:2], v[1:2], v[45:46]
	v_add_f64 v[3:4], v[3:4], v[47:48]
	s_andn2_b32 exec_lo, exec_lo, s6
	s_cbranch_execnz .LBB60_1108
; %bb.1109:
	s_or_b32 exec_lo, exec_lo, s6
.LBB60_1110:
	s_or_b32 exec_lo, exec_lo, s5
	v_mov_b32_e32 v42, 0
	ds_read_b128 v[42:45], v42 offset:544
	s_waitcnt lgkmcnt(0)
	v_mul_f64 v[46:47], v[3:4], v[44:45]
	v_mul_f64 v[44:45], v[1:2], v[44:45]
	v_fma_f64 v[1:2], v[1:2], v[42:43], -v[46:47]
	v_fma_f64 v[3:4], v[3:4], v[42:43], v[44:45]
	buffer_store_dword v2, off, s[0:3], 0 offset:548
	buffer_store_dword v1, off, s[0:3], 0 offset:544
	;; [unrolled: 1-line block ×4, first 2 shown]
.LBB60_1111:
	s_or_b32 exec_lo, exec_lo, s4
	v_mov_b32_e32 v4, s35
	s_mov_b32 s4, exec_lo
	s_clause 0x3
	buffer_load_dword v1, v4, s[0:3], 0 offen
	buffer_load_dword v2, v4, s[0:3], 0 offen offset:4
	buffer_load_dword v3, v4, s[0:3], 0 offen offset:8
	;; [unrolled: 1-line block ×3, first 2 shown]
	s_waitcnt vmcnt(0)
	ds_write_b128 v40, v[1:4]
	s_waitcnt lgkmcnt(0)
	s_waitcnt_vscnt null, 0x0
	s_barrier
	buffer_gl0_inv
	v_cmpx_gt_u32_e32 35, v0
	s_cbranch_execz .LBB60_1119
; %bb.1112:
	ds_read_b128 v[1:4], v40
	v_cmp_ne_u32_e32 vcc_lo, 1, v41
	s_cbranch_vccnz .LBB60_1114
; %bb.1113:
	s_clause 0x3
	buffer_load_dword v42, v39, s[0:3], 0 offen offset:8
	buffer_load_dword v43, v39, s[0:3], 0 offen offset:12
	buffer_load_dword v44, v39, s[0:3], 0 offen
	buffer_load_dword v45, v39, s[0:3], 0 offen offset:4
	s_waitcnt vmcnt(2) lgkmcnt(0)
	v_mul_f64 v[46:47], v[3:4], v[42:43]
	v_mul_f64 v[42:43], v[1:2], v[42:43]
	s_waitcnt vmcnt(0)
	v_fma_f64 v[1:2], v[1:2], v[44:45], -v[46:47]
	v_fma_f64 v[3:4], v[3:4], v[44:45], v[42:43]
.LBB60_1114:
	s_mov_b32 s5, exec_lo
	v_cmpx_ne_u32_e32 34, v0
	s_cbranch_execz .LBB60_1118
; %bb.1115:
	v_add_nc_u32_e32 v42, 0x3e0, v181
	v_add3_u32 v43, 0, v181, 16
	v_mov_b32_e32 v44, v0
	s_mov_b32 s6, 0
	.p2align	6
.LBB60_1116:                            ; =>This Inner Loop Header: Depth=1
	s_clause 0x3
	buffer_load_dword v49, v43, s[0:3], 0 offen offset:8
	buffer_load_dword v50, v43, s[0:3], 0 offen offset:12
	buffer_load_dword v51, v43, s[0:3], 0 offen
	buffer_load_dword v52, v43, s[0:3], 0 offen offset:4
	ds_read_b128 v[45:48], v42
	v_add_nc_u32_e32 v44, 1, v44
	v_add_nc_u32_e32 v42, 16, v42
	;; [unrolled: 1-line block ×3, first 2 shown]
	v_cmp_lt_u32_e32 vcc_lo, 33, v44
	s_or_b32 s6, vcc_lo, s6
	s_waitcnt vmcnt(2) lgkmcnt(0)
	v_mul_f64 v[53:54], v[47:48], v[49:50]
	v_mul_f64 v[49:50], v[45:46], v[49:50]
	s_waitcnt vmcnt(0)
	v_fma_f64 v[45:46], v[45:46], v[51:52], -v[53:54]
	v_fma_f64 v[47:48], v[47:48], v[51:52], v[49:50]
	v_add_f64 v[1:2], v[1:2], v[45:46]
	v_add_f64 v[3:4], v[3:4], v[47:48]
	s_andn2_b32 exec_lo, exec_lo, s6
	s_cbranch_execnz .LBB60_1116
; %bb.1117:
	s_or_b32 exec_lo, exec_lo, s6
.LBB60_1118:
	s_or_b32 exec_lo, exec_lo, s5
	v_mov_b32_e32 v42, 0
	ds_read_b128 v[42:45], v42 offset:560
	s_waitcnt lgkmcnt(0)
	v_mul_f64 v[46:47], v[3:4], v[44:45]
	v_mul_f64 v[44:45], v[1:2], v[44:45]
	v_fma_f64 v[1:2], v[1:2], v[42:43], -v[46:47]
	v_fma_f64 v[3:4], v[3:4], v[42:43], v[44:45]
	buffer_store_dword v2, off, s[0:3], 0 offset:564
	buffer_store_dword v1, off, s[0:3], 0 offset:560
	;; [unrolled: 1-line block ×4, first 2 shown]
.LBB60_1119:
	s_or_b32 exec_lo, exec_lo, s4
	v_mov_b32_e32 v4, s34
	s_mov_b32 s4, exec_lo
	s_clause 0x3
	buffer_load_dword v1, v4, s[0:3], 0 offen
	buffer_load_dword v2, v4, s[0:3], 0 offen offset:4
	buffer_load_dword v3, v4, s[0:3], 0 offen offset:8
	;; [unrolled: 1-line block ×3, first 2 shown]
	s_waitcnt vmcnt(0)
	ds_write_b128 v40, v[1:4]
	s_waitcnt lgkmcnt(0)
	s_waitcnt_vscnt null, 0x0
	s_barrier
	buffer_gl0_inv
	v_cmpx_gt_u32_e32 36, v0
	s_cbranch_execz .LBB60_1127
; %bb.1120:
	ds_read_b128 v[1:4], v40
	v_cmp_ne_u32_e32 vcc_lo, 1, v41
	s_cbranch_vccnz .LBB60_1122
; %bb.1121:
	s_clause 0x3
	buffer_load_dword v42, v39, s[0:3], 0 offen offset:8
	buffer_load_dword v43, v39, s[0:3], 0 offen offset:12
	buffer_load_dword v44, v39, s[0:3], 0 offen
	buffer_load_dword v45, v39, s[0:3], 0 offen offset:4
	s_waitcnt vmcnt(2) lgkmcnt(0)
	v_mul_f64 v[46:47], v[3:4], v[42:43]
	v_mul_f64 v[42:43], v[1:2], v[42:43]
	s_waitcnt vmcnt(0)
	v_fma_f64 v[1:2], v[1:2], v[44:45], -v[46:47]
	v_fma_f64 v[3:4], v[3:4], v[44:45], v[42:43]
.LBB60_1122:
	s_mov_b32 s5, exec_lo
	v_cmpx_ne_u32_e32 35, v0
	s_cbranch_execz .LBB60_1126
; %bb.1123:
	v_add_nc_u32_e32 v42, 0x3e0, v181
	v_add3_u32 v43, 0, v181, 16
	v_mov_b32_e32 v44, v0
	s_mov_b32 s6, 0
	.p2align	6
.LBB60_1124:                            ; =>This Inner Loop Header: Depth=1
	s_clause 0x3
	buffer_load_dword v49, v43, s[0:3], 0 offen offset:8
	buffer_load_dword v50, v43, s[0:3], 0 offen offset:12
	buffer_load_dword v51, v43, s[0:3], 0 offen
	buffer_load_dword v52, v43, s[0:3], 0 offen offset:4
	ds_read_b128 v[45:48], v42
	v_add_nc_u32_e32 v44, 1, v44
	v_add_nc_u32_e32 v42, 16, v42
	;; [unrolled: 1-line block ×3, first 2 shown]
	v_cmp_lt_u32_e32 vcc_lo, 34, v44
	s_or_b32 s6, vcc_lo, s6
	s_waitcnt vmcnt(2) lgkmcnt(0)
	v_mul_f64 v[53:54], v[47:48], v[49:50]
	v_mul_f64 v[49:50], v[45:46], v[49:50]
	s_waitcnt vmcnt(0)
	v_fma_f64 v[45:46], v[45:46], v[51:52], -v[53:54]
	v_fma_f64 v[47:48], v[47:48], v[51:52], v[49:50]
	v_add_f64 v[1:2], v[1:2], v[45:46]
	v_add_f64 v[3:4], v[3:4], v[47:48]
	s_andn2_b32 exec_lo, exec_lo, s6
	s_cbranch_execnz .LBB60_1124
; %bb.1125:
	s_or_b32 exec_lo, exec_lo, s6
.LBB60_1126:
	s_or_b32 exec_lo, exec_lo, s5
	v_mov_b32_e32 v42, 0
	ds_read_b128 v[42:45], v42 offset:576
	s_waitcnt lgkmcnt(0)
	v_mul_f64 v[46:47], v[3:4], v[44:45]
	v_mul_f64 v[44:45], v[1:2], v[44:45]
	v_fma_f64 v[1:2], v[1:2], v[42:43], -v[46:47]
	v_fma_f64 v[3:4], v[3:4], v[42:43], v[44:45]
	buffer_store_dword v2, off, s[0:3], 0 offset:580
	buffer_store_dword v1, off, s[0:3], 0 offset:576
	;; [unrolled: 1-line block ×4, first 2 shown]
.LBB60_1127:
	s_or_b32 exec_lo, exec_lo, s4
	v_mov_b32_e32 v4, s33
	s_mov_b32 s4, exec_lo
	s_clause 0x3
	buffer_load_dword v1, v4, s[0:3], 0 offen
	buffer_load_dword v2, v4, s[0:3], 0 offen offset:4
	buffer_load_dword v3, v4, s[0:3], 0 offen offset:8
	;; [unrolled: 1-line block ×3, first 2 shown]
	s_waitcnt vmcnt(0)
	ds_write_b128 v40, v[1:4]
	s_waitcnt lgkmcnt(0)
	s_waitcnt_vscnt null, 0x0
	s_barrier
	buffer_gl0_inv
	v_cmpx_gt_u32_e32 37, v0
	s_cbranch_execz .LBB60_1135
; %bb.1128:
	ds_read_b128 v[1:4], v40
	v_cmp_ne_u32_e32 vcc_lo, 1, v41
	s_cbranch_vccnz .LBB60_1130
; %bb.1129:
	s_clause 0x3
	buffer_load_dword v42, v39, s[0:3], 0 offen offset:8
	buffer_load_dword v43, v39, s[0:3], 0 offen offset:12
	buffer_load_dword v44, v39, s[0:3], 0 offen
	buffer_load_dword v45, v39, s[0:3], 0 offen offset:4
	s_waitcnt vmcnt(2) lgkmcnt(0)
	v_mul_f64 v[46:47], v[3:4], v[42:43]
	v_mul_f64 v[42:43], v[1:2], v[42:43]
	s_waitcnt vmcnt(0)
	v_fma_f64 v[1:2], v[1:2], v[44:45], -v[46:47]
	v_fma_f64 v[3:4], v[3:4], v[44:45], v[42:43]
.LBB60_1130:
	s_mov_b32 s5, exec_lo
	v_cmpx_ne_u32_e32 36, v0
	s_cbranch_execz .LBB60_1134
; %bb.1131:
	v_add_nc_u32_e32 v42, 0x3e0, v181
	v_add3_u32 v43, 0, v181, 16
	v_mov_b32_e32 v44, v0
	s_mov_b32 s6, 0
	.p2align	6
.LBB60_1132:                            ; =>This Inner Loop Header: Depth=1
	s_clause 0x3
	buffer_load_dword v49, v43, s[0:3], 0 offen offset:8
	buffer_load_dword v50, v43, s[0:3], 0 offen offset:12
	buffer_load_dword v51, v43, s[0:3], 0 offen
	buffer_load_dword v52, v43, s[0:3], 0 offen offset:4
	ds_read_b128 v[45:48], v42
	v_add_nc_u32_e32 v44, 1, v44
	v_add_nc_u32_e32 v42, 16, v42
	;; [unrolled: 1-line block ×3, first 2 shown]
	v_cmp_lt_u32_e32 vcc_lo, 35, v44
	s_or_b32 s6, vcc_lo, s6
	s_waitcnt vmcnt(2) lgkmcnt(0)
	v_mul_f64 v[53:54], v[47:48], v[49:50]
	v_mul_f64 v[49:50], v[45:46], v[49:50]
	s_waitcnt vmcnt(0)
	v_fma_f64 v[45:46], v[45:46], v[51:52], -v[53:54]
	v_fma_f64 v[47:48], v[47:48], v[51:52], v[49:50]
	v_add_f64 v[1:2], v[1:2], v[45:46]
	v_add_f64 v[3:4], v[3:4], v[47:48]
	s_andn2_b32 exec_lo, exec_lo, s6
	s_cbranch_execnz .LBB60_1132
; %bb.1133:
	s_or_b32 exec_lo, exec_lo, s6
.LBB60_1134:
	s_or_b32 exec_lo, exec_lo, s5
	v_mov_b32_e32 v42, 0
	ds_read_b128 v[42:45], v42 offset:592
	s_waitcnt lgkmcnt(0)
	v_mul_f64 v[46:47], v[3:4], v[44:45]
	v_mul_f64 v[44:45], v[1:2], v[44:45]
	v_fma_f64 v[1:2], v[1:2], v[42:43], -v[46:47]
	v_fma_f64 v[3:4], v[3:4], v[42:43], v[44:45]
	buffer_store_dword v2, off, s[0:3], 0 offset:596
	buffer_store_dword v1, off, s[0:3], 0 offset:592
	;; [unrolled: 1-line block ×4, first 2 shown]
.LBB60_1135:
	s_or_b32 exec_lo, exec_lo, s4
	v_mov_b32_e32 v4, s31
	s_mov_b32 s4, exec_lo
	s_clause 0x3
	buffer_load_dword v1, v4, s[0:3], 0 offen
	buffer_load_dword v2, v4, s[0:3], 0 offen offset:4
	buffer_load_dword v3, v4, s[0:3], 0 offen offset:8
	;; [unrolled: 1-line block ×3, first 2 shown]
	s_waitcnt vmcnt(0)
	ds_write_b128 v40, v[1:4]
	s_waitcnt lgkmcnt(0)
	s_waitcnt_vscnt null, 0x0
	s_barrier
	buffer_gl0_inv
	v_cmpx_gt_u32_e32 38, v0
	s_cbranch_execz .LBB60_1143
; %bb.1136:
	ds_read_b128 v[1:4], v40
	v_cmp_ne_u32_e32 vcc_lo, 1, v41
	s_cbranch_vccnz .LBB60_1138
; %bb.1137:
	s_clause 0x3
	buffer_load_dword v42, v39, s[0:3], 0 offen offset:8
	buffer_load_dword v43, v39, s[0:3], 0 offen offset:12
	buffer_load_dword v44, v39, s[0:3], 0 offen
	buffer_load_dword v45, v39, s[0:3], 0 offen offset:4
	s_waitcnt vmcnt(2) lgkmcnt(0)
	v_mul_f64 v[46:47], v[3:4], v[42:43]
	v_mul_f64 v[42:43], v[1:2], v[42:43]
	s_waitcnt vmcnt(0)
	v_fma_f64 v[1:2], v[1:2], v[44:45], -v[46:47]
	v_fma_f64 v[3:4], v[3:4], v[44:45], v[42:43]
.LBB60_1138:
	s_mov_b32 s5, exec_lo
	v_cmpx_ne_u32_e32 37, v0
	s_cbranch_execz .LBB60_1142
; %bb.1139:
	v_add_nc_u32_e32 v42, 0x3e0, v181
	v_add3_u32 v43, 0, v181, 16
	v_mov_b32_e32 v44, v0
	s_mov_b32 s6, 0
	.p2align	6
.LBB60_1140:                            ; =>This Inner Loop Header: Depth=1
	s_clause 0x3
	buffer_load_dword v49, v43, s[0:3], 0 offen offset:8
	buffer_load_dword v50, v43, s[0:3], 0 offen offset:12
	buffer_load_dword v51, v43, s[0:3], 0 offen
	buffer_load_dword v52, v43, s[0:3], 0 offen offset:4
	ds_read_b128 v[45:48], v42
	v_add_nc_u32_e32 v44, 1, v44
	v_add_nc_u32_e32 v42, 16, v42
	;; [unrolled: 1-line block ×3, first 2 shown]
	v_cmp_lt_u32_e32 vcc_lo, 36, v44
	s_or_b32 s6, vcc_lo, s6
	s_waitcnt vmcnt(2) lgkmcnt(0)
	v_mul_f64 v[53:54], v[47:48], v[49:50]
	v_mul_f64 v[49:50], v[45:46], v[49:50]
	s_waitcnt vmcnt(0)
	v_fma_f64 v[45:46], v[45:46], v[51:52], -v[53:54]
	v_fma_f64 v[47:48], v[47:48], v[51:52], v[49:50]
	v_add_f64 v[1:2], v[1:2], v[45:46]
	v_add_f64 v[3:4], v[3:4], v[47:48]
	s_andn2_b32 exec_lo, exec_lo, s6
	s_cbranch_execnz .LBB60_1140
; %bb.1141:
	s_or_b32 exec_lo, exec_lo, s6
.LBB60_1142:
	s_or_b32 exec_lo, exec_lo, s5
	v_mov_b32_e32 v42, 0
	ds_read_b128 v[42:45], v42 offset:608
	s_waitcnt lgkmcnt(0)
	v_mul_f64 v[46:47], v[3:4], v[44:45]
	v_mul_f64 v[44:45], v[1:2], v[44:45]
	v_fma_f64 v[1:2], v[1:2], v[42:43], -v[46:47]
	v_fma_f64 v[3:4], v[3:4], v[42:43], v[44:45]
	buffer_store_dword v2, off, s[0:3], 0 offset:612
	buffer_store_dword v1, off, s[0:3], 0 offset:608
	;; [unrolled: 1-line block ×4, first 2 shown]
.LBB60_1143:
	s_or_b32 exec_lo, exec_lo, s4
	v_mov_b32_e32 v4, s30
	s_mov_b32 s4, exec_lo
	s_clause 0x3
	buffer_load_dword v1, v4, s[0:3], 0 offen
	buffer_load_dword v2, v4, s[0:3], 0 offen offset:4
	buffer_load_dword v3, v4, s[0:3], 0 offen offset:8
	;; [unrolled: 1-line block ×3, first 2 shown]
	s_waitcnt vmcnt(0)
	ds_write_b128 v40, v[1:4]
	s_waitcnt lgkmcnt(0)
	s_waitcnt_vscnt null, 0x0
	s_barrier
	buffer_gl0_inv
	v_cmpx_gt_u32_e32 39, v0
	s_cbranch_execz .LBB60_1151
; %bb.1144:
	ds_read_b128 v[1:4], v40
	v_cmp_ne_u32_e32 vcc_lo, 1, v41
	s_cbranch_vccnz .LBB60_1146
; %bb.1145:
	s_clause 0x3
	buffer_load_dword v42, v39, s[0:3], 0 offen offset:8
	buffer_load_dword v43, v39, s[0:3], 0 offen offset:12
	buffer_load_dword v44, v39, s[0:3], 0 offen
	buffer_load_dword v45, v39, s[0:3], 0 offen offset:4
	s_waitcnt vmcnt(2) lgkmcnt(0)
	v_mul_f64 v[46:47], v[3:4], v[42:43]
	v_mul_f64 v[42:43], v[1:2], v[42:43]
	s_waitcnt vmcnt(0)
	v_fma_f64 v[1:2], v[1:2], v[44:45], -v[46:47]
	v_fma_f64 v[3:4], v[3:4], v[44:45], v[42:43]
.LBB60_1146:
	s_mov_b32 s5, exec_lo
	v_cmpx_ne_u32_e32 38, v0
	s_cbranch_execz .LBB60_1150
; %bb.1147:
	v_add_nc_u32_e32 v42, 0x3e0, v181
	v_add3_u32 v43, 0, v181, 16
	v_mov_b32_e32 v44, v0
	s_mov_b32 s6, 0
	.p2align	6
.LBB60_1148:                            ; =>This Inner Loop Header: Depth=1
	s_clause 0x3
	buffer_load_dword v49, v43, s[0:3], 0 offen offset:8
	buffer_load_dword v50, v43, s[0:3], 0 offen offset:12
	buffer_load_dword v51, v43, s[0:3], 0 offen
	buffer_load_dword v52, v43, s[0:3], 0 offen offset:4
	ds_read_b128 v[45:48], v42
	v_add_nc_u32_e32 v44, 1, v44
	v_add_nc_u32_e32 v42, 16, v42
	;; [unrolled: 1-line block ×3, first 2 shown]
	v_cmp_lt_u32_e32 vcc_lo, 37, v44
	s_or_b32 s6, vcc_lo, s6
	s_waitcnt vmcnt(2) lgkmcnt(0)
	v_mul_f64 v[53:54], v[47:48], v[49:50]
	v_mul_f64 v[49:50], v[45:46], v[49:50]
	s_waitcnt vmcnt(0)
	v_fma_f64 v[45:46], v[45:46], v[51:52], -v[53:54]
	v_fma_f64 v[47:48], v[47:48], v[51:52], v[49:50]
	v_add_f64 v[1:2], v[1:2], v[45:46]
	v_add_f64 v[3:4], v[3:4], v[47:48]
	s_andn2_b32 exec_lo, exec_lo, s6
	s_cbranch_execnz .LBB60_1148
; %bb.1149:
	s_or_b32 exec_lo, exec_lo, s6
.LBB60_1150:
	s_or_b32 exec_lo, exec_lo, s5
	v_mov_b32_e32 v42, 0
	ds_read_b128 v[42:45], v42 offset:624
	s_waitcnt lgkmcnt(0)
	v_mul_f64 v[46:47], v[3:4], v[44:45]
	v_mul_f64 v[44:45], v[1:2], v[44:45]
	v_fma_f64 v[1:2], v[1:2], v[42:43], -v[46:47]
	v_fma_f64 v[3:4], v[3:4], v[42:43], v[44:45]
	buffer_store_dword v2, off, s[0:3], 0 offset:628
	buffer_store_dword v1, off, s[0:3], 0 offset:624
	;; [unrolled: 1-line block ×4, first 2 shown]
.LBB60_1151:
	s_or_b32 exec_lo, exec_lo, s4
	v_mov_b32_e32 v4, s29
	s_mov_b32 s4, exec_lo
	s_clause 0x3
	buffer_load_dword v1, v4, s[0:3], 0 offen
	buffer_load_dword v2, v4, s[0:3], 0 offen offset:4
	buffer_load_dword v3, v4, s[0:3], 0 offen offset:8
	buffer_load_dword v4, v4, s[0:3], 0 offen offset:12
	s_waitcnt vmcnt(0)
	ds_write_b128 v40, v[1:4]
	s_waitcnt lgkmcnt(0)
	s_waitcnt_vscnt null, 0x0
	s_barrier
	buffer_gl0_inv
	v_cmpx_gt_u32_e32 40, v0
	s_cbranch_execz .LBB60_1159
; %bb.1152:
	ds_read_b128 v[1:4], v40
	v_cmp_ne_u32_e32 vcc_lo, 1, v41
	s_cbranch_vccnz .LBB60_1154
; %bb.1153:
	s_clause 0x3
	buffer_load_dword v42, v39, s[0:3], 0 offen offset:8
	buffer_load_dword v43, v39, s[0:3], 0 offen offset:12
	buffer_load_dword v44, v39, s[0:3], 0 offen
	buffer_load_dword v45, v39, s[0:3], 0 offen offset:4
	s_waitcnt vmcnt(2) lgkmcnt(0)
	v_mul_f64 v[46:47], v[3:4], v[42:43]
	v_mul_f64 v[42:43], v[1:2], v[42:43]
	s_waitcnt vmcnt(0)
	v_fma_f64 v[1:2], v[1:2], v[44:45], -v[46:47]
	v_fma_f64 v[3:4], v[3:4], v[44:45], v[42:43]
.LBB60_1154:
	s_mov_b32 s5, exec_lo
	v_cmpx_ne_u32_e32 39, v0
	s_cbranch_execz .LBB60_1158
; %bb.1155:
	v_add_nc_u32_e32 v42, 0x3e0, v181
	v_add3_u32 v43, 0, v181, 16
	v_mov_b32_e32 v44, v0
	s_mov_b32 s6, 0
	.p2align	6
.LBB60_1156:                            ; =>This Inner Loop Header: Depth=1
	s_clause 0x3
	buffer_load_dword v49, v43, s[0:3], 0 offen offset:8
	buffer_load_dword v50, v43, s[0:3], 0 offen offset:12
	buffer_load_dword v51, v43, s[0:3], 0 offen
	buffer_load_dword v52, v43, s[0:3], 0 offen offset:4
	ds_read_b128 v[45:48], v42
	v_add_nc_u32_e32 v44, 1, v44
	v_add_nc_u32_e32 v42, 16, v42
	;; [unrolled: 1-line block ×3, first 2 shown]
	v_cmp_lt_u32_e32 vcc_lo, 38, v44
	s_or_b32 s6, vcc_lo, s6
	s_waitcnt vmcnt(2) lgkmcnt(0)
	v_mul_f64 v[53:54], v[47:48], v[49:50]
	v_mul_f64 v[49:50], v[45:46], v[49:50]
	s_waitcnt vmcnt(0)
	v_fma_f64 v[45:46], v[45:46], v[51:52], -v[53:54]
	v_fma_f64 v[47:48], v[47:48], v[51:52], v[49:50]
	v_add_f64 v[1:2], v[1:2], v[45:46]
	v_add_f64 v[3:4], v[3:4], v[47:48]
	s_andn2_b32 exec_lo, exec_lo, s6
	s_cbranch_execnz .LBB60_1156
; %bb.1157:
	s_or_b32 exec_lo, exec_lo, s6
.LBB60_1158:
	s_or_b32 exec_lo, exec_lo, s5
	v_mov_b32_e32 v42, 0
	ds_read_b128 v[42:45], v42 offset:640
	s_waitcnt lgkmcnt(0)
	v_mul_f64 v[46:47], v[3:4], v[44:45]
	v_mul_f64 v[44:45], v[1:2], v[44:45]
	v_fma_f64 v[1:2], v[1:2], v[42:43], -v[46:47]
	v_fma_f64 v[3:4], v[3:4], v[42:43], v[44:45]
	buffer_store_dword v2, off, s[0:3], 0 offset:644
	buffer_store_dword v1, off, s[0:3], 0 offset:640
	;; [unrolled: 1-line block ×4, first 2 shown]
.LBB60_1159:
	s_or_b32 exec_lo, exec_lo, s4
	v_mov_b32_e32 v4, s28
	s_mov_b32 s4, exec_lo
	s_clause 0x3
	buffer_load_dword v1, v4, s[0:3], 0 offen
	buffer_load_dword v2, v4, s[0:3], 0 offen offset:4
	buffer_load_dword v3, v4, s[0:3], 0 offen offset:8
	;; [unrolled: 1-line block ×3, first 2 shown]
	s_waitcnt vmcnt(0)
	ds_write_b128 v40, v[1:4]
	s_waitcnt lgkmcnt(0)
	s_waitcnt_vscnt null, 0x0
	s_barrier
	buffer_gl0_inv
	v_cmpx_gt_u32_e32 41, v0
	s_cbranch_execz .LBB60_1167
; %bb.1160:
	ds_read_b128 v[1:4], v40
	v_cmp_ne_u32_e32 vcc_lo, 1, v41
	s_cbranch_vccnz .LBB60_1162
; %bb.1161:
	s_clause 0x3
	buffer_load_dword v42, v39, s[0:3], 0 offen offset:8
	buffer_load_dword v43, v39, s[0:3], 0 offen offset:12
	buffer_load_dword v44, v39, s[0:3], 0 offen
	buffer_load_dword v45, v39, s[0:3], 0 offen offset:4
	s_waitcnt vmcnt(2) lgkmcnt(0)
	v_mul_f64 v[46:47], v[3:4], v[42:43]
	v_mul_f64 v[42:43], v[1:2], v[42:43]
	s_waitcnt vmcnt(0)
	v_fma_f64 v[1:2], v[1:2], v[44:45], -v[46:47]
	v_fma_f64 v[3:4], v[3:4], v[44:45], v[42:43]
.LBB60_1162:
	s_mov_b32 s5, exec_lo
	v_cmpx_ne_u32_e32 40, v0
	s_cbranch_execz .LBB60_1166
; %bb.1163:
	v_add_nc_u32_e32 v42, 0x3e0, v181
	v_add3_u32 v43, 0, v181, 16
	v_mov_b32_e32 v44, v0
	s_mov_b32 s6, 0
	.p2align	6
.LBB60_1164:                            ; =>This Inner Loop Header: Depth=1
	s_clause 0x3
	buffer_load_dword v49, v43, s[0:3], 0 offen offset:8
	buffer_load_dword v50, v43, s[0:3], 0 offen offset:12
	buffer_load_dword v51, v43, s[0:3], 0 offen
	buffer_load_dword v52, v43, s[0:3], 0 offen offset:4
	ds_read_b128 v[45:48], v42
	v_add_nc_u32_e32 v44, 1, v44
	v_add_nc_u32_e32 v42, 16, v42
	;; [unrolled: 1-line block ×3, first 2 shown]
	v_cmp_lt_u32_e32 vcc_lo, 39, v44
	s_or_b32 s6, vcc_lo, s6
	s_waitcnt vmcnt(2) lgkmcnt(0)
	v_mul_f64 v[53:54], v[47:48], v[49:50]
	v_mul_f64 v[49:50], v[45:46], v[49:50]
	s_waitcnt vmcnt(0)
	v_fma_f64 v[45:46], v[45:46], v[51:52], -v[53:54]
	v_fma_f64 v[47:48], v[47:48], v[51:52], v[49:50]
	v_add_f64 v[1:2], v[1:2], v[45:46]
	v_add_f64 v[3:4], v[3:4], v[47:48]
	s_andn2_b32 exec_lo, exec_lo, s6
	s_cbranch_execnz .LBB60_1164
; %bb.1165:
	s_or_b32 exec_lo, exec_lo, s6
.LBB60_1166:
	s_or_b32 exec_lo, exec_lo, s5
	v_mov_b32_e32 v42, 0
	ds_read_b128 v[42:45], v42 offset:656
	s_waitcnt lgkmcnt(0)
	v_mul_f64 v[46:47], v[3:4], v[44:45]
	v_mul_f64 v[44:45], v[1:2], v[44:45]
	v_fma_f64 v[1:2], v[1:2], v[42:43], -v[46:47]
	v_fma_f64 v[3:4], v[3:4], v[42:43], v[44:45]
	buffer_store_dword v2, off, s[0:3], 0 offset:660
	buffer_store_dword v1, off, s[0:3], 0 offset:656
	;; [unrolled: 1-line block ×4, first 2 shown]
.LBB60_1167:
	s_or_b32 exec_lo, exec_lo, s4
	v_mov_b32_e32 v4, s27
	s_mov_b32 s4, exec_lo
	s_clause 0x3
	buffer_load_dword v1, v4, s[0:3], 0 offen
	buffer_load_dword v2, v4, s[0:3], 0 offen offset:4
	buffer_load_dword v3, v4, s[0:3], 0 offen offset:8
	;; [unrolled: 1-line block ×3, first 2 shown]
	s_waitcnt vmcnt(0)
	ds_write_b128 v40, v[1:4]
	s_waitcnt lgkmcnt(0)
	s_waitcnt_vscnt null, 0x0
	s_barrier
	buffer_gl0_inv
	v_cmpx_gt_u32_e32 42, v0
	s_cbranch_execz .LBB60_1175
; %bb.1168:
	ds_read_b128 v[1:4], v40
	v_cmp_ne_u32_e32 vcc_lo, 1, v41
	s_cbranch_vccnz .LBB60_1170
; %bb.1169:
	s_clause 0x3
	buffer_load_dword v42, v39, s[0:3], 0 offen offset:8
	buffer_load_dword v43, v39, s[0:3], 0 offen offset:12
	buffer_load_dword v44, v39, s[0:3], 0 offen
	buffer_load_dword v45, v39, s[0:3], 0 offen offset:4
	s_waitcnt vmcnt(2) lgkmcnt(0)
	v_mul_f64 v[46:47], v[3:4], v[42:43]
	v_mul_f64 v[42:43], v[1:2], v[42:43]
	s_waitcnt vmcnt(0)
	v_fma_f64 v[1:2], v[1:2], v[44:45], -v[46:47]
	v_fma_f64 v[3:4], v[3:4], v[44:45], v[42:43]
.LBB60_1170:
	s_mov_b32 s5, exec_lo
	v_cmpx_ne_u32_e32 41, v0
	s_cbranch_execz .LBB60_1174
; %bb.1171:
	v_add_nc_u32_e32 v42, 0x3e0, v181
	v_add3_u32 v43, 0, v181, 16
	v_mov_b32_e32 v44, v0
	s_mov_b32 s6, 0
	.p2align	6
.LBB60_1172:                            ; =>This Inner Loop Header: Depth=1
	s_clause 0x3
	buffer_load_dword v49, v43, s[0:3], 0 offen offset:8
	buffer_load_dword v50, v43, s[0:3], 0 offen offset:12
	buffer_load_dword v51, v43, s[0:3], 0 offen
	buffer_load_dword v52, v43, s[0:3], 0 offen offset:4
	ds_read_b128 v[45:48], v42
	v_add_nc_u32_e32 v44, 1, v44
	v_add_nc_u32_e32 v42, 16, v42
	;; [unrolled: 1-line block ×3, first 2 shown]
	v_cmp_lt_u32_e32 vcc_lo, 40, v44
	s_or_b32 s6, vcc_lo, s6
	s_waitcnt vmcnt(2) lgkmcnt(0)
	v_mul_f64 v[53:54], v[47:48], v[49:50]
	v_mul_f64 v[49:50], v[45:46], v[49:50]
	s_waitcnt vmcnt(0)
	v_fma_f64 v[45:46], v[45:46], v[51:52], -v[53:54]
	v_fma_f64 v[47:48], v[47:48], v[51:52], v[49:50]
	v_add_f64 v[1:2], v[1:2], v[45:46]
	v_add_f64 v[3:4], v[3:4], v[47:48]
	s_andn2_b32 exec_lo, exec_lo, s6
	s_cbranch_execnz .LBB60_1172
; %bb.1173:
	s_or_b32 exec_lo, exec_lo, s6
.LBB60_1174:
	s_or_b32 exec_lo, exec_lo, s5
	v_mov_b32_e32 v42, 0
	ds_read_b128 v[42:45], v42 offset:672
	s_waitcnt lgkmcnt(0)
	v_mul_f64 v[46:47], v[3:4], v[44:45]
	v_mul_f64 v[44:45], v[1:2], v[44:45]
	v_fma_f64 v[1:2], v[1:2], v[42:43], -v[46:47]
	v_fma_f64 v[3:4], v[3:4], v[42:43], v[44:45]
	buffer_store_dword v2, off, s[0:3], 0 offset:676
	buffer_store_dword v1, off, s[0:3], 0 offset:672
	;; [unrolled: 1-line block ×4, first 2 shown]
.LBB60_1175:
	s_or_b32 exec_lo, exec_lo, s4
	v_mov_b32_e32 v4, s26
	s_mov_b32 s4, exec_lo
	s_clause 0x3
	buffer_load_dword v1, v4, s[0:3], 0 offen
	buffer_load_dword v2, v4, s[0:3], 0 offen offset:4
	buffer_load_dword v3, v4, s[0:3], 0 offen offset:8
	;; [unrolled: 1-line block ×3, first 2 shown]
	s_waitcnt vmcnt(0)
	ds_write_b128 v40, v[1:4]
	s_waitcnt lgkmcnt(0)
	s_waitcnt_vscnt null, 0x0
	s_barrier
	buffer_gl0_inv
	v_cmpx_gt_u32_e32 43, v0
	s_cbranch_execz .LBB60_1183
; %bb.1176:
	ds_read_b128 v[1:4], v40
	v_cmp_ne_u32_e32 vcc_lo, 1, v41
	s_cbranch_vccnz .LBB60_1178
; %bb.1177:
	s_clause 0x3
	buffer_load_dword v42, v39, s[0:3], 0 offen offset:8
	buffer_load_dword v43, v39, s[0:3], 0 offen offset:12
	buffer_load_dword v44, v39, s[0:3], 0 offen
	buffer_load_dword v45, v39, s[0:3], 0 offen offset:4
	s_waitcnt vmcnt(2) lgkmcnt(0)
	v_mul_f64 v[46:47], v[3:4], v[42:43]
	v_mul_f64 v[42:43], v[1:2], v[42:43]
	s_waitcnt vmcnt(0)
	v_fma_f64 v[1:2], v[1:2], v[44:45], -v[46:47]
	v_fma_f64 v[3:4], v[3:4], v[44:45], v[42:43]
.LBB60_1178:
	s_mov_b32 s5, exec_lo
	v_cmpx_ne_u32_e32 42, v0
	s_cbranch_execz .LBB60_1182
; %bb.1179:
	v_add_nc_u32_e32 v42, 0x3e0, v181
	v_add3_u32 v43, 0, v181, 16
	v_mov_b32_e32 v44, v0
	s_mov_b32 s6, 0
	.p2align	6
.LBB60_1180:                            ; =>This Inner Loop Header: Depth=1
	s_clause 0x3
	buffer_load_dword v49, v43, s[0:3], 0 offen offset:8
	buffer_load_dword v50, v43, s[0:3], 0 offen offset:12
	buffer_load_dword v51, v43, s[0:3], 0 offen
	buffer_load_dword v52, v43, s[0:3], 0 offen offset:4
	ds_read_b128 v[45:48], v42
	v_add_nc_u32_e32 v44, 1, v44
	v_add_nc_u32_e32 v42, 16, v42
	;; [unrolled: 1-line block ×3, first 2 shown]
	v_cmp_lt_u32_e32 vcc_lo, 41, v44
	s_or_b32 s6, vcc_lo, s6
	s_waitcnt vmcnt(2) lgkmcnt(0)
	v_mul_f64 v[53:54], v[47:48], v[49:50]
	v_mul_f64 v[49:50], v[45:46], v[49:50]
	s_waitcnt vmcnt(0)
	v_fma_f64 v[45:46], v[45:46], v[51:52], -v[53:54]
	v_fma_f64 v[47:48], v[47:48], v[51:52], v[49:50]
	v_add_f64 v[1:2], v[1:2], v[45:46]
	v_add_f64 v[3:4], v[3:4], v[47:48]
	s_andn2_b32 exec_lo, exec_lo, s6
	s_cbranch_execnz .LBB60_1180
; %bb.1181:
	s_or_b32 exec_lo, exec_lo, s6
.LBB60_1182:
	s_or_b32 exec_lo, exec_lo, s5
	v_mov_b32_e32 v42, 0
	ds_read_b128 v[42:45], v42 offset:688
	s_waitcnt lgkmcnt(0)
	v_mul_f64 v[46:47], v[3:4], v[44:45]
	v_mul_f64 v[44:45], v[1:2], v[44:45]
	v_fma_f64 v[1:2], v[1:2], v[42:43], -v[46:47]
	v_fma_f64 v[3:4], v[3:4], v[42:43], v[44:45]
	buffer_store_dword v2, off, s[0:3], 0 offset:692
	buffer_store_dword v1, off, s[0:3], 0 offset:688
	;; [unrolled: 1-line block ×4, first 2 shown]
.LBB60_1183:
	s_or_b32 exec_lo, exec_lo, s4
	v_mov_b32_e32 v4, s25
	s_mov_b32 s4, exec_lo
	s_clause 0x3
	buffer_load_dword v1, v4, s[0:3], 0 offen
	buffer_load_dword v2, v4, s[0:3], 0 offen offset:4
	buffer_load_dword v3, v4, s[0:3], 0 offen offset:8
	;; [unrolled: 1-line block ×3, first 2 shown]
	s_waitcnt vmcnt(0)
	ds_write_b128 v40, v[1:4]
	s_waitcnt lgkmcnt(0)
	s_waitcnt_vscnt null, 0x0
	s_barrier
	buffer_gl0_inv
	v_cmpx_gt_u32_e32 44, v0
	s_cbranch_execz .LBB60_1191
; %bb.1184:
	ds_read_b128 v[1:4], v40
	v_cmp_ne_u32_e32 vcc_lo, 1, v41
	s_cbranch_vccnz .LBB60_1186
; %bb.1185:
	s_clause 0x3
	buffer_load_dword v42, v39, s[0:3], 0 offen offset:8
	buffer_load_dword v43, v39, s[0:3], 0 offen offset:12
	buffer_load_dword v44, v39, s[0:3], 0 offen
	buffer_load_dword v45, v39, s[0:3], 0 offen offset:4
	s_waitcnt vmcnt(2) lgkmcnt(0)
	v_mul_f64 v[46:47], v[3:4], v[42:43]
	v_mul_f64 v[42:43], v[1:2], v[42:43]
	s_waitcnt vmcnt(0)
	v_fma_f64 v[1:2], v[1:2], v[44:45], -v[46:47]
	v_fma_f64 v[3:4], v[3:4], v[44:45], v[42:43]
.LBB60_1186:
	s_mov_b32 s5, exec_lo
	v_cmpx_ne_u32_e32 43, v0
	s_cbranch_execz .LBB60_1190
; %bb.1187:
	v_add_nc_u32_e32 v42, 0x3e0, v181
	v_add3_u32 v43, 0, v181, 16
	v_mov_b32_e32 v44, v0
	s_mov_b32 s6, 0
	.p2align	6
.LBB60_1188:                            ; =>This Inner Loop Header: Depth=1
	s_clause 0x3
	buffer_load_dword v49, v43, s[0:3], 0 offen offset:8
	buffer_load_dword v50, v43, s[0:3], 0 offen offset:12
	buffer_load_dword v51, v43, s[0:3], 0 offen
	buffer_load_dword v52, v43, s[0:3], 0 offen offset:4
	ds_read_b128 v[45:48], v42
	v_add_nc_u32_e32 v44, 1, v44
	v_add_nc_u32_e32 v42, 16, v42
	;; [unrolled: 1-line block ×3, first 2 shown]
	v_cmp_lt_u32_e32 vcc_lo, 42, v44
	s_or_b32 s6, vcc_lo, s6
	s_waitcnt vmcnt(2) lgkmcnt(0)
	v_mul_f64 v[53:54], v[47:48], v[49:50]
	v_mul_f64 v[49:50], v[45:46], v[49:50]
	s_waitcnt vmcnt(0)
	v_fma_f64 v[45:46], v[45:46], v[51:52], -v[53:54]
	v_fma_f64 v[47:48], v[47:48], v[51:52], v[49:50]
	v_add_f64 v[1:2], v[1:2], v[45:46]
	v_add_f64 v[3:4], v[3:4], v[47:48]
	s_andn2_b32 exec_lo, exec_lo, s6
	s_cbranch_execnz .LBB60_1188
; %bb.1189:
	s_or_b32 exec_lo, exec_lo, s6
.LBB60_1190:
	s_or_b32 exec_lo, exec_lo, s5
	v_mov_b32_e32 v42, 0
	ds_read_b128 v[42:45], v42 offset:704
	s_waitcnt lgkmcnt(0)
	v_mul_f64 v[46:47], v[3:4], v[44:45]
	v_mul_f64 v[44:45], v[1:2], v[44:45]
	v_fma_f64 v[1:2], v[1:2], v[42:43], -v[46:47]
	v_fma_f64 v[3:4], v[3:4], v[42:43], v[44:45]
	buffer_store_dword v2, off, s[0:3], 0 offset:708
	buffer_store_dword v1, off, s[0:3], 0 offset:704
	;; [unrolled: 1-line block ×4, first 2 shown]
.LBB60_1191:
	s_or_b32 exec_lo, exec_lo, s4
	v_mov_b32_e32 v4, s24
	s_mov_b32 s4, exec_lo
	s_clause 0x3
	buffer_load_dword v1, v4, s[0:3], 0 offen
	buffer_load_dword v2, v4, s[0:3], 0 offen offset:4
	buffer_load_dword v3, v4, s[0:3], 0 offen offset:8
	;; [unrolled: 1-line block ×3, first 2 shown]
	s_waitcnt vmcnt(0)
	ds_write_b128 v40, v[1:4]
	s_waitcnt lgkmcnt(0)
	s_waitcnt_vscnt null, 0x0
	s_barrier
	buffer_gl0_inv
	v_cmpx_gt_u32_e32 45, v0
	s_cbranch_execz .LBB60_1199
; %bb.1192:
	ds_read_b128 v[1:4], v40
	v_cmp_ne_u32_e32 vcc_lo, 1, v41
	s_cbranch_vccnz .LBB60_1194
; %bb.1193:
	s_clause 0x3
	buffer_load_dword v42, v39, s[0:3], 0 offen offset:8
	buffer_load_dword v43, v39, s[0:3], 0 offen offset:12
	buffer_load_dword v44, v39, s[0:3], 0 offen
	buffer_load_dword v45, v39, s[0:3], 0 offen offset:4
	s_waitcnt vmcnt(2) lgkmcnt(0)
	v_mul_f64 v[46:47], v[3:4], v[42:43]
	v_mul_f64 v[42:43], v[1:2], v[42:43]
	s_waitcnt vmcnt(0)
	v_fma_f64 v[1:2], v[1:2], v[44:45], -v[46:47]
	v_fma_f64 v[3:4], v[3:4], v[44:45], v[42:43]
.LBB60_1194:
	s_mov_b32 s5, exec_lo
	v_cmpx_ne_u32_e32 44, v0
	s_cbranch_execz .LBB60_1198
; %bb.1195:
	v_add_nc_u32_e32 v42, 0x3e0, v181
	v_add3_u32 v43, 0, v181, 16
	v_mov_b32_e32 v44, v0
	s_mov_b32 s6, 0
	.p2align	6
.LBB60_1196:                            ; =>This Inner Loop Header: Depth=1
	s_clause 0x3
	buffer_load_dword v49, v43, s[0:3], 0 offen offset:8
	buffer_load_dword v50, v43, s[0:3], 0 offen offset:12
	buffer_load_dword v51, v43, s[0:3], 0 offen
	buffer_load_dword v52, v43, s[0:3], 0 offen offset:4
	ds_read_b128 v[45:48], v42
	v_add_nc_u32_e32 v44, 1, v44
	v_add_nc_u32_e32 v42, 16, v42
	;; [unrolled: 1-line block ×3, first 2 shown]
	v_cmp_lt_u32_e32 vcc_lo, 43, v44
	s_or_b32 s6, vcc_lo, s6
	s_waitcnt vmcnt(2) lgkmcnt(0)
	v_mul_f64 v[53:54], v[47:48], v[49:50]
	v_mul_f64 v[49:50], v[45:46], v[49:50]
	s_waitcnt vmcnt(0)
	v_fma_f64 v[45:46], v[45:46], v[51:52], -v[53:54]
	v_fma_f64 v[47:48], v[47:48], v[51:52], v[49:50]
	v_add_f64 v[1:2], v[1:2], v[45:46]
	v_add_f64 v[3:4], v[3:4], v[47:48]
	s_andn2_b32 exec_lo, exec_lo, s6
	s_cbranch_execnz .LBB60_1196
; %bb.1197:
	s_or_b32 exec_lo, exec_lo, s6
.LBB60_1198:
	s_or_b32 exec_lo, exec_lo, s5
	v_mov_b32_e32 v42, 0
	ds_read_b128 v[42:45], v42 offset:720
	s_waitcnt lgkmcnt(0)
	v_mul_f64 v[46:47], v[3:4], v[44:45]
	v_mul_f64 v[44:45], v[1:2], v[44:45]
	v_fma_f64 v[1:2], v[1:2], v[42:43], -v[46:47]
	v_fma_f64 v[3:4], v[3:4], v[42:43], v[44:45]
	buffer_store_dword v2, off, s[0:3], 0 offset:724
	buffer_store_dword v1, off, s[0:3], 0 offset:720
	;; [unrolled: 1-line block ×4, first 2 shown]
.LBB60_1199:
	s_or_b32 exec_lo, exec_lo, s4
	v_mov_b32_e32 v4, s23
	s_mov_b32 s4, exec_lo
	s_clause 0x3
	buffer_load_dword v1, v4, s[0:3], 0 offen
	buffer_load_dword v2, v4, s[0:3], 0 offen offset:4
	buffer_load_dword v3, v4, s[0:3], 0 offen offset:8
	;; [unrolled: 1-line block ×3, first 2 shown]
	s_waitcnt vmcnt(0)
	ds_write_b128 v40, v[1:4]
	s_waitcnt lgkmcnt(0)
	s_waitcnt_vscnt null, 0x0
	s_barrier
	buffer_gl0_inv
	v_cmpx_gt_u32_e32 46, v0
	s_cbranch_execz .LBB60_1207
; %bb.1200:
	ds_read_b128 v[1:4], v40
	v_cmp_ne_u32_e32 vcc_lo, 1, v41
	s_cbranch_vccnz .LBB60_1202
; %bb.1201:
	s_clause 0x3
	buffer_load_dword v42, v39, s[0:3], 0 offen offset:8
	buffer_load_dword v43, v39, s[0:3], 0 offen offset:12
	buffer_load_dword v44, v39, s[0:3], 0 offen
	buffer_load_dword v45, v39, s[0:3], 0 offen offset:4
	s_waitcnt vmcnt(2) lgkmcnt(0)
	v_mul_f64 v[46:47], v[3:4], v[42:43]
	v_mul_f64 v[42:43], v[1:2], v[42:43]
	s_waitcnt vmcnt(0)
	v_fma_f64 v[1:2], v[1:2], v[44:45], -v[46:47]
	v_fma_f64 v[3:4], v[3:4], v[44:45], v[42:43]
.LBB60_1202:
	s_mov_b32 s5, exec_lo
	v_cmpx_ne_u32_e32 45, v0
	s_cbranch_execz .LBB60_1206
; %bb.1203:
	v_add_nc_u32_e32 v42, 0x3e0, v181
	v_add3_u32 v43, 0, v181, 16
	v_mov_b32_e32 v44, v0
	s_mov_b32 s6, 0
	.p2align	6
.LBB60_1204:                            ; =>This Inner Loop Header: Depth=1
	s_clause 0x3
	buffer_load_dword v49, v43, s[0:3], 0 offen offset:8
	buffer_load_dword v50, v43, s[0:3], 0 offen offset:12
	buffer_load_dword v51, v43, s[0:3], 0 offen
	buffer_load_dword v52, v43, s[0:3], 0 offen offset:4
	ds_read_b128 v[45:48], v42
	v_add_nc_u32_e32 v44, 1, v44
	v_add_nc_u32_e32 v42, 16, v42
	;; [unrolled: 1-line block ×3, first 2 shown]
	v_cmp_lt_u32_e32 vcc_lo, 44, v44
	s_or_b32 s6, vcc_lo, s6
	s_waitcnt vmcnt(2) lgkmcnt(0)
	v_mul_f64 v[53:54], v[47:48], v[49:50]
	v_mul_f64 v[49:50], v[45:46], v[49:50]
	s_waitcnt vmcnt(0)
	v_fma_f64 v[45:46], v[45:46], v[51:52], -v[53:54]
	v_fma_f64 v[47:48], v[47:48], v[51:52], v[49:50]
	v_add_f64 v[1:2], v[1:2], v[45:46]
	v_add_f64 v[3:4], v[3:4], v[47:48]
	s_andn2_b32 exec_lo, exec_lo, s6
	s_cbranch_execnz .LBB60_1204
; %bb.1205:
	s_or_b32 exec_lo, exec_lo, s6
.LBB60_1206:
	s_or_b32 exec_lo, exec_lo, s5
	v_mov_b32_e32 v42, 0
	ds_read_b128 v[42:45], v42 offset:736
	s_waitcnt lgkmcnt(0)
	v_mul_f64 v[46:47], v[3:4], v[44:45]
	v_mul_f64 v[44:45], v[1:2], v[44:45]
	v_fma_f64 v[1:2], v[1:2], v[42:43], -v[46:47]
	v_fma_f64 v[3:4], v[3:4], v[42:43], v[44:45]
	buffer_store_dword v2, off, s[0:3], 0 offset:740
	buffer_store_dword v1, off, s[0:3], 0 offset:736
	;; [unrolled: 1-line block ×4, first 2 shown]
.LBB60_1207:
	s_or_b32 exec_lo, exec_lo, s4
	v_mov_b32_e32 v4, s22
	s_mov_b32 s4, exec_lo
	s_clause 0x3
	buffer_load_dword v1, v4, s[0:3], 0 offen
	buffer_load_dword v2, v4, s[0:3], 0 offen offset:4
	buffer_load_dword v3, v4, s[0:3], 0 offen offset:8
	buffer_load_dword v4, v4, s[0:3], 0 offen offset:12
	s_waitcnt vmcnt(0)
	ds_write_b128 v40, v[1:4]
	s_waitcnt lgkmcnt(0)
	s_waitcnt_vscnt null, 0x0
	s_barrier
	buffer_gl0_inv
	v_cmpx_gt_u32_e32 47, v0
	s_cbranch_execz .LBB60_1215
; %bb.1208:
	ds_read_b128 v[1:4], v40
	v_cmp_ne_u32_e32 vcc_lo, 1, v41
	s_cbranch_vccnz .LBB60_1210
; %bb.1209:
	s_clause 0x3
	buffer_load_dword v42, v39, s[0:3], 0 offen offset:8
	buffer_load_dword v43, v39, s[0:3], 0 offen offset:12
	buffer_load_dword v44, v39, s[0:3], 0 offen
	buffer_load_dword v45, v39, s[0:3], 0 offen offset:4
	s_waitcnt vmcnt(2) lgkmcnt(0)
	v_mul_f64 v[46:47], v[3:4], v[42:43]
	v_mul_f64 v[42:43], v[1:2], v[42:43]
	s_waitcnt vmcnt(0)
	v_fma_f64 v[1:2], v[1:2], v[44:45], -v[46:47]
	v_fma_f64 v[3:4], v[3:4], v[44:45], v[42:43]
.LBB60_1210:
	s_mov_b32 s5, exec_lo
	v_cmpx_ne_u32_e32 46, v0
	s_cbranch_execz .LBB60_1214
; %bb.1211:
	v_add_nc_u32_e32 v42, 0x3e0, v181
	v_add3_u32 v43, 0, v181, 16
	v_mov_b32_e32 v44, v0
	s_mov_b32 s6, 0
	.p2align	6
.LBB60_1212:                            ; =>This Inner Loop Header: Depth=1
	s_clause 0x3
	buffer_load_dword v49, v43, s[0:3], 0 offen offset:8
	buffer_load_dword v50, v43, s[0:3], 0 offen offset:12
	buffer_load_dword v51, v43, s[0:3], 0 offen
	buffer_load_dword v52, v43, s[0:3], 0 offen offset:4
	ds_read_b128 v[45:48], v42
	v_add_nc_u32_e32 v44, 1, v44
	v_add_nc_u32_e32 v42, 16, v42
	;; [unrolled: 1-line block ×3, first 2 shown]
	v_cmp_lt_u32_e32 vcc_lo, 45, v44
	s_or_b32 s6, vcc_lo, s6
	s_waitcnt vmcnt(2) lgkmcnt(0)
	v_mul_f64 v[53:54], v[47:48], v[49:50]
	v_mul_f64 v[49:50], v[45:46], v[49:50]
	s_waitcnt vmcnt(0)
	v_fma_f64 v[45:46], v[45:46], v[51:52], -v[53:54]
	v_fma_f64 v[47:48], v[47:48], v[51:52], v[49:50]
	v_add_f64 v[1:2], v[1:2], v[45:46]
	v_add_f64 v[3:4], v[3:4], v[47:48]
	s_andn2_b32 exec_lo, exec_lo, s6
	s_cbranch_execnz .LBB60_1212
; %bb.1213:
	s_or_b32 exec_lo, exec_lo, s6
.LBB60_1214:
	s_or_b32 exec_lo, exec_lo, s5
	v_mov_b32_e32 v42, 0
	ds_read_b128 v[42:45], v42 offset:752
	s_waitcnt lgkmcnt(0)
	v_mul_f64 v[46:47], v[3:4], v[44:45]
	v_mul_f64 v[44:45], v[1:2], v[44:45]
	v_fma_f64 v[1:2], v[1:2], v[42:43], -v[46:47]
	v_fma_f64 v[3:4], v[3:4], v[42:43], v[44:45]
	buffer_store_dword v2, off, s[0:3], 0 offset:756
	buffer_store_dword v1, off, s[0:3], 0 offset:752
	;; [unrolled: 1-line block ×4, first 2 shown]
.LBB60_1215:
	s_or_b32 exec_lo, exec_lo, s4
	v_mov_b32_e32 v4, s21
	s_mov_b32 s4, exec_lo
	s_clause 0x3
	buffer_load_dword v1, v4, s[0:3], 0 offen
	buffer_load_dword v2, v4, s[0:3], 0 offen offset:4
	buffer_load_dword v3, v4, s[0:3], 0 offen offset:8
	;; [unrolled: 1-line block ×3, first 2 shown]
	s_waitcnt vmcnt(0)
	ds_write_b128 v40, v[1:4]
	s_waitcnt lgkmcnt(0)
	s_waitcnt_vscnt null, 0x0
	s_barrier
	buffer_gl0_inv
	v_cmpx_gt_u32_e32 48, v0
	s_cbranch_execz .LBB60_1223
; %bb.1216:
	ds_read_b128 v[1:4], v40
	v_cmp_ne_u32_e32 vcc_lo, 1, v41
	s_cbranch_vccnz .LBB60_1218
; %bb.1217:
	s_clause 0x3
	buffer_load_dword v42, v39, s[0:3], 0 offen offset:8
	buffer_load_dword v43, v39, s[0:3], 0 offen offset:12
	buffer_load_dword v44, v39, s[0:3], 0 offen
	buffer_load_dword v45, v39, s[0:3], 0 offen offset:4
	s_waitcnt vmcnt(2) lgkmcnt(0)
	v_mul_f64 v[46:47], v[3:4], v[42:43]
	v_mul_f64 v[42:43], v[1:2], v[42:43]
	s_waitcnt vmcnt(0)
	v_fma_f64 v[1:2], v[1:2], v[44:45], -v[46:47]
	v_fma_f64 v[3:4], v[3:4], v[44:45], v[42:43]
.LBB60_1218:
	s_mov_b32 s5, exec_lo
	v_cmpx_ne_u32_e32 47, v0
	s_cbranch_execz .LBB60_1222
; %bb.1219:
	v_add_nc_u32_e32 v42, 0x3e0, v181
	v_add3_u32 v43, 0, v181, 16
	v_mov_b32_e32 v44, v0
	s_mov_b32 s6, 0
	.p2align	6
.LBB60_1220:                            ; =>This Inner Loop Header: Depth=1
	s_clause 0x3
	buffer_load_dword v49, v43, s[0:3], 0 offen offset:8
	buffer_load_dword v50, v43, s[0:3], 0 offen offset:12
	buffer_load_dword v51, v43, s[0:3], 0 offen
	buffer_load_dword v52, v43, s[0:3], 0 offen offset:4
	ds_read_b128 v[45:48], v42
	v_add_nc_u32_e32 v44, 1, v44
	v_add_nc_u32_e32 v42, 16, v42
	;; [unrolled: 1-line block ×3, first 2 shown]
	v_cmp_lt_u32_e32 vcc_lo, 46, v44
	s_or_b32 s6, vcc_lo, s6
	s_waitcnt vmcnt(2) lgkmcnt(0)
	v_mul_f64 v[53:54], v[47:48], v[49:50]
	v_mul_f64 v[49:50], v[45:46], v[49:50]
	s_waitcnt vmcnt(0)
	v_fma_f64 v[45:46], v[45:46], v[51:52], -v[53:54]
	v_fma_f64 v[47:48], v[47:48], v[51:52], v[49:50]
	v_add_f64 v[1:2], v[1:2], v[45:46]
	v_add_f64 v[3:4], v[3:4], v[47:48]
	s_andn2_b32 exec_lo, exec_lo, s6
	s_cbranch_execnz .LBB60_1220
; %bb.1221:
	s_or_b32 exec_lo, exec_lo, s6
.LBB60_1222:
	s_or_b32 exec_lo, exec_lo, s5
	v_mov_b32_e32 v42, 0
	ds_read_b128 v[42:45], v42 offset:768
	s_waitcnt lgkmcnt(0)
	v_mul_f64 v[46:47], v[3:4], v[44:45]
	v_mul_f64 v[44:45], v[1:2], v[44:45]
	v_fma_f64 v[1:2], v[1:2], v[42:43], -v[46:47]
	v_fma_f64 v[3:4], v[3:4], v[42:43], v[44:45]
	buffer_store_dword v2, off, s[0:3], 0 offset:772
	buffer_store_dword v1, off, s[0:3], 0 offset:768
	buffer_store_dword v4, off, s[0:3], 0 offset:780
	buffer_store_dword v3, off, s[0:3], 0 offset:776
.LBB60_1223:
	s_or_b32 exec_lo, exec_lo, s4
	v_mov_b32_e32 v4, s20
	s_mov_b32 s4, exec_lo
	s_clause 0x3
	buffer_load_dword v1, v4, s[0:3], 0 offen
	buffer_load_dword v2, v4, s[0:3], 0 offen offset:4
	buffer_load_dword v3, v4, s[0:3], 0 offen offset:8
	;; [unrolled: 1-line block ×3, first 2 shown]
	s_waitcnt vmcnt(0)
	ds_write_b128 v40, v[1:4]
	s_waitcnt lgkmcnt(0)
	s_waitcnt_vscnt null, 0x0
	s_barrier
	buffer_gl0_inv
	v_cmpx_gt_u32_e32 49, v0
	s_cbranch_execz .LBB60_1231
; %bb.1224:
	ds_read_b128 v[1:4], v40
	v_cmp_ne_u32_e32 vcc_lo, 1, v41
	s_cbranch_vccnz .LBB60_1226
; %bb.1225:
	s_clause 0x3
	buffer_load_dword v42, v39, s[0:3], 0 offen offset:8
	buffer_load_dword v43, v39, s[0:3], 0 offen offset:12
	buffer_load_dword v44, v39, s[0:3], 0 offen
	buffer_load_dword v45, v39, s[0:3], 0 offen offset:4
	s_waitcnt vmcnt(2) lgkmcnt(0)
	v_mul_f64 v[46:47], v[3:4], v[42:43]
	v_mul_f64 v[42:43], v[1:2], v[42:43]
	s_waitcnt vmcnt(0)
	v_fma_f64 v[1:2], v[1:2], v[44:45], -v[46:47]
	v_fma_f64 v[3:4], v[3:4], v[44:45], v[42:43]
.LBB60_1226:
	s_mov_b32 s5, exec_lo
	v_cmpx_ne_u32_e32 48, v0
	s_cbranch_execz .LBB60_1230
; %bb.1227:
	v_add_nc_u32_e32 v42, 0x3e0, v181
	v_add3_u32 v43, 0, v181, 16
	v_mov_b32_e32 v44, v0
	s_mov_b32 s6, 0
	.p2align	6
.LBB60_1228:                            ; =>This Inner Loop Header: Depth=1
	s_clause 0x3
	buffer_load_dword v49, v43, s[0:3], 0 offen offset:8
	buffer_load_dword v50, v43, s[0:3], 0 offen offset:12
	buffer_load_dword v51, v43, s[0:3], 0 offen
	buffer_load_dword v52, v43, s[0:3], 0 offen offset:4
	ds_read_b128 v[45:48], v42
	v_add_nc_u32_e32 v44, 1, v44
	v_add_nc_u32_e32 v42, 16, v42
	;; [unrolled: 1-line block ×3, first 2 shown]
	v_cmp_lt_u32_e32 vcc_lo, 47, v44
	s_or_b32 s6, vcc_lo, s6
	s_waitcnt vmcnt(2) lgkmcnt(0)
	v_mul_f64 v[53:54], v[47:48], v[49:50]
	v_mul_f64 v[49:50], v[45:46], v[49:50]
	s_waitcnt vmcnt(0)
	v_fma_f64 v[45:46], v[45:46], v[51:52], -v[53:54]
	v_fma_f64 v[47:48], v[47:48], v[51:52], v[49:50]
	v_add_f64 v[1:2], v[1:2], v[45:46]
	v_add_f64 v[3:4], v[3:4], v[47:48]
	s_andn2_b32 exec_lo, exec_lo, s6
	s_cbranch_execnz .LBB60_1228
; %bb.1229:
	s_or_b32 exec_lo, exec_lo, s6
.LBB60_1230:
	s_or_b32 exec_lo, exec_lo, s5
	v_mov_b32_e32 v42, 0
	ds_read_b128 v[42:45], v42 offset:784
	s_waitcnt lgkmcnt(0)
	v_mul_f64 v[46:47], v[3:4], v[44:45]
	v_mul_f64 v[44:45], v[1:2], v[44:45]
	v_fma_f64 v[1:2], v[1:2], v[42:43], -v[46:47]
	v_fma_f64 v[3:4], v[3:4], v[42:43], v[44:45]
	buffer_store_dword v2, off, s[0:3], 0 offset:788
	buffer_store_dword v1, off, s[0:3], 0 offset:784
	;; [unrolled: 1-line block ×4, first 2 shown]
.LBB60_1231:
	s_or_b32 exec_lo, exec_lo, s4
	v_mov_b32_e32 v4, s19
	s_mov_b32 s4, exec_lo
	s_clause 0x3
	buffer_load_dword v1, v4, s[0:3], 0 offen
	buffer_load_dword v2, v4, s[0:3], 0 offen offset:4
	buffer_load_dword v3, v4, s[0:3], 0 offen offset:8
	;; [unrolled: 1-line block ×3, first 2 shown]
	s_waitcnt vmcnt(0)
	ds_write_b128 v40, v[1:4]
	s_waitcnt lgkmcnt(0)
	s_waitcnt_vscnt null, 0x0
	s_barrier
	buffer_gl0_inv
	v_cmpx_gt_u32_e32 50, v0
	s_cbranch_execz .LBB60_1239
; %bb.1232:
	ds_read_b128 v[1:4], v40
	v_cmp_ne_u32_e32 vcc_lo, 1, v41
	s_cbranch_vccnz .LBB60_1234
; %bb.1233:
	s_clause 0x3
	buffer_load_dword v42, v39, s[0:3], 0 offen offset:8
	buffer_load_dword v43, v39, s[0:3], 0 offen offset:12
	buffer_load_dword v44, v39, s[0:3], 0 offen
	buffer_load_dword v45, v39, s[0:3], 0 offen offset:4
	s_waitcnt vmcnt(2) lgkmcnt(0)
	v_mul_f64 v[46:47], v[3:4], v[42:43]
	v_mul_f64 v[42:43], v[1:2], v[42:43]
	s_waitcnt vmcnt(0)
	v_fma_f64 v[1:2], v[1:2], v[44:45], -v[46:47]
	v_fma_f64 v[3:4], v[3:4], v[44:45], v[42:43]
.LBB60_1234:
	s_mov_b32 s5, exec_lo
	v_cmpx_ne_u32_e32 49, v0
	s_cbranch_execz .LBB60_1238
; %bb.1235:
	v_add_nc_u32_e32 v42, 0x3e0, v181
	v_add3_u32 v43, 0, v181, 16
	v_mov_b32_e32 v44, v0
	s_mov_b32 s6, 0
	.p2align	6
.LBB60_1236:                            ; =>This Inner Loop Header: Depth=1
	s_clause 0x3
	buffer_load_dword v49, v43, s[0:3], 0 offen offset:8
	buffer_load_dword v50, v43, s[0:3], 0 offen offset:12
	buffer_load_dword v51, v43, s[0:3], 0 offen
	buffer_load_dword v52, v43, s[0:3], 0 offen offset:4
	ds_read_b128 v[45:48], v42
	v_add_nc_u32_e32 v44, 1, v44
	v_add_nc_u32_e32 v42, 16, v42
	;; [unrolled: 1-line block ×3, first 2 shown]
	v_cmp_lt_u32_e32 vcc_lo, 48, v44
	s_or_b32 s6, vcc_lo, s6
	s_waitcnt vmcnt(2) lgkmcnt(0)
	v_mul_f64 v[53:54], v[47:48], v[49:50]
	v_mul_f64 v[49:50], v[45:46], v[49:50]
	s_waitcnt vmcnt(0)
	v_fma_f64 v[45:46], v[45:46], v[51:52], -v[53:54]
	v_fma_f64 v[47:48], v[47:48], v[51:52], v[49:50]
	v_add_f64 v[1:2], v[1:2], v[45:46]
	v_add_f64 v[3:4], v[3:4], v[47:48]
	s_andn2_b32 exec_lo, exec_lo, s6
	s_cbranch_execnz .LBB60_1236
; %bb.1237:
	s_or_b32 exec_lo, exec_lo, s6
.LBB60_1238:
	s_or_b32 exec_lo, exec_lo, s5
	v_mov_b32_e32 v42, 0
	ds_read_b128 v[42:45], v42 offset:800
	s_waitcnt lgkmcnt(0)
	v_mul_f64 v[46:47], v[3:4], v[44:45]
	v_mul_f64 v[44:45], v[1:2], v[44:45]
	v_fma_f64 v[1:2], v[1:2], v[42:43], -v[46:47]
	v_fma_f64 v[3:4], v[3:4], v[42:43], v[44:45]
	buffer_store_dword v2, off, s[0:3], 0 offset:804
	buffer_store_dword v1, off, s[0:3], 0 offset:800
	;; [unrolled: 1-line block ×4, first 2 shown]
.LBB60_1239:
	s_or_b32 exec_lo, exec_lo, s4
	v_mov_b32_e32 v4, s18
	s_mov_b32 s4, exec_lo
	s_clause 0x3
	buffer_load_dword v1, v4, s[0:3], 0 offen
	buffer_load_dword v2, v4, s[0:3], 0 offen offset:4
	buffer_load_dword v3, v4, s[0:3], 0 offen offset:8
	;; [unrolled: 1-line block ×3, first 2 shown]
	s_waitcnt vmcnt(0)
	ds_write_b128 v40, v[1:4]
	s_waitcnt lgkmcnt(0)
	s_waitcnt_vscnt null, 0x0
	s_barrier
	buffer_gl0_inv
	v_cmpx_gt_u32_e32 51, v0
	s_cbranch_execz .LBB60_1247
; %bb.1240:
	ds_read_b128 v[1:4], v40
	v_cmp_ne_u32_e32 vcc_lo, 1, v41
	s_cbranch_vccnz .LBB60_1242
; %bb.1241:
	s_clause 0x3
	buffer_load_dword v42, v39, s[0:3], 0 offen offset:8
	buffer_load_dword v43, v39, s[0:3], 0 offen offset:12
	buffer_load_dword v44, v39, s[0:3], 0 offen
	buffer_load_dword v45, v39, s[0:3], 0 offen offset:4
	s_waitcnt vmcnt(2) lgkmcnt(0)
	v_mul_f64 v[46:47], v[3:4], v[42:43]
	v_mul_f64 v[42:43], v[1:2], v[42:43]
	s_waitcnt vmcnt(0)
	v_fma_f64 v[1:2], v[1:2], v[44:45], -v[46:47]
	v_fma_f64 v[3:4], v[3:4], v[44:45], v[42:43]
.LBB60_1242:
	s_mov_b32 s5, exec_lo
	v_cmpx_ne_u32_e32 50, v0
	s_cbranch_execz .LBB60_1246
; %bb.1243:
	v_add_nc_u32_e32 v42, 0x3e0, v181
	v_add3_u32 v43, 0, v181, 16
	v_mov_b32_e32 v44, v0
	s_mov_b32 s6, 0
	.p2align	6
.LBB60_1244:                            ; =>This Inner Loop Header: Depth=1
	s_clause 0x3
	buffer_load_dword v49, v43, s[0:3], 0 offen offset:8
	buffer_load_dword v50, v43, s[0:3], 0 offen offset:12
	buffer_load_dword v51, v43, s[0:3], 0 offen
	buffer_load_dword v52, v43, s[0:3], 0 offen offset:4
	ds_read_b128 v[45:48], v42
	v_add_nc_u32_e32 v44, 1, v44
	v_add_nc_u32_e32 v42, 16, v42
	;; [unrolled: 1-line block ×3, first 2 shown]
	v_cmp_lt_u32_e32 vcc_lo, 49, v44
	s_or_b32 s6, vcc_lo, s6
	s_waitcnt vmcnt(2) lgkmcnt(0)
	v_mul_f64 v[53:54], v[47:48], v[49:50]
	v_mul_f64 v[49:50], v[45:46], v[49:50]
	s_waitcnt vmcnt(0)
	v_fma_f64 v[45:46], v[45:46], v[51:52], -v[53:54]
	v_fma_f64 v[47:48], v[47:48], v[51:52], v[49:50]
	v_add_f64 v[1:2], v[1:2], v[45:46]
	v_add_f64 v[3:4], v[3:4], v[47:48]
	s_andn2_b32 exec_lo, exec_lo, s6
	s_cbranch_execnz .LBB60_1244
; %bb.1245:
	s_or_b32 exec_lo, exec_lo, s6
.LBB60_1246:
	s_or_b32 exec_lo, exec_lo, s5
	v_mov_b32_e32 v42, 0
	ds_read_b128 v[42:45], v42 offset:816
	s_waitcnt lgkmcnt(0)
	v_mul_f64 v[46:47], v[3:4], v[44:45]
	v_mul_f64 v[44:45], v[1:2], v[44:45]
	v_fma_f64 v[1:2], v[1:2], v[42:43], -v[46:47]
	v_fma_f64 v[3:4], v[3:4], v[42:43], v[44:45]
	buffer_store_dword v2, off, s[0:3], 0 offset:820
	buffer_store_dword v1, off, s[0:3], 0 offset:816
	;; [unrolled: 1-line block ×4, first 2 shown]
.LBB60_1247:
	s_or_b32 exec_lo, exec_lo, s4
	v_mov_b32_e32 v4, s17
	s_mov_b32 s4, exec_lo
	s_clause 0x3
	buffer_load_dword v1, v4, s[0:3], 0 offen
	buffer_load_dword v2, v4, s[0:3], 0 offen offset:4
	buffer_load_dword v3, v4, s[0:3], 0 offen offset:8
	;; [unrolled: 1-line block ×3, first 2 shown]
	s_waitcnt vmcnt(0)
	ds_write_b128 v40, v[1:4]
	s_waitcnt lgkmcnt(0)
	s_waitcnt_vscnt null, 0x0
	s_barrier
	buffer_gl0_inv
	v_cmpx_gt_u32_e32 52, v0
	s_cbranch_execz .LBB60_1255
; %bb.1248:
	ds_read_b128 v[1:4], v40
	v_cmp_ne_u32_e32 vcc_lo, 1, v41
	s_cbranch_vccnz .LBB60_1250
; %bb.1249:
	s_clause 0x3
	buffer_load_dword v42, v39, s[0:3], 0 offen offset:8
	buffer_load_dword v43, v39, s[0:3], 0 offen offset:12
	buffer_load_dword v44, v39, s[0:3], 0 offen
	buffer_load_dword v45, v39, s[0:3], 0 offen offset:4
	s_waitcnt vmcnt(2) lgkmcnt(0)
	v_mul_f64 v[46:47], v[3:4], v[42:43]
	v_mul_f64 v[42:43], v[1:2], v[42:43]
	s_waitcnt vmcnt(0)
	v_fma_f64 v[1:2], v[1:2], v[44:45], -v[46:47]
	v_fma_f64 v[3:4], v[3:4], v[44:45], v[42:43]
.LBB60_1250:
	s_mov_b32 s5, exec_lo
	v_cmpx_ne_u32_e32 51, v0
	s_cbranch_execz .LBB60_1254
; %bb.1251:
	v_add_nc_u32_e32 v42, 0x3e0, v181
	v_add3_u32 v43, 0, v181, 16
	v_mov_b32_e32 v44, v0
	s_mov_b32 s6, 0
	.p2align	6
.LBB60_1252:                            ; =>This Inner Loop Header: Depth=1
	s_clause 0x3
	buffer_load_dword v49, v43, s[0:3], 0 offen offset:8
	buffer_load_dword v50, v43, s[0:3], 0 offen offset:12
	buffer_load_dword v51, v43, s[0:3], 0 offen
	buffer_load_dword v52, v43, s[0:3], 0 offen offset:4
	ds_read_b128 v[45:48], v42
	v_add_nc_u32_e32 v44, 1, v44
	v_add_nc_u32_e32 v42, 16, v42
	;; [unrolled: 1-line block ×3, first 2 shown]
	v_cmp_lt_u32_e32 vcc_lo, 50, v44
	s_or_b32 s6, vcc_lo, s6
	s_waitcnt vmcnt(2) lgkmcnt(0)
	v_mul_f64 v[53:54], v[47:48], v[49:50]
	v_mul_f64 v[49:50], v[45:46], v[49:50]
	s_waitcnt vmcnt(0)
	v_fma_f64 v[45:46], v[45:46], v[51:52], -v[53:54]
	v_fma_f64 v[47:48], v[47:48], v[51:52], v[49:50]
	v_add_f64 v[1:2], v[1:2], v[45:46]
	v_add_f64 v[3:4], v[3:4], v[47:48]
	s_andn2_b32 exec_lo, exec_lo, s6
	s_cbranch_execnz .LBB60_1252
; %bb.1253:
	s_or_b32 exec_lo, exec_lo, s6
.LBB60_1254:
	s_or_b32 exec_lo, exec_lo, s5
	v_mov_b32_e32 v42, 0
	ds_read_b128 v[42:45], v42 offset:832
	s_waitcnt lgkmcnt(0)
	v_mul_f64 v[46:47], v[3:4], v[44:45]
	v_mul_f64 v[44:45], v[1:2], v[44:45]
	v_fma_f64 v[1:2], v[1:2], v[42:43], -v[46:47]
	v_fma_f64 v[3:4], v[3:4], v[42:43], v[44:45]
	buffer_store_dword v2, off, s[0:3], 0 offset:836
	buffer_store_dword v1, off, s[0:3], 0 offset:832
	;; [unrolled: 1-line block ×4, first 2 shown]
.LBB60_1255:
	s_or_b32 exec_lo, exec_lo, s4
	v_mov_b32_e32 v4, s16
	s_mov_b32 s4, exec_lo
	s_clause 0x3
	buffer_load_dword v1, v4, s[0:3], 0 offen
	buffer_load_dword v2, v4, s[0:3], 0 offen offset:4
	buffer_load_dword v3, v4, s[0:3], 0 offen offset:8
	;; [unrolled: 1-line block ×3, first 2 shown]
	s_waitcnt vmcnt(0)
	ds_write_b128 v40, v[1:4]
	s_waitcnt lgkmcnt(0)
	s_waitcnt_vscnt null, 0x0
	s_barrier
	buffer_gl0_inv
	v_cmpx_gt_u32_e32 53, v0
	s_cbranch_execz .LBB60_1263
; %bb.1256:
	ds_read_b128 v[1:4], v40
	v_cmp_ne_u32_e32 vcc_lo, 1, v41
	s_cbranch_vccnz .LBB60_1258
; %bb.1257:
	s_clause 0x3
	buffer_load_dword v42, v39, s[0:3], 0 offen offset:8
	buffer_load_dword v43, v39, s[0:3], 0 offen offset:12
	buffer_load_dword v44, v39, s[0:3], 0 offen
	buffer_load_dword v45, v39, s[0:3], 0 offen offset:4
	s_waitcnt vmcnt(2) lgkmcnt(0)
	v_mul_f64 v[46:47], v[3:4], v[42:43]
	v_mul_f64 v[42:43], v[1:2], v[42:43]
	s_waitcnt vmcnt(0)
	v_fma_f64 v[1:2], v[1:2], v[44:45], -v[46:47]
	v_fma_f64 v[3:4], v[3:4], v[44:45], v[42:43]
.LBB60_1258:
	s_mov_b32 s5, exec_lo
	v_cmpx_ne_u32_e32 52, v0
	s_cbranch_execz .LBB60_1262
; %bb.1259:
	v_add_nc_u32_e32 v42, 0x3e0, v181
	v_add3_u32 v43, 0, v181, 16
	v_mov_b32_e32 v44, v0
	s_mov_b32 s6, 0
	.p2align	6
.LBB60_1260:                            ; =>This Inner Loop Header: Depth=1
	s_clause 0x3
	buffer_load_dword v49, v43, s[0:3], 0 offen offset:8
	buffer_load_dword v50, v43, s[0:3], 0 offen offset:12
	buffer_load_dword v51, v43, s[0:3], 0 offen
	buffer_load_dword v52, v43, s[0:3], 0 offen offset:4
	ds_read_b128 v[45:48], v42
	v_add_nc_u32_e32 v44, 1, v44
	v_add_nc_u32_e32 v42, 16, v42
	;; [unrolled: 1-line block ×3, first 2 shown]
	v_cmp_lt_u32_e32 vcc_lo, 51, v44
	s_or_b32 s6, vcc_lo, s6
	s_waitcnt vmcnt(2) lgkmcnt(0)
	v_mul_f64 v[53:54], v[47:48], v[49:50]
	v_mul_f64 v[49:50], v[45:46], v[49:50]
	s_waitcnt vmcnt(0)
	v_fma_f64 v[45:46], v[45:46], v[51:52], -v[53:54]
	v_fma_f64 v[47:48], v[47:48], v[51:52], v[49:50]
	v_add_f64 v[1:2], v[1:2], v[45:46]
	v_add_f64 v[3:4], v[3:4], v[47:48]
	s_andn2_b32 exec_lo, exec_lo, s6
	s_cbranch_execnz .LBB60_1260
; %bb.1261:
	s_or_b32 exec_lo, exec_lo, s6
.LBB60_1262:
	s_or_b32 exec_lo, exec_lo, s5
	v_mov_b32_e32 v42, 0
	ds_read_b128 v[42:45], v42 offset:848
	s_waitcnt lgkmcnt(0)
	v_mul_f64 v[46:47], v[3:4], v[44:45]
	v_mul_f64 v[44:45], v[1:2], v[44:45]
	v_fma_f64 v[1:2], v[1:2], v[42:43], -v[46:47]
	v_fma_f64 v[3:4], v[3:4], v[42:43], v[44:45]
	buffer_store_dword v2, off, s[0:3], 0 offset:852
	buffer_store_dword v1, off, s[0:3], 0 offset:848
	;; [unrolled: 1-line block ×4, first 2 shown]
.LBB60_1263:
	s_or_b32 exec_lo, exec_lo, s4
	v_mov_b32_e32 v4, s15
	s_mov_b32 s4, exec_lo
	s_clause 0x3
	buffer_load_dword v1, v4, s[0:3], 0 offen
	buffer_load_dword v2, v4, s[0:3], 0 offen offset:4
	buffer_load_dword v3, v4, s[0:3], 0 offen offset:8
	;; [unrolled: 1-line block ×3, first 2 shown]
	s_waitcnt vmcnt(0)
	ds_write_b128 v40, v[1:4]
	s_waitcnt lgkmcnt(0)
	s_waitcnt_vscnt null, 0x0
	s_barrier
	buffer_gl0_inv
	v_cmpx_gt_u32_e32 54, v0
	s_cbranch_execz .LBB60_1271
; %bb.1264:
	ds_read_b128 v[1:4], v40
	v_cmp_ne_u32_e32 vcc_lo, 1, v41
	s_cbranch_vccnz .LBB60_1266
; %bb.1265:
	s_clause 0x3
	buffer_load_dword v42, v39, s[0:3], 0 offen offset:8
	buffer_load_dword v43, v39, s[0:3], 0 offen offset:12
	buffer_load_dword v44, v39, s[0:3], 0 offen
	buffer_load_dword v45, v39, s[0:3], 0 offen offset:4
	s_waitcnt vmcnt(2) lgkmcnt(0)
	v_mul_f64 v[46:47], v[3:4], v[42:43]
	v_mul_f64 v[42:43], v[1:2], v[42:43]
	s_waitcnt vmcnt(0)
	v_fma_f64 v[1:2], v[1:2], v[44:45], -v[46:47]
	v_fma_f64 v[3:4], v[3:4], v[44:45], v[42:43]
.LBB60_1266:
	s_mov_b32 s5, exec_lo
	v_cmpx_ne_u32_e32 53, v0
	s_cbranch_execz .LBB60_1270
; %bb.1267:
	v_add_nc_u32_e32 v42, 0x3e0, v181
	v_add3_u32 v43, 0, v181, 16
	v_mov_b32_e32 v44, v0
	s_mov_b32 s6, 0
	.p2align	6
.LBB60_1268:                            ; =>This Inner Loop Header: Depth=1
	s_clause 0x3
	buffer_load_dword v49, v43, s[0:3], 0 offen offset:8
	buffer_load_dword v50, v43, s[0:3], 0 offen offset:12
	buffer_load_dword v51, v43, s[0:3], 0 offen
	buffer_load_dword v52, v43, s[0:3], 0 offen offset:4
	ds_read_b128 v[45:48], v42
	v_add_nc_u32_e32 v44, 1, v44
	v_add_nc_u32_e32 v42, 16, v42
	;; [unrolled: 1-line block ×3, first 2 shown]
	v_cmp_lt_u32_e32 vcc_lo, 52, v44
	s_or_b32 s6, vcc_lo, s6
	s_waitcnt vmcnt(2) lgkmcnt(0)
	v_mul_f64 v[53:54], v[47:48], v[49:50]
	v_mul_f64 v[49:50], v[45:46], v[49:50]
	s_waitcnt vmcnt(0)
	v_fma_f64 v[45:46], v[45:46], v[51:52], -v[53:54]
	v_fma_f64 v[47:48], v[47:48], v[51:52], v[49:50]
	v_add_f64 v[1:2], v[1:2], v[45:46]
	v_add_f64 v[3:4], v[3:4], v[47:48]
	s_andn2_b32 exec_lo, exec_lo, s6
	s_cbranch_execnz .LBB60_1268
; %bb.1269:
	s_or_b32 exec_lo, exec_lo, s6
.LBB60_1270:
	s_or_b32 exec_lo, exec_lo, s5
	v_mov_b32_e32 v42, 0
	ds_read_b128 v[42:45], v42 offset:864
	s_waitcnt lgkmcnt(0)
	v_mul_f64 v[46:47], v[3:4], v[44:45]
	v_mul_f64 v[44:45], v[1:2], v[44:45]
	v_fma_f64 v[1:2], v[1:2], v[42:43], -v[46:47]
	v_fma_f64 v[3:4], v[3:4], v[42:43], v[44:45]
	buffer_store_dword v2, off, s[0:3], 0 offset:868
	buffer_store_dword v1, off, s[0:3], 0 offset:864
	;; [unrolled: 1-line block ×4, first 2 shown]
.LBB60_1271:
	s_or_b32 exec_lo, exec_lo, s4
	v_mov_b32_e32 v4, s14
	s_mov_b32 s4, exec_lo
	s_clause 0x3
	buffer_load_dword v1, v4, s[0:3], 0 offen
	buffer_load_dword v2, v4, s[0:3], 0 offen offset:4
	buffer_load_dword v3, v4, s[0:3], 0 offen offset:8
	;; [unrolled: 1-line block ×3, first 2 shown]
	s_waitcnt vmcnt(0)
	ds_write_b128 v40, v[1:4]
	s_waitcnt lgkmcnt(0)
	s_waitcnt_vscnt null, 0x0
	s_barrier
	buffer_gl0_inv
	v_cmpx_gt_u32_e32 55, v0
	s_cbranch_execz .LBB60_1279
; %bb.1272:
	ds_read_b128 v[1:4], v40
	v_cmp_ne_u32_e32 vcc_lo, 1, v41
	s_cbranch_vccnz .LBB60_1274
; %bb.1273:
	s_clause 0x3
	buffer_load_dword v42, v39, s[0:3], 0 offen offset:8
	buffer_load_dword v43, v39, s[0:3], 0 offen offset:12
	buffer_load_dword v44, v39, s[0:3], 0 offen
	buffer_load_dword v45, v39, s[0:3], 0 offen offset:4
	s_waitcnt vmcnt(2) lgkmcnt(0)
	v_mul_f64 v[46:47], v[3:4], v[42:43]
	v_mul_f64 v[42:43], v[1:2], v[42:43]
	s_waitcnt vmcnt(0)
	v_fma_f64 v[1:2], v[1:2], v[44:45], -v[46:47]
	v_fma_f64 v[3:4], v[3:4], v[44:45], v[42:43]
.LBB60_1274:
	s_mov_b32 s5, exec_lo
	v_cmpx_ne_u32_e32 54, v0
	s_cbranch_execz .LBB60_1278
; %bb.1275:
	v_add_nc_u32_e32 v42, 0x3e0, v181
	v_add3_u32 v43, 0, v181, 16
	v_mov_b32_e32 v44, v0
	s_mov_b32 s6, 0
	.p2align	6
.LBB60_1276:                            ; =>This Inner Loop Header: Depth=1
	s_clause 0x3
	buffer_load_dword v49, v43, s[0:3], 0 offen offset:8
	buffer_load_dword v50, v43, s[0:3], 0 offen offset:12
	buffer_load_dword v51, v43, s[0:3], 0 offen
	buffer_load_dword v52, v43, s[0:3], 0 offen offset:4
	ds_read_b128 v[45:48], v42
	v_add_nc_u32_e32 v44, 1, v44
	v_add_nc_u32_e32 v42, 16, v42
	;; [unrolled: 1-line block ×3, first 2 shown]
	v_cmp_lt_u32_e32 vcc_lo, 53, v44
	s_or_b32 s6, vcc_lo, s6
	s_waitcnt vmcnt(2) lgkmcnt(0)
	v_mul_f64 v[53:54], v[47:48], v[49:50]
	v_mul_f64 v[49:50], v[45:46], v[49:50]
	s_waitcnt vmcnt(0)
	v_fma_f64 v[45:46], v[45:46], v[51:52], -v[53:54]
	v_fma_f64 v[47:48], v[47:48], v[51:52], v[49:50]
	v_add_f64 v[1:2], v[1:2], v[45:46]
	v_add_f64 v[3:4], v[3:4], v[47:48]
	s_andn2_b32 exec_lo, exec_lo, s6
	s_cbranch_execnz .LBB60_1276
; %bb.1277:
	s_or_b32 exec_lo, exec_lo, s6
.LBB60_1278:
	s_or_b32 exec_lo, exec_lo, s5
	v_mov_b32_e32 v42, 0
	ds_read_b128 v[42:45], v42 offset:880
	s_waitcnt lgkmcnt(0)
	v_mul_f64 v[46:47], v[3:4], v[44:45]
	v_mul_f64 v[44:45], v[1:2], v[44:45]
	v_fma_f64 v[1:2], v[1:2], v[42:43], -v[46:47]
	v_fma_f64 v[3:4], v[3:4], v[42:43], v[44:45]
	buffer_store_dword v2, off, s[0:3], 0 offset:884
	buffer_store_dword v1, off, s[0:3], 0 offset:880
	;; [unrolled: 1-line block ×4, first 2 shown]
.LBB60_1279:
	s_or_b32 exec_lo, exec_lo, s4
	v_mov_b32_e32 v4, s13
	s_mov_b32 s4, exec_lo
	s_clause 0x3
	buffer_load_dword v1, v4, s[0:3], 0 offen
	buffer_load_dword v2, v4, s[0:3], 0 offen offset:4
	buffer_load_dword v3, v4, s[0:3], 0 offen offset:8
	;; [unrolled: 1-line block ×3, first 2 shown]
	s_waitcnt vmcnt(0)
	ds_write_b128 v40, v[1:4]
	s_waitcnt lgkmcnt(0)
	s_waitcnt_vscnt null, 0x0
	s_barrier
	buffer_gl0_inv
	v_cmpx_gt_u32_e32 56, v0
	s_cbranch_execz .LBB60_1287
; %bb.1280:
	ds_read_b128 v[1:4], v40
	v_cmp_ne_u32_e32 vcc_lo, 1, v41
	s_cbranch_vccnz .LBB60_1282
; %bb.1281:
	s_clause 0x3
	buffer_load_dword v42, v39, s[0:3], 0 offen offset:8
	buffer_load_dword v43, v39, s[0:3], 0 offen offset:12
	buffer_load_dword v44, v39, s[0:3], 0 offen
	buffer_load_dword v45, v39, s[0:3], 0 offen offset:4
	s_waitcnt vmcnt(2) lgkmcnt(0)
	v_mul_f64 v[46:47], v[3:4], v[42:43]
	v_mul_f64 v[42:43], v[1:2], v[42:43]
	s_waitcnt vmcnt(0)
	v_fma_f64 v[1:2], v[1:2], v[44:45], -v[46:47]
	v_fma_f64 v[3:4], v[3:4], v[44:45], v[42:43]
.LBB60_1282:
	s_mov_b32 s5, exec_lo
	v_cmpx_ne_u32_e32 55, v0
	s_cbranch_execz .LBB60_1286
; %bb.1283:
	v_add_nc_u32_e32 v42, 0x3e0, v181
	v_add3_u32 v43, 0, v181, 16
	v_mov_b32_e32 v44, v0
	s_mov_b32 s6, 0
	.p2align	6
.LBB60_1284:                            ; =>This Inner Loop Header: Depth=1
	s_clause 0x3
	buffer_load_dword v49, v43, s[0:3], 0 offen offset:8
	buffer_load_dword v50, v43, s[0:3], 0 offen offset:12
	buffer_load_dword v51, v43, s[0:3], 0 offen
	buffer_load_dword v52, v43, s[0:3], 0 offen offset:4
	ds_read_b128 v[45:48], v42
	v_add_nc_u32_e32 v44, 1, v44
	v_add_nc_u32_e32 v42, 16, v42
	;; [unrolled: 1-line block ×3, first 2 shown]
	v_cmp_lt_u32_e32 vcc_lo, 54, v44
	s_or_b32 s6, vcc_lo, s6
	s_waitcnt vmcnt(2) lgkmcnt(0)
	v_mul_f64 v[53:54], v[47:48], v[49:50]
	v_mul_f64 v[49:50], v[45:46], v[49:50]
	s_waitcnt vmcnt(0)
	v_fma_f64 v[45:46], v[45:46], v[51:52], -v[53:54]
	v_fma_f64 v[47:48], v[47:48], v[51:52], v[49:50]
	v_add_f64 v[1:2], v[1:2], v[45:46]
	v_add_f64 v[3:4], v[3:4], v[47:48]
	s_andn2_b32 exec_lo, exec_lo, s6
	s_cbranch_execnz .LBB60_1284
; %bb.1285:
	s_or_b32 exec_lo, exec_lo, s6
.LBB60_1286:
	s_or_b32 exec_lo, exec_lo, s5
	v_mov_b32_e32 v42, 0
	ds_read_b128 v[42:45], v42 offset:896
	s_waitcnt lgkmcnt(0)
	v_mul_f64 v[46:47], v[3:4], v[44:45]
	v_mul_f64 v[44:45], v[1:2], v[44:45]
	v_fma_f64 v[1:2], v[1:2], v[42:43], -v[46:47]
	v_fma_f64 v[3:4], v[3:4], v[42:43], v[44:45]
	buffer_store_dword v2, off, s[0:3], 0 offset:900
	buffer_store_dword v1, off, s[0:3], 0 offset:896
	;; [unrolled: 1-line block ×4, first 2 shown]
.LBB60_1287:
	s_or_b32 exec_lo, exec_lo, s4
	v_mov_b32_e32 v4, s12
	s_mov_b32 s4, exec_lo
	s_clause 0x3
	buffer_load_dword v1, v4, s[0:3], 0 offen
	buffer_load_dword v2, v4, s[0:3], 0 offen offset:4
	buffer_load_dword v3, v4, s[0:3], 0 offen offset:8
	;; [unrolled: 1-line block ×3, first 2 shown]
	s_waitcnt vmcnt(0)
	ds_write_b128 v40, v[1:4]
	s_waitcnt lgkmcnt(0)
	s_waitcnt_vscnt null, 0x0
	s_barrier
	buffer_gl0_inv
	v_cmpx_gt_u32_e32 57, v0
	s_cbranch_execz .LBB60_1295
; %bb.1288:
	ds_read_b128 v[1:4], v40
	v_cmp_ne_u32_e32 vcc_lo, 1, v41
	s_cbranch_vccnz .LBB60_1290
; %bb.1289:
	s_clause 0x3
	buffer_load_dword v42, v39, s[0:3], 0 offen offset:8
	buffer_load_dword v43, v39, s[0:3], 0 offen offset:12
	buffer_load_dword v44, v39, s[0:3], 0 offen
	buffer_load_dword v45, v39, s[0:3], 0 offen offset:4
	s_waitcnt vmcnt(2) lgkmcnt(0)
	v_mul_f64 v[46:47], v[3:4], v[42:43]
	v_mul_f64 v[42:43], v[1:2], v[42:43]
	s_waitcnt vmcnt(0)
	v_fma_f64 v[1:2], v[1:2], v[44:45], -v[46:47]
	v_fma_f64 v[3:4], v[3:4], v[44:45], v[42:43]
.LBB60_1290:
	s_mov_b32 s5, exec_lo
	v_cmpx_ne_u32_e32 56, v0
	s_cbranch_execz .LBB60_1294
; %bb.1291:
	v_add_nc_u32_e32 v42, 0x3e0, v181
	v_add3_u32 v43, 0, v181, 16
	v_mov_b32_e32 v44, v0
	s_mov_b32 s6, 0
	.p2align	6
.LBB60_1292:                            ; =>This Inner Loop Header: Depth=1
	s_clause 0x3
	buffer_load_dword v49, v43, s[0:3], 0 offen offset:8
	buffer_load_dword v50, v43, s[0:3], 0 offen offset:12
	buffer_load_dword v51, v43, s[0:3], 0 offen
	buffer_load_dword v52, v43, s[0:3], 0 offen offset:4
	ds_read_b128 v[45:48], v42
	v_add_nc_u32_e32 v44, 1, v44
	v_add_nc_u32_e32 v42, 16, v42
	v_add_nc_u32_e32 v43, 16, v43
	v_cmp_lt_u32_e32 vcc_lo, 55, v44
	s_or_b32 s6, vcc_lo, s6
	s_waitcnt vmcnt(2) lgkmcnt(0)
	v_mul_f64 v[53:54], v[47:48], v[49:50]
	v_mul_f64 v[49:50], v[45:46], v[49:50]
	s_waitcnt vmcnt(0)
	v_fma_f64 v[45:46], v[45:46], v[51:52], -v[53:54]
	v_fma_f64 v[47:48], v[47:48], v[51:52], v[49:50]
	v_add_f64 v[1:2], v[1:2], v[45:46]
	v_add_f64 v[3:4], v[3:4], v[47:48]
	s_andn2_b32 exec_lo, exec_lo, s6
	s_cbranch_execnz .LBB60_1292
; %bb.1293:
	s_or_b32 exec_lo, exec_lo, s6
.LBB60_1294:
	s_or_b32 exec_lo, exec_lo, s5
	v_mov_b32_e32 v42, 0
	ds_read_b128 v[42:45], v42 offset:912
	s_waitcnt lgkmcnt(0)
	v_mul_f64 v[46:47], v[3:4], v[44:45]
	v_mul_f64 v[44:45], v[1:2], v[44:45]
	v_fma_f64 v[1:2], v[1:2], v[42:43], -v[46:47]
	v_fma_f64 v[3:4], v[3:4], v[42:43], v[44:45]
	buffer_store_dword v2, off, s[0:3], 0 offset:916
	buffer_store_dword v1, off, s[0:3], 0 offset:912
	;; [unrolled: 1-line block ×4, first 2 shown]
.LBB60_1295:
	s_or_b32 exec_lo, exec_lo, s4
	v_mov_b32_e32 v4, s11
	s_mov_b32 s4, exec_lo
	s_clause 0x3
	buffer_load_dword v1, v4, s[0:3], 0 offen
	buffer_load_dword v2, v4, s[0:3], 0 offen offset:4
	buffer_load_dword v3, v4, s[0:3], 0 offen offset:8
	;; [unrolled: 1-line block ×3, first 2 shown]
	s_waitcnt vmcnt(0)
	ds_write_b128 v40, v[1:4]
	s_waitcnt lgkmcnt(0)
	s_waitcnt_vscnt null, 0x0
	s_barrier
	buffer_gl0_inv
	v_cmpx_gt_u32_e32 58, v0
	s_cbranch_execz .LBB60_1303
; %bb.1296:
	ds_read_b128 v[1:4], v40
	v_cmp_ne_u32_e32 vcc_lo, 1, v41
	s_cbranch_vccnz .LBB60_1298
; %bb.1297:
	s_clause 0x3
	buffer_load_dword v42, v39, s[0:3], 0 offen offset:8
	buffer_load_dword v43, v39, s[0:3], 0 offen offset:12
	buffer_load_dword v44, v39, s[0:3], 0 offen
	buffer_load_dword v45, v39, s[0:3], 0 offen offset:4
	s_waitcnt vmcnt(2) lgkmcnt(0)
	v_mul_f64 v[46:47], v[3:4], v[42:43]
	v_mul_f64 v[42:43], v[1:2], v[42:43]
	s_waitcnt vmcnt(0)
	v_fma_f64 v[1:2], v[1:2], v[44:45], -v[46:47]
	v_fma_f64 v[3:4], v[3:4], v[44:45], v[42:43]
.LBB60_1298:
	s_mov_b32 s5, exec_lo
	v_cmpx_ne_u32_e32 57, v0
	s_cbranch_execz .LBB60_1302
; %bb.1299:
	v_add_nc_u32_e32 v42, 0x3e0, v181
	v_add3_u32 v43, 0, v181, 16
	v_mov_b32_e32 v44, v0
	s_mov_b32 s6, 0
	.p2align	6
.LBB60_1300:                            ; =>This Inner Loop Header: Depth=1
	s_clause 0x3
	buffer_load_dword v49, v43, s[0:3], 0 offen offset:8
	buffer_load_dword v50, v43, s[0:3], 0 offen offset:12
	buffer_load_dword v51, v43, s[0:3], 0 offen
	buffer_load_dword v52, v43, s[0:3], 0 offen offset:4
	ds_read_b128 v[45:48], v42
	v_add_nc_u32_e32 v44, 1, v44
	v_add_nc_u32_e32 v42, 16, v42
	;; [unrolled: 1-line block ×3, first 2 shown]
	v_cmp_lt_u32_e32 vcc_lo, 56, v44
	s_or_b32 s6, vcc_lo, s6
	s_waitcnt vmcnt(2) lgkmcnt(0)
	v_mul_f64 v[53:54], v[47:48], v[49:50]
	v_mul_f64 v[49:50], v[45:46], v[49:50]
	s_waitcnt vmcnt(0)
	v_fma_f64 v[45:46], v[45:46], v[51:52], -v[53:54]
	v_fma_f64 v[47:48], v[47:48], v[51:52], v[49:50]
	v_add_f64 v[1:2], v[1:2], v[45:46]
	v_add_f64 v[3:4], v[3:4], v[47:48]
	s_andn2_b32 exec_lo, exec_lo, s6
	s_cbranch_execnz .LBB60_1300
; %bb.1301:
	s_or_b32 exec_lo, exec_lo, s6
.LBB60_1302:
	s_or_b32 exec_lo, exec_lo, s5
	v_mov_b32_e32 v42, 0
	ds_read_b128 v[42:45], v42 offset:928
	s_waitcnt lgkmcnt(0)
	v_mul_f64 v[46:47], v[3:4], v[44:45]
	v_mul_f64 v[44:45], v[1:2], v[44:45]
	v_fma_f64 v[1:2], v[1:2], v[42:43], -v[46:47]
	v_fma_f64 v[3:4], v[3:4], v[42:43], v[44:45]
	buffer_store_dword v2, off, s[0:3], 0 offset:932
	buffer_store_dword v1, off, s[0:3], 0 offset:928
	;; [unrolled: 1-line block ×4, first 2 shown]
.LBB60_1303:
	s_or_b32 exec_lo, exec_lo, s4
	v_mov_b32_e32 v4, s10
	v_cmp_gt_u32_e64 s4, 59, v0
	s_clause 0x3
	buffer_load_dword v1, v4, s[0:3], 0 offen
	buffer_load_dword v2, v4, s[0:3], 0 offen offset:4
	buffer_load_dword v3, v4, s[0:3], 0 offen offset:8
	;; [unrolled: 1-line block ×3, first 2 shown]
	s_waitcnt vmcnt(0)
	ds_write_b128 v40, v[1:4]
	s_waitcnt lgkmcnt(0)
	s_waitcnt_vscnt null, 0x0
	s_barrier
	buffer_gl0_inv
	s_and_saveexec_b32 s5, s4
	s_cbranch_execz .LBB60_1311
; %bb.1304:
	ds_read_b128 v[1:4], v40
	v_cmp_ne_u32_e32 vcc_lo, 1, v41
	s_cbranch_vccnz .LBB60_1306
; %bb.1305:
	s_clause 0x3
	buffer_load_dword v42, v39, s[0:3], 0 offen offset:8
	buffer_load_dword v43, v39, s[0:3], 0 offen offset:12
	buffer_load_dword v44, v39, s[0:3], 0 offen
	buffer_load_dword v45, v39, s[0:3], 0 offen offset:4
	s_waitcnt vmcnt(2) lgkmcnt(0)
	v_mul_f64 v[46:47], v[3:4], v[42:43]
	v_mul_f64 v[42:43], v[1:2], v[42:43]
	s_waitcnt vmcnt(0)
	v_fma_f64 v[1:2], v[1:2], v[44:45], -v[46:47]
	v_fma_f64 v[3:4], v[3:4], v[44:45], v[42:43]
.LBB60_1306:
	s_mov_b32 s6, exec_lo
	v_cmpx_ne_u32_e32 58, v0
	s_cbranch_execz .LBB60_1310
; %bb.1307:
	v_add_nc_u32_e32 v42, 0x3e0, v181
	v_add3_u32 v43, 0, v181, 16
	v_mov_b32_e32 v44, v0
	s_mov_b32 s7, 0
	.p2align	6
.LBB60_1308:                            ; =>This Inner Loop Header: Depth=1
	s_clause 0x3
	buffer_load_dword v49, v43, s[0:3], 0 offen offset:8
	buffer_load_dword v50, v43, s[0:3], 0 offen offset:12
	buffer_load_dword v51, v43, s[0:3], 0 offen
	buffer_load_dword v52, v43, s[0:3], 0 offen offset:4
	ds_read_b128 v[45:48], v42
	v_add_nc_u32_e32 v44, 1, v44
	v_add_nc_u32_e32 v42, 16, v42
	;; [unrolled: 1-line block ×3, first 2 shown]
	v_cmp_lt_u32_e32 vcc_lo, 57, v44
	s_or_b32 s7, vcc_lo, s7
	s_waitcnt vmcnt(2) lgkmcnt(0)
	v_mul_f64 v[53:54], v[47:48], v[49:50]
	v_mul_f64 v[49:50], v[45:46], v[49:50]
	s_waitcnt vmcnt(0)
	v_fma_f64 v[45:46], v[45:46], v[51:52], -v[53:54]
	v_fma_f64 v[47:48], v[47:48], v[51:52], v[49:50]
	v_add_f64 v[1:2], v[1:2], v[45:46]
	v_add_f64 v[3:4], v[3:4], v[47:48]
	s_andn2_b32 exec_lo, exec_lo, s7
	s_cbranch_execnz .LBB60_1308
; %bb.1309:
	s_or_b32 exec_lo, exec_lo, s7
.LBB60_1310:
	s_or_b32 exec_lo, exec_lo, s6
	v_mov_b32_e32 v42, 0
	ds_read_b128 v[42:45], v42 offset:944
	s_waitcnt lgkmcnt(0)
	v_mul_f64 v[46:47], v[3:4], v[44:45]
	v_mul_f64 v[44:45], v[1:2], v[44:45]
	v_fma_f64 v[1:2], v[1:2], v[42:43], -v[46:47]
	v_fma_f64 v[3:4], v[3:4], v[42:43], v[44:45]
	buffer_store_dword v2, off, s[0:3], 0 offset:948
	buffer_store_dword v1, off, s[0:3], 0 offset:944
	;; [unrolled: 1-line block ×4, first 2 shown]
.LBB60_1311:
	s_or_b32 exec_lo, exec_lo, s5
	v_mov_b32_e32 v4, s9
	s_mov_b32 s5, exec_lo
                                        ; implicit-def: $sgpr70
	s_clause 0x3
	buffer_load_dword v1, v4, s[0:3], 0 offen
	buffer_load_dword v2, v4, s[0:3], 0 offen offset:4
	buffer_load_dword v3, v4, s[0:3], 0 offen offset:8
	;; [unrolled: 1-line block ×3, first 2 shown]
	s_waitcnt vmcnt(0)
	ds_write_b128 v40, v[1:4]
	s_waitcnt lgkmcnt(0)
	s_waitcnt_vscnt null, 0x0
	s_barrier
	buffer_gl0_inv
                                        ; implicit-def: $vgpr1_vgpr2
	v_cmpx_ne_u32_e32 60, v0
	s_cbranch_execz .LBB60_1319
; %bb.1312:
	ds_read_b128 v[1:4], v40
	v_cmp_ne_u32_e32 vcc_lo, 1, v41
	s_cbranch_vccnz .LBB60_1314
; %bb.1313:
	s_clause 0x3
	buffer_load_dword v40, v39, s[0:3], 0 offen offset:8
	buffer_load_dword v41, v39, s[0:3], 0 offen offset:12
	buffer_load_dword v42, v39, s[0:3], 0 offen
	buffer_load_dword v43, v39, s[0:3], 0 offen offset:4
	s_waitcnt vmcnt(2) lgkmcnt(0)
	v_mul_f64 v[44:45], v[3:4], v[40:41]
	v_mul_f64 v[39:40], v[1:2], v[40:41]
	s_waitcnt vmcnt(0)
	v_fma_f64 v[1:2], v[1:2], v[42:43], -v[44:45]
	v_fma_f64 v[3:4], v[3:4], v[42:43], v[39:40]
.LBB60_1314:
	s_and_saveexec_b32 s6, s4
	s_cbranch_execz .LBB60_1318
; %bb.1315:
	v_add_nc_u32_e32 v39, 0x3e0, v181
	v_add3_u32 v40, 0, v181, 16
	s_mov_b32 s4, 0
	.p2align	6
.LBB60_1316:                            ; =>This Inner Loop Header: Depth=1
	s_clause 0x3
	buffer_load_dword v45, v40, s[0:3], 0 offen offset:8
	buffer_load_dword v46, v40, s[0:3], 0 offen offset:12
	buffer_load_dword v47, v40, s[0:3], 0 offen
	buffer_load_dword v48, v40, s[0:3], 0 offen offset:4
	ds_read_b128 v[41:44], v39
	v_add_nc_u32_e32 v0, 1, v0
	v_add_nc_u32_e32 v39, 16, v39
	;; [unrolled: 1-line block ×3, first 2 shown]
	v_cmp_lt_u32_e32 vcc_lo, 58, v0
	s_or_b32 s4, vcc_lo, s4
	s_waitcnt vmcnt(2) lgkmcnt(0)
	v_mul_f64 v[49:50], v[43:44], v[45:46]
	v_mul_f64 v[45:46], v[41:42], v[45:46]
	s_waitcnt vmcnt(0)
	v_fma_f64 v[41:42], v[41:42], v[47:48], -v[49:50]
	v_fma_f64 v[43:44], v[43:44], v[47:48], v[45:46]
	v_add_f64 v[1:2], v[1:2], v[41:42]
	v_add_f64 v[3:4], v[3:4], v[43:44]
	s_andn2_b32 exec_lo, exec_lo, s4
	s_cbranch_execnz .LBB60_1316
; %bb.1317:
	s_or_b32 exec_lo, exec_lo, s4
.LBB60_1318:
	s_or_b32 exec_lo, exec_lo, s6
	v_mov_b32_e32 v0, 0
	s_movk_i32 s70, 0x3c8
	s_or_b32 s8, s8, exec_lo
	ds_read_b128 v[39:42], v0 offset:960
	s_waitcnt lgkmcnt(0)
	v_mul_f64 v[43:44], v[3:4], v[41:42]
	v_mul_f64 v[41:42], v[1:2], v[41:42]
	v_fma_f64 v[43:44], v[1:2], v[39:40], -v[43:44]
	v_fma_f64 v[1:2], v[3:4], v[39:40], v[41:42]
	buffer_store_dword v44, off, s[0:3], 0 offset:964
	buffer_store_dword v43, off, s[0:3], 0 offset:960
.LBB60_1319:
	s_or_b32 exec_lo, exec_lo, s5
.LBB60_1320:
	s_and_saveexec_b32 s4, s8
	s_cbranch_execz .LBB60_1322
; %bb.1321:
	v_mov_b32_e32 v0, s70
	buffer_store_dword v2, v0, s[0:3], 0 offen offset:4
	buffer_store_dword v1, v0, s[0:3], 0 offen
.LBB60_1322:
	s_or_b32 exec_lo, exec_lo, s4
	s_clause 0x3
	buffer_load_dword v0, off, s[0:3], 0
	buffer_load_dword v1, off, s[0:3], 0 offset:4
	buffer_load_dword v2, off, s[0:3], 0 offset:8
	;; [unrolled: 1-line block ×3, first 2 shown]
	v_mov_b32_e32 v4, s69
	v_mov_b32_e32 v78, s60
	;; [unrolled: 1-line block ×4, first 2 shown]
	s_clause 0x3
	buffer_load_dword v39, v4, s[0:3], 0 offen
	buffer_load_dword v40, v4, s[0:3], 0 offen offset:4
	buffer_load_dword v41, v4, s[0:3], 0 offen offset:8
	;; [unrolled: 1-line block ×3, first 2 shown]
	v_mov_b32_e32 v4, s68
	v_mov_b32_e32 v92, s38
	;; [unrolled: 1-line block ×3, first 2 shown]
	s_clause 0x3
	buffer_load_dword v43, v4, s[0:3], 0 offen
	buffer_load_dword v44, v4, s[0:3], 0 offen offset:4
	buffer_load_dword v45, v4, s[0:3], 0 offen offset:8
	;; [unrolled: 1-line block ×3, first 2 shown]
	v_mov_b32_e32 v4, s67
	v_mov_b32_e32 v200, s21
	s_clause 0x3
	buffer_load_dword v47, v4, s[0:3], 0 offen
	buffer_load_dword v48, v4, s[0:3], 0 offen offset:4
	buffer_load_dword v49, v4, s[0:3], 0 offen offset:8
	buffer_load_dword v50, v4, s[0:3], 0 offen offset:12
	v_mov_b32_e32 v4, s66
	s_clause 0x3
	buffer_load_dword v51, v4, s[0:3], 0 offen
	buffer_load_dword v52, v4, s[0:3], 0 offen offset:4
	buffer_load_dword v53, v4, s[0:3], 0 offen offset:8
	buffer_load_dword v54, v4, s[0:3], 0 offen offset:12
	;; [unrolled: 6-line block ×8, first 2 shown]
	buffer_load_dword v79, v4, s[0:3], 0 offen
	buffer_load_dword v80, v4, s[0:3], 0 offen offset:4
	buffer_load_dword v81, v4, s[0:3], 0 offen offset:8
	;; [unrolled: 1-line block ×3, first 2 shown]
	v_mov_b32_e32 v4, s57
	s_clause 0x7
	buffer_load_dword v83, v86, s[0:3], 0 offen
	buffer_load_dword v84, v86, s[0:3], 0 offen offset:4
	buffer_load_dword v85, v86, s[0:3], 0 offen offset:8
	;; [unrolled: 1-line block ×3, first 2 shown]
	buffer_load_dword v87, v4, s[0:3], 0 offen
	buffer_load_dword v88, v4, s[0:3], 0 offen offset:4
	buffer_load_dword v89, v4, s[0:3], 0 offen offset:8
	;; [unrolled: 1-line block ×3, first 2 shown]
	v_mov_b32_e32 v4, s55
	s_clause 0x7
	buffer_load_dword v181, v91, s[0:3], 0 offen
	buffer_load_dword v182, v91, s[0:3], 0 offen offset:4
	buffer_load_dword v183, v91, s[0:3], 0 offen offset:8
	;; [unrolled: 1-line block ×3, first 2 shown]
	buffer_load_dword v185, v4, s[0:3], 0 offen
	buffer_load_dword v186, v4, s[0:3], 0 offen offset:4
	buffer_load_dword v187, v4, s[0:3], 0 offen offset:8
	;; [unrolled: 1-line block ×3, first 2 shown]
	v_mov_b32_e32 v4, s54
	v_mov_b32_e32 v91, s53
	v_mov_b32_e32 v202, s19
	v_mov_b32_e32 v197, s24
	v_mov_b32_e32 v204, s17
	v_mov_b32_e32 v199, s22
	v_mov_b32_e32 v206, s15
	v_mov_b32_e32 v201, s20
	v_mov_b32_e32 v208, s13
	v_mov_b32_e32 v203, s18
	v_mov_b32_e32 v210, s11
	v_mov_b32_e32 v205, s16
	v_mov_b32_e32 v207, s14
	v_mov_b32_e32 v209, s12
	v_mov_b32_e32 v211, s10
	v_mov_b32_e32 v212, s9
	s_waitcnt vmcnt(60)
	global_store_dwordx4 v[115:116], v[0:3], off
	s_clause 0x7
	buffer_load_dword v0, v4, s[0:3], 0 offen
	buffer_load_dword v1, v4, s[0:3], 0 offen offset:4
	buffer_load_dword v2, v4, s[0:3], 0 offen offset:8
	;; [unrolled: 1-line block ×3, first 2 shown]
	buffer_load_dword v189, v91, s[0:3], 0 offen
	buffer_load_dword v190, v91, s[0:3], 0 offen offset:4
	buffer_load_dword v191, v91, s[0:3], 0 offen offset:8
	;; [unrolled: 1-line block ×3, first 2 shown]
	v_mov_b32_e32 v4, s52
	v_mov_b32_e32 v91, s50
	s_waitcnt vmcnt(62)
	global_store_dwordx4 v[117:118], v[39:42], off
	s_clause 0x3
	buffer_load_dword v39, v4, s[0:3], 0 offen
	buffer_load_dword v40, v4, s[0:3], 0 offen offset:4
	buffer_load_dword v41, v4, s[0:3], 0 offen offset:8
	;; [unrolled: 1-line block ×3, first 2 shown]
	v_mov_b32_e32 v4, s51
	s_waitcnt vmcnt(62)
	global_store_dwordx4 v[101:102], v[43:46], off
	s_clause 0x7
	buffer_load_dword v43, v4, s[0:3], 0 offen
	buffer_load_dword v44, v4, s[0:3], 0 offen offset:4
	buffer_load_dword v45, v4, s[0:3], 0 offen offset:8
	buffer_load_dword v46, v4, s[0:3], 0 offen offset:12
	buffer_load_dword v115, v91, s[0:3], 0 offen
	buffer_load_dword v116, v91, s[0:3], 0 offen offset:4
	buffer_load_dword v117, v91, s[0:3], 0 offen offset:8
	;; [unrolled: 1-line block ×3, first 2 shown]
	v_mov_b32_e32 v4, s49
	v_mov_b32_e32 v91, s47
	;; [unrolled: 1-line block ×4, first 2 shown]
	s_waitcnt vmcnt(62)
	global_store_dwordx4 v[111:112], v[47:50], off
	s_clause 0x3
	buffer_load_dword v47, v4, s[0:3], 0 offen
	buffer_load_dword v48, v4, s[0:3], 0 offen offset:4
	buffer_load_dword v49, v4, s[0:3], 0 offen offset:8
	;; [unrolled: 1-line block ×3, first 2 shown]
	v_mov_b32_e32 v4, s48
	global_store_dwordx4 v[113:114], v[51:54], off
	s_clause 0x7
	buffer_load_dword v51, v4, s[0:3], 0 offen
	buffer_load_dword v52, v4, s[0:3], 0 offen offset:4
	buffer_load_dword v53, v4, s[0:3], 0 offen offset:8
	;; [unrolled: 1-line block ×3, first 2 shown]
	buffer_load_dword v111, v91, s[0:3], 0 offen
	buffer_load_dword v112, v91, s[0:3], 0 offen offset:4
	buffer_load_dword v113, v91, s[0:3], 0 offen offset:8
	;; [unrolled: 1-line block ×3, first 2 shown]
	v_mov_b32_e32 v4, s46
	v_mov_b32_e32 v91, s44
	s_waitcnt vmcnt(62)
	global_store_dwordx4 v[127:128], v[55:58], off
	s_clause 0x3
	buffer_load_dword v55, v4, s[0:3], 0 offen
	buffer_load_dword v56, v4, s[0:3], 0 offen offset:4
	buffer_load_dword v57, v4, s[0:3], 0 offen offset:8
	;; [unrolled: 1-line block ×3, first 2 shown]
	v_mov_b32_e32 v4, s45
	v_mov_b32_e32 v128, s31
	;; [unrolled: 1-line block ×3, first 2 shown]
	global_store_dwordx4 v[121:122], v[59:62], off
	s_clause 0x7
	buffer_load_dword v59, v4, s[0:3], 0 offen
	buffer_load_dword v60, v4, s[0:3], 0 offen offset:4
	buffer_load_dword v61, v4, s[0:3], 0 offen offset:8
	;; [unrolled: 1-line block ×3, first 2 shown]
	buffer_load_dword v193, v91, s[0:3], 0 offen
	buffer_load_dword v194, v91, s[0:3], 0 offen offset:4
	buffer_load_dword v195, v91, s[0:3], 0 offen offset:8
	;; [unrolled: 1-line block ×3, first 2 shown]
	v_mov_b32_e32 v4, s43
	v_mov_b32_e32 v91, s39
	global_store_dwordx4 v[123:124], v[63:66], off
	s_clause 0x3
	buffer_load_dword v63, v4, s[0:3], 0 offen
	buffer_load_dword v64, v4, s[0:3], 0 offen offset:4
	buffer_load_dword v65, v4, s[0:3], 0 offen offset:8
	;; [unrolled: 1-line block ×3, first 2 shown]
	v_mov_b32_e32 v4, s42
	s_waitcnt vmcnt(62)
	global_store_dwordx4 v[129:130], v[67:70], off
	s_clause 0x3
	buffer_load_dword v67, v4, s[0:3], 0 offen
	buffer_load_dword v68, v4, s[0:3], 0 offen offset:4
	buffer_load_dword v69, v4, s[0:3], 0 offen offset:8
	;; [unrolled: 1-line block ×3, first 2 shown]
	v_mov_b32_e32 v4, s41
	s_clause 0x3
	buffer_load_dword v121, v4, s[0:3], 0 offen
	buffer_load_dword v122, v4, s[0:3], 0 offen offset:4
	buffer_load_dword v123, v4, s[0:3], 0 offen offset:8
	;; [unrolled: 1-line block ×3, first 2 shown]
	v_mov_b32_e32 v4, s40
	global_store_dwordx4 v[131:132], v[71:74], off
	global_store_dwordx4 v[125:126], v[75:78], off
	v_mov_b32_e32 v125, s34
	global_store_dwordx4 v[119:120], v[79:82], off
	v_mov_b32_e32 v130, s29
	s_waitcnt vmcnt(62)
	global_store_dwordx4 v[105:106], v[83:86], off
	v_mov_b32_e32 v119, s27
	v_mov_b32_e32 v126, s33
	;; [unrolled: 1-line block ×3, first 2 shown]
	global_store_dwordx4 v[97:98], v[87:90], off
	s_waitcnt vmcnt(60)
	global_store_dwordx4 v[93:94], v[181:184], off
	s_waitcnt vmcnt(56)
	global_store_dwordx4 v[95:96], v[185:188], off
	s_clause 0x7
	buffer_load_dword v71, v4, s[0:3], 0 offen
	buffer_load_dword v72, v4, s[0:3], 0 offen offset:4
	buffer_load_dword v73, v4, s[0:3], 0 offen offset:8
	;; [unrolled: 1-line block ×3, first 2 shown]
	buffer_load_dword v75, v91, s[0:3], 0 offen
	buffer_load_dword v76, v91, s[0:3], 0 offen offset:4
	buffer_load_dword v77, v91, s[0:3], 0 offen offset:8
	;; [unrolled: 1-line block ×3, first 2 shown]
	v_mov_b32_e32 v129, s30
	v_mov_b32_e32 v131, s28
	v_mov_b32_e32 v120, s26
	s_waitcnt vmcnt(60)
	global_store_dwordx4 v[99:100], v[0:3], off
	s_clause 0x7
	buffer_load_dword v0, v92, s[0:3], 0 offen
	buffer_load_dword v1, v92, s[0:3], 0 offen offset:4
	buffer_load_dword v2, v92, s[0:3], 0 offen offset:8
	buffer_load_dword v3, v92, s[0:3], 0 offen offset:12
	buffer_load_dword v79, v101, s[0:3], 0 offen
	buffer_load_dword v80, v101, s[0:3], 0 offen offset:4
	buffer_load_dword v81, v101, s[0:3], 0 offen offset:8
	buffer_load_dword v82, v101, s[0:3], 0 offen offset:12
	s_waitcnt vmcnt(62)
	global_store_dwordx4 v[109:110], v[189:192], off
	s_clause 0x7
	buffer_load_dword v83, v102, s[0:3], 0 offen
	buffer_load_dword v84, v102, s[0:3], 0 offen offset:4
	buffer_load_dword v85, v102, s[0:3], 0 offen offset:8
	buffer_load_dword v86, v102, s[0:3], 0 offen offset:12
	buffer_load_dword v87, v127, s[0:3], 0 offen
	buffer_load_dword v88, v127, s[0:3], 0 offen offset:4
	buffer_load_dword v89, v127, s[0:3], 0 offen offset:8
	buffer_load_dword v90, v127, s[0:3], 0 offen offset:12
	;; [unrolled: 11-line block ×3, first 2 shown]
	global_store_dwordx4 v[103:104], v[43:46], off
	s_clause 0x7
	buffer_load_dword v43, v128, s[0:3], 0 offen
	buffer_load_dword v44, v128, s[0:3], 0 offen offset:4
	buffer_load_dword v45, v128, s[0:3], 0 offen offset:8
	;; [unrolled: 1-line block ×3, first 2 shown]
	buffer_load_dword v95, v129, s[0:3], 0 offen
	buffer_load_dword v96, v129, s[0:3], 0 offen offset:4
	buffer_load_dword v97, v129, s[0:3], 0 offen offset:8
	;; [unrolled: 1-line block ×3, first 2 shown]
	s_waitcnt vmcnt(62)
	global_store_dwordx4 v[133:134], v[115:118], off
	s_clause 0x7
	buffer_load_dword v99, v130, s[0:3], 0 offen
	buffer_load_dword v100, v130, s[0:3], 0 offen offset:4
	buffer_load_dword v101, v130, s[0:3], 0 offen offset:8
	buffer_load_dword v102, v130, s[0:3], 0 offen offset:12
	buffer_load_dword v103, v131, s[0:3], 0 offen
	buffer_load_dword v104, v131, s[0:3], 0 offen offset:4
	buffer_load_dword v105, v131, s[0:3], 0 offen offset:8
	buffer_load_dword v106, v131, s[0:3], 0 offen offset:12
	global_store_dwordx4 v[135:136], v[47:50], off
	s_clause 0x7
	buffer_load_dword v47, v119, s[0:3], 0 offen
	buffer_load_dword v48, v119, s[0:3], 0 offen offset:4
	buffer_load_dword v49, v119, s[0:3], 0 offen offset:8
	buffer_load_dword v50, v119, s[0:3], 0 offen offset:12
	buffer_load_dword v107, v120, s[0:3], 0 offen
	buffer_load_dword v108, v120, s[0:3], 0 offen offset:4
	buffer_load_dword v109, v120, s[0:3], 0 offen offset:8
	buffer_load_dword v110, v120, s[0:3], 0 offen offset:12
	;; [unrolled: 10-line block ×4, first 2 shown]
	s_waitcnt vmcnt(62)
	global_store_dwordx4 v[141:142], v[55:58], off
	s_clause 0x7
	buffer_load_dword v55, v200, s[0:3], 0 offen
	buffer_load_dword v56, v200, s[0:3], 0 offen offset:4
	buffer_load_dword v57, v200, s[0:3], 0 offen offset:8
	buffer_load_dword v58, v200, s[0:3], 0 offen offset:12
	buffer_load_dword v129, v201, s[0:3], 0 offen
	buffer_load_dword v130, v201, s[0:3], 0 offen offset:4
	buffer_load_dword v131, v201, s[0:3], 0 offen offset:8
	buffer_load_dword v132, v201, s[0:3], 0 offen offset:12
	global_store_dwordx4 v[143:144], v[59:62], off
	s_clause 0x7
	buffer_load_dword v59, v202, s[0:3], 0 offen
	buffer_load_dword v60, v202, s[0:3], 0 offen offset:4
	buffer_load_dword v61, v202, s[0:3], 0 offen offset:8
	buffer_load_dword v62, v202, s[0:3], 0 offen offset:12
	buffer_load_dword v133, v203, s[0:3], 0 offen
	buffer_load_dword v134, v203, s[0:3], 0 offen offset:4
	buffer_load_dword v135, v203, s[0:3], 0 offen offset:8
	buffer_load_dword v136, v203, s[0:3], 0 offen offset:12
	;; [unrolled: 10-line block ×6, first 2 shown]
	buffer_load_dword v185, v212, s[0:3], 0 offen
	buffer_load_dword v186, v212, s[0:3], 0 offen offset:4
	buffer_load_dword v187, v212, s[0:3], 0 offen offset:8
	;; [unrolled: 1-line block ×3, first 2 shown]
	global_store_dwordx4 v[153:154], v[71:74], off
	global_store_dwordx4 v[155:156], v[75:78], off
	s_waitcnt vmcnt(62)
	global_store_dwordx4 v[157:158], v[0:3], off
	global_store_dwordx4 v[159:160], v[79:82], off
	;; [unrolled: 1-line block ×13, first 2 shown]
	s_waitcnt vmcnt(60)
	global_store_dwordx4 v[7:8], v[115:118], off
	s_waitcnt vmcnt(56)
	global_store_dwordx4 v[9:10], v[111:114], off
	;; [unrolled: 2-line block ×16, first 2 shown]
.LBB60_1323:
	s_endpgm
	.section	.rodata,"a",@progbits
	.p2align	6, 0x0
	.amdhsa_kernel _ZN9rocsolver6v33100L18trti2_kernel_smallILi61E19rocblas_complex_numIdEPS3_EEv13rocblas_fill_17rocblas_diagonal_T1_iil
		.amdhsa_group_segment_fixed_size 1952
		.amdhsa_private_segment_fixed_size 992
		.amdhsa_kernarg_size 32
		.amdhsa_user_sgpr_count 6
		.amdhsa_user_sgpr_private_segment_buffer 1
		.amdhsa_user_sgpr_dispatch_ptr 0
		.amdhsa_user_sgpr_queue_ptr 0
		.amdhsa_user_sgpr_kernarg_segment_ptr 1
		.amdhsa_user_sgpr_dispatch_id 0
		.amdhsa_user_sgpr_flat_scratch_init 0
		.amdhsa_user_sgpr_private_segment_size 0
		.amdhsa_wavefront_size32 1
		.amdhsa_uses_dynamic_stack 0
		.amdhsa_system_sgpr_private_segment_wavefront_offset 1
		.amdhsa_system_sgpr_workgroup_id_x 1
		.amdhsa_system_sgpr_workgroup_id_y 0
		.amdhsa_system_sgpr_workgroup_id_z 0
		.amdhsa_system_sgpr_workgroup_info 0
		.amdhsa_system_vgpr_workitem_id 0
		.amdhsa_next_free_vgpr 213
		.amdhsa_next_free_sgpr 97
		.amdhsa_reserve_vcc 1
		.amdhsa_reserve_flat_scratch 0
		.amdhsa_float_round_mode_32 0
		.amdhsa_float_round_mode_16_64 0
		.amdhsa_float_denorm_mode_32 3
		.amdhsa_float_denorm_mode_16_64 3
		.amdhsa_dx10_clamp 1
		.amdhsa_ieee_mode 1
		.amdhsa_fp16_overflow 0
		.amdhsa_workgroup_processor_mode 1
		.amdhsa_memory_ordered 1
		.amdhsa_forward_progress 1
		.amdhsa_shared_vgpr_count 0
		.amdhsa_exception_fp_ieee_invalid_op 0
		.amdhsa_exception_fp_denorm_src 0
		.amdhsa_exception_fp_ieee_div_zero 0
		.amdhsa_exception_fp_ieee_overflow 0
		.amdhsa_exception_fp_ieee_underflow 0
		.amdhsa_exception_fp_ieee_inexact 0
		.amdhsa_exception_int_div_zero 0
	.end_amdhsa_kernel
	.section	.text._ZN9rocsolver6v33100L18trti2_kernel_smallILi61E19rocblas_complex_numIdEPS3_EEv13rocblas_fill_17rocblas_diagonal_T1_iil,"axG",@progbits,_ZN9rocsolver6v33100L18trti2_kernel_smallILi61E19rocblas_complex_numIdEPS3_EEv13rocblas_fill_17rocblas_diagonal_T1_iil,comdat
.Lfunc_end60:
	.size	_ZN9rocsolver6v33100L18trti2_kernel_smallILi61E19rocblas_complex_numIdEPS3_EEv13rocblas_fill_17rocblas_diagonal_T1_iil, .Lfunc_end60-_ZN9rocsolver6v33100L18trti2_kernel_smallILi61E19rocblas_complex_numIdEPS3_EEv13rocblas_fill_17rocblas_diagonal_T1_iil
                                        ; -- End function
	.set _ZN9rocsolver6v33100L18trti2_kernel_smallILi61E19rocblas_complex_numIdEPS3_EEv13rocblas_fill_17rocblas_diagonal_T1_iil.num_vgpr, 213
	.set _ZN9rocsolver6v33100L18trti2_kernel_smallILi61E19rocblas_complex_numIdEPS3_EEv13rocblas_fill_17rocblas_diagonal_T1_iil.num_agpr, 0
	.set _ZN9rocsolver6v33100L18trti2_kernel_smallILi61E19rocblas_complex_numIdEPS3_EEv13rocblas_fill_17rocblas_diagonal_T1_iil.numbered_sgpr, 97
	.set _ZN9rocsolver6v33100L18trti2_kernel_smallILi61E19rocblas_complex_numIdEPS3_EEv13rocblas_fill_17rocblas_diagonal_T1_iil.num_named_barrier, 0
	.set _ZN9rocsolver6v33100L18trti2_kernel_smallILi61E19rocblas_complex_numIdEPS3_EEv13rocblas_fill_17rocblas_diagonal_T1_iil.private_seg_size, 992
	.set _ZN9rocsolver6v33100L18trti2_kernel_smallILi61E19rocblas_complex_numIdEPS3_EEv13rocblas_fill_17rocblas_diagonal_T1_iil.uses_vcc, 1
	.set _ZN9rocsolver6v33100L18trti2_kernel_smallILi61E19rocblas_complex_numIdEPS3_EEv13rocblas_fill_17rocblas_diagonal_T1_iil.uses_flat_scratch, 0
	.set _ZN9rocsolver6v33100L18trti2_kernel_smallILi61E19rocblas_complex_numIdEPS3_EEv13rocblas_fill_17rocblas_diagonal_T1_iil.has_dyn_sized_stack, 0
	.set _ZN9rocsolver6v33100L18trti2_kernel_smallILi61E19rocblas_complex_numIdEPS3_EEv13rocblas_fill_17rocblas_diagonal_T1_iil.has_recursion, 0
	.set _ZN9rocsolver6v33100L18trti2_kernel_smallILi61E19rocblas_complex_numIdEPS3_EEv13rocblas_fill_17rocblas_diagonal_T1_iil.has_indirect_call, 0
	.section	.AMDGPU.csdata,"",@progbits
; Kernel info:
; codeLenInByte = 114884
; TotalNumSgprs: 99
; NumVgprs: 213
; ScratchSize: 992
; MemoryBound: 0
; FloatMode: 240
; IeeeMode: 1
; LDSByteSize: 1952 bytes/workgroup (compile time only)
; SGPRBlocks: 0
; VGPRBlocks: 26
; NumSGPRsForWavesPerEU: 99
; NumVGPRsForWavesPerEU: 213
; Occupancy: 4
; WaveLimiterHint : 0
; COMPUTE_PGM_RSRC2:SCRATCH_EN: 1
; COMPUTE_PGM_RSRC2:USER_SGPR: 6
; COMPUTE_PGM_RSRC2:TRAP_HANDLER: 0
; COMPUTE_PGM_RSRC2:TGID_X_EN: 1
; COMPUTE_PGM_RSRC2:TGID_Y_EN: 0
; COMPUTE_PGM_RSRC2:TGID_Z_EN: 0
; COMPUTE_PGM_RSRC2:TIDIG_COMP_CNT: 0
	.section	.text._ZN9rocsolver6v33100L18trti2_kernel_smallILi62E19rocblas_complex_numIdEPS3_EEv13rocblas_fill_17rocblas_diagonal_T1_iil,"axG",@progbits,_ZN9rocsolver6v33100L18trti2_kernel_smallILi62E19rocblas_complex_numIdEPS3_EEv13rocblas_fill_17rocblas_diagonal_T1_iil,comdat
	.globl	_ZN9rocsolver6v33100L18trti2_kernel_smallILi62E19rocblas_complex_numIdEPS3_EEv13rocblas_fill_17rocblas_diagonal_T1_iil ; -- Begin function _ZN9rocsolver6v33100L18trti2_kernel_smallILi62E19rocblas_complex_numIdEPS3_EEv13rocblas_fill_17rocblas_diagonal_T1_iil
	.p2align	8
	.type	_ZN9rocsolver6v33100L18trti2_kernel_smallILi62E19rocblas_complex_numIdEPS3_EEv13rocblas_fill_17rocblas_diagonal_T1_iil,@function
_ZN9rocsolver6v33100L18trti2_kernel_smallILi62E19rocblas_complex_numIdEPS3_EEv13rocblas_fill_17rocblas_diagonal_T1_iil: ; @_ZN9rocsolver6v33100L18trti2_kernel_smallILi62E19rocblas_complex_numIdEPS3_EEv13rocblas_fill_17rocblas_diagonal_T1_iil
; %bb.0:
	s_add_u32 s0, s0, s7
	s_addc_u32 s1, s1, 0
	s_mov_b32 s7, exec_lo
	v_cmpx_gt_u32_e32 62, v0
	s_cbranch_execz .LBB61_1345
; %bb.1:
	s_load_dwordx8 s[8:15], s[4:5], 0x0
	s_ashr_i32 s4, s6, 31
	v_lshlrev_b32_e32 v135, 4, v0
	s_movk_i32 s17, 0xd0
	s_movk_i32 s18, 0xe0
	;; [unrolled: 1-line block ×17, first 2 shown]
	s_waitcnt lgkmcnt(0)
	s_mul_hi_u32 s7, s14, s6
	s_mul_i32 s16, s14, s4
	s_mul_i32 s15, s15, s6
	s_add_i32 s7, s7, s16
	v_add3_u32 v1, s13, s13, v0
	s_mul_i32 s6, s14, s6
	s_add_i32 s7, s7, s15
	s_ashr_i32 s5, s12, 31
	s_lshl_b64 s[6:7], s[6:7], 4
	s_mov_b32 s4, s12
	s_add_u32 s6, s10, s6
	v_add_nc_u32_e32 v3, s13, v1
	v_ashrrev_i32_e32 v2, 31, v1
	s_addc_u32 s7, s11, s7
	s_lshl_b64 s[4:5], s[4:5], 4
	s_mov_b32 s14, s13
	s_add_u32 s4, s6, s4
	s_addc_u32 s5, s7, s5
	v_add_co_u32 v91, s6, s4, v135
	v_add_nc_u32_e32 v5, s13, v3
	v_lshlrev_b64 v[1:2], 4, v[1:2]
	s_ashr_i32 s15, s13, 31
	v_add_co_ci_u32_e64 v92, null, s5, 0, s6
	s_lshl_b64 s[6:7], s[14:15], 4
	v_ashrrev_i32_e32 v4, 31, v3
	v_add_co_u32 v83, vcc_lo, v91, s6
	v_ashrrev_i32_e32 v6, 31, v5
	v_add_co_ci_u32_e64 v84, null, s7, v92, vcc_lo
	v_add_co_u32 v71, vcc_lo, s4, v1
	global_load_dwordx4 v[7:10], v135, s[4:5]
	v_add_co_ci_u32_e64 v72, null, s5, v2, vcc_lo
	v_lshlrev_b64 v[2:3], 4, v[3:4]
	v_add_nc_u32_e32 v19, s13, v5
	v_lshlrev_b64 v[5:6], 4, v[5:6]
	s_clause 0x1
	global_load_dwordx4 v[11:14], v[83:84], off
	global_load_dwordx4 v[15:18], v[71:72], off
	s_cmpk_lg_i32 s9, 0x84
	v_add_co_u32 v63, vcc_lo, s4, v2
	v_add_co_ci_u32_e64 v64, null, s5, v3, vcc_lo
	v_add_co_u32 v65, vcc_lo, s4, v5
	v_add_co_ci_u32_e64 v66, null, s5, v6, vcc_lo
	global_load_dwordx4 v[21:24], v[63:64], off
	v_add_nc_u32_e32 v29, s13, v19
	v_ashrrev_i32_e32 v20, 31, v19
	global_load_dwordx4 v[25:28], v[65:66], off
	s_movk_i32 s6, 0x60
	s_movk_i32 s10, 0x70
	v_add_nc_u32_e32 v37, s13, v29
	v_lshlrev_b64 v[5:6], 4, v[19:20]
	v_ashrrev_i32_e32 v30, 31, v29
	s_movk_i32 s11, 0x80
	s_movk_i32 s12, 0x90
	v_add_nc_u32_e32 v1, s13, v37
	v_ashrrev_i32_e32 v38, 31, v37
	v_lshlrev_b64 v[19:20], 4, v[29:30]
	v_add_co_u32 v85, vcc_lo, s4, v5
	v_add_nc_u32_e32 v4, s13, v1
	v_ashrrev_i32_e32 v2, 31, v1
	v_add_co_ci_u32_e64 v86, null, s5, v6, vcc_lo
	v_lshlrev_b64 v[5:6], 4, v[37:38]
	v_add_nc_u32_e32 v39, s13, v4
	v_lshlrev_b64 v[1:2], 4, v[1:2]
	v_add_co_u32 v79, vcc_lo, s4, v19
	v_add_co_ci_u32_e64 v80, null, s5, v20, vcc_lo
	v_add_nc_u32_e32 v3, s13, v39
	v_add_co_u32 v77, vcc_lo, s4, v5
	v_ashrrev_i32_e32 v5, 31, v4
	v_ashrrev_i32_e32 v40, 31, v39
	v_add_nc_u32_e32 v45, s13, v3
	v_add_co_ci_u32_e64 v78, null, s5, v6, vcc_lo
	v_add_co_u32 v69, vcc_lo, s4, v1
	v_add_nc_u32_e32 v47, s13, v45
	v_add_co_ci_u32_e64 v70, null, s5, v2, vcc_lo
	v_lshlrev_b64 v[1:2], 4, v[4:5]
	v_lshlrev_b64 v[5:6], 4, v[39:40]
	v_add_nc_u32_e32 v59, s13, v47
	v_ashrrev_i32_e32 v4, 31, v3
	global_load_dwordx4 v[29:32], v[85:86], off
	v_ashrrev_i32_e32 v46, 31, v45
	v_add_co_u32 v73, vcc_lo, s4, v1
	v_add_nc_u32_e32 v88, s13, v59
	v_add_co_ci_u32_e64 v74, null, s5, v2, vcc_lo
	v_add_co_u32 v67, vcc_lo, s4, v5
	v_add_nc_u32_e32 v97, s13, v88
	v_lshlrev_b64 v[1:2], 4, v[3:4]
	global_load_dwordx4 v[33:36], v[79:80], off
	v_ashrrev_i32_e32 v48, 31, v47
	v_add_co_ci_u32_e64 v68, null, s5, v6, vcc_lo
	v_add_nc_u32_e32 v107, s13, v97
	v_lshlrev_b64 v[3:4], 4, v[45:46]
	v_add_co_u32 v57, vcc_lo, s4, v1
	v_add_co_ci_u32_e64 v58, null, s5, v2, vcc_lo
	v_add_nc_u32_e32 v115, s13, v107
	v_lshlrev_b64 v[1:2], 4, v[47:48]
	v_ashrrev_i32_e32 v60, 31, v59
	s_clause 0x1
	global_load_dwordx4 v[41:44], v[77:78], off
	global_load_dwordx4 v[53:56], v[73:74], off
	v_add_nc_u32_e32 v123, s13, v115
	v_add_co_u32 v47, vcc_lo, s4, v3
	v_ashrrev_i32_e32 v89, 31, v88
	v_add_co_ci_u32_e64 v48, null, s5, v4, vcc_lo
	v_add_nc_u32_e32 v132, s13, v123
	v_lshlrev_b64 v[3:4], 4, v[59:60]
	v_add_co_u32 v39, vcc_lo, s4, v1
	global_load_dwordx4 v[49:52], v[69:70], off
	v_add_nc_u32_e32 v168, s13, v132
	v_add_co_ci_u32_e64 v40, null, s5, v2, vcc_lo
	v_lshlrev_b64 v[37:38], 4, v[88:89]
	v_ashrrev_i32_e32 v98, 31, v97
	v_add_nc_u32_e32 v170, s13, v168
	v_ashrrev_i32_e32 v108, 31, v107
	v_ashrrev_i32_e32 v116, 31, v115
	s_clause 0x1
	global_load_dwordx4 v[128:131], v[67:68], off
	global_load_dwordx4 v[136:139], v[57:58], off
	v_add_nc_u32_e32 v176, s13, v170
	s_clause 0x1
	global_load_dwordx4 v[140:143], v[47:48], off
	global_load_dwordx4 v[144:147], v[39:40], off
	v_lshlrev_b64 v[45:46], 4, v[97:98]
	v_ashrrev_i32_e32 v124, 31, v123
	v_add_nc_u32_e32 v178, s13, v176
	v_ashrrev_i32_e32 v133, 31, v132
	v_ashrrev_i32_e32 v169, 31, v168
	;; [unrolled: 1-line block ×4, first 2 shown]
	v_add_nc_u32_e32 v184, s13, v178
	v_ashrrev_i32_e32 v179, 31, v178
	s_movk_i32 s14, 0xb0
	s_movk_i32 s16, 0xc0
	s_movk_i32 s35, 0x1e0
	v_add_nc_u32_e32 v186, s13, v184
	v_ashrrev_i32_e32 v185, 31, v184
	s_movk_i32 s36, 0x1f0
	s_movk_i32 s37, 0x200
	s_movk_i32 s38, 0x210
	;; [unrolled: 5-line block ×10, first 2 shown]
	v_add_nc_u32_e32 v204, s13, v202
	v_ashrrev_i32_e32 v203, 31, v202
	s_movk_i32 s75, 0x3b0
	s_movk_i32 s95, 0x3c0
	s_cselect_b32 s7, -1, 0
	v_add_nc_u32_e32 v206, s13, v204
	v_ashrrev_i32_e32 v205, 31, v204
	s_cmpk_eq_i32 s9, 0x84
	s_movk_i32 s9, 0x3d0
	v_add_nc_u32_e32 v208, s13, v206
	v_ashrrev_i32_e32 v207, 31, v206
	v_add_nc_u32_e32 v210, s13, v208
	v_ashrrev_i32_e32 v209, 31, v208
	;; [unrolled: 2-line block ×3, first 2 shown]
	v_lshlrev_b64 v[59:60], 4, v[208:209]
	v_add_nc_u32_e32 v75, s13, v61
	v_lshlrev_b64 v[88:89], 4, v[210:211]
	v_ashrrev_i32_e32 v62, 31, v61
	v_add_nc_u32_e32 v81, s13, v75
	v_ashrrev_i32_e32 v76, 31, v75
	v_lshlrev_b64 v[97:98], 4, v[61:62]
	v_add_nc_u32_e32 v87, s13, v81
	v_ashrrev_i32_e32 v82, 31, v81
	v_add_nc_u32_e32 v96, s13, v87
	v_add_nc_u32_e32 v93, s13, v96
	;; [unrolled: 1-line block ×3, first 2 shown]
	v_ashrrev_i32_e32 v94, 31, v93
	v_add_nc_u32_e32 v99, s13, v95
	v_add_nc_u32_e32 v101, s13, v99
	v_ashrrev_i32_e32 v100, 31, v99
	v_add_nc_u32_e32 v106, s13, v101
	v_lshlrev_b64 v[99:100], 4, v[99:100]
	v_ashrrev_i32_e32 v102, 31, v101
	v_add_nc_u32_e32 v103, s13, v106
	v_lshlrev_b64 v[101:102], 4, v[101:102]
	v_add_nc_u32_e32 v105, s13, v103
	v_ashrrev_i32_e32 v104, 31, v103
	v_add_nc_u32_e32 v109, s13, v105
	v_add_nc_u32_e32 v114, s13, v109
	v_ashrrev_i32_e32 v110, 31, v109
	v_add_nc_u32_e32 v111, s13, v114
	v_lshlrev_b64 v[109:110], 4, v[109:110]
	v_add_nc_u32_e32 v113, s13, v111
	v_ashrrev_i32_e32 v112, 31, v111
	v_add_nc_u32_e32 v117, s13, v113
	v_add_nc_u32_e32 v119, s13, v117
	v_ashrrev_i32_e32 v118, 31, v117
	v_add_nc_u32_e32 v122, s13, v119
	v_ashrrev_i32_e32 v120, 31, v119
	v_lshlrev_b64 v[117:118], 4, v[117:118]
	v_add_nc_u32_e32 v121, s13, v122
	v_lshlrev_b64 v[119:120], 4, v[119:120]
	v_add_nc_u32_e32 v125, s13, v121
	v_add_nc_u32_e32 v127, s13, v125
	v_ashrrev_i32_e32 v126, 31, v125
	v_add_nc_u32_e32 v5, s13, v127
	v_lshlrev_b64 v[125:126], 4, v[125:126]
	s_movk_i32 s13, 0xa0
	v_ashrrev_i32_e32 v6, 31, v5
	v_lshlrev_b64 v[5:6], 4, v[5:6]
	v_add_co_u32 v5, vcc_lo, s4, v5
	v_add_co_ci_u32_e64 v6, null, s5, v6, vcc_lo
	v_add_co_u32 v19, vcc_lo, s4, v3
	v_add_co_ci_u32_e64 v20, null, s5, v4, vcc_lo
	global_load_dwordx4 v[1:4], v[5:6], off
	s_waitcnt vmcnt(14)
	buffer_store_dword v10, off, s[0:3], 0 offset:12
	buffer_store_dword v9, off, s[0:3], 0 offset:8
	buffer_store_dword v8, off, s[0:3], 0 offset:4
	buffer_store_dword v7, off, s[0:3], 0
	v_add_co_u32 v9, vcc_lo, s4, v37
	v_add_co_ci_u32_e64 v10, null, s5, v38, vcc_lo
	v_lshlrev_b64 v[37:38], 4, v[107:108]
	global_load_dwordx4 v[148:151], v[19:20], off
	s_waitcnt vmcnt(14)
	buffer_store_dword v14, off, s[0:3], 0 offset:28
	buffer_store_dword v13, off, s[0:3], 0 offset:24
	;; [unrolled: 1-line block ×4, first 2 shown]
	v_lshlrev_b64 v[13:14], 4, v[115:116]
	v_add_co_u32 v7, vcc_lo, s4, v45
	v_add_co_ci_u32_e64 v8, null, s5, v46, vcc_lo
	v_add_co_u32 v11, vcc_lo, s4, v37
	v_add_co_ci_u32_e64 v12, null, s5, v38, vcc_lo
	;; [unrolled: 2-line block ×3, first 2 shown]
	global_load_dwordx4 v[152:155], v[9:10], off
	s_waitcnt vmcnt(14)
	buffer_store_dword v18, off, s[0:3], 0 offset:44
	buffer_store_dword v17, off, s[0:3], 0 offset:40
	buffer_store_dword v16, off, s[0:3], 0 offset:36
	buffer_store_dword v15, off, s[0:3], 0 offset:32
	global_load_dwordx4 v[156:159], v[7:8], off
	s_waitcnt vmcnt(14)
	buffer_store_dword v24, off, s[0:3], 0 offset:60
	buffer_store_dword v23, off, s[0:3], 0 offset:56
	buffer_store_dword v22, off, s[0:3], 0 offset:52
	buffer_store_dword v21, off, s[0:3], 0 offset:48
	;; [unrolled: 6-line block ×3, first 2 shown]
	global_load_dwordx4 v[164:167], v[13:14], off
	v_lshlrev_b64 v[15:16], 4, v[123:124]
	v_lshlrev_b64 v[21:22], 4, v[132:133]
	;; [unrolled: 1-line block ×4, first 2 shown]
	s_waitcnt vmcnt(14)
	buffer_store_dword v32, off, s[0:3], 0 offset:92
	buffer_store_dword v31, off, s[0:3], 0 offset:88
	;; [unrolled: 1-line block ×4, first 2 shown]
	s_waitcnt vmcnt(13)
	buffer_store_dword v36, off, s[0:3], 0 offset:108
	buffer_store_dword v35, off, s[0:3], 0 offset:104
	;; [unrolled: 1-line block ×4, first 2 shown]
	v_add_co_u32 v17, vcc_lo, s4, v15
	v_add_co_ci_u32_e64 v18, null, s5, v16, vcc_lo
	v_add_co_u32 v15, vcc_lo, s4, v21
	v_add_co_ci_u32_e64 v16, null, s5, v22, vcc_lo
	v_lshlrev_b64 v[21:22], 4, v[170:171]
	v_add_co_u32 v23, vcc_lo, s4, v23
	v_lshlrev_b64 v[29:30], 4, v[178:179]
	v_add_co_ci_u32_e64 v24, null, s5, v24, vcc_lo
	v_add_co_u32 v21, vcc_lo, s4, v21
	v_add_co_ci_u32_e64 v22, null, s5, v22, vcc_lo
	v_add_co_u32 v27, vcc_lo, s4, v25
	v_add_co_ci_u32_e64 v28, null, s5, v26, vcc_lo
	v_lshlrev_b64 v[31:32], 4, v[184:185]
	v_add_co_u32 v25, vcc_lo, s4, v29
	v_add_co_ci_u32_e64 v26, null, s5, v30, vcc_lo
	v_lshlrev_b64 v[29:30], 4, v[186:187]
	v_lshlrev_b64 v[33:34], 4, v[188:189]
	v_add_co_u32 v31, vcc_lo, s4, v31
	v_lshlrev_b64 v[37:38], 4, v[190:191]
	s_clause 0x1
	global_load_dwordx4 v[168:171], v[17:18], off
	global_load_dwordx4 v[172:175], v[15:16], off
	s_waitcnt vmcnt(14)
	buffer_store_dword v44, off, s[0:3], 0 offset:124
	buffer_store_dword v43, off, s[0:3], 0 offset:120
	;; [unrolled: 1-line block ×4, first 2 shown]
	s_waitcnt vmcnt(12)
	buffer_store_dword v52, off, s[0:3], 0 offset:140
	buffer_store_dword v51, off, s[0:3], 0 offset:136
	buffer_store_dword v50, off, s[0:3], 0 offset:132
	buffer_store_dword v49, off, s[0:3], 0 offset:128
	v_add_co_ci_u32_e64 v32, null, s5, v32, vcc_lo
	v_add_co_u32 v29, vcc_lo, s4, v29
	v_lshlrev_b64 v[41:42], 4, v[192:193]
	v_add_co_ci_u32_e64 v30, null, s5, v30, vcc_lo
	v_add_co_u32 v35, vcc_lo, s4, v33
	v_add_co_ci_u32_e64 v36, null, s5, v34, vcc_lo
	v_add_co_u32 v33, vcc_lo, s4, v37
	v_add_co_ci_u32_e64 v34, null, s5, v38, vcc_lo
	v_lshlrev_b64 v[37:38], 4, v[194:195]
	v_add_co_u32 v43, vcc_lo, s4, v41
	v_add_co_ci_u32_e64 v44, null, s5, v42, vcc_lo
	v_lshlrev_b64 v[41:42], 4, v[196:197]
	v_add_co_u32 v45, vcc_lo, s4, v37
	v_add_co_ci_u32_e64 v46, null, s5, v38, vcc_lo
	s_clause 0x1
	global_load_dwordx4 v[176:179], v[23:24], off
	global_load_dwordx4 v[180:183], v[21:22], off
	v_add_co_u32 v37, vcc_lo, s4, v41
	v_add_co_ci_u32_e64 v38, null, s5, v42, vcc_lo
	v_lshlrev_b64 v[41:42], 4, v[198:199]
	buffer_store_dword v53, off, s[0:3], 0 offset:144
	buffer_store_dword v54, off, s[0:3], 0 offset:148
	;; [unrolled: 1-line block ×4, first 2 shown]
	s_waitcnt vmcnt(13)
	buffer_store_dword v128, off, s[0:3], 0 offset:160
	buffer_store_dword v129, off, s[0:3], 0 offset:164
	;; [unrolled: 1-line block ×4, first 2 shown]
	s_clause 0x1
	global_load_dwordx4 v[128:131], v[27:28], off
	global_load_dwordx4 v[184:187], v[25:26], off
	s_waitcnt vmcnt(14)
	buffer_store_dword v136, off, s[0:3], 0 offset:176
	buffer_store_dword v137, off, s[0:3], 0 offset:180
	buffer_store_dword v138, off, s[0:3], 0 offset:184
	buffer_store_dword v139, off, s[0:3], 0 offset:188
	s_waitcnt vmcnt(13)
	buffer_store_dword v143, off, s[0:3], 0 offset:204
	buffer_store_dword v142, off, s[0:3], 0 offset:200
	;; [unrolled: 1-line block ×4, first 2 shown]
	s_clause 0x1
	global_load_dwordx4 v[136:139], v[31:32], off
	global_load_dwordx4 v[140:143], v[29:30], off
	v_lshlrev_b64 v[49:50], 4, v[200:201]
	v_add_co_u32 v41, vcc_lo, s4, v41
	v_add_co_ci_u32_e64 v42, null, s5, v42, vcc_lo
	v_lshlrev_b64 v[51:52], 4, v[202:203]
	v_lshlrev_b64 v[53:54], 4, v[204:205]
	v_add_co_u32 v49, vcc_lo, s4, v49
	v_lshlrev_b64 v[55:56], 4, v[206:207]
	v_add_co_ci_u32_e64 v50, null, s5, v50, vcc_lo
	v_add_co_u32 v51, vcc_lo, s4, v51
	v_add_co_ci_u32_e64 v52, null, s5, v52, vcc_lo
	v_add_co_u32 v53, vcc_lo, s4, v53
	;; [unrolled: 2-line block ×5, first 2 shown]
	v_add_co_ci_u32_e64 v62, null, s5, v89, vcc_lo
	v_lshlrev_b64 v[89:90], 4, v[75:76]
	v_ashrrev_i32_e32 v88, 31, v87
	v_add_co_u32 v75, vcc_lo, s4, v97
	v_ashrrev_i32_e32 v97, 31, v96
	v_add_co_ci_u32_e64 v76, null, s5, v98, vcc_lo
	v_lshlrev_b64 v[107:108], 4, v[81:82]
	v_add_co_u32 v81, vcc_lo, s4, v89
	v_add_co_ci_u32_e64 v82, null, s5, v90, vcc_lo
	v_lshlrev_b64 v[89:90], 4, v[87:88]
	v_lshlrev_b64 v[97:98], 4, v[96:97]
	v_add_co_u32 v87, vcc_lo, s4, v107
	v_ashrrev_i32_e32 v96, 31, v95
	v_add_co_ci_u32_e64 v88, null, s5, v108, vcc_lo
	v_add_co_u32 v89, vcc_lo, s4, v89
	v_add_co_ci_u32_e64 v90, null, s5, v90, vcc_lo
	v_lshlrev_b64 v[107:108], 4, v[93:94]
	v_add_co_u32 v93, vcc_lo, s4, v97
	v_add_co_ci_u32_e64 v94, null, s5, v98, vcc_lo
	v_lshlrev_b64 v[97:98], 4, v[95:96]
	v_add_co_u32 v95, vcc_lo, s4, v107
	v_add_co_ci_u32_e64 v96, null, s5, v108, vcc_lo
	v_ashrrev_i32_e32 v107, 31, v106
	v_add_co_u32 v97, vcc_lo, s4, v97
	v_add_co_ci_u32_e64 v98, null, s5, v98, vcc_lo
	v_add_co_u32 v99, vcc_lo, s4, v99
	v_add_co_ci_u32_e64 v100, null, s5, v100, vcc_lo
	v_lshlrev_b64 v[107:108], 4, v[106:107]
	v_lshlrev_b64 v[115:116], 4, v[103:104]
	v_ashrrev_i32_e32 v106, 31, v105
	v_add_co_u32 v101, vcc_lo, s4, v101
	v_add_co_ci_u32_e64 v102, null, s5, v102, vcc_lo
	v_add_co_u32 v103, vcc_lo, s4, v107
	v_add_co_ci_u32_e64 v104, null, s5, v108, vcc_lo
	v_lshlrev_b64 v[107:108], 4, v[105:106]
	v_add_co_u32 v105, vcc_lo, s4, v115
	v_ashrrev_i32_e32 v115, 31, v114
	v_add_co_ci_u32_e64 v106, null, s5, v116, vcc_lo
	v_add_co_u32 v107, vcc_lo, s4, v107
	v_lshlrev_b64 v[115:116], 4, v[114:115]
	v_lshlrev_b64 v[123:124], 4, v[111:112]
	v_ashrrev_i32_e32 v114, 31, v113
	v_add_co_ci_u32_e64 v108, null, s5, v108, vcc_lo
	v_add_co_u32 v109, vcc_lo, s4, v109
	v_add_co_ci_u32_e64 v110, null, s5, v110, vcc_lo
	v_add_co_u32 v111, vcc_lo, s4, v115
	v_add_co_ci_u32_e64 v112, null, s5, v116, vcc_lo
	v_lshlrev_b64 v[115:116], 4, v[113:114]
	v_add_co_u32 v113, vcc_lo, s4, v123
	v_ashrrev_i32_e32 v123, 31, v122
	v_add_co_ci_u32_e64 v114, null, s5, v124, vcc_lo
	v_add_co_u32 v115, vcc_lo, s4, v115
	v_lshlrev_b64 v[123:124], 4, v[122:123]
	v_ashrrev_i32_e32 v122, 31, v121
	v_add_co_ci_u32_e64 v116, null, s5, v116, vcc_lo
	v_add_co_u32 v117, vcc_lo, s4, v117
	v_lshlrev_b64 v[133:134], 4, v[121:122]
	v_add_co_ci_u32_e64 v118, null, s5, v118, vcc_lo
	v_add_co_u32 v119, vcc_lo, s4, v119
	v_add_co_ci_u32_e64 v120, null, s5, v120, vcc_lo
	v_add_co_u32 v121, vcc_lo, s4, v123
	;; [unrolled: 2-line block ×4, first 2 shown]
	v_add_co_ci_u32_e64 v126, null, s5, v126, vcc_lo
	s_waitcnt vmcnt(14)
	buffer_store_dword v147, off, s[0:3], 0 offset:220
	buffer_store_dword v146, off, s[0:3], 0 offset:216
	;; [unrolled: 1-line block ×4, first 2 shown]
	s_waitcnt vmcnt(12)
	buffer_store_dword v151, off, s[0:3], 0 offset:236
	buffer_store_dword v150, off, s[0:3], 0 offset:232
	;; [unrolled: 1-line block ×4, first 2 shown]
	s_clause 0x1
	global_load_dwordx4 v[144:147], v[35:36], off
	global_load_dwordx4 v[148:151], v[33:34], off
	s_waitcnt vmcnt(13)
	buffer_store_dword v155, off, s[0:3], 0 offset:252
	buffer_store_dword v154, off, s[0:3], 0 offset:248
	;; [unrolled: 1-line block ×4, first 2 shown]
	s_waitcnt vmcnt(12)
	buffer_store_dword v159, off, s[0:3], 0 offset:268
	buffer_store_dword v158, off, s[0:3], 0 offset:264
	;; [unrolled: 1-line block ×4, first 2 shown]
	s_clause 0x1
	global_load_dwordx4 v[152:155], v[43:44], off
	global_load_dwordx4 v[156:159], v[45:46], off
	s_waitcnt vmcnt(13)
	buffer_store_dword v163, off, s[0:3], 0 offset:284
	buffer_store_dword v162, off, s[0:3], 0 offset:280
	buffer_store_dword v161, off, s[0:3], 0 offset:276
	buffer_store_dword v160, off, s[0:3], 0 offset:272
	global_load_dwordx4 v[160:163], v[37:38], off
	s_waitcnt vmcnt(13)
	buffer_store_dword v167, off, s[0:3], 0 offset:300
	buffer_store_dword v166, off, s[0:3], 0 offset:296
	buffer_store_dword v165, off, s[0:3], 0 offset:292
	buffer_store_dword v164, off, s[0:3], 0 offset:288
	;; [unrolled: 6-line block ×3, first 2 shown]
	s_waitcnt vmcnt(12)
	buffer_store_dword v175, off, s[0:3], 0 offset:332
	buffer_store_dword v174, off, s[0:3], 0 offset:328
	buffer_store_dword v173, off, s[0:3], 0 offset:324
	buffer_store_dword v172, off, s[0:3], 0 offset:320
	s_clause 0x1
	global_load_dwordx4 v[168:171], v[49:50], off
	global_load_dwordx4 v[172:175], v[51:52], off
	s_waitcnt vmcnt(13)
	buffer_store_dword v179, off, s[0:3], 0 offset:348
	buffer_store_dword v178, off, s[0:3], 0 offset:344
	buffer_store_dword v177, off, s[0:3], 0 offset:340
	buffer_store_dword v176, off, s[0:3], 0 offset:336
	s_waitcnt vmcnt(12)
	buffer_store_dword v183, off, s[0:3], 0 offset:364
	buffer_store_dword v182, off, s[0:3], 0 offset:360
	buffer_store_dword v181, off, s[0:3], 0 offset:356
	buffer_store_dword v180, off, s[0:3], 0 offset:352
	s_clause 0x1
	global_load_dwordx4 v[176:179], v[53:54], off
	global_load_dwordx4 v[180:183], v[55:56], off
	s_waitcnt vmcnt(13)
	buffer_store_dword v131, off, s[0:3], 0 offset:380
	buffer_store_dword v130, off, s[0:3], 0 offset:376
	buffer_store_dword v129, off, s[0:3], 0 offset:372
	buffer_store_dword v128, off, s[0:3], 0 offset:368
	;; [unrolled: 13-line block ×3, first 2 shown]
	s_waitcnt vmcnt(12)
	buffer_store_dword v143, off, s[0:3], 0 offset:428
	buffer_store_dword v142, off, s[0:3], 0 offset:424
	buffer_store_dword v141, off, s[0:3], 0 offset:420
	buffer_store_dword v140, off, s[0:3], 0 offset:416
	s_waitcnt vmcnt(11)
	buffer_store_dword v147, off, s[0:3], 0 offset:444
	buffer_store_dword v146, off, s[0:3], 0 offset:440
	buffer_store_dword v145, off, s[0:3], 0 offset:436
	buffer_store_dword v144, off, s[0:3], 0 offset:432
	s_waitcnt vmcnt(10)
	buffer_store_dword v151, off, s[0:3], 0 offset:460
	buffer_store_dword v150, off, s[0:3], 0 offset:456
	buffer_store_dword v149, off, s[0:3], 0 offset:452
	buffer_store_dword v148, off, s[0:3], 0 offset:448
	s_waitcnt vmcnt(9)
	buffer_store_dword v155, off, s[0:3], 0 offset:476
	buffer_store_dword v154, off, s[0:3], 0 offset:472
	buffer_store_dword v153, off, s[0:3], 0 offset:468
	buffer_store_dword v152, off, s[0:3], 0 offset:464
	s_waitcnt vmcnt(8)
	buffer_store_dword v159, off, s[0:3], 0 offset:492
	buffer_store_dword v158, off, s[0:3], 0 offset:488
	buffer_store_dword v157, off, s[0:3], 0 offset:484
	buffer_store_dword v156, off, s[0:3], 0 offset:480
	s_waitcnt vmcnt(7)
	buffer_store_dword v163, off, s[0:3], 0 offset:508
	buffer_store_dword v162, off, s[0:3], 0 offset:504
	s_clause 0x5
	global_load_dwordx4 v[136:139], v[75:76], off
	global_load_dwordx4 v[140:143], v[81:82], off
	;; [unrolled: 1-line block ×6, first 2 shown]
	buffer_store_dword v161, off, s[0:3], 0 offset:500
	buffer_store_dword v160, off, s[0:3], 0 offset:496
	global_load_dwordx4 v[160:163], v[97:98], off
	s_waitcnt vmcnt(13)
	buffer_store_dword v167, off, s[0:3], 0 offset:524
	buffer_store_dword v166, off, s[0:3], 0 offset:520
	;; [unrolled: 1-line block ×4, first 2 shown]
	global_load_dwordx4 v[164:167], v[99:100], off
	s_waitcnt vmcnt(13)
	buffer_store_dword v171, off, s[0:3], 0 offset:540
	buffer_store_dword v170, off, s[0:3], 0 offset:536
	buffer_store_dword v169, off, s[0:3], 0 offset:532
	buffer_store_dword v168, off, s[0:3], 0 offset:528
	s_waitcnt vmcnt(12)
	buffer_store_dword v175, off, s[0:3], 0 offset:556
	buffer_store_dword v174, off, s[0:3], 0 offset:552
	buffer_store_dword v173, off, s[0:3], 0 offset:548
	buffer_store_dword v172, off, s[0:3], 0 offset:544
	;; [unrolled: 5-line block ×13, first 2 shown]
	s_waitcnt vmcnt(0)
	buffer_store_dword v167, off, s[0:3], 0 offset:748
	s_clause 0xb
	global_load_dwordx4 v[129:132], v[101:102], off
	global_load_dwordx4 v[136:139], v[103:104], off
	;; [unrolled: 1-line block ×12, first 2 shown]
	v_ashrrev_i32_e32 v128, 31, v127
	global_load_dwordx4 v[183:186], v[125:126], off
	buffer_store_dword v166, off, s[0:3], 0 offset:744
	buffer_store_dword v165, off, s[0:3], 0 offset:740
	buffer_store_dword v164, off, s[0:3], 0 offset:736
	v_lshlrev_b64 v[127:128], 4, v[127:128]
	v_add_co_u32 v127, vcc_lo, s4, v127
	v_add_co_ci_u32_e64 v128, null, s5, v128, vcc_lo
	s_movk_i32 s5, 0x50
	s_movk_i32 s4, 0x350
	global_load_dwordx4 v[187:190], v[127:128], off
	s_waitcnt vmcnt(13)
	buffer_store_dword v132, off, s[0:3], 0 offset:764
	buffer_store_dword v131, off, s[0:3], 0 offset:760
	buffer_store_dword v130, off, s[0:3], 0 offset:756
	buffer_store_dword v129, off, s[0:3], 0 offset:752
	s_waitcnt vmcnt(12)
	buffer_store_dword v139, off, s[0:3], 0 offset:780
	buffer_store_dword v138, off, s[0:3], 0 offset:776
	buffer_store_dword v137, off, s[0:3], 0 offset:772
	buffer_store_dword v136, off, s[0:3], 0 offset:768
	;; [unrolled: 5-line block ×14, first 2 shown]
	buffer_store_dword v4, off, s[0:3], 0 offset:988
	buffer_store_dword v3, off, s[0:3], 0 offset:984
	;; [unrolled: 1-line block ×4, first 2 shown]
	s_cbranch_scc1 .LBB61_7
; %bb.2:
	v_lshl_add_u32 v136, v0, 4, 0
                                        ; implicit-def: $vgpr131_vgpr132
                                        ; implicit-def: $vgpr3_vgpr4
	s_clause 0x3
	buffer_load_dword v129, v136, s[0:3], 0 offen
	buffer_load_dword v130, v136, s[0:3], 0 offen offset:4
	buffer_load_dword v133, v136, s[0:3], 0 offen offset:8
	;; [unrolled: 1-line block ×3, first 2 shown]
	s_waitcnt vmcnt(0)
	v_cmp_ngt_f64_e64 s39, |v[129:130]|, |v[133:134]|
	s_and_saveexec_b32 s40, s39
	s_xor_b32 s39, exec_lo, s40
	s_cbranch_execz .LBB61_4
; %bb.3:
	v_div_scale_f64 v[1:2], null, v[133:134], v[133:134], v[129:130]
	v_div_scale_f64 v[137:138], vcc_lo, v[129:130], v[133:134], v[129:130]
	v_rcp_f64_e32 v[3:4], v[1:2]
	v_fma_f64 v[131:132], -v[1:2], v[3:4], 1.0
	v_fma_f64 v[3:4], v[3:4], v[131:132], v[3:4]
	v_fma_f64 v[131:132], -v[1:2], v[3:4], 1.0
	v_fma_f64 v[3:4], v[3:4], v[131:132], v[3:4]
	v_mul_f64 v[131:132], v[137:138], v[3:4]
	v_fma_f64 v[1:2], -v[1:2], v[131:132], v[137:138]
	v_div_fmas_f64 v[1:2], v[1:2], v[3:4], v[131:132]
	v_div_fixup_f64 v[1:2], v[1:2], v[133:134], v[129:130]
	v_fma_f64 v[3:4], v[129:130], v[1:2], v[133:134]
	v_div_scale_f64 v[129:130], null, v[3:4], v[3:4], 1.0
	v_div_scale_f64 v[137:138], vcc_lo, 1.0, v[3:4], 1.0
	v_rcp_f64_e32 v[131:132], v[129:130]
	v_fma_f64 v[133:134], -v[129:130], v[131:132], 1.0
	v_fma_f64 v[131:132], v[131:132], v[133:134], v[131:132]
	v_fma_f64 v[133:134], -v[129:130], v[131:132], 1.0
	v_fma_f64 v[131:132], v[131:132], v[133:134], v[131:132]
	v_mul_f64 v[133:134], v[137:138], v[131:132]
	v_fma_f64 v[129:130], -v[129:130], v[133:134], v[137:138]
	v_div_fmas_f64 v[129:130], v[129:130], v[131:132], v[133:134]
                                        ; implicit-def: $vgpr133_vgpr134
	v_div_fixup_f64 v[3:4], v[129:130], v[3:4], 1.0
                                        ; implicit-def: $vgpr129_vgpr130
	v_mul_f64 v[131:132], v[1:2], v[3:4]
	v_xor_b32_e32 v4, 0x80000000, v4
	v_xor_b32_e32 v2, 0x80000000, v132
	v_mov_b32_e32 v1, v131
.LBB61_4:
	s_andn2_saveexec_b32 s39, s39
	s_cbranch_execz .LBB61_6
; %bb.5:
	v_div_scale_f64 v[1:2], null, v[129:130], v[129:130], v[133:134]
	v_div_scale_f64 v[137:138], vcc_lo, v[133:134], v[129:130], v[133:134]
	v_rcp_f64_e32 v[3:4], v[1:2]
	v_fma_f64 v[131:132], -v[1:2], v[3:4], 1.0
	v_fma_f64 v[3:4], v[3:4], v[131:132], v[3:4]
	v_fma_f64 v[131:132], -v[1:2], v[3:4], 1.0
	v_fma_f64 v[3:4], v[3:4], v[131:132], v[3:4]
	v_mul_f64 v[131:132], v[137:138], v[3:4]
	v_fma_f64 v[1:2], -v[1:2], v[131:132], v[137:138]
	v_div_fmas_f64 v[1:2], v[1:2], v[3:4], v[131:132]
	v_div_fixup_f64 v[1:2], v[1:2], v[129:130], v[133:134]
	v_fma_f64 v[3:4], v[133:134], v[1:2], v[129:130]
	v_div_scale_f64 v[129:130], null, v[3:4], v[3:4], 1.0
	v_rcp_f64_e32 v[131:132], v[129:130]
	v_fma_f64 v[133:134], -v[129:130], v[131:132], 1.0
	v_fma_f64 v[131:132], v[131:132], v[133:134], v[131:132]
	v_fma_f64 v[133:134], -v[129:130], v[131:132], 1.0
	v_fma_f64 v[131:132], v[131:132], v[133:134], v[131:132]
	v_div_scale_f64 v[133:134], vcc_lo, 1.0, v[3:4], 1.0
	v_mul_f64 v[137:138], v[133:134], v[131:132]
	v_fma_f64 v[129:130], -v[129:130], v[137:138], v[133:134]
	v_div_fmas_f64 v[129:130], v[129:130], v[131:132], v[137:138]
	v_div_fixup_f64 v[131:132], v[129:130], v[3:4], 1.0
	v_mul_f64 v[3:4], v[1:2], -v[131:132]
	v_xor_b32_e32 v2, 0x80000000, v132
	v_mov_b32_e32 v1, v131
.LBB61_6:
	s_or_b32 exec_lo, exec_lo, s39
	buffer_store_dword v4, v136, s[0:3], 0 offen offset:12
	v_xor_b32_e32 v4, 0x80000000, v4
	buffer_store_dword v132, v136, s[0:3], 0 offen offset:4
	buffer_store_dword v131, v136, s[0:3], 0 offen
	buffer_store_dword v3, v136, s[0:3], 0 offen offset:8
	s_branch .LBB61_8
.LBB61_7:
	v_mov_b32_e32 v1, 0
	v_mov_b32_e32 v3, 0
	;; [unrolled: 1-line block ×4, first 2 shown]
.LBB61_8:
	v_add_nc_u32_e32 v130, 0x3e0, v135
	v_mov_b32_e32 v129, v135
	s_mov_b32 s70, 16
	s_mov_b32 s69, 32
	;; [unrolled: 1-line block ×59, first 2 shown]
	s_cmpk_eq_i32 s8, 0x79
	ds_write_b128 v135, v[1:4]
	s_cbranch_scc1 .LBB61_846
; %bb.9:
	v_mov_b32_e32 v4, s10
	v_cmp_eq_u32_e64 s4, 61, v0
	s_clause 0x3
	buffer_load_dword v1, v4, s[0:3], 0 offen
	buffer_load_dword v2, v4, s[0:3], 0 offen offset:4
	buffer_load_dword v3, v4, s[0:3], 0 offen offset:8
	;; [unrolled: 1-line block ×3, first 2 shown]
	s_waitcnt vmcnt(0)
	ds_write_b128 v130, v[1:4]
	s_waitcnt lgkmcnt(0)
	s_waitcnt_vscnt null, 0x0
	s_barrier
	buffer_gl0_inv
	s_and_saveexec_b32 s5, s4
	s_cbranch_execz .LBB61_13
; %bb.10:
	ds_read_b128 v[1:4], v130
	s_andn2_b32 vcc_lo, exec_lo, s7
	s_cbranch_vccnz .LBB61_12
; %bb.11:
	s_clause 0x3
	buffer_load_dword v131, v129, s[0:3], 0 offen offset:8
	buffer_load_dword v132, v129, s[0:3], 0 offen offset:12
	buffer_load_dword v133, v129, s[0:3], 0 offen
	buffer_load_dword v134, v129, s[0:3], 0 offen offset:4
	s_waitcnt vmcnt(2) lgkmcnt(0)
	v_mul_f64 v[136:137], v[3:4], v[131:132]
	v_mul_f64 v[131:132], v[1:2], v[131:132]
	s_waitcnt vmcnt(0)
	v_fma_f64 v[1:2], v[1:2], v[133:134], -v[136:137]
	v_fma_f64 v[3:4], v[3:4], v[133:134], v[131:132]
.LBB61_12:
	v_mov_b32_e32 v131, 0
	ds_read_b128 v[131:134], v131 offset:960
	s_waitcnt lgkmcnt(0)
	v_mul_f64 v[136:137], v[3:4], v[133:134]
	v_mul_f64 v[133:134], v[1:2], v[133:134]
	v_fma_f64 v[1:2], v[1:2], v[131:132], -v[136:137]
	v_fma_f64 v[3:4], v[3:4], v[131:132], v[133:134]
	buffer_store_dword v2, off, s[0:3], 0 offset:964
	buffer_store_dword v1, off, s[0:3], 0 offset:960
	;; [unrolled: 1-line block ×4, first 2 shown]
.LBB61_13:
	s_or_b32 exec_lo, exec_lo, s5
	v_mov_b32_e32 v4, s11
	v_cmp_lt_u32_e64 s5, 59, v0
	s_clause 0x3
	buffer_load_dword v1, v4, s[0:3], 0 offen
	buffer_load_dword v2, v4, s[0:3], 0 offen offset:4
	buffer_load_dword v3, v4, s[0:3], 0 offen offset:8
	;; [unrolled: 1-line block ×3, first 2 shown]
	s_waitcnt vmcnt(0)
	ds_write_b128 v130, v[1:4]
	s_waitcnt lgkmcnt(0)
	s_waitcnt_vscnt null, 0x0
	s_barrier
	buffer_gl0_inv
	s_and_saveexec_b32 s6, s5
	s_cbranch_execz .LBB61_19
; %bb.14:
	ds_read_b128 v[1:4], v130
	s_andn2_b32 vcc_lo, exec_lo, s7
	s_cbranch_vccnz .LBB61_16
; %bb.15:
	s_clause 0x3
	buffer_load_dword v131, v129, s[0:3], 0 offen offset:8
	buffer_load_dword v132, v129, s[0:3], 0 offen offset:12
	buffer_load_dword v133, v129, s[0:3], 0 offen
	buffer_load_dword v134, v129, s[0:3], 0 offen offset:4
	s_waitcnt vmcnt(2) lgkmcnt(0)
	v_mul_f64 v[136:137], v[3:4], v[131:132]
	v_mul_f64 v[131:132], v[1:2], v[131:132]
	s_waitcnt vmcnt(0)
	v_fma_f64 v[1:2], v[1:2], v[133:134], -v[136:137]
	v_fma_f64 v[3:4], v[3:4], v[133:134], v[131:132]
.LBB61_16:
	s_and_saveexec_b32 s8, s4
	s_cbranch_execz .LBB61_18
; %bb.17:
	s_clause 0x3
	buffer_load_dword v136, off, s[0:3], 0 offset:968
	buffer_load_dword v137, off, s[0:3], 0 offset:972
	;; [unrolled: 1-line block ×4, first 2 shown]
	v_mov_b32_e32 v131, 0
	ds_read_b128 v[131:134], v131 offset:1952
	s_waitcnt vmcnt(2) lgkmcnt(0)
	v_mul_f64 v[140:141], v[131:132], v[136:137]
	v_mul_f64 v[136:137], v[133:134], v[136:137]
	s_waitcnt vmcnt(0)
	v_fma_f64 v[133:134], v[133:134], v[138:139], v[140:141]
	v_fma_f64 v[131:132], v[131:132], v[138:139], -v[136:137]
	v_add_f64 v[3:4], v[3:4], v[133:134]
	v_add_f64 v[1:2], v[1:2], v[131:132]
.LBB61_18:
	s_or_b32 exec_lo, exec_lo, s8
	v_mov_b32_e32 v131, 0
	ds_read_b128 v[131:134], v131 offset:944
	s_waitcnt lgkmcnt(0)
	v_mul_f64 v[136:137], v[3:4], v[133:134]
	v_mul_f64 v[133:134], v[1:2], v[133:134]
	v_fma_f64 v[1:2], v[1:2], v[131:132], -v[136:137]
	v_fma_f64 v[3:4], v[3:4], v[131:132], v[133:134]
	buffer_store_dword v2, off, s[0:3], 0 offset:948
	buffer_store_dword v1, off, s[0:3], 0 offset:944
	;; [unrolled: 1-line block ×4, first 2 shown]
.LBB61_19:
	s_or_b32 exec_lo, exec_lo, s6
	v_mov_b32_e32 v4, s12
	v_cmp_lt_u32_e64 s4, 58, v0
	s_clause 0x3
	buffer_load_dword v1, v4, s[0:3], 0 offen
	buffer_load_dword v2, v4, s[0:3], 0 offen offset:4
	buffer_load_dword v3, v4, s[0:3], 0 offen offset:8
	;; [unrolled: 1-line block ×3, first 2 shown]
	s_waitcnt vmcnt(0)
	ds_write_b128 v130, v[1:4]
	s_waitcnt lgkmcnt(0)
	s_waitcnt_vscnt null, 0x0
	s_barrier
	buffer_gl0_inv
	s_and_saveexec_b32 s6, s4
	s_cbranch_execz .LBB61_33
; %bb.20:
	ds_read_b128 v[1:4], v130
	s_andn2_b32 vcc_lo, exec_lo, s7
	s_cbranch_vccnz .LBB61_22
; %bb.21:
	s_clause 0x3
	buffer_load_dword v131, v129, s[0:3], 0 offen offset:8
	buffer_load_dword v132, v129, s[0:3], 0 offen offset:12
	buffer_load_dword v133, v129, s[0:3], 0 offen
	buffer_load_dword v134, v129, s[0:3], 0 offen offset:4
	s_waitcnt vmcnt(2) lgkmcnt(0)
	v_mul_f64 v[136:137], v[3:4], v[131:132]
	v_mul_f64 v[131:132], v[1:2], v[131:132]
	s_waitcnt vmcnt(0)
	v_fma_f64 v[1:2], v[1:2], v[133:134], -v[136:137]
	v_fma_f64 v[3:4], v[3:4], v[133:134], v[131:132]
.LBB61_22:
	s_and_saveexec_b32 s8, s5
	s_cbranch_execz .LBB61_32
; %bb.23:
	v_subrev_nc_u32_e32 v132, 60, v0
	v_mov_b32_e32 v133, 59
	v_subrev_nc_u32_e32 v131, 59, v0
	s_mov_b32 s5, exec_lo
	v_cmpx_lt_u32_e32 6, v132
	s_cbranch_execz .LBB61_27
; %bb.24:
	v_and_b32_e32 v132, -8, v131
	s_movk_i32 s72, 0x790
	s_mov_b32 s71, 0
	s_mov_b32 s73, s11
	;; [unrolled: 1-line block ×3, first 2 shown]
.LBB61_25:                              ; =>This Inner Loop Header: Depth=1
	v_mov_b32_e32 v136, s73
	v_mov_b32_e32 v186, s72
	s_add_i32 s75, s74, 8
	s_addk_i32 s74, 0x43
	v_cmp_eq_u32_e32 vcc_lo, s75, v132
	s_clause 0x1f
	buffer_load_dword v133, v136, s[0:3], 0 offen offset:8
	buffer_load_dword v134, v136, s[0:3], 0 offen offset:12
	;; [unrolled: 1-line block ×4, first 2 shown]
	buffer_load_dword v154, v136, s[0:3], 0 offen
	buffer_load_dword v155, v136, s[0:3], 0 offen offset:4
	buffer_load_dword v156, v136, s[0:3], 0 offen offset:40
	;; [unrolled: 1-line block ×27, first 2 shown]
	ds_read_b128 v[136:139], v186
	ds_read_b128 v[140:143], v186 offset:16
	ds_read_b128 v[144:147], v186 offset:32
	;; [unrolled: 1-line block ×3, first 2 shown]
	s_addk_i32 s72, 0x80
	s_addk_i32 s73, 0x80
	s_or_b32 s71, vcc_lo, s71
	s_waitcnt vmcnt(30) lgkmcnt(3)
	v_mul_f64 v[182:183], v[138:139], v[133:134]
	v_mul_f64 v[133:134], v[136:137], v[133:134]
	s_waitcnt vmcnt(28) lgkmcnt(2)
	v_mul_f64 v[184:185], v[142:143], v[152:153]
	v_mul_f64 v[152:153], v[140:141], v[152:153]
	s_waitcnt vmcnt(26)
	v_fma_f64 v[136:137], v[136:137], v[154:155], -v[182:183]
	v_fma_f64 v[133:134], v[138:139], v[154:155], v[133:134]
	s_waitcnt vmcnt(24) lgkmcnt(1)
	v_mul_f64 v[138:139], v[146:147], v[156:157]
	v_mul_f64 v[154:155], v[144:145], v[156:157]
	s_waitcnt vmcnt(22)
	v_fma_f64 v[140:141], v[140:141], v[158:159], -v[184:185]
	v_fma_f64 v[142:143], v[142:143], v[158:159], v[152:153]
	v_add_f64 v[1:2], v[1:2], v[136:137]
	v_add_f64 v[3:4], v[3:4], v[133:134]
	s_waitcnt vmcnt(20) lgkmcnt(0)
	v_mul_f64 v[133:134], v[150:151], v[160:161]
	v_mul_f64 v[136:137], v[148:149], v[160:161]
	s_waitcnt vmcnt(18)
	v_fma_f64 v[138:139], v[144:145], v[162:163], -v[138:139]
	v_fma_f64 v[144:145], v[146:147], v[162:163], v[154:155]
	v_add_f64 v[140:141], v[1:2], v[140:141]
	v_add_f64 v[142:143], v[3:4], v[142:143]
	ds_read_b128 v[1:4], v186 offset:64
	s_waitcnt vmcnt(14)
	v_fma_f64 v[133:134], v[148:149], v[166:167], -v[133:134]
	v_fma_f64 v[148:149], v[150:151], v[166:167], v[136:137]
	v_add_f64 v[140:141], v[140:141], v[138:139]
	v_add_f64 v[142:143], v[142:143], v[144:145]
	ds_read_b128 v[136:139], v186 offset:80
	s_waitcnt lgkmcnt(1)
	v_mul_f64 v[146:147], v[3:4], v[164:165]
	v_mul_f64 v[152:153], v[1:2], v[164:165]
	s_waitcnt vmcnt(12) lgkmcnt(0)
	v_mul_f64 v[144:145], v[138:139], v[168:169]
	v_mul_f64 v[150:151], v[136:137], v[168:169]
	v_add_f64 v[133:134], v[140:141], v[133:134]
	s_waitcnt vmcnt(10)
	v_fma_f64 v[146:147], v[1:2], v[170:171], -v[146:147]
	v_fma_f64 v[152:153], v[3:4], v[170:171], v[152:153]
	v_add_f64 v[140:141], v[142:143], v[148:149]
	ds_read_b128 v[1:4], v186 offset:96
	s_waitcnt vmcnt(6)
	v_fma_f64 v[144:145], v[136:137], v[174:175], -v[144:145]
	v_fma_f64 v[150:151], v[138:139], v[174:175], v[150:151]
	ds_read_b128 v[136:139], v186 offset:112
	v_add_f64 v[133:134], v[133:134], v[146:147]
	s_waitcnt lgkmcnt(1)
	v_mul_f64 v[142:143], v[3:4], v[172:173]
	v_mul_f64 v[148:149], v[1:2], v[172:173]
	v_add_f64 v[140:141], v[140:141], v[152:153]
	s_waitcnt vmcnt(4) lgkmcnt(0)
	v_mul_f64 v[146:147], v[138:139], v[176:177]
	v_mul_f64 v[152:153], v[136:137], v[176:177]
	v_add_f64 v[133:134], v[133:134], v[144:145]
	s_waitcnt vmcnt(2)
	v_fma_f64 v[1:2], v[1:2], v[178:179], -v[142:143]
	v_fma_f64 v[3:4], v[3:4], v[178:179], v[148:149]
	v_add_f64 v[140:141], v[140:141], v[150:151]
	s_waitcnt vmcnt(0)
	v_fma_f64 v[136:137], v[136:137], v[180:181], -v[146:147]
	v_fma_f64 v[138:139], v[138:139], v[180:181], v[152:153]
	v_add_f64 v[1:2], v[133:134], v[1:2]
	v_mov_b32_e32 v133, s74
	v_add_f64 v[3:4], v[140:141], v[3:4]
	s_mov_b32 s74, s75
	v_add_f64 v[1:2], v[1:2], v[136:137]
	v_add_f64 v[3:4], v[3:4], v[138:139]
	s_andn2_b32 exec_lo, exec_lo, s71
	s_cbranch_execnz .LBB61_25
; %bb.26:
	s_or_b32 exec_lo, exec_lo, s71
.LBB61_27:
	s_or_b32 exec_lo, exec_lo, s5
	v_and_b32_e32 v131, 7, v131
	s_mov_b32 s71, 0
	s_mov_b32 s5, exec_lo
	v_cmpx_ne_u32_e32 0, v131
	s_cbranch_execz .LBB61_31
; %bb.28:
	v_lshlrev_b32_e32 v133, 4, v133
	v_add_nc_u32_e32 v132, 0x3e0, v133
	.p2align	6
.LBB61_29:                              ; =>This Inner Loop Header: Depth=1
	s_clause 0x3
	buffer_load_dword v140, v133, s[0:3], 0 offen offset:8
	buffer_load_dword v141, v133, s[0:3], 0 offen offset:12
	buffer_load_dword v142, v133, s[0:3], 0 offen
	buffer_load_dword v143, v133, s[0:3], 0 offen offset:4
	ds_read_b128 v[136:139], v132
	v_add_nc_u32_e32 v131, -1, v131
	v_add_nc_u32_e32 v132, 16, v132
	v_add_nc_u32_e32 v133, 16, v133
	v_cmp_eq_u32_e32 vcc_lo, 0, v131
	s_or_b32 s71, vcc_lo, s71
	s_waitcnt vmcnt(2) lgkmcnt(0)
	v_mul_f64 v[144:145], v[138:139], v[140:141]
	v_mul_f64 v[140:141], v[136:137], v[140:141]
	s_waitcnt vmcnt(0)
	v_fma_f64 v[136:137], v[136:137], v[142:143], -v[144:145]
	v_fma_f64 v[138:139], v[138:139], v[142:143], v[140:141]
	v_add_f64 v[1:2], v[1:2], v[136:137]
	v_add_f64 v[3:4], v[3:4], v[138:139]
	s_andn2_b32 exec_lo, exec_lo, s71
	s_cbranch_execnz .LBB61_29
; %bb.30:
	s_or_b32 exec_lo, exec_lo, s71
.LBB61_31:
	s_or_b32 exec_lo, exec_lo, s5
.LBB61_32:
	s_or_b32 exec_lo, exec_lo, s8
	v_mov_b32_e32 v131, 0
	ds_read_b128 v[131:134], v131 offset:928
	s_waitcnt lgkmcnt(0)
	v_mul_f64 v[136:137], v[3:4], v[133:134]
	v_mul_f64 v[133:134], v[1:2], v[133:134]
	v_fma_f64 v[1:2], v[1:2], v[131:132], -v[136:137]
	v_fma_f64 v[3:4], v[3:4], v[131:132], v[133:134]
	buffer_store_dword v2, off, s[0:3], 0 offset:932
	buffer_store_dword v1, off, s[0:3], 0 offset:928
	;; [unrolled: 1-line block ×4, first 2 shown]
.LBB61_33:
	s_or_b32 exec_lo, exec_lo, s6
	v_mov_b32_e32 v4, s13
	v_cmp_lt_u32_e64 s5, 57, v0
	s_clause 0x3
	buffer_load_dword v1, v4, s[0:3], 0 offen
	buffer_load_dword v2, v4, s[0:3], 0 offen offset:4
	buffer_load_dword v3, v4, s[0:3], 0 offen offset:8
	;; [unrolled: 1-line block ×3, first 2 shown]
	s_waitcnt vmcnt(0)
	ds_write_b128 v130, v[1:4]
	s_waitcnt lgkmcnt(0)
	s_waitcnt_vscnt null, 0x0
	s_barrier
	buffer_gl0_inv
	s_and_saveexec_b32 s6, s5
	s_cbranch_execz .LBB61_47
; %bb.34:
	ds_read_b128 v[1:4], v130
	s_andn2_b32 vcc_lo, exec_lo, s7
	s_cbranch_vccnz .LBB61_36
; %bb.35:
	s_clause 0x3
	buffer_load_dword v131, v129, s[0:3], 0 offen offset:8
	buffer_load_dword v132, v129, s[0:3], 0 offen offset:12
	buffer_load_dword v133, v129, s[0:3], 0 offen
	buffer_load_dword v134, v129, s[0:3], 0 offen offset:4
	s_waitcnt vmcnt(2) lgkmcnt(0)
	v_mul_f64 v[136:137], v[3:4], v[131:132]
	v_mul_f64 v[131:132], v[1:2], v[131:132]
	s_waitcnt vmcnt(0)
	v_fma_f64 v[1:2], v[1:2], v[133:134], -v[136:137]
	v_fma_f64 v[3:4], v[3:4], v[133:134], v[131:132]
.LBB61_36:
	s_and_saveexec_b32 s8, s4
	s_cbranch_execz .LBB61_46
; %bb.37:
	v_subrev_nc_u32_e32 v132, 59, v0
	v_mov_b32_e32 v133, 58
	v_subrev_nc_u32_e32 v131, 58, v0
	s_mov_b32 s4, exec_lo
	v_cmpx_lt_u32_e32 6, v132
	s_cbranch_execz .LBB61_41
; %bb.38:
	v_and_b32_e32 v132, -8, v131
	s_movk_i32 s72, 0x780
	s_mov_b32 s71, 0
	s_mov_b32 s73, s12
	;; [unrolled: 1-line block ×3, first 2 shown]
.LBB61_39:                              ; =>This Inner Loop Header: Depth=1
	v_mov_b32_e32 v136, s73
	v_mov_b32_e32 v182, s72
	s_add_i32 s75, s74, 8
	s_addk_i32 s74, 0x42
	v_cmp_eq_u32_e32 vcc_lo, s75, v132
	s_clause 0x1f
	buffer_load_dword v133, v136, s[0:3], 0 offen offset:8
	buffer_load_dword v134, v136, s[0:3], 0 offen offset:12
	buffer_load_dword v144, v136, s[0:3], 0 offen
	buffer_load_dword v145, v136, s[0:3], 0 offen offset:4
	buffer_load_dword v146, v136, s[0:3], 0 offen offset:24
	;; [unrolled: 1-line block ×29, first 2 shown]
	ds_read_b128 v[136:139], v182
	ds_read_b128 v[140:143], v182 offset:16
	s_addk_i32 s72, 0x80
	s_addk_i32 s73, 0x80
	s_or_b32 s71, vcc_lo, s71
	s_waitcnt vmcnt(30) lgkmcnt(1)
	v_mul_f64 v[174:175], v[138:139], v[133:134]
	v_mul_f64 v[133:134], v[136:137], v[133:134]
	s_waitcnt vmcnt(26) lgkmcnt(0)
	v_mul_f64 v[176:177], v[142:143], v[146:147]
	v_mul_f64 v[178:179], v[140:141], v[146:147]
	v_fma_f64 v[174:175], v[136:137], v[144:145], -v[174:175]
	v_fma_f64 v[133:134], v[138:139], v[144:145], v[133:134]
	ds_read_b128 v[136:139], v182 offset:32
	ds_read_b128 v[144:147], v182 offset:48
	s_waitcnt vmcnt(24)
	v_fma_f64 v[140:141], v[140:141], v[148:149], -v[176:177]
	v_fma_f64 v[142:143], v[142:143], v[148:149], v[178:179]
	s_waitcnt vmcnt(22) lgkmcnt(1)
	v_mul_f64 v[180:181], v[138:139], v[150:151]
	v_mul_f64 v[150:151], v[136:137], v[150:151]
	v_add_f64 v[1:2], v[1:2], v[174:175]
	v_add_f64 v[3:4], v[3:4], v[133:134]
	s_waitcnt vmcnt(18) lgkmcnt(0)
	v_mul_f64 v[133:134], v[146:147], v[154:155]
	v_mul_f64 v[148:149], v[144:145], v[154:155]
	v_fma_f64 v[154:155], v[136:137], v[152:153], -v[180:181]
	v_fma_f64 v[150:151], v[138:139], v[152:153], v[150:151]
	v_add_f64 v[140:141], v[1:2], v[140:141]
	v_add_f64 v[142:143], v[3:4], v[142:143]
	ds_read_b128 v[1:4], v182 offset:64
	ds_read_b128 v[136:139], v182 offset:80
	s_waitcnt vmcnt(16)
	v_fma_f64 v[133:134], v[144:145], v[156:157], -v[133:134]
	v_fma_f64 v[144:145], v[146:147], v[156:157], v[148:149]
	s_waitcnt vmcnt(12) lgkmcnt(1)
	v_mul_f64 v[152:153], v[3:4], v[158:159]
	v_mul_f64 v[158:159], v[1:2], v[158:159]
	v_add_f64 v[140:141], v[140:141], v[154:155]
	v_add_f64 v[142:143], v[142:143], v[150:151]
	s_waitcnt vmcnt(10) lgkmcnt(0)
	v_mul_f64 v[146:147], v[138:139], v[160:161]
	v_mul_f64 v[148:149], v[136:137], v[160:161]
	s_waitcnt vmcnt(8)
	v_fma_f64 v[150:151], v[1:2], v[164:165], -v[152:153]
	v_fma_f64 v[152:153], v[3:4], v[164:165], v[158:159]
	v_add_f64 v[133:134], v[140:141], v[133:134]
	v_add_f64 v[144:145], v[142:143], v[144:145]
	ds_read_b128 v[1:4], v182 offset:96
	ds_read_b128 v[140:143], v182 offset:112
	v_fma_f64 v[136:137], v[136:137], v[162:163], -v[146:147]
	v_fma_f64 v[138:139], v[138:139], v[162:163], v[148:149]
	s_waitcnt vmcnt(4) lgkmcnt(1)
	v_mul_f64 v[154:155], v[3:4], v[166:167]
	v_mul_f64 v[156:157], v[1:2], v[166:167]
	v_add_f64 v[133:134], v[133:134], v[150:151]
	v_add_f64 v[144:145], v[144:145], v[152:153]
	s_waitcnt vmcnt(2) lgkmcnt(0)
	v_mul_f64 v[146:147], v[142:143], v[168:169]
	v_mul_f64 v[148:149], v[140:141], v[168:169]
	s_waitcnt vmcnt(0)
	v_fma_f64 v[1:2], v[1:2], v[172:173], -v[154:155]
	v_fma_f64 v[3:4], v[3:4], v[172:173], v[156:157]
	v_add_f64 v[133:134], v[133:134], v[136:137]
	v_add_f64 v[136:137], v[144:145], v[138:139]
	v_fma_f64 v[138:139], v[140:141], v[170:171], -v[146:147]
	v_fma_f64 v[140:141], v[142:143], v[170:171], v[148:149]
	v_add_f64 v[1:2], v[133:134], v[1:2]
	v_add_f64 v[3:4], v[136:137], v[3:4]
	v_mov_b32_e32 v133, s74
	s_mov_b32 s74, s75
	v_add_f64 v[1:2], v[1:2], v[138:139]
	v_add_f64 v[3:4], v[3:4], v[140:141]
	s_andn2_b32 exec_lo, exec_lo, s71
	s_cbranch_execnz .LBB61_39
; %bb.40:
	s_or_b32 exec_lo, exec_lo, s71
.LBB61_41:
	s_or_b32 exec_lo, exec_lo, s4
	v_and_b32_e32 v131, 7, v131
	s_mov_b32 s71, 0
	s_mov_b32 s4, exec_lo
	v_cmpx_ne_u32_e32 0, v131
	s_cbranch_execz .LBB61_45
; %bb.42:
	v_lshlrev_b32_e32 v133, 4, v133
	v_add_nc_u32_e32 v132, 0x3e0, v133
	.p2align	6
.LBB61_43:                              ; =>This Inner Loop Header: Depth=1
	s_clause 0x3
	buffer_load_dword v140, v133, s[0:3], 0 offen offset:8
	buffer_load_dword v141, v133, s[0:3], 0 offen offset:12
	buffer_load_dword v142, v133, s[0:3], 0 offen
	buffer_load_dword v143, v133, s[0:3], 0 offen offset:4
	ds_read_b128 v[136:139], v132
	v_add_nc_u32_e32 v131, -1, v131
	v_add_nc_u32_e32 v132, 16, v132
	v_add_nc_u32_e32 v133, 16, v133
	v_cmp_eq_u32_e32 vcc_lo, 0, v131
	s_or_b32 s71, vcc_lo, s71
	s_waitcnt vmcnt(2) lgkmcnt(0)
	v_mul_f64 v[144:145], v[138:139], v[140:141]
	v_mul_f64 v[140:141], v[136:137], v[140:141]
	s_waitcnt vmcnt(0)
	v_fma_f64 v[136:137], v[136:137], v[142:143], -v[144:145]
	v_fma_f64 v[138:139], v[138:139], v[142:143], v[140:141]
	v_add_f64 v[1:2], v[1:2], v[136:137]
	v_add_f64 v[3:4], v[3:4], v[138:139]
	s_andn2_b32 exec_lo, exec_lo, s71
	s_cbranch_execnz .LBB61_43
; %bb.44:
	s_or_b32 exec_lo, exec_lo, s71
.LBB61_45:
	s_or_b32 exec_lo, exec_lo, s4
.LBB61_46:
	s_or_b32 exec_lo, exec_lo, s8
	v_mov_b32_e32 v131, 0
	ds_read_b128 v[131:134], v131 offset:912
	s_waitcnt lgkmcnt(0)
	v_mul_f64 v[136:137], v[3:4], v[133:134]
	v_mul_f64 v[133:134], v[1:2], v[133:134]
	v_fma_f64 v[1:2], v[1:2], v[131:132], -v[136:137]
	v_fma_f64 v[3:4], v[3:4], v[131:132], v[133:134]
	buffer_store_dword v2, off, s[0:3], 0 offset:916
	buffer_store_dword v1, off, s[0:3], 0 offset:912
	;; [unrolled: 1-line block ×4, first 2 shown]
.LBB61_47:
	s_or_b32 exec_lo, exec_lo, s6
	v_mov_b32_e32 v4, s14
	v_cmp_lt_u32_e64 s4, 56, v0
	s_clause 0x3
	buffer_load_dword v1, v4, s[0:3], 0 offen
	buffer_load_dword v2, v4, s[0:3], 0 offen offset:4
	buffer_load_dword v3, v4, s[0:3], 0 offen offset:8
	;; [unrolled: 1-line block ×3, first 2 shown]
	s_waitcnt vmcnt(0)
	ds_write_b128 v130, v[1:4]
	s_waitcnt lgkmcnt(0)
	s_waitcnt_vscnt null, 0x0
	s_barrier
	buffer_gl0_inv
	s_and_saveexec_b32 s6, s4
	s_cbranch_execz .LBB61_61
; %bb.48:
	ds_read_b128 v[1:4], v130
	s_andn2_b32 vcc_lo, exec_lo, s7
	s_cbranch_vccnz .LBB61_50
; %bb.49:
	s_clause 0x3
	buffer_load_dword v131, v129, s[0:3], 0 offen offset:8
	buffer_load_dword v132, v129, s[0:3], 0 offen offset:12
	buffer_load_dword v133, v129, s[0:3], 0 offen
	buffer_load_dword v134, v129, s[0:3], 0 offen offset:4
	s_waitcnt vmcnt(2) lgkmcnt(0)
	v_mul_f64 v[136:137], v[3:4], v[131:132]
	v_mul_f64 v[131:132], v[1:2], v[131:132]
	s_waitcnt vmcnt(0)
	v_fma_f64 v[1:2], v[1:2], v[133:134], -v[136:137]
	v_fma_f64 v[3:4], v[3:4], v[133:134], v[131:132]
.LBB61_50:
	s_and_saveexec_b32 s8, s5
	s_cbranch_execz .LBB61_60
; %bb.51:
	v_subrev_nc_u32_e32 v132, 58, v0
	v_mov_b32_e32 v133, 57
	v_subrev_nc_u32_e32 v131, 57, v0
	s_mov_b32 s5, exec_lo
	v_cmpx_lt_u32_e32 6, v132
	s_cbranch_execz .LBB61_55
; %bb.52:
	v_and_b32_e32 v132, -8, v131
	s_movk_i32 s72, 0x770
	s_mov_b32 s71, 0
	s_mov_b32 s73, s13
	;; [unrolled: 1-line block ×3, first 2 shown]
.LBB61_53:                              ; =>This Inner Loop Header: Depth=1
	v_mov_b32_e32 v136, s73
	v_mov_b32_e32 v182, s72
	s_add_i32 s75, s74, 8
	s_addk_i32 s74, 0x41
	v_cmp_eq_u32_e32 vcc_lo, s75, v132
	s_clause 0x1f
	buffer_load_dword v133, v136, s[0:3], 0 offen offset:8
	buffer_load_dword v134, v136, s[0:3], 0 offen offset:12
	buffer_load_dword v144, v136, s[0:3], 0 offen
	buffer_load_dword v145, v136, s[0:3], 0 offen offset:4
	buffer_load_dword v146, v136, s[0:3], 0 offen offset:24
	;; [unrolled: 1-line block ×29, first 2 shown]
	ds_read_b128 v[136:139], v182
	ds_read_b128 v[140:143], v182 offset:16
	s_addk_i32 s72, 0x80
	s_addk_i32 s73, 0x80
	s_or_b32 s71, vcc_lo, s71
	s_waitcnt vmcnt(30) lgkmcnt(1)
	v_mul_f64 v[174:175], v[138:139], v[133:134]
	v_mul_f64 v[133:134], v[136:137], v[133:134]
	s_waitcnt vmcnt(26) lgkmcnt(0)
	v_mul_f64 v[176:177], v[142:143], v[146:147]
	v_mul_f64 v[178:179], v[140:141], v[146:147]
	v_fma_f64 v[174:175], v[136:137], v[144:145], -v[174:175]
	v_fma_f64 v[133:134], v[138:139], v[144:145], v[133:134]
	ds_read_b128 v[136:139], v182 offset:32
	ds_read_b128 v[144:147], v182 offset:48
	s_waitcnt vmcnt(24)
	v_fma_f64 v[140:141], v[140:141], v[148:149], -v[176:177]
	v_fma_f64 v[142:143], v[142:143], v[148:149], v[178:179]
	s_waitcnt vmcnt(22) lgkmcnt(1)
	v_mul_f64 v[180:181], v[138:139], v[150:151]
	v_mul_f64 v[150:151], v[136:137], v[150:151]
	v_add_f64 v[1:2], v[1:2], v[174:175]
	v_add_f64 v[3:4], v[3:4], v[133:134]
	s_waitcnt vmcnt(18) lgkmcnt(0)
	v_mul_f64 v[133:134], v[146:147], v[154:155]
	v_mul_f64 v[148:149], v[144:145], v[154:155]
	v_fma_f64 v[154:155], v[136:137], v[152:153], -v[180:181]
	v_fma_f64 v[150:151], v[138:139], v[152:153], v[150:151]
	v_add_f64 v[140:141], v[1:2], v[140:141]
	v_add_f64 v[142:143], v[3:4], v[142:143]
	ds_read_b128 v[1:4], v182 offset:64
	ds_read_b128 v[136:139], v182 offset:80
	s_waitcnt vmcnt(16)
	v_fma_f64 v[133:134], v[144:145], v[156:157], -v[133:134]
	v_fma_f64 v[144:145], v[146:147], v[156:157], v[148:149]
	s_waitcnt vmcnt(12) lgkmcnt(1)
	v_mul_f64 v[152:153], v[3:4], v[158:159]
	v_mul_f64 v[158:159], v[1:2], v[158:159]
	v_add_f64 v[140:141], v[140:141], v[154:155]
	v_add_f64 v[142:143], v[142:143], v[150:151]
	s_waitcnt vmcnt(10) lgkmcnt(0)
	v_mul_f64 v[146:147], v[138:139], v[160:161]
	v_mul_f64 v[148:149], v[136:137], v[160:161]
	s_waitcnt vmcnt(8)
	v_fma_f64 v[150:151], v[1:2], v[164:165], -v[152:153]
	v_fma_f64 v[152:153], v[3:4], v[164:165], v[158:159]
	v_add_f64 v[133:134], v[140:141], v[133:134]
	v_add_f64 v[144:145], v[142:143], v[144:145]
	ds_read_b128 v[1:4], v182 offset:96
	ds_read_b128 v[140:143], v182 offset:112
	v_fma_f64 v[136:137], v[136:137], v[162:163], -v[146:147]
	v_fma_f64 v[138:139], v[138:139], v[162:163], v[148:149]
	s_waitcnt vmcnt(4) lgkmcnt(1)
	v_mul_f64 v[154:155], v[3:4], v[166:167]
	v_mul_f64 v[156:157], v[1:2], v[166:167]
	v_add_f64 v[133:134], v[133:134], v[150:151]
	v_add_f64 v[144:145], v[144:145], v[152:153]
	s_waitcnt vmcnt(2) lgkmcnt(0)
	v_mul_f64 v[146:147], v[142:143], v[168:169]
	v_mul_f64 v[148:149], v[140:141], v[168:169]
	s_waitcnt vmcnt(0)
	v_fma_f64 v[1:2], v[1:2], v[172:173], -v[154:155]
	v_fma_f64 v[3:4], v[3:4], v[172:173], v[156:157]
	v_add_f64 v[133:134], v[133:134], v[136:137]
	v_add_f64 v[136:137], v[144:145], v[138:139]
	v_fma_f64 v[138:139], v[140:141], v[170:171], -v[146:147]
	v_fma_f64 v[140:141], v[142:143], v[170:171], v[148:149]
	v_add_f64 v[1:2], v[133:134], v[1:2]
	v_add_f64 v[3:4], v[136:137], v[3:4]
	v_mov_b32_e32 v133, s74
	s_mov_b32 s74, s75
	v_add_f64 v[1:2], v[1:2], v[138:139]
	v_add_f64 v[3:4], v[3:4], v[140:141]
	s_andn2_b32 exec_lo, exec_lo, s71
	s_cbranch_execnz .LBB61_53
; %bb.54:
	s_or_b32 exec_lo, exec_lo, s71
.LBB61_55:
	s_or_b32 exec_lo, exec_lo, s5
	v_and_b32_e32 v131, 7, v131
	s_mov_b32 s71, 0
	s_mov_b32 s5, exec_lo
	v_cmpx_ne_u32_e32 0, v131
	s_cbranch_execz .LBB61_59
; %bb.56:
	v_lshlrev_b32_e32 v133, 4, v133
	v_add_nc_u32_e32 v132, 0x3e0, v133
	.p2align	6
.LBB61_57:                              ; =>This Inner Loop Header: Depth=1
	s_clause 0x3
	buffer_load_dword v140, v133, s[0:3], 0 offen offset:8
	buffer_load_dword v141, v133, s[0:3], 0 offen offset:12
	buffer_load_dword v142, v133, s[0:3], 0 offen
	buffer_load_dword v143, v133, s[0:3], 0 offen offset:4
	ds_read_b128 v[136:139], v132
	v_add_nc_u32_e32 v131, -1, v131
	v_add_nc_u32_e32 v132, 16, v132
	v_add_nc_u32_e32 v133, 16, v133
	v_cmp_eq_u32_e32 vcc_lo, 0, v131
	s_or_b32 s71, vcc_lo, s71
	s_waitcnt vmcnt(2) lgkmcnt(0)
	v_mul_f64 v[144:145], v[138:139], v[140:141]
	v_mul_f64 v[140:141], v[136:137], v[140:141]
	s_waitcnt vmcnt(0)
	v_fma_f64 v[136:137], v[136:137], v[142:143], -v[144:145]
	v_fma_f64 v[138:139], v[138:139], v[142:143], v[140:141]
	v_add_f64 v[1:2], v[1:2], v[136:137]
	v_add_f64 v[3:4], v[3:4], v[138:139]
	s_andn2_b32 exec_lo, exec_lo, s71
	s_cbranch_execnz .LBB61_57
; %bb.58:
	s_or_b32 exec_lo, exec_lo, s71
.LBB61_59:
	s_or_b32 exec_lo, exec_lo, s5
.LBB61_60:
	s_or_b32 exec_lo, exec_lo, s8
	v_mov_b32_e32 v131, 0
	ds_read_b128 v[131:134], v131 offset:896
	s_waitcnt lgkmcnt(0)
	v_mul_f64 v[136:137], v[3:4], v[133:134]
	v_mul_f64 v[133:134], v[1:2], v[133:134]
	v_fma_f64 v[1:2], v[1:2], v[131:132], -v[136:137]
	v_fma_f64 v[3:4], v[3:4], v[131:132], v[133:134]
	buffer_store_dword v2, off, s[0:3], 0 offset:900
	buffer_store_dword v1, off, s[0:3], 0 offset:896
	;; [unrolled: 1-line block ×4, first 2 shown]
.LBB61_61:
	s_or_b32 exec_lo, exec_lo, s6
	v_mov_b32_e32 v4, s15
	v_cmp_lt_u32_e64 s5, 55, v0
	s_clause 0x3
	buffer_load_dword v1, v4, s[0:3], 0 offen
	buffer_load_dword v2, v4, s[0:3], 0 offen offset:4
	buffer_load_dword v3, v4, s[0:3], 0 offen offset:8
	;; [unrolled: 1-line block ×3, first 2 shown]
	s_waitcnt vmcnt(0)
	ds_write_b128 v130, v[1:4]
	s_waitcnt lgkmcnt(0)
	s_waitcnt_vscnt null, 0x0
	s_barrier
	buffer_gl0_inv
	s_and_saveexec_b32 s6, s5
	s_cbranch_execz .LBB61_75
; %bb.62:
	ds_read_b128 v[1:4], v130
	s_andn2_b32 vcc_lo, exec_lo, s7
	s_cbranch_vccnz .LBB61_64
; %bb.63:
	s_clause 0x3
	buffer_load_dword v131, v129, s[0:3], 0 offen offset:8
	buffer_load_dword v132, v129, s[0:3], 0 offen offset:12
	buffer_load_dword v133, v129, s[0:3], 0 offen
	buffer_load_dword v134, v129, s[0:3], 0 offen offset:4
	s_waitcnt vmcnt(2) lgkmcnt(0)
	v_mul_f64 v[136:137], v[3:4], v[131:132]
	v_mul_f64 v[131:132], v[1:2], v[131:132]
	s_waitcnt vmcnt(0)
	v_fma_f64 v[1:2], v[1:2], v[133:134], -v[136:137]
	v_fma_f64 v[3:4], v[3:4], v[133:134], v[131:132]
.LBB61_64:
	s_and_saveexec_b32 s8, s4
	s_cbranch_execz .LBB61_74
; %bb.65:
	v_subrev_nc_u32_e32 v131, 57, v0
	v_cmp_lt_u32_e32 vcc_lo, 6, v131
	v_mov_b32_e32 v131, 56
	s_and_saveexec_b32 s4, vcc_lo
	s_cbranch_execz .LBB61_69
; %bb.66:
	v_and_b32_e32 v131, 56, v0
	s_mov_b32 s71, 56
	s_movk_i32 s73, 0x760
	s_mov_b32 s72, 0
	s_mov_b32 s74, s14
.LBB61_67:                              ; =>This Inner Loop Header: Depth=1
	v_mov_b32_e32 v134, s74
	s_add_i32 s71, s71, 8
	s_addk_i32 s74, 0x80
	v_cmp_eq_u32_e32 vcc_lo, s71, v131
	s_clause 0x1f
	buffer_load_dword v132, v134, s[0:3], 0 offen offset:8
	buffer_load_dword v133, v134, s[0:3], 0 offen offset:12
	buffer_load_dword v144, v134, s[0:3], 0 offen
	buffer_load_dword v145, v134, s[0:3], 0 offen offset:4
	buffer_load_dword v146, v134, s[0:3], 0 offen offset:24
	;; [unrolled: 1-line block ×29, first 2 shown]
	v_mov_b32_e32 v134, s73
	s_addk_i32 s73, 0x80
	s_or_b32 s72, vcc_lo, s72
	ds_read_b128 v[136:139], v134
	ds_read_b128 v[140:143], v134 offset:16
	s_waitcnt vmcnt(30) lgkmcnt(1)
	v_mul_f64 v[174:175], v[138:139], v[132:133]
	v_mul_f64 v[132:133], v[136:137], v[132:133]
	s_waitcnt vmcnt(26) lgkmcnt(0)
	v_mul_f64 v[176:177], v[142:143], v[146:147]
	v_mul_f64 v[178:179], v[140:141], v[146:147]
	v_fma_f64 v[174:175], v[136:137], v[144:145], -v[174:175]
	v_fma_f64 v[132:133], v[138:139], v[144:145], v[132:133]
	ds_read_b128 v[136:139], v134 offset:32
	ds_read_b128 v[144:147], v134 offset:48
	s_waitcnt vmcnt(24)
	v_fma_f64 v[140:141], v[140:141], v[148:149], -v[176:177]
	v_fma_f64 v[142:143], v[142:143], v[148:149], v[178:179]
	s_waitcnt vmcnt(22) lgkmcnt(1)
	v_mul_f64 v[180:181], v[138:139], v[150:151]
	v_mul_f64 v[150:151], v[136:137], v[150:151]
	v_add_f64 v[1:2], v[1:2], v[174:175]
	v_add_f64 v[3:4], v[3:4], v[132:133]
	s_waitcnt vmcnt(18) lgkmcnt(0)
	v_mul_f64 v[132:133], v[146:147], v[154:155]
	v_mul_f64 v[148:149], v[144:145], v[154:155]
	v_fma_f64 v[154:155], v[136:137], v[152:153], -v[180:181]
	v_fma_f64 v[150:151], v[138:139], v[152:153], v[150:151]
	v_add_f64 v[140:141], v[1:2], v[140:141]
	v_add_f64 v[142:143], v[3:4], v[142:143]
	ds_read_b128 v[1:4], v134 offset:64
	ds_read_b128 v[136:139], v134 offset:80
	s_waitcnt vmcnt(16)
	v_fma_f64 v[132:133], v[144:145], v[156:157], -v[132:133]
	v_fma_f64 v[144:145], v[146:147], v[156:157], v[148:149]
	s_waitcnt vmcnt(12) lgkmcnt(1)
	v_mul_f64 v[152:153], v[3:4], v[158:159]
	v_mul_f64 v[158:159], v[1:2], v[158:159]
	v_add_f64 v[140:141], v[140:141], v[154:155]
	v_add_f64 v[142:143], v[142:143], v[150:151]
	s_waitcnt vmcnt(10) lgkmcnt(0)
	v_mul_f64 v[146:147], v[138:139], v[160:161]
	v_mul_f64 v[148:149], v[136:137], v[160:161]
	s_waitcnt vmcnt(8)
	v_fma_f64 v[150:151], v[1:2], v[164:165], -v[152:153]
	v_fma_f64 v[152:153], v[3:4], v[164:165], v[158:159]
	v_add_f64 v[132:133], v[140:141], v[132:133]
	v_add_f64 v[144:145], v[142:143], v[144:145]
	ds_read_b128 v[1:4], v134 offset:96
	ds_read_b128 v[140:143], v134 offset:112
	v_fma_f64 v[136:137], v[136:137], v[162:163], -v[146:147]
	v_fma_f64 v[138:139], v[138:139], v[162:163], v[148:149]
	s_waitcnt vmcnt(4) lgkmcnt(1)
	v_mul_f64 v[154:155], v[3:4], v[166:167]
	v_mul_f64 v[156:157], v[1:2], v[166:167]
	v_add_f64 v[132:133], v[132:133], v[150:151]
	v_add_f64 v[144:145], v[144:145], v[152:153]
	s_waitcnt vmcnt(2) lgkmcnt(0)
	v_mul_f64 v[146:147], v[142:143], v[168:169]
	v_mul_f64 v[148:149], v[140:141], v[168:169]
	s_waitcnt vmcnt(0)
	v_fma_f64 v[1:2], v[1:2], v[172:173], -v[154:155]
	v_fma_f64 v[3:4], v[3:4], v[172:173], v[156:157]
	v_add_f64 v[132:133], v[132:133], v[136:137]
	v_add_f64 v[136:137], v[144:145], v[138:139]
	v_fma_f64 v[138:139], v[140:141], v[170:171], -v[146:147]
	v_fma_f64 v[140:141], v[142:143], v[170:171], v[148:149]
	v_add_f64 v[1:2], v[132:133], v[1:2]
	v_add_f64 v[3:4], v[136:137], v[3:4]
	;; [unrolled: 1-line block ×4, first 2 shown]
	s_andn2_b32 exec_lo, exec_lo, s72
	s_cbranch_execnz .LBB61_67
; %bb.68:
	s_or_b32 exec_lo, exec_lo, s72
.LBB61_69:
	s_or_b32 exec_lo, exec_lo, s4
	v_and_b32_e32 v132, 7, v0
	s_mov_b32 s71, 0
	s_mov_b32 s4, exec_lo
	v_cmpx_ne_u32_e32 0, v132
	s_cbranch_execz .LBB61_73
; %bb.70:
	v_lshlrev_b32_e32 v133, 4, v131
	v_add_nc_u32_e32 v131, 0x3e0, v133
	.p2align	6
.LBB61_71:                              ; =>This Inner Loop Header: Depth=1
	s_clause 0x3
	buffer_load_dword v140, v133, s[0:3], 0 offen offset:8
	buffer_load_dword v141, v133, s[0:3], 0 offen offset:12
	buffer_load_dword v142, v133, s[0:3], 0 offen
	buffer_load_dword v143, v133, s[0:3], 0 offen offset:4
	ds_read_b128 v[136:139], v131
	v_add_nc_u32_e32 v132, -1, v132
	v_add_nc_u32_e32 v131, 16, v131
	v_add_nc_u32_e32 v133, 16, v133
	v_cmp_eq_u32_e32 vcc_lo, 0, v132
	s_or_b32 s71, vcc_lo, s71
	s_waitcnt vmcnt(2) lgkmcnt(0)
	v_mul_f64 v[144:145], v[138:139], v[140:141]
	v_mul_f64 v[140:141], v[136:137], v[140:141]
	s_waitcnt vmcnt(0)
	v_fma_f64 v[136:137], v[136:137], v[142:143], -v[144:145]
	v_fma_f64 v[138:139], v[138:139], v[142:143], v[140:141]
	v_add_f64 v[1:2], v[1:2], v[136:137]
	v_add_f64 v[3:4], v[3:4], v[138:139]
	s_andn2_b32 exec_lo, exec_lo, s71
	s_cbranch_execnz .LBB61_71
; %bb.72:
	s_or_b32 exec_lo, exec_lo, s71
.LBB61_73:
	s_or_b32 exec_lo, exec_lo, s4
.LBB61_74:
	s_or_b32 exec_lo, exec_lo, s8
	v_mov_b32_e32 v131, 0
	ds_read_b128 v[131:134], v131 offset:880
	s_waitcnt lgkmcnt(0)
	v_mul_f64 v[136:137], v[3:4], v[133:134]
	v_mul_f64 v[133:134], v[1:2], v[133:134]
	v_fma_f64 v[1:2], v[1:2], v[131:132], -v[136:137]
	v_fma_f64 v[3:4], v[3:4], v[131:132], v[133:134]
	buffer_store_dword v2, off, s[0:3], 0 offset:884
	buffer_store_dword v1, off, s[0:3], 0 offset:880
	;; [unrolled: 1-line block ×4, first 2 shown]
.LBB61_75:
	s_or_b32 exec_lo, exec_lo, s6
	v_mov_b32_e32 v4, s16
	v_cmp_lt_u32_e64 s4, 54, v0
	s_clause 0x3
	buffer_load_dword v1, v4, s[0:3], 0 offen
	buffer_load_dword v2, v4, s[0:3], 0 offen offset:4
	buffer_load_dword v3, v4, s[0:3], 0 offen offset:8
	;; [unrolled: 1-line block ×3, first 2 shown]
	s_waitcnt vmcnt(0)
	ds_write_b128 v130, v[1:4]
	s_waitcnt lgkmcnt(0)
	s_waitcnt_vscnt null, 0x0
	s_barrier
	buffer_gl0_inv
	s_and_saveexec_b32 s6, s4
	s_cbranch_execz .LBB61_89
; %bb.76:
	ds_read_b128 v[1:4], v130
	s_andn2_b32 vcc_lo, exec_lo, s7
	s_cbranch_vccnz .LBB61_78
; %bb.77:
	s_clause 0x3
	buffer_load_dword v131, v129, s[0:3], 0 offen offset:8
	buffer_load_dword v132, v129, s[0:3], 0 offen offset:12
	buffer_load_dword v133, v129, s[0:3], 0 offen
	buffer_load_dword v134, v129, s[0:3], 0 offen offset:4
	s_waitcnt vmcnt(2) lgkmcnt(0)
	v_mul_f64 v[136:137], v[3:4], v[131:132]
	v_mul_f64 v[131:132], v[1:2], v[131:132]
	s_waitcnt vmcnt(0)
	v_fma_f64 v[1:2], v[1:2], v[133:134], -v[136:137]
	v_fma_f64 v[3:4], v[3:4], v[133:134], v[131:132]
.LBB61_78:
	s_and_saveexec_b32 s8, s5
	s_cbranch_execz .LBB61_88
; %bb.79:
	v_subrev_nc_u32_e32 v132, 56, v0
	v_mov_b32_e32 v133, 55
	v_subrev_nc_u32_e32 v131, 55, v0
	s_mov_b32 s5, exec_lo
	v_cmpx_lt_u32_e32 6, v132
	s_cbranch_execz .LBB61_83
; %bb.80:
	v_and_b32_e32 v132, -8, v131
	s_movk_i32 s72, 0x750
	s_mov_b32 s71, 0
	s_mov_b32 s73, s15
	;; [unrolled: 1-line block ×3, first 2 shown]
.LBB61_81:                              ; =>This Inner Loop Header: Depth=1
	v_mov_b32_e32 v136, s73
	v_mov_b32_e32 v182, s72
	s_add_i32 s75, s74, 8
	s_add_i32 s74, s74, 63
	v_cmp_eq_u32_e32 vcc_lo, s75, v132
	s_clause 0x1f
	buffer_load_dword v133, v136, s[0:3], 0 offen offset:8
	buffer_load_dword v134, v136, s[0:3], 0 offen offset:12
	buffer_load_dword v144, v136, s[0:3], 0 offen
	buffer_load_dword v145, v136, s[0:3], 0 offen offset:4
	buffer_load_dword v146, v136, s[0:3], 0 offen offset:24
	buffer_load_dword v147, v136, s[0:3], 0 offen offset:28
	buffer_load_dword v148, v136, s[0:3], 0 offen offset:16
	buffer_load_dword v149, v136, s[0:3], 0 offen offset:20
	buffer_load_dword v150, v136, s[0:3], 0 offen offset:40
	buffer_load_dword v151, v136, s[0:3], 0 offen offset:44
	buffer_load_dword v152, v136, s[0:3], 0 offen offset:32
	buffer_load_dword v153, v136, s[0:3], 0 offen offset:36
	buffer_load_dword v154, v136, s[0:3], 0 offen offset:56
	buffer_load_dword v155, v136, s[0:3], 0 offen offset:60
	buffer_load_dword v156, v136, s[0:3], 0 offen offset:48
	buffer_load_dword v157, v136, s[0:3], 0 offen offset:52
	buffer_load_dword v159, v136, s[0:3], 0 offen offset:76
	buffer_load_dword v160, v136, s[0:3], 0 offen offset:88
	buffer_load_dword v162, v136, s[0:3], 0 offen offset:80
	buffer_load_dword v158, v136, s[0:3], 0 offen offset:72
	buffer_load_dword v163, v136, s[0:3], 0 offen offset:84
	buffer_load_dword v161, v136, s[0:3], 0 offen offset:92
	buffer_load_dword v165, v136, s[0:3], 0 offen offset:68
	buffer_load_dword v164, v136, s[0:3], 0 offen offset:64
	buffer_load_dword v167, v136, s[0:3], 0 offen offset:108
	buffer_load_dword v168, v136, s[0:3], 0 offen offset:120
	buffer_load_dword v170, v136, s[0:3], 0 offen offset:112
	buffer_load_dword v166, v136, s[0:3], 0 offen offset:104
	buffer_load_dword v171, v136, s[0:3], 0 offen offset:116
	buffer_load_dword v169, v136, s[0:3], 0 offen offset:124
	buffer_load_dword v173, v136, s[0:3], 0 offen offset:100
	buffer_load_dword v172, v136, s[0:3], 0 offen offset:96
	ds_read_b128 v[136:139], v182
	ds_read_b128 v[140:143], v182 offset:16
	s_addk_i32 s72, 0x80
	s_addk_i32 s73, 0x80
	s_or_b32 s71, vcc_lo, s71
	s_waitcnt vmcnt(30) lgkmcnt(1)
	v_mul_f64 v[174:175], v[138:139], v[133:134]
	v_mul_f64 v[133:134], v[136:137], v[133:134]
	s_waitcnt vmcnt(26) lgkmcnt(0)
	v_mul_f64 v[176:177], v[142:143], v[146:147]
	v_mul_f64 v[178:179], v[140:141], v[146:147]
	v_fma_f64 v[174:175], v[136:137], v[144:145], -v[174:175]
	v_fma_f64 v[133:134], v[138:139], v[144:145], v[133:134]
	ds_read_b128 v[136:139], v182 offset:32
	ds_read_b128 v[144:147], v182 offset:48
	s_waitcnt vmcnt(24)
	v_fma_f64 v[140:141], v[140:141], v[148:149], -v[176:177]
	v_fma_f64 v[142:143], v[142:143], v[148:149], v[178:179]
	s_waitcnt vmcnt(22) lgkmcnt(1)
	v_mul_f64 v[180:181], v[138:139], v[150:151]
	v_mul_f64 v[150:151], v[136:137], v[150:151]
	v_add_f64 v[1:2], v[1:2], v[174:175]
	v_add_f64 v[3:4], v[3:4], v[133:134]
	s_waitcnt vmcnt(18) lgkmcnt(0)
	v_mul_f64 v[133:134], v[146:147], v[154:155]
	v_mul_f64 v[148:149], v[144:145], v[154:155]
	v_fma_f64 v[154:155], v[136:137], v[152:153], -v[180:181]
	v_fma_f64 v[150:151], v[138:139], v[152:153], v[150:151]
	v_add_f64 v[140:141], v[1:2], v[140:141]
	v_add_f64 v[142:143], v[3:4], v[142:143]
	ds_read_b128 v[1:4], v182 offset:64
	ds_read_b128 v[136:139], v182 offset:80
	s_waitcnt vmcnt(16)
	v_fma_f64 v[133:134], v[144:145], v[156:157], -v[133:134]
	v_fma_f64 v[144:145], v[146:147], v[156:157], v[148:149]
	s_waitcnt vmcnt(12) lgkmcnt(1)
	v_mul_f64 v[152:153], v[3:4], v[158:159]
	v_mul_f64 v[158:159], v[1:2], v[158:159]
	v_add_f64 v[140:141], v[140:141], v[154:155]
	v_add_f64 v[142:143], v[142:143], v[150:151]
	s_waitcnt vmcnt(10) lgkmcnt(0)
	v_mul_f64 v[146:147], v[138:139], v[160:161]
	v_mul_f64 v[148:149], v[136:137], v[160:161]
	s_waitcnt vmcnt(8)
	v_fma_f64 v[150:151], v[1:2], v[164:165], -v[152:153]
	v_fma_f64 v[152:153], v[3:4], v[164:165], v[158:159]
	v_add_f64 v[133:134], v[140:141], v[133:134]
	v_add_f64 v[144:145], v[142:143], v[144:145]
	ds_read_b128 v[1:4], v182 offset:96
	ds_read_b128 v[140:143], v182 offset:112
	v_fma_f64 v[136:137], v[136:137], v[162:163], -v[146:147]
	v_fma_f64 v[138:139], v[138:139], v[162:163], v[148:149]
	s_waitcnt vmcnt(4) lgkmcnt(1)
	v_mul_f64 v[154:155], v[3:4], v[166:167]
	v_mul_f64 v[156:157], v[1:2], v[166:167]
	v_add_f64 v[133:134], v[133:134], v[150:151]
	v_add_f64 v[144:145], v[144:145], v[152:153]
	s_waitcnt vmcnt(2) lgkmcnt(0)
	v_mul_f64 v[146:147], v[142:143], v[168:169]
	v_mul_f64 v[148:149], v[140:141], v[168:169]
	s_waitcnt vmcnt(0)
	v_fma_f64 v[1:2], v[1:2], v[172:173], -v[154:155]
	v_fma_f64 v[3:4], v[3:4], v[172:173], v[156:157]
	v_add_f64 v[133:134], v[133:134], v[136:137]
	v_add_f64 v[136:137], v[144:145], v[138:139]
	v_fma_f64 v[138:139], v[140:141], v[170:171], -v[146:147]
	v_fma_f64 v[140:141], v[142:143], v[170:171], v[148:149]
	v_add_f64 v[1:2], v[133:134], v[1:2]
	v_add_f64 v[3:4], v[136:137], v[3:4]
	v_mov_b32_e32 v133, s74
	s_mov_b32 s74, s75
	v_add_f64 v[1:2], v[1:2], v[138:139]
	v_add_f64 v[3:4], v[3:4], v[140:141]
	s_andn2_b32 exec_lo, exec_lo, s71
	s_cbranch_execnz .LBB61_81
; %bb.82:
	s_or_b32 exec_lo, exec_lo, s71
.LBB61_83:
	s_or_b32 exec_lo, exec_lo, s5
	v_and_b32_e32 v131, 7, v131
	s_mov_b32 s71, 0
	s_mov_b32 s5, exec_lo
	v_cmpx_ne_u32_e32 0, v131
	s_cbranch_execz .LBB61_87
; %bb.84:
	v_lshlrev_b32_e32 v133, 4, v133
	v_add_nc_u32_e32 v132, 0x3e0, v133
	.p2align	6
.LBB61_85:                              ; =>This Inner Loop Header: Depth=1
	s_clause 0x3
	buffer_load_dword v140, v133, s[0:3], 0 offen offset:8
	buffer_load_dword v141, v133, s[0:3], 0 offen offset:12
	buffer_load_dword v142, v133, s[0:3], 0 offen
	buffer_load_dword v143, v133, s[0:3], 0 offen offset:4
	ds_read_b128 v[136:139], v132
	v_add_nc_u32_e32 v131, -1, v131
	v_add_nc_u32_e32 v132, 16, v132
	v_add_nc_u32_e32 v133, 16, v133
	v_cmp_eq_u32_e32 vcc_lo, 0, v131
	s_or_b32 s71, vcc_lo, s71
	s_waitcnt vmcnt(2) lgkmcnt(0)
	v_mul_f64 v[144:145], v[138:139], v[140:141]
	v_mul_f64 v[140:141], v[136:137], v[140:141]
	s_waitcnt vmcnt(0)
	v_fma_f64 v[136:137], v[136:137], v[142:143], -v[144:145]
	v_fma_f64 v[138:139], v[138:139], v[142:143], v[140:141]
	v_add_f64 v[1:2], v[1:2], v[136:137]
	v_add_f64 v[3:4], v[3:4], v[138:139]
	s_andn2_b32 exec_lo, exec_lo, s71
	s_cbranch_execnz .LBB61_85
; %bb.86:
	s_or_b32 exec_lo, exec_lo, s71
.LBB61_87:
	s_or_b32 exec_lo, exec_lo, s5
.LBB61_88:
	s_or_b32 exec_lo, exec_lo, s8
	v_mov_b32_e32 v131, 0
	ds_read_b128 v[131:134], v131 offset:864
	s_waitcnt lgkmcnt(0)
	v_mul_f64 v[136:137], v[3:4], v[133:134]
	v_mul_f64 v[133:134], v[1:2], v[133:134]
	v_fma_f64 v[1:2], v[1:2], v[131:132], -v[136:137]
	v_fma_f64 v[3:4], v[3:4], v[131:132], v[133:134]
	buffer_store_dword v2, off, s[0:3], 0 offset:868
	buffer_store_dword v1, off, s[0:3], 0 offset:864
	buffer_store_dword v4, off, s[0:3], 0 offset:876
	buffer_store_dword v3, off, s[0:3], 0 offset:872
.LBB61_89:
	s_or_b32 exec_lo, exec_lo, s6
	v_mov_b32_e32 v4, s17
	v_cmp_lt_u32_e64 s5, 53, v0
	s_clause 0x3
	buffer_load_dword v1, v4, s[0:3], 0 offen
	buffer_load_dword v2, v4, s[0:3], 0 offen offset:4
	buffer_load_dword v3, v4, s[0:3], 0 offen offset:8
	;; [unrolled: 1-line block ×3, first 2 shown]
	s_waitcnt vmcnt(0)
	ds_write_b128 v130, v[1:4]
	s_waitcnt lgkmcnt(0)
	s_waitcnt_vscnt null, 0x0
	s_barrier
	buffer_gl0_inv
	s_and_saveexec_b32 s6, s5
	s_cbranch_execz .LBB61_103
; %bb.90:
	ds_read_b128 v[1:4], v130
	s_andn2_b32 vcc_lo, exec_lo, s7
	s_cbranch_vccnz .LBB61_92
; %bb.91:
	s_clause 0x3
	buffer_load_dword v131, v129, s[0:3], 0 offen offset:8
	buffer_load_dword v132, v129, s[0:3], 0 offen offset:12
	buffer_load_dword v133, v129, s[0:3], 0 offen
	buffer_load_dword v134, v129, s[0:3], 0 offen offset:4
	s_waitcnt vmcnt(2) lgkmcnt(0)
	v_mul_f64 v[136:137], v[3:4], v[131:132]
	v_mul_f64 v[131:132], v[1:2], v[131:132]
	s_waitcnt vmcnt(0)
	v_fma_f64 v[1:2], v[1:2], v[133:134], -v[136:137]
	v_fma_f64 v[3:4], v[3:4], v[133:134], v[131:132]
.LBB61_92:
	s_and_saveexec_b32 s8, s4
	s_cbranch_execz .LBB61_102
; %bb.93:
	v_subrev_nc_u32_e32 v132, 55, v0
	v_mov_b32_e32 v133, 54
	v_subrev_nc_u32_e32 v131, 54, v0
	s_mov_b32 s4, exec_lo
	v_cmpx_lt_u32_e32 6, v132
	s_cbranch_execz .LBB61_97
; %bb.94:
	v_and_b32_e32 v132, -8, v131
	s_movk_i32 s72, 0x740
	s_mov_b32 s71, 0
	s_mov_b32 s73, s16
	;; [unrolled: 1-line block ×3, first 2 shown]
.LBB61_95:                              ; =>This Inner Loop Header: Depth=1
	v_mov_b32_e32 v136, s73
	v_mov_b32_e32 v182, s72
	s_add_i32 s75, s74, 8
	s_add_i32 s74, s74, 62
	v_cmp_eq_u32_e32 vcc_lo, s75, v132
	s_clause 0x1f
	buffer_load_dword v133, v136, s[0:3], 0 offen offset:8
	buffer_load_dword v134, v136, s[0:3], 0 offen offset:12
	buffer_load_dword v144, v136, s[0:3], 0 offen
	buffer_load_dword v145, v136, s[0:3], 0 offen offset:4
	buffer_load_dword v146, v136, s[0:3], 0 offen offset:24
	;; [unrolled: 1-line block ×29, first 2 shown]
	ds_read_b128 v[136:139], v182
	ds_read_b128 v[140:143], v182 offset:16
	s_addk_i32 s72, 0x80
	s_addk_i32 s73, 0x80
	s_or_b32 s71, vcc_lo, s71
	s_waitcnt vmcnt(30) lgkmcnt(1)
	v_mul_f64 v[174:175], v[138:139], v[133:134]
	v_mul_f64 v[133:134], v[136:137], v[133:134]
	s_waitcnt vmcnt(26) lgkmcnt(0)
	v_mul_f64 v[176:177], v[142:143], v[146:147]
	v_mul_f64 v[178:179], v[140:141], v[146:147]
	v_fma_f64 v[174:175], v[136:137], v[144:145], -v[174:175]
	v_fma_f64 v[133:134], v[138:139], v[144:145], v[133:134]
	ds_read_b128 v[136:139], v182 offset:32
	ds_read_b128 v[144:147], v182 offset:48
	s_waitcnt vmcnt(24)
	v_fma_f64 v[140:141], v[140:141], v[148:149], -v[176:177]
	v_fma_f64 v[142:143], v[142:143], v[148:149], v[178:179]
	s_waitcnt vmcnt(22) lgkmcnt(1)
	v_mul_f64 v[180:181], v[138:139], v[150:151]
	v_mul_f64 v[150:151], v[136:137], v[150:151]
	v_add_f64 v[1:2], v[1:2], v[174:175]
	v_add_f64 v[3:4], v[3:4], v[133:134]
	s_waitcnt vmcnt(18) lgkmcnt(0)
	v_mul_f64 v[133:134], v[146:147], v[154:155]
	v_mul_f64 v[148:149], v[144:145], v[154:155]
	v_fma_f64 v[154:155], v[136:137], v[152:153], -v[180:181]
	v_fma_f64 v[150:151], v[138:139], v[152:153], v[150:151]
	v_add_f64 v[140:141], v[1:2], v[140:141]
	v_add_f64 v[142:143], v[3:4], v[142:143]
	ds_read_b128 v[1:4], v182 offset:64
	ds_read_b128 v[136:139], v182 offset:80
	s_waitcnt vmcnt(16)
	v_fma_f64 v[133:134], v[144:145], v[156:157], -v[133:134]
	v_fma_f64 v[144:145], v[146:147], v[156:157], v[148:149]
	s_waitcnt vmcnt(12) lgkmcnt(1)
	v_mul_f64 v[152:153], v[3:4], v[158:159]
	v_mul_f64 v[158:159], v[1:2], v[158:159]
	v_add_f64 v[140:141], v[140:141], v[154:155]
	v_add_f64 v[142:143], v[142:143], v[150:151]
	s_waitcnt vmcnt(10) lgkmcnt(0)
	v_mul_f64 v[146:147], v[138:139], v[160:161]
	v_mul_f64 v[148:149], v[136:137], v[160:161]
	s_waitcnt vmcnt(8)
	v_fma_f64 v[150:151], v[1:2], v[164:165], -v[152:153]
	v_fma_f64 v[152:153], v[3:4], v[164:165], v[158:159]
	v_add_f64 v[133:134], v[140:141], v[133:134]
	v_add_f64 v[144:145], v[142:143], v[144:145]
	ds_read_b128 v[1:4], v182 offset:96
	ds_read_b128 v[140:143], v182 offset:112
	v_fma_f64 v[136:137], v[136:137], v[162:163], -v[146:147]
	v_fma_f64 v[138:139], v[138:139], v[162:163], v[148:149]
	s_waitcnt vmcnt(4) lgkmcnt(1)
	v_mul_f64 v[154:155], v[3:4], v[166:167]
	v_mul_f64 v[156:157], v[1:2], v[166:167]
	v_add_f64 v[133:134], v[133:134], v[150:151]
	v_add_f64 v[144:145], v[144:145], v[152:153]
	s_waitcnt vmcnt(2) lgkmcnt(0)
	v_mul_f64 v[146:147], v[142:143], v[168:169]
	v_mul_f64 v[148:149], v[140:141], v[168:169]
	s_waitcnt vmcnt(0)
	v_fma_f64 v[1:2], v[1:2], v[172:173], -v[154:155]
	v_fma_f64 v[3:4], v[3:4], v[172:173], v[156:157]
	v_add_f64 v[133:134], v[133:134], v[136:137]
	v_add_f64 v[136:137], v[144:145], v[138:139]
	v_fma_f64 v[138:139], v[140:141], v[170:171], -v[146:147]
	v_fma_f64 v[140:141], v[142:143], v[170:171], v[148:149]
	v_add_f64 v[1:2], v[133:134], v[1:2]
	v_add_f64 v[3:4], v[136:137], v[3:4]
	v_mov_b32_e32 v133, s74
	s_mov_b32 s74, s75
	v_add_f64 v[1:2], v[1:2], v[138:139]
	v_add_f64 v[3:4], v[3:4], v[140:141]
	s_andn2_b32 exec_lo, exec_lo, s71
	s_cbranch_execnz .LBB61_95
; %bb.96:
	s_or_b32 exec_lo, exec_lo, s71
.LBB61_97:
	s_or_b32 exec_lo, exec_lo, s4
	v_and_b32_e32 v131, 7, v131
	s_mov_b32 s71, 0
	s_mov_b32 s4, exec_lo
	v_cmpx_ne_u32_e32 0, v131
	s_cbranch_execz .LBB61_101
; %bb.98:
	v_lshlrev_b32_e32 v133, 4, v133
	v_add_nc_u32_e32 v132, 0x3e0, v133
	.p2align	6
.LBB61_99:                              ; =>This Inner Loop Header: Depth=1
	s_clause 0x3
	buffer_load_dword v140, v133, s[0:3], 0 offen offset:8
	buffer_load_dword v141, v133, s[0:3], 0 offen offset:12
	buffer_load_dword v142, v133, s[0:3], 0 offen
	buffer_load_dword v143, v133, s[0:3], 0 offen offset:4
	ds_read_b128 v[136:139], v132
	v_add_nc_u32_e32 v131, -1, v131
	v_add_nc_u32_e32 v132, 16, v132
	v_add_nc_u32_e32 v133, 16, v133
	v_cmp_eq_u32_e32 vcc_lo, 0, v131
	s_or_b32 s71, vcc_lo, s71
	s_waitcnt vmcnt(2) lgkmcnt(0)
	v_mul_f64 v[144:145], v[138:139], v[140:141]
	v_mul_f64 v[140:141], v[136:137], v[140:141]
	s_waitcnt vmcnt(0)
	v_fma_f64 v[136:137], v[136:137], v[142:143], -v[144:145]
	v_fma_f64 v[138:139], v[138:139], v[142:143], v[140:141]
	v_add_f64 v[1:2], v[1:2], v[136:137]
	v_add_f64 v[3:4], v[3:4], v[138:139]
	s_andn2_b32 exec_lo, exec_lo, s71
	s_cbranch_execnz .LBB61_99
; %bb.100:
	s_or_b32 exec_lo, exec_lo, s71
.LBB61_101:
	s_or_b32 exec_lo, exec_lo, s4
.LBB61_102:
	s_or_b32 exec_lo, exec_lo, s8
	v_mov_b32_e32 v131, 0
	ds_read_b128 v[131:134], v131 offset:848
	s_waitcnt lgkmcnt(0)
	v_mul_f64 v[136:137], v[3:4], v[133:134]
	v_mul_f64 v[133:134], v[1:2], v[133:134]
	v_fma_f64 v[1:2], v[1:2], v[131:132], -v[136:137]
	v_fma_f64 v[3:4], v[3:4], v[131:132], v[133:134]
	buffer_store_dword v2, off, s[0:3], 0 offset:852
	buffer_store_dword v1, off, s[0:3], 0 offset:848
	;; [unrolled: 1-line block ×4, first 2 shown]
.LBB61_103:
	s_or_b32 exec_lo, exec_lo, s6
	v_mov_b32_e32 v4, s18
	v_cmp_lt_u32_e64 s4, 52, v0
	s_clause 0x3
	buffer_load_dword v1, v4, s[0:3], 0 offen
	buffer_load_dword v2, v4, s[0:3], 0 offen offset:4
	buffer_load_dword v3, v4, s[0:3], 0 offen offset:8
	buffer_load_dword v4, v4, s[0:3], 0 offen offset:12
	s_waitcnt vmcnt(0)
	ds_write_b128 v130, v[1:4]
	s_waitcnt lgkmcnt(0)
	s_waitcnt_vscnt null, 0x0
	s_barrier
	buffer_gl0_inv
	s_and_saveexec_b32 s6, s4
	s_cbranch_execz .LBB61_117
; %bb.104:
	ds_read_b128 v[1:4], v130
	s_andn2_b32 vcc_lo, exec_lo, s7
	s_cbranch_vccnz .LBB61_106
; %bb.105:
	s_clause 0x3
	buffer_load_dword v131, v129, s[0:3], 0 offen offset:8
	buffer_load_dword v132, v129, s[0:3], 0 offen offset:12
	buffer_load_dword v133, v129, s[0:3], 0 offen
	buffer_load_dword v134, v129, s[0:3], 0 offen offset:4
	s_waitcnt vmcnt(2) lgkmcnt(0)
	v_mul_f64 v[136:137], v[3:4], v[131:132]
	v_mul_f64 v[131:132], v[1:2], v[131:132]
	s_waitcnt vmcnt(0)
	v_fma_f64 v[1:2], v[1:2], v[133:134], -v[136:137]
	v_fma_f64 v[3:4], v[3:4], v[133:134], v[131:132]
.LBB61_106:
	s_and_saveexec_b32 s8, s5
	s_cbranch_execz .LBB61_116
; %bb.107:
	v_subrev_nc_u32_e32 v132, 54, v0
	v_mov_b32_e32 v133, 53
	v_subrev_nc_u32_e32 v131, 53, v0
	s_mov_b32 s5, exec_lo
	v_cmpx_lt_u32_e32 6, v132
	s_cbranch_execz .LBB61_111
; %bb.108:
	v_and_b32_e32 v132, -8, v131
	s_movk_i32 s72, 0x730
	s_mov_b32 s71, 0
	s_mov_b32 s73, s17
	;; [unrolled: 1-line block ×3, first 2 shown]
.LBB61_109:                             ; =>This Inner Loop Header: Depth=1
	v_mov_b32_e32 v136, s73
	v_mov_b32_e32 v182, s72
	s_add_i32 s75, s74, 8
	s_add_i32 s74, s74, 61
	v_cmp_eq_u32_e32 vcc_lo, s75, v132
	s_clause 0x1f
	buffer_load_dword v133, v136, s[0:3], 0 offen offset:8
	buffer_load_dword v134, v136, s[0:3], 0 offen offset:12
	buffer_load_dword v144, v136, s[0:3], 0 offen
	buffer_load_dword v145, v136, s[0:3], 0 offen offset:4
	buffer_load_dword v146, v136, s[0:3], 0 offen offset:24
	;; [unrolled: 1-line block ×29, first 2 shown]
	ds_read_b128 v[136:139], v182
	ds_read_b128 v[140:143], v182 offset:16
	s_addk_i32 s72, 0x80
	s_addk_i32 s73, 0x80
	s_or_b32 s71, vcc_lo, s71
	s_waitcnt vmcnt(30) lgkmcnt(1)
	v_mul_f64 v[174:175], v[138:139], v[133:134]
	v_mul_f64 v[133:134], v[136:137], v[133:134]
	s_waitcnt vmcnt(26) lgkmcnt(0)
	v_mul_f64 v[176:177], v[142:143], v[146:147]
	v_mul_f64 v[178:179], v[140:141], v[146:147]
	v_fma_f64 v[174:175], v[136:137], v[144:145], -v[174:175]
	v_fma_f64 v[133:134], v[138:139], v[144:145], v[133:134]
	ds_read_b128 v[136:139], v182 offset:32
	ds_read_b128 v[144:147], v182 offset:48
	s_waitcnt vmcnt(24)
	v_fma_f64 v[140:141], v[140:141], v[148:149], -v[176:177]
	v_fma_f64 v[142:143], v[142:143], v[148:149], v[178:179]
	s_waitcnt vmcnt(22) lgkmcnt(1)
	v_mul_f64 v[180:181], v[138:139], v[150:151]
	v_mul_f64 v[150:151], v[136:137], v[150:151]
	v_add_f64 v[1:2], v[1:2], v[174:175]
	v_add_f64 v[3:4], v[3:4], v[133:134]
	s_waitcnt vmcnt(18) lgkmcnt(0)
	v_mul_f64 v[133:134], v[146:147], v[154:155]
	v_mul_f64 v[148:149], v[144:145], v[154:155]
	v_fma_f64 v[154:155], v[136:137], v[152:153], -v[180:181]
	v_fma_f64 v[150:151], v[138:139], v[152:153], v[150:151]
	v_add_f64 v[140:141], v[1:2], v[140:141]
	v_add_f64 v[142:143], v[3:4], v[142:143]
	ds_read_b128 v[1:4], v182 offset:64
	ds_read_b128 v[136:139], v182 offset:80
	s_waitcnt vmcnt(16)
	v_fma_f64 v[133:134], v[144:145], v[156:157], -v[133:134]
	v_fma_f64 v[144:145], v[146:147], v[156:157], v[148:149]
	s_waitcnt vmcnt(12) lgkmcnt(1)
	v_mul_f64 v[152:153], v[3:4], v[158:159]
	v_mul_f64 v[158:159], v[1:2], v[158:159]
	v_add_f64 v[140:141], v[140:141], v[154:155]
	v_add_f64 v[142:143], v[142:143], v[150:151]
	s_waitcnt vmcnt(10) lgkmcnt(0)
	v_mul_f64 v[146:147], v[138:139], v[160:161]
	v_mul_f64 v[148:149], v[136:137], v[160:161]
	s_waitcnt vmcnt(8)
	v_fma_f64 v[150:151], v[1:2], v[164:165], -v[152:153]
	v_fma_f64 v[152:153], v[3:4], v[164:165], v[158:159]
	v_add_f64 v[133:134], v[140:141], v[133:134]
	v_add_f64 v[144:145], v[142:143], v[144:145]
	ds_read_b128 v[1:4], v182 offset:96
	ds_read_b128 v[140:143], v182 offset:112
	v_fma_f64 v[136:137], v[136:137], v[162:163], -v[146:147]
	v_fma_f64 v[138:139], v[138:139], v[162:163], v[148:149]
	s_waitcnt vmcnt(4) lgkmcnt(1)
	v_mul_f64 v[154:155], v[3:4], v[166:167]
	v_mul_f64 v[156:157], v[1:2], v[166:167]
	v_add_f64 v[133:134], v[133:134], v[150:151]
	v_add_f64 v[144:145], v[144:145], v[152:153]
	s_waitcnt vmcnt(2) lgkmcnt(0)
	v_mul_f64 v[146:147], v[142:143], v[168:169]
	v_mul_f64 v[148:149], v[140:141], v[168:169]
	s_waitcnt vmcnt(0)
	v_fma_f64 v[1:2], v[1:2], v[172:173], -v[154:155]
	v_fma_f64 v[3:4], v[3:4], v[172:173], v[156:157]
	v_add_f64 v[133:134], v[133:134], v[136:137]
	v_add_f64 v[136:137], v[144:145], v[138:139]
	v_fma_f64 v[138:139], v[140:141], v[170:171], -v[146:147]
	v_fma_f64 v[140:141], v[142:143], v[170:171], v[148:149]
	v_add_f64 v[1:2], v[133:134], v[1:2]
	v_add_f64 v[3:4], v[136:137], v[3:4]
	v_mov_b32_e32 v133, s74
	s_mov_b32 s74, s75
	v_add_f64 v[1:2], v[1:2], v[138:139]
	v_add_f64 v[3:4], v[3:4], v[140:141]
	s_andn2_b32 exec_lo, exec_lo, s71
	s_cbranch_execnz .LBB61_109
; %bb.110:
	s_or_b32 exec_lo, exec_lo, s71
.LBB61_111:
	s_or_b32 exec_lo, exec_lo, s5
	v_and_b32_e32 v131, 7, v131
	s_mov_b32 s71, 0
	s_mov_b32 s5, exec_lo
	v_cmpx_ne_u32_e32 0, v131
	s_cbranch_execz .LBB61_115
; %bb.112:
	v_lshlrev_b32_e32 v133, 4, v133
	v_add_nc_u32_e32 v132, 0x3e0, v133
	.p2align	6
.LBB61_113:                             ; =>This Inner Loop Header: Depth=1
	s_clause 0x3
	buffer_load_dword v140, v133, s[0:3], 0 offen offset:8
	buffer_load_dword v141, v133, s[0:3], 0 offen offset:12
	buffer_load_dword v142, v133, s[0:3], 0 offen
	buffer_load_dword v143, v133, s[0:3], 0 offen offset:4
	ds_read_b128 v[136:139], v132
	v_add_nc_u32_e32 v131, -1, v131
	v_add_nc_u32_e32 v132, 16, v132
	v_add_nc_u32_e32 v133, 16, v133
	v_cmp_eq_u32_e32 vcc_lo, 0, v131
	s_or_b32 s71, vcc_lo, s71
	s_waitcnt vmcnt(2) lgkmcnt(0)
	v_mul_f64 v[144:145], v[138:139], v[140:141]
	v_mul_f64 v[140:141], v[136:137], v[140:141]
	s_waitcnt vmcnt(0)
	v_fma_f64 v[136:137], v[136:137], v[142:143], -v[144:145]
	v_fma_f64 v[138:139], v[138:139], v[142:143], v[140:141]
	v_add_f64 v[1:2], v[1:2], v[136:137]
	v_add_f64 v[3:4], v[3:4], v[138:139]
	s_andn2_b32 exec_lo, exec_lo, s71
	s_cbranch_execnz .LBB61_113
; %bb.114:
	s_or_b32 exec_lo, exec_lo, s71
.LBB61_115:
	s_or_b32 exec_lo, exec_lo, s5
.LBB61_116:
	s_or_b32 exec_lo, exec_lo, s8
	v_mov_b32_e32 v131, 0
	ds_read_b128 v[131:134], v131 offset:832
	s_waitcnt lgkmcnt(0)
	v_mul_f64 v[136:137], v[3:4], v[133:134]
	v_mul_f64 v[133:134], v[1:2], v[133:134]
	v_fma_f64 v[1:2], v[1:2], v[131:132], -v[136:137]
	v_fma_f64 v[3:4], v[3:4], v[131:132], v[133:134]
	buffer_store_dword v2, off, s[0:3], 0 offset:836
	buffer_store_dword v1, off, s[0:3], 0 offset:832
	;; [unrolled: 1-line block ×4, first 2 shown]
.LBB61_117:
	s_or_b32 exec_lo, exec_lo, s6
	v_mov_b32_e32 v4, s19
	v_cmp_lt_u32_e64 s5, 51, v0
	s_clause 0x3
	buffer_load_dword v1, v4, s[0:3], 0 offen
	buffer_load_dword v2, v4, s[0:3], 0 offen offset:4
	buffer_load_dword v3, v4, s[0:3], 0 offen offset:8
	;; [unrolled: 1-line block ×3, first 2 shown]
	s_waitcnt vmcnt(0)
	ds_write_b128 v130, v[1:4]
	s_waitcnt lgkmcnt(0)
	s_waitcnt_vscnt null, 0x0
	s_barrier
	buffer_gl0_inv
	s_and_saveexec_b32 s6, s5
	s_cbranch_execz .LBB61_131
; %bb.118:
	ds_read_b128 v[1:4], v130
	s_andn2_b32 vcc_lo, exec_lo, s7
	s_cbranch_vccnz .LBB61_120
; %bb.119:
	s_clause 0x3
	buffer_load_dword v131, v129, s[0:3], 0 offen offset:8
	buffer_load_dword v132, v129, s[0:3], 0 offen offset:12
	buffer_load_dword v133, v129, s[0:3], 0 offen
	buffer_load_dword v134, v129, s[0:3], 0 offen offset:4
	s_waitcnt vmcnt(2) lgkmcnt(0)
	v_mul_f64 v[136:137], v[3:4], v[131:132]
	v_mul_f64 v[131:132], v[1:2], v[131:132]
	s_waitcnt vmcnt(0)
	v_fma_f64 v[1:2], v[1:2], v[133:134], -v[136:137]
	v_fma_f64 v[3:4], v[3:4], v[133:134], v[131:132]
.LBB61_120:
	s_and_saveexec_b32 s8, s4
	s_cbranch_execz .LBB61_130
; %bb.121:
	v_subrev_nc_u32_e32 v132, 53, v0
	v_mov_b32_e32 v133, 52
	v_subrev_nc_u32_e32 v131, 52, v0
	s_mov_b32 s4, exec_lo
	v_cmpx_lt_u32_e32 6, v132
	s_cbranch_execz .LBB61_125
; %bb.122:
	v_and_b32_e32 v132, -8, v131
	s_movk_i32 s72, 0x720
	s_mov_b32 s71, 0
	s_mov_b32 s73, s18
	;; [unrolled: 1-line block ×3, first 2 shown]
.LBB61_123:                             ; =>This Inner Loop Header: Depth=1
	v_mov_b32_e32 v136, s73
	v_mov_b32_e32 v182, s72
	s_add_i32 s75, s74, 8
	s_add_i32 s74, s74, 60
	v_cmp_eq_u32_e32 vcc_lo, s75, v132
	s_clause 0x1f
	buffer_load_dword v133, v136, s[0:3], 0 offen offset:8
	buffer_load_dword v134, v136, s[0:3], 0 offen offset:12
	buffer_load_dword v144, v136, s[0:3], 0 offen
	buffer_load_dword v145, v136, s[0:3], 0 offen offset:4
	buffer_load_dword v146, v136, s[0:3], 0 offen offset:24
	;; [unrolled: 1-line block ×29, first 2 shown]
	ds_read_b128 v[136:139], v182
	ds_read_b128 v[140:143], v182 offset:16
	s_addk_i32 s72, 0x80
	s_addk_i32 s73, 0x80
	s_or_b32 s71, vcc_lo, s71
	s_waitcnt vmcnt(30) lgkmcnt(1)
	v_mul_f64 v[174:175], v[138:139], v[133:134]
	v_mul_f64 v[133:134], v[136:137], v[133:134]
	s_waitcnt vmcnt(26) lgkmcnt(0)
	v_mul_f64 v[176:177], v[142:143], v[146:147]
	v_mul_f64 v[178:179], v[140:141], v[146:147]
	v_fma_f64 v[174:175], v[136:137], v[144:145], -v[174:175]
	v_fma_f64 v[133:134], v[138:139], v[144:145], v[133:134]
	ds_read_b128 v[136:139], v182 offset:32
	ds_read_b128 v[144:147], v182 offset:48
	s_waitcnt vmcnt(24)
	v_fma_f64 v[140:141], v[140:141], v[148:149], -v[176:177]
	v_fma_f64 v[142:143], v[142:143], v[148:149], v[178:179]
	s_waitcnt vmcnt(22) lgkmcnt(1)
	v_mul_f64 v[180:181], v[138:139], v[150:151]
	v_mul_f64 v[150:151], v[136:137], v[150:151]
	v_add_f64 v[1:2], v[1:2], v[174:175]
	v_add_f64 v[3:4], v[3:4], v[133:134]
	s_waitcnt vmcnt(18) lgkmcnt(0)
	v_mul_f64 v[133:134], v[146:147], v[154:155]
	v_mul_f64 v[148:149], v[144:145], v[154:155]
	v_fma_f64 v[154:155], v[136:137], v[152:153], -v[180:181]
	v_fma_f64 v[150:151], v[138:139], v[152:153], v[150:151]
	v_add_f64 v[140:141], v[1:2], v[140:141]
	v_add_f64 v[142:143], v[3:4], v[142:143]
	ds_read_b128 v[1:4], v182 offset:64
	ds_read_b128 v[136:139], v182 offset:80
	s_waitcnt vmcnt(16)
	v_fma_f64 v[133:134], v[144:145], v[156:157], -v[133:134]
	v_fma_f64 v[144:145], v[146:147], v[156:157], v[148:149]
	s_waitcnt vmcnt(12) lgkmcnt(1)
	v_mul_f64 v[152:153], v[3:4], v[158:159]
	v_mul_f64 v[158:159], v[1:2], v[158:159]
	v_add_f64 v[140:141], v[140:141], v[154:155]
	v_add_f64 v[142:143], v[142:143], v[150:151]
	s_waitcnt vmcnt(10) lgkmcnt(0)
	v_mul_f64 v[146:147], v[138:139], v[160:161]
	v_mul_f64 v[148:149], v[136:137], v[160:161]
	s_waitcnt vmcnt(8)
	v_fma_f64 v[150:151], v[1:2], v[164:165], -v[152:153]
	v_fma_f64 v[152:153], v[3:4], v[164:165], v[158:159]
	v_add_f64 v[133:134], v[140:141], v[133:134]
	v_add_f64 v[144:145], v[142:143], v[144:145]
	ds_read_b128 v[1:4], v182 offset:96
	ds_read_b128 v[140:143], v182 offset:112
	v_fma_f64 v[136:137], v[136:137], v[162:163], -v[146:147]
	v_fma_f64 v[138:139], v[138:139], v[162:163], v[148:149]
	s_waitcnt vmcnt(4) lgkmcnt(1)
	v_mul_f64 v[154:155], v[3:4], v[166:167]
	v_mul_f64 v[156:157], v[1:2], v[166:167]
	v_add_f64 v[133:134], v[133:134], v[150:151]
	v_add_f64 v[144:145], v[144:145], v[152:153]
	s_waitcnt vmcnt(2) lgkmcnt(0)
	v_mul_f64 v[146:147], v[142:143], v[168:169]
	v_mul_f64 v[148:149], v[140:141], v[168:169]
	s_waitcnt vmcnt(0)
	v_fma_f64 v[1:2], v[1:2], v[172:173], -v[154:155]
	v_fma_f64 v[3:4], v[3:4], v[172:173], v[156:157]
	v_add_f64 v[133:134], v[133:134], v[136:137]
	v_add_f64 v[136:137], v[144:145], v[138:139]
	v_fma_f64 v[138:139], v[140:141], v[170:171], -v[146:147]
	v_fma_f64 v[140:141], v[142:143], v[170:171], v[148:149]
	v_add_f64 v[1:2], v[133:134], v[1:2]
	v_add_f64 v[3:4], v[136:137], v[3:4]
	v_mov_b32_e32 v133, s74
	s_mov_b32 s74, s75
	v_add_f64 v[1:2], v[1:2], v[138:139]
	v_add_f64 v[3:4], v[3:4], v[140:141]
	s_andn2_b32 exec_lo, exec_lo, s71
	s_cbranch_execnz .LBB61_123
; %bb.124:
	s_or_b32 exec_lo, exec_lo, s71
.LBB61_125:
	s_or_b32 exec_lo, exec_lo, s4
	v_and_b32_e32 v131, 7, v131
	s_mov_b32 s71, 0
	s_mov_b32 s4, exec_lo
	v_cmpx_ne_u32_e32 0, v131
	s_cbranch_execz .LBB61_129
; %bb.126:
	v_lshlrev_b32_e32 v133, 4, v133
	v_add_nc_u32_e32 v132, 0x3e0, v133
	.p2align	6
.LBB61_127:                             ; =>This Inner Loop Header: Depth=1
	s_clause 0x3
	buffer_load_dword v140, v133, s[0:3], 0 offen offset:8
	buffer_load_dword v141, v133, s[0:3], 0 offen offset:12
	buffer_load_dword v142, v133, s[0:3], 0 offen
	buffer_load_dword v143, v133, s[0:3], 0 offen offset:4
	ds_read_b128 v[136:139], v132
	v_add_nc_u32_e32 v131, -1, v131
	v_add_nc_u32_e32 v132, 16, v132
	v_add_nc_u32_e32 v133, 16, v133
	v_cmp_eq_u32_e32 vcc_lo, 0, v131
	s_or_b32 s71, vcc_lo, s71
	s_waitcnt vmcnt(2) lgkmcnt(0)
	v_mul_f64 v[144:145], v[138:139], v[140:141]
	v_mul_f64 v[140:141], v[136:137], v[140:141]
	s_waitcnt vmcnt(0)
	v_fma_f64 v[136:137], v[136:137], v[142:143], -v[144:145]
	v_fma_f64 v[138:139], v[138:139], v[142:143], v[140:141]
	v_add_f64 v[1:2], v[1:2], v[136:137]
	v_add_f64 v[3:4], v[3:4], v[138:139]
	s_andn2_b32 exec_lo, exec_lo, s71
	s_cbranch_execnz .LBB61_127
; %bb.128:
	s_or_b32 exec_lo, exec_lo, s71
.LBB61_129:
	s_or_b32 exec_lo, exec_lo, s4
.LBB61_130:
	s_or_b32 exec_lo, exec_lo, s8
	v_mov_b32_e32 v131, 0
	ds_read_b128 v[131:134], v131 offset:816
	s_waitcnt lgkmcnt(0)
	v_mul_f64 v[136:137], v[3:4], v[133:134]
	v_mul_f64 v[133:134], v[1:2], v[133:134]
	v_fma_f64 v[1:2], v[1:2], v[131:132], -v[136:137]
	v_fma_f64 v[3:4], v[3:4], v[131:132], v[133:134]
	buffer_store_dword v2, off, s[0:3], 0 offset:820
	buffer_store_dword v1, off, s[0:3], 0 offset:816
	buffer_store_dword v4, off, s[0:3], 0 offset:828
	buffer_store_dword v3, off, s[0:3], 0 offset:824
.LBB61_131:
	s_or_b32 exec_lo, exec_lo, s6
	v_mov_b32_e32 v4, s20
	v_cmp_lt_u32_e64 s4, 50, v0
	s_clause 0x3
	buffer_load_dword v1, v4, s[0:3], 0 offen
	buffer_load_dword v2, v4, s[0:3], 0 offen offset:4
	buffer_load_dword v3, v4, s[0:3], 0 offen offset:8
	buffer_load_dword v4, v4, s[0:3], 0 offen offset:12
	s_waitcnt vmcnt(0)
	ds_write_b128 v130, v[1:4]
	s_waitcnt lgkmcnt(0)
	s_waitcnt_vscnt null, 0x0
	s_barrier
	buffer_gl0_inv
	s_and_saveexec_b32 s6, s4
	s_cbranch_execz .LBB61_145
; %bb.132:
	ds_read_b128 v[1:4], v130
	s_andn2_b32 vcc_lo, exec_lo, s7
	s_cbranch_vccnz .LBB61_134
; %bb.133:
	s_clause 0x3
	buffer_load_dword v131, v129, s[0:3], 0 offen offset:8
	buffer_load_dword v132, v129, s[0:3], 0 offen offset:12
	buffer_load_dword v133, v129, s[0:3], 0 offen
	buffer_load_dword v134, v129, s[0:3], 0 offen offset:4
	s_waitcnt vmcnt(2) lgkmcnt(0)
	v_mul_f64 v[136:137], v[3:4], v[131:132]
	v_mul_f64 v[131:132], v[1:2], v[131:132]
	s_waitcnt vmcnt(0)
	v_fma_f64 v[1:2], v[1:2], v[133:134], -v[136:137]
	v_fma_f64 v[3:4], v[3:4], v[133:134], v[131:132]
.LBB61_134:
	s_and_saveexec_b32 s8, s5
	s_cbranch_execz .LBB61_144
; %bb.135:
	v_subrev_nc_u32_e32 v132, 52, v0
	v_mov_b32_e32 v133, 51
	v_subrev_nc_u32_e32 v131, 51, v0
	s_mov_b32 s5, exec_lo
	v_cmpx_lt_u32_e32 6, v132
	s_cbranch_execz .LBB61_139
; %bb.136:
	v_and_b32_e32 v132, -8, v131
	s_movk_i32 s72, 0x710
	s_mov_b32 s71, 0
	s_mov_b32 s73, s19
	;; [unrolled: 1-line block ×3, first 2 shown]
.LBB61_137:                             ; =>This Inner Loop Header: Depth=1
	v_mov_b32_e32 v136, s73
	v_mov_b32_e32 v182, s72
	s_add_i32 s75, s74, 8
	s_add_i32 s74, s74, 59
	v_cmp_eq_u32_e32 vcc_lo, s75, v132
	s_clause 0x1f
	buffer_load_dword v133, v136, s[0:3], 0 offen offset:8
	buffer_load_dword v134, v136, s[0:3], 0 offen offset:12
	buffer_load_dword v144, v136, s[0:3], 0 offen
	buffer_load_dword v145, v136, s[0:3], 0 offen offset:4
	buffer_load_dword v146, v136, s[0:3], 0 offen offset:24
	;; [unrolled: 1-line block ×29, first 2 shown]
	ds_read_b128 v[136:139], v182
	ds_read_b128 v[140:143], v182 offset:16
	s_addk_i32 s72, 0x80
	s_addk_i32 s73, 0x80
	s_or_b32 s71, vcc_lo, s71
	s_waitcnt vmcnt(30) lgkmcnt(1)
	v_mul_f64 v[174:175], v[138:139], v[133:134]
	v_mul_f64 v[133:134], v[136:137], v[133:134]
	s_waitcnt vmcnt(26) lgkmcnt(0)
	v_mul_f64 v[176:177], v[142:143], v[146:147]
	v_mul_f64 v[178:179], v[140:141], v[146:147]
	v_fma_f64 v[174:175], v[136:137], v[144:145], -v[174:175]
	v_fma_f64 v[133:134], v[138:139], v[144:145], v[133:134]
	ds_read_b128 v[136:139], v182 offset:32
	ds_read_b128 v[144:147], v182 offset:48
	s_waitcnt vmcnt(24)
	v_fma_f64 v[140:141], v[140:141], v[148:149], -v[176:177]
	v_fma_f64 v[142:143], v[142:143], v[148:149], v[178:179]
	s_waitcnt vmcnt(22) lgkmcnt(1)
	v_mul_f64 v[180:181], v[138:139], v[150:151]
	v_mul_f64 v[150:151], v[136:137], v[150:151]
	v_add_f64 v[1:2], v[1:2], v[174:175]
	v_add_f64 v[3:4], v[3:4], v[133:134]
	s_waitcnt vmcnt(18) lgkmcnt(0)
	v_mul_f64 v[133:134], v[146:147], v[154:155]
	v_mul_f64 v[148:149], v[144:145], v[154:155]
	v_fma_f64 v[154:155], v[136:137], v[152:153], -v[180:181]
	v_fma_f64 v[150:151], v[138:139], v[152:153], v[150:151]
	v_add_f64 v[140:141], v[1:2], v[140:141]
	v_add_f64 v[142:143], v[3:4], v[142:143]
	ds_read_b128 v[1:4], v182 offset:64
	ds_read_b128 v[136:139], v182 offset:80
	s_waitcnt vmcnt(16)
	v_fma_f64 v[133:134], v[144:145], v[156:157], -v[133:134]
	v_fma_f64 v[144:145], v[146:147], v[156:157], v[148:149]
	s_waitcnt vmcnt(12) lgkmcnt(1)
	v_mul_f64 v[152:153], v[3:4], v[158:159]
	v_mul_f64 v[158:159], v[1:2], v[158:159]
	v_add_f64 v[140:141], v[140:141], v[154:155]
	v_add_f64 v[142:143], v[142:143], v[150:151]
	s_waitcnt vmcnt(10) lgkmcnt(0)
	v_mul_f64 v[146:147], v[138:139], v[160:161]
	v_mul_f64 v[148:149], v[136:137], v[160:161]
	s_waitcnt vmcnt(8)
	v_fma_f64 v[150:151], v[1:2], v[164:165], -v[152:153]
	v_fma_f64 v[152:153], v[3:4], v[164:165], v[158:159]
	v_add_f64 v[133:134], v[140:141], v[133:134]
	v_add_f64 v[144:145], v[142:143], v[144:145]
	ds_read_b128 v[1:4], v182 offset:96
	ds_read_b128 v[140:143], v182 offset:112
	v_fma_f64 v[136:137], v[136:137], v[162:163], -v[146:147]
	v_fma_f64 v[138:139], v[138:139], v[162:163], v[148:149]
	s_waitcnt vmcnt(4) lgkmcnt(1)
	v_mul_f64 v[154:155], v[3:4], v[166:167]
	v_mul_f64 v[156:157], v[1:2], v[166:167]
	v_add_f64 v[133:134], v[133:134], v[150:151]
	v_add_f64 v[144:145], v[144:145], v[152:153]
	s_waitcnt vmcnt(2) lgkmcnt(0)
	v_mul_f64 v[146:147], v[142:143], v[168:169]
	v_mul_f64 v[148:149], v[140:141], v[168:169]
	s_waitcnt vmcnt(0)
	v_fma_f64 v[1:2], v[1:2], v[172:173], -v[154:155]
	v_fma_f64 v[3:4], v[3:4], v[172:173], v[156:157]
	v_add_f64 v[133:134], v[133:134], v[136:137]
	v_add_f64 v[136:137], v[144:145], v[138:139]
	v_fma_f64 v[138:139], v[140:141], v[170:171], -v[146:147]
	v_fma_f64 v[140:141], v[142:143], v[170:171], v[148:149]
	v_add_f64 v[1:2], v[133:134], v[1:2]
	v_add_f64 v[3:4], v[136:137], v[3:4]
	v_mov_b32_e32 v133, s74
	s_mov_b32 s74, s75
	v_add_f64 v[1:2], v[1:2], v[138:139]
	v_add_f64 v[3:4], v[3:4], v[140:141]
	s_andn2_b32 exec_lo, exec_lo, s71
	s_cbranch_execnz .LBB61_137
; %bb.138:
	s_or_b32 exec_lo, exec_lo, s71
.LBB61_139:
	s_or_b32 exec_lo, exec_lo, s5
	v_and_b32_e32 v131, 7, v131
	s_mov_b32 s71, 0
	s_mov_b32 s5, exec_lo
	v_cmpx_ne_u32_e32 0, v131
	s_cbranch_execz .LBB61_143
; %bb.140:
	v_lshlrev_b32_e32 v133, 4, v133
	v_add_nc_u32_e32 v132, 0x3e0, v133
	.p2align	6
.LBB61_141:                             ; =>This Inner Loop Header: Depth=1
	s_clause 0x3
	buffer_load_dword v140, v133, s[0:3], 0 offen offset:8
	buffer_load_dword v141, v133, s[0:3], 0 offen offset:12
	buffer_load_dword v142, v133, s[0:3], 0 offen
	buffer_load_dword v143, v133, s[0:3], 0 offen offset:4
	ds_read_b128 v[136:139], v132
	v_add_nc_u32_e32 v131, -1, v131
	v_add_nc_u32_e32 v132, 16, v132
	v_add_nc_u32_e32 v133, 16, v133
	v_cmp_eq_u32_e32 vcc_lo, 0, v131
	s_or_b32 s71, vcc_lo, s71
	s_waitcnt vmcnt(2) lgkmcnt(0)
	v_mul_f64 v[144:145], v[138:139], v[140:141]
	v_mul_f64 v[140:141], v[136:137], v[140:141]
	s_waitcnt vmcnt(0)
	v_fma_f64 v[136:137], v[136:137], v[142:143], -v[144:145]
	v_fma_f64 v[138:139], v[138:139], v[142:143], v[140:141]
	v_add_f64 v[1:2], v[1:2], v[136:137]
	v_add_f64 v[3:4], v[3:4], v[138:139]
	s_andn2_b32 exec_lo, exec_lo, s71
	s_cbranch_execnz .LBB61_141
; %bb.142:
	s_or_b32 exec_lo, exec_lo, s71
.LBB61_143:
	s_or_b32 exec_lo, exec_lo, s5
.LBB61_144:
	s_or_b32 exec_lo, exec_lo, s8
	v_mov_b32_e32 v131, 0
	ds_read_b128 v[131:134], v131 offset:800
	s_waitcnt lgkmcnt(0)
	v_mul_f64 v[136:137], v[3:4], v[133:134]
	v_mul_f64 v[133:134], v[1:2], v[133:134]
	v_fma_f64 v[1:2], v[1:2], v[131:132], -v[136:137]
	v_fma_f64 v[3:4], v[3:4], v[131:132], v[133:134]
	buffer_store_dword v2, off, s[0:3], 0 offset:804
	buffer_store_dword v1, off, s[0:3], 0 offset:800
	;; [unrolled: 1-line block ×4, first 2 shown]
.LBB61_145:
	s_or_b32 exec_lo, exec_lo, s6
	v_mov_b32_e32 v4, s21
	v_cmp_lt_u32_e64 s5, 49, v0
	s_clause 0x3
	buffer_load_dword v1, v4, s[0:3], 0 offen
	buffer_load_dword v2, v4, s[0:3], 0 offen offset:4
	buffer_load_dword v3, v4, s[0:3], 0 offen offset:8
	;; [unrolled: 1-line block ×3, first 2 shown]
	s_waitcnt vmcnt(0)
	ds_write_b128 v130, v[1:4]
	s_waitcnt lgkmcnt(0)
	s_waitcnt_vscnt null, 0x0
	s_barrier
	buffer_gl0_inv
	s_and_saveexec_b32 s6, s5
	s_cbranch_execz .LBB61_159
; %bb.146:
	ds_read_b128 v[1:4], v130
	s_andn2_b32 vcc_lo, exec_lo, s7
	s_cbranch_vccnz .LBB61_148
; %bb.147:
	s_clause 0x3
	buffer_load_dword v131, v129, s[0:3], 0 offen offset:8
	buffer_load_dword v132, v129, s[0:3], 0 offen offset:12
	buffer_load_dword v133, v129, s[0:3], 0 offen
	buffer_load_dword v134, v129, s[0:3], 0 offen offset:4
	s_waitcnt vmcnt(2) lgkmcnt(0)
	v_mul_f64 v[136:137], v[3:4], v[131:132]
	v_mul_f64 v[131:132], v[1:2], v[131:132]
	s_waitcnt vmcnt(0)
	v_fma_f64 v[1:2], v[1:2], v[133:134], -v[136:137]
	v_fma_f64 v[3:4], v[3:4], v[133:134], v[131:132]
.LBB61_148:
	s_and_saveexec_b32 s8, s4
	s_cbranch_execz .LBB61_158
; %bb.149:
	v_subrev_nc_u32_e32 v132, 51, v0
	v_mov_b32_e32 v133, 50
	v_subrev_nc_u32_e32 v131, 50, v0
	s_mov_b32 s4, exec_lo
	v_cmpx_lt_u32_e32 6, v132
	s_cbranch_execz .LBB61_153
; %bb.150:
	v_and_b32_e32 v132, -8, v131
	s_movk_i32 s72, 0x700
	s_mov_b32 s71, 0
	s_mov_b32 s73, s20
	;; [unrolled: 1-line block ×3, first 2 shown]
.LBB61_151:                             ; =>This Inner Loop Header: Depth=1
	v_mov_b32_e32 v136, s73
	v_mov_b32_e32 v182, s72
	s_add_i32 s75, s74, 8
	s_add_i32 s74, s74, 58
	v_cmp_eq_u32_e32 vcc_lo, s75, v132
	s_clause 0x1f
	buffer_load_dword v133, v136, s[0:3], 0 offen offset:8
	buffer_load_dword v134, v136, s[0:3], 0 offen offset:12
	buffer_load_dword v144, v136, s[0:3], 0 offen
	buffer_load_dword v145, v136, s[0:3], 0 offen offset:4
	buffer_load_dword v146, v136, s[0:3], 0 offen offset:24
	;; [unrolled: 1-line block ×29, first 2 shown]
	ds_read_b128 v[136:139], v182
	ds_read_b128 v[140:143], v182 offset:16
	s_addk_i32 s72, 0x80
	s_addk_i32 s73, 0x80
	s_or_b32 s71, vcc_lo, s71
	s_waitcnt vmcnt(30) lgkmcnt(1)
	v_mul_f64 v[174:175], v[138:139], v[133:134]
	v_mul_f64 v[133:134], v[136:137], v[133:134]
	s_waitcnt vmcnt(26) lgkmcnt(0)
	v_mul_f64 v[176:177], v[142:143], v[146:147]
	v_mul_f64 v[178:179], v[140:141], v[146:147]
	v_fma_f64 v[174:175], v[136:137], v[144:145], -v[174:175]
	v_fma_f64 v[133:134], v[138:139], v[144:145], v[133:134]
	ds_read_b128 v[136:139], v182 offset:32
	ds_read_b128 v[144:147], v182 offset:48
	s_waitcnt vmcnt(24)
	v_fma_f64 v[140:141], v[140:141], v[148:149], -v[176:177]
	v_fma_f64 v[142:143], v[142:143], v[148:149], v[178:179]
	s_waitcnt vmcnt(22) lgkmcnt(1)
	v_mul_f64 v[180:181], v[138:139], v[150:151]
	v_mul_f64 v[150:151], v[136:137], v[150:151]
	v_add_f64 v[1:2], v[1:2], v[174:175]
	v_add_f64 v[3:4], v[3:4], v[133:134]
	s_waitcnt vmcnt(18) lgkmcnt(0)
	v_mul_f64 v[133:134], v[146:147], v[154:155]
	v_mul_f64 v[148:149], v[144:145], v[154:155]
	v_fma_f64 v[154:155], v[136:137], v[152:153], -v[180:181]
	v_fma_f64 v[150:151], v[138:139], v[152:153], v[150:151]
	v_add_f64 v[140:141], v[1:2], v[140:141]
	v_add_f64 v[142:143], v[3:4], v[142:143]
	ds_read_b128 v[1:4], v182 offset:64
	ds_read_b128 v[136:139], v182 offset:80
	s_waitcnt vmcnt(16)
	v_fma_f64 v[133:134], v[144:145], v[156:157], -v[133:134]
	v_fma_f64 v[144:145], v[146:147], v[156:157], v[148:149]
	s_waitcnt vmcnt(12) lgkmcnt(1)
	v_mul_f64 v[152:153], v[3:4], v[158:159]
	v_mul_f64 v[158:159], v[1:2], v[158:159]
	v_add_f64 v[140:141], v[140:141], v[154:155]
	v_add_f64 v[142:143], v[142:143], v[150:151]
	s_waitcnt vmcnt(10) lgkmcnt(0)
	v_mul_f64 v[146:147], v[138:139], v[160:161]
	v_mul_f64 v[148:149], v[136:137], v[160:161]
	s_waitcnt vmcnt(8)
	v_fma_f64 v[150:151], v[1:2], v[164:165], -v[152:153]
	v_fma_f64 v[152:153], v[3:4], v[164:165], v[158:159]
	v_add_f64 v[133:134], v[140:141], v[133:134]
	v_add_f64 v[144:145], v[142:143], v[144:145]
	ds_read_b128 v[1:4], v182 offset:96
	ds_read_b128 v[140:143], v182 offset:112
	v_fma_f64 v[136:137], v[136:137], v[162:163], -v[146:147]
	v_fma_f64 v[138:139], v[138:139], v[162:163], v[148:149]
	s_waitcnt vmcnt(4) lgkmcnt(1)
	v_mul_f64 v[154:155], v[3:4], v[166:167]
	v_mul_f64 v[156:157], v[1:2], v[166:167]
	v_add_f64 v[133:134], v[133:134], v[150:151]
	v_add_f64 v[144:145], v[144:145], v[152:153]
	s_waitcnt vmcnt(2) lgkmcnt(0)
	v_mul_f64 v[146:147], v[142:143], v[168:169]
	v_mul_f64 v[148:149], v[140:141], v[168:169]
	s_waitcnt vmcnt(0)
	v_fma_f64 v[1:2], v[1:2], v[172:173], -v[154:155]
	v_fma_f64 v[3:4], v[3:4], v[172:173], v[156:157]
	v_add_f64 v[133:134], v[133:134], v[136:137]
	v_add_f64 v[136:137], v[144:145], v[138:139]
	v_fma_f64 v[138:139], v[140:141], v[170:171], -v[146:147]
	v_fma_f64 v[140:141], v[142:143], v[170:171], v[148:149]
	v_add_f64 v[1:2], v[133:134], v[1:2]
	v_add_f64 v[3:4], v[136:137], v[3:4]
	v_mov_b32_e32 v133, s74
	s_mov_b32 s74, s75
	v_add_f64 v[1:2], v[1:2], v[138:139]
	v_add_f64 v[3:4], v[3:4], v[140:141]
	s_andn2_b32 exec_lo, exec_lo, s71
	s_cbranch_execnz .LBB61_151
; %bb.152:
	s_or_b32 exec_lo, exec_lo, s71
.LBB61_153:
	s_or_b32 exec_lo, exec_lo, s4
	v_and_b32_e32 v131, 7, v131
	s_mov_b32 s71, 0
	s_mov_b32 s4, exec_lo
	v_cmpx_ne_u32_e32 0, v131
	s_cbranch_execz .LBB61_157
; %bb.154:
	v_lshlrev_b32_e32 v133, 4, v133
	v_add_nc_u32_e32 v132, 0x3e0, v133
	.p2align	6
.LBB61_155:                             ; =>This Inner Loop Header: Depth=1
	s_clause 0x3
	buffer_load_dword v140, v133, s[0:3], 0 offen offset:8
	buffer_load_dword v141, v133, s[0:3], 0 offen offset:12
	buffer_load_dword v142, v133, s[0:3], 0 offen
	buffer_load_dword v143, v133, s[0:3], 0 offen offset:4
	ds_read_b128 v[136:139], v132
	v_add_nc_u32_e32 v131, -1, v131
	v_add_nc_u32_e32 v132, 16, v132
	v_add_nc_u32_e32 v133, 16, v133
	v_cmp_eq_u32_e32 vcc_lo, 0, v131
	s_or_b32 s71, vcc_lo, s71
	s_waitcnt vmcnt(2) lgkmcnt(0)
	v_mul_f64 v[144:145], v[138:139], v[140:141]
	v_mul_f64 v[140:141], v[136:137], v[140:141]
	s_waitcnt vmcnt(0)
	v_fma_f64 v[136:137], v[136:137], v[142:143], -v[144:145]
	v_fma_f64 v[138:139], v[138:139], v[142:143], v[140:141]
	v_add_f64 v[1:2], v[1:2], v[136:137]
	v_add_f64 v[3:4], v[3:4], v[138:139]
	s_andn2_b32 exec_lo, exec_lo, s71
	s_cbranch_execnz .LBB61_155
; %bb.156:
	s_or_b32 exec_lo, exec_lo, s71
.LBB61_157:
	s_or_b32 exec_lo, exec_lo, s4
.LBB61_158:
	s_or_b32 exec_lo, exec_lo, s8
	v_mov_b32_e32 v131, 0
	ds_read_b128 v[131:134], v131 offset:784
	s_waitcnt lgkmcnt(0)
	v_mul_f64 v[136:137], v[3:4], v[133:134]
	v_mul_f64 v[133:134], v[1:2], v[133:134]
	v_fma_f64 v[1:2], v[1:2], v[131:132], -v[136:137]
	v_fma_f64 v[3:4], v[3:4], v[131:132], v[133:134]
	buffer_store_dword v2, off, s[0:3], 0 offset:788
	buffer_store_dword v1, off, s[0:3], 0 offset:784
	buffer_store_dword v4, off, s[0:3], 0 offset:796
	buffer_store_dword v3, off, s[0:3], 0 offset:792
.LBB61_159:
	s_or_b32 exec_lo, exec_lo, s6
	v_mov_b32_e32 v4, s22
	v_cmp_lt_u32_e64 s4, 48, v0
	s_clause 0x3
	buffer_load_dword v1, v4, s[0:3], 0 offen
	buffer_load_dword v2, v4, s[0:3], 0 offen offset:4
	buffer_load_dword v3, v4, s[0:3], 0 offen offset:8
	;; [unrolled: 1-line block ×3, first 2 shown]
	s_waitcnt vmcnt(0)
	ds_write_b128 v130, v[1:4]
	s_waitcnt lgkmcnt(0)
	s_waitcnt_vscnt null, 0x0
	s_barrier
	buffer_gl0_inv
	s_and_saveexec_b32 s6, s4
	s_cbranch_execz .LBB61_173
; %bb.160:
	ds_read_b128 v[1:4], v130
	s_andn2_b32 vcc_lo, exec_lo, s7
	s_cbranch_vccnz .LBB61_162
; %bb.161:
	s_clause 0x3
	buffer_load_dword v131, v129, s[0:3], 0 offen offset:8
	buffer_load_dword v132, v129, s[0:3], 0 offen offset:12
	buffer_load_dword v133, v129, s[0:3], 0 offen
	buffer_load_dword v134, v129, s[0:3], 0 offen offset:4
	s_waitcnt vmcnt(2) lgkmcnt(0)
	v_mul_f64 v[136:137], v[3:4], v[131:132]
	v_mul_f64 v[131:132], v[1:2], v[131:132]
	s_waitcnt vmcnt(0)
	v_fma_f64 v[1:2], v[1:2], v[133:134], -v[136:137]
	v_fma_f64 v[3:4], v[3:4], v[133:134], v[131:132]
.LBB61_162:
	s_and_saveexec_b32 s8, s5
	s_cbranch_execz .LBB61_172
; %bb.163:
	v_subrev_nc_u32_e32 v132, 50, v0
	v_mov_b32_e32 v133, 49
	v_subrev_nc_u32_e32 v131, 49, v0
	s_mov_b32 s5, exec_lo
	v_cmpx_lt_u32_e32 6, v132
	s_cbranch_execz .LBB61_167
; %bb.164:
	v_and_b32_e32 v132, -8, v131
	s_movk_i32 s72, 0x6f0
	s_mov_b32 s71, 0
	s_mov_b32 s73, s21
	;; [unrolled: 1-line block ×3, first 2 shown]
.LBB61_165:                             ; =>This Inner Loop Header: Depth=1
	v_mov_b32_e32 v136, s73
	v_mov_b32_e32 v182, s72
	s_add_i32 s75, s74, 8
	s_add_i32 s74, s74, 57
	v_cmp_eq_u32_e32 vcc_lo, s75, v132
	s_clause 0x1f
	buffer_load_dword v133, v136, s[0:3], 0 offen offset:8
	buffer_load_dword v134, v136, s[0:3], 0 offen offset:12
	buffer_load_dword v144, v136, s[0:3], 0 offen
	buffer_load_dword v145, v136, s[0:3], 0 offen offset:4
	buffer_load_dword v146, v136, s[0:3], 0 offen offset:24
	;; [unrolled: 1-line block ×29, first 2 shown]
	ds_read_b128 v[136:139], v182
	ds_read_b128 v[140:143], v182 offset:16
	s_addk_i32 s72, 0x80
	s_addk_i32 s73, 0x80
	s_or_b32 s71, vcc_lo, s71
	s_waitcnt vmcnt(30) lgkmcnt(1)
	v_mul_f64 v[174:175], v[138:139], v[133:134]
	v_mul_f64 v[133:134], v[136:137], v[133:134]
	s_waitcnt vmcnt(26) lgkmcnt(0)
	v_mul_f64 v[176:177], v[142:143], v[146:147]
	v_mul_f64 v[178:179], v[140:141], v[146:147]
	v_fma_f64 v[174:175], v[136:137], v[144:145], -v[174:175]
	v_fma_f64 v[133:134], v[138:139], v[144:145], v[133:134]
	ds_read_b128 v[136:139], v182 offset:32
	ds_read_b128 v[144:147], v182 offset:48
	s_waitcnt vmcnt(24)
	v_fma_f64 v[140:141], v[140:141], v[148:149], -v[176:177]
	v_fma_f64 v[142:143], v[142:143], v[148:149], v[178:179]
	s_waitcnt vmcnt(22) lgkmcnt(1)
	v_mul_f64 v[180:181], v[138:139], v[150:151]
	v_mul_f64 v[150:151], v[136:137], v[150:151]
	v_add_f64 v[1:2], v[1:2], v[174:175]
	v_add_f64 v[3:4], v[3:4], v[133:134]
	s_waitcnt vmcnt(18) lgkmcnt(0)
	v_mul_f64 v[133:134], v[146:147], v[154:155]
	v_mul_f64 v[148:149], v[144:145], v[154:155]
	v_fma_f64 v[154:155], v[136:137], v[152:153], -v[180:181]
	v_fma_f64 v[150:151], v[138:139], v[152:153], v[150:151]
	v_add_f64 v[140:141], v[1:2], v[140:141]
	v_add_f64 v[142:143], v[3:4], v[142:143]
	ds_read_b128 v[1:4], v182 offset:64
	ds_read_b128 v[136:139], v182 offset:80
	s_waitcnt vmcnt(16)
	v_fma_f64 v[133:134], v[144:145], v[156:157], -v[133:134]
	v_fma_f64 v[144:145], v[146:147], v[156:157], v[148:149]
	s_waitcnt vmcnt(12) lgkmcnt(1)
	v_mul_f64 v[152:153], v[3:4], v[158:159]
	v_mul_f64 v[158:159], v[1:2], v[158:159]
	v_add_f64 v[140:141], v[140:141], v[154:155]
	v_add_f64 v[142:143], v[142:143], v[150:151]
	s_waitcnt vmcnt(10) lgkmcnt(0)
	v_mul_f64 v[146:147], v[138:139], v[160:161]
	v_mul_f64 v[148:149], v[136:137], v[160:161]
	s_waitcnt vmcnt(8)
	v_fma_f64 v[150:151], v[1:2], v[164:165], -v[152:153]
	v_fma_f64 v[152:153], v[3:4], v[164:165], v[158:159]
	v_add_f64 v[133:134], v[140:141], v[133:134]
	v_add_f64 v[144:145], v[142:143], v[144:145]
	ds_read_b128 v[1:4], v182 offset:96
	ds_read_b128 v[140:143], v182 offset:112
	v_fma_f64 v[136:137], v[136:137], v[162:163], -v[146:147]
	v_fma_f64 v[138:139], v[138:139], v[162:163], v[148:149]
	s_waitcnt vmcnt(4) lgkmcnt(1)
	v_mul_f64 v[154:155], v[3:4], v[166:167]
	v_mul_f64 v[156:157], v[1:2], v[166:167]
	v_add_f64 v[133:134], v[133:134], v[150:151]
	v_add_f64 v[144:145], v[144:145], v[152:153]
	s_waitcnt vmcnt(2) lgkmcnt(0)
	v_mul_f64 v[146:147], v[142:143], v[168:169]
	v_mul_f64 v[148:149], v[140:141], v[168:169]
	s_waitcnt vmcnt(0)
	v_fma_f64 v[1:2], v[1:2], v[172:173], -v[154:155]
	v_fma_f64 v[3:4], v[3:4], v[172:173], v[156:157]
	v_add_f64 v[133:134], v[133:134], v[136:137]
	v_add_f64 v[136:137], v[144:145], v[138:139]
	v_fma_f64 v[138:139], v[140:141], v[170:171], -v[146:147]
	v_fma_f64 v[140:141], v[142:143], v[170:171], v[148:149]
	v_add_f64 v[1:2], v[133:134], v[1:2]
	v_add_f64 v[3:4], v[136:137], v[3:4]
	v_mov_b32_e32 v133, s74
	s_mov_b32 s74, s75
	v_add_f64 v[1:2], v[1:2], v[138:139]
	v_add_f64 v[3:4], v[3:4], v[140:141]
	s_andn2_b32 exec_lo, exec_lo, s71
	s_cbranch_execnz .LBB61_165
; %bb.166:
	s_or_b32 exec_lo, exec_lo, s71
.LBB61_167:
	s_or_b32 exec_lo, exec_lo, s5
	v_and_b32_e32 v131, 7, v131
	s_mov_b32 s71, 0
	s_mov_b32 s5, exec_lo
	v_cmpx_ne_u32_e32 0, v131
	s_cbranch_execz .LBB61_171
; %bb.168:
	v_lshlrev_b32_e32 v133, 4, v133
	v_add_nc_u32_e32 v132, 0x3e0, v133
	.p2align	6
.LBB61_169:                             ; =>This Inner Loop Header: Depth=1
	s_clause 0x3
	buffer_load_dword v140, v133, s[0:3], 0 offen offset:8
	buffer_load_dword v141, v133, s[0:3], 0 offen offset:12
	buffer_load_dword v142, v133, s[0:3], 0 offen
	buffer_load_dword v143, v133, s[0:3], 0 offen offset:4
	ds_read_b128 v[136:139], v132
	v_add_nc_u32_e32 v131, -1, v131
	v_add_nc_u32_e32 v132, 16, v132
	v_add_nc_u32_e32 v133, 16, v133
	v_cmp_eq_u32_e32 vcc_lo, 0, v131
	s_or_b32 s71, vcc_lo, s71
	s_waitcnt vmcnt(2) lgkmcnt(0)
	v_mul_f64 v[144:145], v[138:139], v[140:141]
	v_mul_f64 v[140:141], v[136:137], v[140:141]
	s_waitcnt vmcnt(0)
	v_fma_f64 v[136:137], v[136:137], v[142:143], -v[144:145]
	v_fma_f64 v[138:139], v[138:139], v[142:143], v[140:141]
	v_add_f64 v[1:2], v[1:2], v[136:137]
	v_add_f64 v[3:4], v[3:4], v[138:139]
	s_andn2_b32 exec_lo, exec_lo, s71
	s_cbranch_execnz .LBB61_169
; %bb.170:
	s_or_b32 exec_lo, exec_lo, s71
.LBB61_171:
	s_or_b32 exec_lo, exec_lo, s5
.LBB61_172:
	s_or_b32 exec_lo, exec_lo, s8
	v_mov_b32_e32 v131, 0
	ds_read_b128 v[131:134], v131 offset:768
	s_waitcnt lgkmcnt(0)
	v_mul_f64 v[136:137], v[3:4], v[133:134]
	v_mul_f64 v[133:134], v[1:2], v[133:134]
	v_fma_f64 v[1:2], v[1:2], v[131:132], -v[136:137]
	v_fma_f64 v[3:4], v[3:4], v[131:132], v[133:134]
	buffer_store_dword v2, off, s[0:3], 0 offset:772
	buffer_store_dword v1, off, s[0:3], 0 offset:768
	;; [unrolled: 1-line block ×4, first 2 shown]
.LBB61_173:
	s_or_b32 exec_lo, exec_lo, s6
	v_mov_b32_e32 v4, s23
	v_cmp_lt_u32_e64 s5, 47, v0
	s_clause 0x3
	buffer_load_dword v1, v4, s[0:3], 0 offen
	buffer_load_dword v2, v4, s[0:3], 0 offen offset:4
	buffer_load_dword v3, v4, s[0:3], 0 offen offset:8
	;; [unrolled: 1-line block ×3, first 2 shown]
	s_waitcnt vmcnt(0)
	ds_write_b128 v130, v[1:4]
	s_waitcnt lgkmcnt(0)
	s_waitcnt_vscnt null, 0x0
	s_barrier
	buffer_gl0_inv
	s_and_saveexec_b32 s6, s5
	s_cbranch_execz .LBB61_187
; %bb.174:
	ds_read_b128 v[1:4], v130
	s_andn2_b32 vcc_lo, exec_lo, s7
	s_cbranch_vccnz .LBB61_176
; %bb.175:
	s_clause 0x3
	buffer_load_dword v131, v129, s[0:3], 0 offen offset:8
	buffer_load_dword v132, v129, s[0:3], 0 offen offset:12
	buffer_load_dword v133, v129, s[0:3], 0 offen
	buffer_load_dword v134, v129, s[0:3], 0 offen offset:4
	s_waitcnt vmcnt(2) lgkmcnt(0)
	v_mul_f64 v[136:137], v[3:4], v[131:132]
	v_mul_f64 v[131:132], v[1:2], v[131:132]
	s_waitcnt vmcnt(0)
	v_fma_f64 v[1:2], v[1:2], v[133:134], -v[136:137]
	v_fma_f64 v[3:4], v[3:4], v[133:134], v[131:132]
.LBB61_176:
	s_and_saveexec_b32 s8, s4
	s_cbranch_execz .LBB61_186
; %bb.177:
	v_subrev_nc_u32_e32 v131, 49, v0
	v_cmp_lt_u32_e32 vcc_lo, 6, v131
	v_mov_b32_e32 v131, 48
	s_and_saveexec_b32 s4, vcc_lo
	s_cbranch_execz .LBB61_181
; %bb.178:
	v_and_b32_e32 v131, 56, v0
	s_mov_b32 s71, 48
	s_movk_i32 s73, 0x6e0
	s_mov_b32 s72, 0
	s_mov_b32 s74, s22
.LBB61_179:                             ; =>This Inner Loop Header: Depth=1
	v_mov_b32_e32 v134, s74
	s_add_i32 s71, s71, 8
	s_addk_i32 s74, 0x80
	v_cmp_eq_u32_e32 vcc_lo, s71, v131
	s_clause 0x1f
	buffer_load_dword v132, v134, s[0:3], 0 offen offset:8
	buffer_load_dword v133, v134, s[0:3], 0 offen offset:12
	buffer_load_dword v144, v134, s[0:3], 0 offen
	buffer_load_dword v145, v134, s[0:3], 0 offen offset:4
	buffer_load_dword v146, v134, s[0:3], 0 offen offset:24
	;; [unrolled: 1-line block ×29, first 2 shown]
	v_mov_b32_e32 v134, s73
	s_addk_i32 s73, 0x80
	s_or_b32 s72, vcc_lo, s72
	ds_read_b128 v[136:139], v134
	ds_read_b128 v[140:143], v134 offset:16
	s_waitcnt vmcnt(30) lgkmcnt(1)
	v_mul_f64 v[174:175], v[138:139], v[132:133]
	v_mul_f64 v[132:133], v[136:137], v[132:133]
	s_waitcnt vmcnt(26) lgkmcnt(0)
	v_mul_f64 v[176:177], v[142:143], v[146:147]
	v_mul_f64 v[178:179], v[140:141], v[146:147]
	v_fma_f64 v[174:175], v[136:137], v[144:145], -v[174:175]
	v_fma_f64 v[132:133], v[138:139], v[144:145], v[132:133]
	ds_read_b128 v[136:139], v134 offset:32
	ds_read_b128 v[144:147], v134 offset:48
	s_waitcnt vmcnt(24)
	v_fma_f64 v[140:141], v[140:141], v[148:149], -v[176:177]
	v_fma_f64 v[142:143], v[142:143], v[148:149], v[178:179]
	s_waitcnt vmcnt(22) lgkmcnt(1)
	v_mul_f64 v[180:181], v[138:139], v[150:151]
	v_mul_f64 v[150:151], v[136:137], v[150:151]
	v_add_f64 v[1:2], v[1:2], v[174:175]
	v_add_f64 v[3:4], v[3:4], v[132:133]
	s_waitcnt vmcnt(18) lgkmcnt(0)
	v_mul_f64 v[132:133], v[146:147], v[154:155]
	v_mul_f64 v[148:149], v[144:145], v[154:155]
	v_fma_f64 v[154:155], v[136:137], v[152:153], -v[180:181]
	v_fma_f64 v[150:151], v[138:139], v[152:153], v[150:151]
	v_add_f64 v[140:141], v[1:2], v[140:141]
	v_add_f64 v[142:143], v[3:4], v[142:143]
	ds_read_b128 v[1:4], v134 offset:64
	ds_read_b128 v[136:139], v134 offset:80
	s_waitcnt vmcnt(16)
	v_fma_f64 v[132:133], v[144:145], v[156:157], -v[132:133]
	v_fma_f64 v[144:145], v[146:147], v[156:157], v[148:149]
	s_waitcnt vmcnt(12) lgkmcnt(1)
	v_mul_f64 v[152:153], v[3:4], v[158:159]
	v_mul_f64 v[158:159], v[1:2], v[158:159]
	v_add_f64 v[140:141], v[140:141], v[154:155]
	v_add_f64 v[142:143], v[142:143], v[150:151]
	s_waitcnt vmcnt(10) lgkmcnt(0)
	v_mul_f64 v[146:147], v[138:139], v[160:161]
	v_mul_f64 v[148:149], v[136:137], v[160:161]
	s_waitcnt vmcnt(8)
	v_fma_f64 v[150:151], v[1:2], v[164:165], -v[152:153]
	v_fma_f64 v[152:153], v[3:4], v[164:165], v[158:159]
	v_add_f64 v[132:133], v[140:141], v[132:133]
	v_add_f64 v[144:145], v[142:143], v[144:145]
	ds_read_b128 v[1:4], v134 offset:96
	ds_read_b128 v[140:143], v134 offset:112
	v_fma_f64 v[136:137], v[136:137], v[162:163], -v[146:147]
	v_fma_f64 v[138:139], v[138:139], v[162:163], v[148:149]
	s_waitcnt vmcnt(4) lgkmcnt(1)
	v_mul_f64 v[154:155], v[3:4], v[166:167]
	v_mul_f64 v[156:157], v[1:2], v[166:167]
	v_add_f64 v[132:133], v[132:133], v[150:151]
	v_add_f64 v[144:145], v[144:145], v[152:153]
	s_waitcnt vmcnt(2) lgkmcnt(0)
	v_mul_f64 v[146:147], v[142:143], v[168:169]
	v_mul_f64 v[148:149], v[140:141], v[168:169]
	s_waitcnt vmcnt(0)
	v_fma_f64 v[1:2], v[1:2], v[172:173], -v[154:155]
	v_fma_f64 v[3:4], v[3:4], v[172:173], v[156:157]
	v_add_f64 v[132:133], v[132:133], v[136:137]
	v_add_f64 v[136:137], v[144:145], v[138:139]
	v_fma_f64 v[138:139], v[140:141], v[170:171], -v[146:147]
	v_fma_f64 v[140:141], v[142:143], v[170:171], v[148:149]
	v_add_f64 v[1:2], v[132:133], v[1:2]
	v_add_f64 v[3:4], v[136:137], v[3:4]
	;; [unrolled: 1-line block ×4, first 2 shown]
	s_andn2_b32 exec_lo, exec_lo, s72
	s_cbranch_execnz .LBB61_179
; %bb.180:
	s_or_b32 exec_lo, exec_lo, s72
.LBB61_181:
	s_or_b32 exec_lo, exec_lo, s4
	v_and_b32_e32 v132, 7, v0
	s_mov_b32 s71, 0
	s_mov_b32 s4, exec_lo
	v_cmpx_ne_u32_e32 0, v132
	s_cbranch_execz .LBB61_185
; %bb.182:
	v_lshlrev_b32_e32 v133, 4, v131
	v_add_nc_u32_e32 v131, 0x3e0, v133
	.p2align	6
.LBB61_183:                             ; =>This Inner Loop Header: Depth=1
	s_clause 0x3
	buffer_load_dword v140, v133, s[0:3], 0 offen offset:8
	buffer_load_dword v141, v133, s[0:3], 0 offen offset:12
	buffer_load_dword v142, v133, s[0:3], 0 offen
	buffer_load_dword v143, v133, s[0:3], 0 offen offset:4
	ds_read_b128 v[136:139], v131
	v_add_nc_u32_e32 v132, -1, v132
	v_add_nc_u32_e32 v131, 16, v131
	v_add_nc_u32_e32 v133, 16, v133
	v_cmp_eq_u32_e32 vcc_lo, 0, v132
	s_or_b32 s71, vcc_lo, s71
	s_waitcnt vmcnt(2) lgkmcnt(0)
	v_mul_f64 v[144:145], v[138:139], v[140:141]
	v_mul_f64 v[140:141], v[136:137], v[140:141]
	s_waitcnt vmcnt(0)
	v_fma_f64 v[136:137], v[136:137], v[142:143], -v[144:145]
	v_fma_f64 v[138:139], v[138:139], v[142:143], v[140:141]
	v_add_f64 v[1:2], v[1:2], v[136:137]
	v_add_f64 v[3:4], v[3:4], v[138:139]
	s_andn2_b32 exec_lo, exec_lo, s71
	s_cbranch_execnz .LBB61_183
; %bb.184:
	s_or_b32 exec_lo, exec_lo, s71
.LBB61_185:
	s_or_b32 exec_lo, exec_lo, s4
.LBB61_186:
	s_or_b32 exec_lo, exec_lo, s8
	v_mov_b32_e32 v131, 0
	ds_read_b128 v[131:134], v131 offset:752
	s_waitcnt lgkmcnt(0)
	v_mul_f64 v[136:137], v[3:4], v[133:134]
	v_mul_f64 v[133:134], v[1:2], v[133:134]
	v_fma_f64 v[1:2], v[1:2], v[131:132], -v[136:137]
	v_fma_f64 v[3:4], v[3:4], v[131:132], v[133:134]
	buffer_store_dword v2, off, s[0:3], 0 offset:756
	buffer_store_dword v1, off, s[0:3], 0 offset:752
	;; [unrolled: 1-line block ×4, first 2 shown]
.LBB61_187:
	s_or_b32 exec_lo, exec_lo, s6
	v_mov_b32_e32 v4, s24
	v_cmp_lt_u32_e64 s4, 46, v0
	s_clause 0x3
	buffer_load_dword v1, v4, s[0:3], 0 offen
	buffer_load_dword v2, v4, s[0:3], 0 offen offset:4
	buffer_load_dword v3, v4, s[0:3], 0 offen offset:8
	;; [unrolled: 1-line block ×3, first 2 shown]
	s_waitcnt vmcnt(0)
	ds_write_b128 v130, v[1:4]
	s_waitcnt lgkmcnt(0)
	s_waitcnt_vscnt null, 0x0
	s_barrier
	buffer_gl0_inv
	s_and_saveexec_b32 s6, s4
	s_cbranch_execz .LBB61_201
; %bb.188:
	ds_read_b128 v[1:4], v130
	s_andn2_b32 vcc_lo, exec_lo, s7
	s_cbranch_vccnz .LBB61_190
; %bb.189:
	s_clause 0x3
	buffer_load_dword v131, v129, s[0:3], 0 offen offset:8
	buffer_load_dword v132, v129, s[0:3], 0 offen offset:12
	buffer_load_dword v133, v129, s[0:3], 0 offen
	buffer_load_dword v134, v129, s[0:3], 0 offen offset:4
	s_waitcnt vmcnt(2) lgkmcnt(0)
	v_mul_f64 v[136:137], v[3:4], v[131:132]
	v_mul_f64 v[131:132], v[1:2], v[131:132]
	s_waitcnt vmcnt(0)
	v_fma_f64 v[1:2], v[1:2], v[133:134], -v[136:137]
	v_fma_f64 v[3:4], v[3:4], v[133:134], v[131:132]
.LBB61_190:
	s_and_saveexec_b32 s8, s5
	s_cbranch_execz .LBB61_200
; %bb.191:
	v_subrev_nc_u32_e32 v132, 48, v0
	v_mov_b32_e32 v133, 47
	v_subrev_nc_u32_e32 v131, 47, v0
	s_mov_b32 s5, exec_lo
	v_cmpx_lt_u32_e32 6, v132
	s_cbranch_execz .LBB61_195
; %bb.192:
	v_and_b32_e32 v132, -8, v131
	s_movk_i32 s72, 0x6d0
	s_mov_b32 s71, 0
	s_mov_b32 s73, s23
	;; [unrolled: 1-line block ×3, first 2 shown]
.LBB61_193:                             ; =>This Inner Loop Header: Depth=1
	v_mov_b32_e32 v136, s73
	v_mov_b32_e32 v182, s72
	s_add_i32 s75, s74, 8
	s_add_i32 s74, s74, 55
	v_cmp_eq_u32_e32 vcc_lo, s75, v132
	s_clause 0x1f
	buffer_load_dword v133, v136, s[0:3], 0 offen offset:8
	buffer_load_dword v134, v136, s[0:3], 0 offen offset:12
	buffer_load_dword v144, v136, s[0:3], 0 offen
	buffer_load_dword v145, v136, s[0:3], 0 offen offset:4
	buffer_load_dword v146, v136, s[0:3], 0 offen offset:24
	;; [unrolled: 1-line block ×29, first 2 shown]
	ds_read_b128 v[136:139], v182
	ds_read_b128 v[140:143], v182 offset:16
	s_addk_i32 s72, 0x80
	s_addk_i32 s73, 0x80
	s_or_b32 s71, vcc_lo, s71
	s_waitcnt vmcnt(30) lgkmcnt(1)
	v_mul_f64 v[174:175], v[138:139], v[133:134]
	v_mul_f64 v[133:134], v[136:137], v[133:134]
	s_waitcnt vmcnt(26) lgkmcnt(0)
	v_mul_f64 v[176:177], v[142:143], v[146:147]
	v_mul_f64 v[178:179], v[140:141], v[146:147]
	v_fma_f64 v[174:175], v[136:137], v[144:145], -v[174:175]
	v_fma_f64 v[133:134], v[138:139], v[144:145], v[133:134]
	ds_read_b128 v[136:139], v182 offset:32
	ds_read_b128 v[144:147], v182 offset:48
	s_waitcnt vmcnt(24)
	v_fma_f64 v[140:141], v[140:141], v[148:149], -v[176:177]
	v_fma_f64 v[142:143], v[142:143], v[148:149], v[178:179]
	s_waitcnt vmcnt(22) lgkmcnt(1)
	v_mul_f64 v[180:181], v[138:139], v[150:151]
	v_mul_f64 v[150:151], v[136:137], v[150:151]
	v_add_f64 v[1:2], v[1:2], v[174:175]
	v_add_f64 v[3:4], v[3:4], v[133:134]
	s_waitcnt vmcnt(18) lgkmcnt(0)
	v_mul_f64 v[133:134], v[146:147], v[154:155]
	v_mul_f64 v[148:149], v[144:145], v[154:155]
	v_fma_f64 v[154:155], v[136:137], v[152:153], -v[180:181]
	v_fma_f64 v[150:151], v[138:139], v[152:153], v[150:151]
	v_add_f64 v[140:141], v[1:2], v[140:141]
	v_add_f64 v[142:143], v[3:4], v[142:143]
	ds_read_b128 v[1:4], v182 offset:64
	ds_read_b128 v[136:139], v182 offset:80
	s_waitcnt vmcnt(16)
	v_fma_f64 v[133:134], v[144:145], v[156:157], -v[133:134]
	v_fma_f64 v[144:145], v[146:147], v[156:157], v[148:149]
	s_waitcnt vmcnt(12) lgkmcnt(1)
	v_mul_f64 v[152:153], v[3:4], v[158:159]
	v_mul_f64 v[158:159], v[1:2], v[158:159]
	v_add_f64 v[140:141], v[140:141], v[154:155]
	v_add_f64 v[142:143], v[142:143], v[150:151]
	s_waitcnt vmcnt(10) lgkmcnt(0)
	v_mul_f64 v[146:147], v[138:139], v[160:161]
	v_mul_f64 v[148:149], v[136:137], v[160:161]
	s_waitcnt vmcnt(8)
	v_fma_f64 v[150:151], v[1:2], v[164:165], -v[152:153]
	v_fma_f64 v[152:153], v[3:4], v[164:165], v[158:159]
	v_add_f64 v[133:134], v[140:141], v[133:134]
	v_add_f64 v[144:145], v[142:143], v[144:145]
	ds_read_b128 v[1:4], v182 offset:96
	ds_read_b128 v[140:143], v182 offset:112
	v_fma_f64 v[136:137], v[136:137], v[162:163], -v[146:147]
	v_fma_f64 v[138:139], v[138:139], v[162:163], v[148:149]
	s_waitcnt vmcnt(4) lgkmcnt(1)
	v_mul_f64 v[154:155], v[3:4], v[166:167]
	v_mul_f64 v[156:157], v[1:2], v[166:167]
	v_add_f64 v[133:134], v[133:134], v[150:151]
	v_add_f64 v[144:145], v[144:145], v[152:153]
	s_waitcnt vmcnt(2) lgkmcnt(0)
	v_mul_f64 v[146:147], v[142:143], v[168:169]
	v_mul_f64 v[148:149], v[140:141], v[168:169]
	s_waitcnt vmcnt(0)
	v_fma_f64 v[1:2], v[1:2], v[172:173], -v[154:155]
	v_fma_f64 v[3:4], v[3:4], v[172:173], v[156:157]
	v_add_f64 v[133:134], v[133:134], v[136:137]
	v_add_f64 v[136:137], v[144:145], v[138:139]
	v_fma_f64 v[138:139], v[140:141], v[170:171], -v[146:147]
	v_fma_f64 v[140:141], v[142:143], v[170:171], v[148:149]
	v_add_f64 v[1:2], v[133:134], v[1:2]
	v_add_f64 v[3:4], v[136:137], v[3:4]
	v_mov_b32_e32 v133, s74
	s_mov_b32 s74, s75
	v_add_f64 v[1:2], v[1:2], v[138:139]
	v_add_f64 v[3:4], v[3:4], v[140:141]
	s_andn2_b32 exec_lo, exec_lo, s71
	s_cbranch_execnz .LBB61_193
; %bb.194:
	s_or_b32 exec_lo, exec_lo, s71
.LBB61_195:
	s_or_b32 exec_lo, exec_lo, s5
	v_and_b32_e32 v131, 7, v131
	s_mov_b32 s71, 0
	s_mov_b32 s5, exec_lo
	v_cmpx_ne_u32_e32 0, v131
	s_cbranch_execz .LBB61_199
; %bb.196:
	v_lshlrev_b32_e32 v133, 4, v133
	v_add_nc_u32_e32 v132, 0x3e0, v133
	.p2align	6
.LBB61_197:                             ; =>This Inner Loop Header: Depth=1
	s_clause 0x3
	buffer_load_dword v140, v133, s[0:3], 0 offen offset:8
	buffer_load_dword v141, v133, s[0:3], 0 offen offset:12
	buffer_load_dword v142, v133, s[0:3], 0 offen
	buffer_load_dword v143, v133, s[0:3], 0 offen offset:4
	ds_read_b128 v[136:139], v132
	v_add_nc_u32_e32 v131, -1, v131
	v_add_nc_u32_e32 v132, 16, v132
	v_add_nc_u32_e32 v133, 16, v133
	v_cmp_eq_u32_e32 vcc_lo, 0, v131
	s_or_b32 s71, vcc_lo, s71
	s_waitcnt vmcnt(2) lgkmcnt(0)
	v_mul_f64 v[144:145], v[138:139], v[140:141]
	v_mul_f64 v[140:141], v[136:137], v[140:141]
	s_waitcnt vmcnt(0)
	v_fma_f64 v[136:137], v[136:137], v[142:143], -v[144:145]
	v_fma_f64 v[138:139], v[138:139], v[142:143], v[140:141]
	v_add_f64 v[1:2], v[1:2], v[136:137]
	v_add_f64 v[3:4], v[3:4], v[138:139]
	s_andn2_b32 exec_lo, exec_lo, s71
	s_cbranch_execnz .LBB61_197
; %bb.198:
	s_or_b32 exec_lo, exec_lo, s71
.LBB61_199:
	s_or_b32 exec_lo, exec_lo, s5
.LBB61_200:
	s_or_b32 exec_lo, exec_lo, s8
	v_mov_b32_e32 v131, 0
	ds_read_b128 v[131:134], v131 offset:736
	s_waitcnt lgkmcnt(0)
	v_mul_f64 v[136:137], v[3:4], v[133:134]
	v_mul_f64 v[133:134], v[1:2], v[133:134]
	v_fma_f64 v[1:2], v[1:2], v[131:132], -v[136:137]
	v_fma_f64 v[3:4], v[3:4], v[131:132], v[133:134]
	buffer_store_dword v2, off, s[0:3], 0 offset:740
	buffer_store_dword v1, off, s[0:3], 0 offset:736
	;; [unrolled: 1-line block ×4, first 2 shown]
.LBB61_201:
	s_or_b32 exec_lo, exec_lo, s6
	v_mov_b32_e32 v4, s25
	v_cmp_lt_u32_e64 s5, 45, v0
	s_clause 0x3
	buffer_load_dword v1, v4, s[0:3], 0 offen
	buffer_load_dword v2, v4, s[0:3], 0 offen offset:4
	buffer_load_dword v3, v4, s[0:3], 0 offen offset:8
	;; [unrolled: 1-line block ×3, first 2 shown]
	s_waitcnt vmcnt(0)
	ds_write_b128 v130, v[1:4]
	s_waitcnt lgkmcnt(0)
	s_waitcnt_vscnt null, 0x0
	s_barrier
	buffer_gl0_inv
	s_and_saveexec_b32 s6, s5
	s_cbranch_execz .LBB61_215
; %bb.202:
	ds_read_b128 v[1:4], v130
	s_andn2_b32 vcc_lo, exec_lo, s7
	s_cbranch_vccnz .LBB61_204
; %bb.203:
	s_clause 0x3
	buffer_load_dword v131, v129, s[0:3], 0 offen offset:8
	buffer_load_dword v132, v129, s[0:3], 0 offen offset:12
	buffer_load_dword v133, v129, s[0:3], 0 offen
	buffer_load_dword v134, v129, s[0:3], 0 offen offset:4
	s_waitcnt vmcnt(2) lgkmcnt(0)
	v_mul_f64 v[136:137], v[3:4], v[131:132]
	v_mul_f64 v[131:132], v[1:2], v[131:132]
	s_waitcnt vmcnt(0)
	v_fma_f64 v[1:2], v[1:2], v[133:134], -v[136:137]
	v_fma_f64 v[3:4], v[3:4], v[133:134], v[131:132]
.LBB61_204:
	s_and_saveexec_b32 s8, s4
	s_cbranch_execz .LBB61_214
; %bb.205:
	v_subrev_nc_u32_e32 v132, 47, v0
	v_mov_b32_e32 v133, 46
	v_subrev_nc_u32_e32 v131, 46, v0
	s_mov_b32 s4, exec_lo
	v_cmpx_lt_u32_e32 6, v132
	s_cbranch_execz .LBB61_209
; %bb.206:
	v_and_b32_e32 v132, -8, v131
	s_movk_i32 s72, 0x6c0
	s_mov_b32 s71, 0
	s_mov_b32 s73, s24
	;; [unrolled: 1-line block ×3, first 2 shown]
.LBB61_207:                             ; =>This Inner Loop Header: Depth=1
	v_mov_b32_e32 v136, s73
	v_mov_b32_e32 v182, s72
	s_add_i32 s75, s74, 8
	s_add_i32 s74, s74, 54
	v_cmp_eq_u32_e32 vcc_lo, s75, v132
	s_clause 0x1f
	buffer_load_dword v133, v136, s[0:3], 0 offen offset:8
	buffer_load_dword v134, v136, s[0:3], 0 offen offset:12
	buffer_load_dword v144, v136, s[0:3], 0 offen
	buffer_load_dword v145, v136, s[0:3], 0 offen offset:4
	buffer_load_dword v146, v136, s[0:3], 0 offen offset:24
	;; [unrolled: 1-line block ×29, first 2 shown]
	ds_read_b128 v[136:139], v182
	ds_read_b128 v[140:143], v182 offset:16
	s_addk_i32 s72, 0x80
	s_addk_i32 s73, 0x80
	s_or_b32 s71, vcc_lo, s71
	s_waitcnt vmcnt(30) lgkmcnt(1)
	v_mul_f64 v[174:175], v[138:139], v[133:134]
	v_mul_f64 v[133:134], v[136:137], v[133:134]
	s_waitcnt vmcnt(26) lgkmcnt(0)
	v_mul_f64 v[176:177], v[142:143], v[146:147]
	v_mul_f64 v[178:179], v[140:141], v[146:147]
	v_fma_f64 v[174:175], v[136:137], v[144:145], -v[174:175]
	v_fma_f64 v[133:134], v[138:139], v[144:145], v[133:134]
	ds_read_b128 v[136:139], v182 offset:32
	ds_read_b128 v[144:147], v182 offset:48
	s_waitcnt vmcnt(24)
	v_fma_f64 v[140:141], v[140:141], v[148:149], -v[176:177]
	v_fma_f64 v[142:143], v[142:143], v[148:149], v[178:179]
	s_waitcnt vmcnt(22) lgkmcnt(1)
	v_mul_f64 v[180:181], v[138:139], v[150:151]
	v_mul_f64 v[150:151], v[136:137], v[150:151]
	v_add_f64 v[1:2], v[1:2], v[174:175]
	v_add_f64 v[3:4], v[3:4], v[133:134]
	s_waitcnt vmcnt(18) lgkmcnt(0)
	v_mul_f64 v[133:134], v[146:147], v[154:155]
	v_mul_f64 v[148:149], v[144:145], v[154:155]
	v_fma_f64 v[154:155], v[136:137], v[152:153], -v[180:181]
	v_fma_f64 v[150:151], v[138:139], v[152:153], v[150:151]
	v_add_f64 v[140:141], v[1:2], v[140:141]
	v_add_f64 v[142:143], v[3:4], v[142:143]
	ds_read_b128 v[1:4], v182 offset:64
	ds_read_b128 v[136:139], v182 offset:80
	s_waitcnt vmcnt(16)
	v_fma_f64 v[133:134], v[144:145], v[156:157], -v[133:134]
	v_fma_f64 v[144:145], v[146:147], v[156:157], v[148:149]
	s_waitcnt vmcnt(12) lgkmcnt(1)
	v_mul_f64 v[152:153], v[3:4], v[158:159]
	v_mul_f64 v[158:159], v[1:2], v[158:159]
	v_add_f64 v[140:141], v[140:141], v[154:155]
	v_add_f64 v[142:143], v[142:143], v[150:151]
	s_waitcnt vmcnt(10) lgkmcnt(0)
	v_mul_f64 v[146:147], v[138:139], v[160:161]
	v_mul_f64 v[148:149], v[136:137], v[160:161]
	s_waitcnt vmcnt(8)
	v_fma_f64 v[150:151], v[1:2], v[164:165], -v[152:153]
	v_fma_f64 v[152:153], v[3:4], v[164:165], v[158:159]
	v_add_f64 v[133:134], v[140:141], v[133:134]
	v_add_f64 v[144:145], v[142:143], v[144:145]
	ds_read_b128 v[1:4], v182 offset:96
	ds_read_b128 v[140:143], v182 offset:112
	v_fma_f64 v[136:137], v[136:137], v[162:163], -v[146:147]
	v_fma_f64 v[138:139], v[138:139], v[162:163], v[148:149]
	s_waitcnt vmcnt(4) lgkmcnt(1)
	v_mul_f64 v[154:155], v[3:4], v[166:167]
	v_mul_f64 v[156:157], v[1:2], v[166:167]
	v_add_f64 v[133:134], v[133:134], v[150:151]
	v_add_f64 v[144:145], v[144:145], v[152:153]
	s_waitcnt vmcnt(2) lgkmcnt(0)
	v_mul_f64 v[146:147], v[142:143], v[168:169]
	v_mul_f64 v[148:149], v[140:141], v[168:169]
	s_waitcnt vmcnt(0)
	v_fma_f64 v[1:2], v[1:2], v[172:173], -v[154:155]
	v_fma_f64 v[3:4], v[3:4], v[172:173], v[156:157]
	v_add_f64 v[133:134], v[133:134], v[136:137]
	v_add_f64 v[136:137], v[144:145], v[138:139]
	v_fma_f64 v[138:139], v[140:141], v[170:171], -v[146:147]
	v_fma_f64 v[140:141], v[142:143], v[170:171], v[148:149]
	v_add_f64 v[1:2], v[133:134], v[1:2]
	v_add_f64 v[3:4], v[136:137], v[3:4]
	v_mov_b32_e32 v133, s74
	s_mov_b32 s74, s75
	v_add_f64 v[1:2], v[1:2], v[138:139]
	v_add_f64 v[3:4], v[3:4], v[140:141]
	s_andn2_b32 exec_lo, exec_lo, s71
	s_cbranch_execnz .LBB61_207
; %bb.208:
	s_or_b32 exec_lo, exec_lo, s71
.LBB61_209:
	s_or_b32 exec_lo, exec_lo, s4
	v_and_b32_e32 v131, 7, v131
	s_mov_b32 s71, 0
	s_mov_b32 s4, exec_lo
	v_cmpx_ne_u32_e32 0, v131
	s_cbranch_execz .LBB61_213
; %bb.210:
	v_lshlrev_b32_e32 v133, 4, v133
	v_add_nc_u32_e32 v132, 0x3e0, v133
	.p2align	6
.LBB61_211:                             ; =>This Inner Loop Header: Depth=1
	s_clause 0x3
	buffer_load_dword v140, v133, s[0:3], 0 offen offset:8
	buffer_load_dword v141, v133, s[0:3], 0 offen offset:12
	buffer_load_dword v142, v133, s[0:3], 0 offen
	buffer_load_dword v143, v133, s[0:3], 0 offen offset:4
	ds_read_b128 v[136:139], v132
	v_add_nc_u32_e32 v131, -1, v131
	v_add_nc_u32_e32 v132, 16, v132
	v_add_nc_u32_e32 v133, 16, v133
	v_cmp_eq_u32_e32 vcc_lo, 0, v131
	s_or_b32 s71, vcc_lo, s71
	s_waitcnt vmcnt(2) lgkmcnt(0)
	v_mul_f64 v[144:145], v[138:139], v[140:141]
	v_mul_f64 v[140:141], v[136:137], v[140:141]
	s_waitcnt vmcnt(0)
	v_fma_f64 v[136:137], v[136:137], v[142:143], -v[144:145]
	v_fma_f64 v[138:139], v[138:139], v[142:143], v[140:141]
	v_add_f64 v[1:2], v[1:2], v[136:137]
	v_add_f64 v[3:4], v[3:4], v[138:139]
	s_andn2_b32 exec_lo, exec_lo, s71
	s_cbranch_execnz .LBB61_211
; %bb.212:
	s_or_b32 exec_lo, exec_lo, s71
.LBB61_213:
	s_or_b32 exec_lo, exec_lo, s4
.LBB61_214:
	s_or_b32 exec_lo, exec_lo, s8
	v_mov_b32_e32 v131, 0
	ds_read_b128 v[131:134], v131 offset:720
	s_waitcnt lgkmcnt(0)
	v_mul_f64 v[136:137], v[3:4], v[133:134]
	v_mul_f64 v[133:134], v[1:2], v[133:134]
	v_fma_f64 v[1:2], v[1:2], v[131:132], -v[136:137]
	v_fma_f64 v[3:4], v[3:4], v[131:132], v[133:134]
	buffer_store_dword v2, off, s[0:3], 0 offset:724
	buffer_store_dword v1, off, s[0:3], 0 offset:720
	;; [unrolled: 1-line block ×4, first 2 shown]
.LBB61_215:
	s_or_b32 exec_lo, exec_lo, s6
	v_mov_b32_e32 v4, s26
	v_cmp_lt_u32_e64 s4, 44, v0
	s_clause 0x3
	buffer_load_dword v1, v4, s[0:3], 0 offen
	buffer_load_dword v2, v4, s[0:3], 0 offen offset:4
	buffer_load_dword v3, v4, s[0:3], 0 offen offset:8
	;; [unrolled: 1-line block ×3, first 2 shown]
	s_waitcnt vmcnt(0)
	ds_write_b128 v130, v[1:4]
	s_waitcnt lgkmcnt(0)
	s_waitcnt_vscnt null, 0x0
	s_barrier
	buffer_gl0_inv
	s_and_saveexec_b32 s6, s4
	s_cbranch_execz .LBB61_229
; %bb.216:
	ds_read_b128 v[1:4], v130
	s_andn2_b32 vcc_lo, exec_lo, s7
	s_cbranch_vccnz .LBB61_218
; %bb.217:
	s_clause 0x3
	buffer_load_dword v131, v129, s[0:3], 0 offen offset:8
	buffer_load_dword v132, v129, s[0:3], 0 offen offset:12
	buffer_load_dword v133, v129, s[0:3], 0 offen
	buffer_load_dword v134, v129, s[0:3], 0 offen offset:4
	s_waitcnt vmcnt(2) lgkmcnt(0)
	v_mul_f64 v[136:137], v[3:4], v[131:132]
	v_mul_f64 v[131:132], v[1:2], v[131:132]
	s_waitcnt vmcnt(0)
	v_fma_f64 v[1:2], v[1:2], v[133:134], -v[136:137]
	v_fma_f64 v[3:4], v[3:4], v[133:134], v[131:132]
.LBB61_218:
	s_and_saveexec_b32 s8, s5
	s_cbranch_execz .LBB61_228
; %bb.219:
	v_subrev_nc_u32_e32 v132, 46, v0
	v_mov_b32_e32 v133, 45
	v_subrev_nc_u32_e32 v131, 45, v0
	s_mov_b32 s5, exec_lo
	v_cmpx_lt_u32_e32 6, v132
	s_cbranch_execz .LBB61_223
; %bb.220:
	v_and_b32_e32 v132, -8, v131
	s_movk_i32 s72, 0x6b0
	s_mov_b32 s71, 0
	s_mov_b32 s73, s25
	;; [unrolled: 1-line block ×3, first 2 shown]
.LBB61_221:                             ; =>This Inner Loop Header: Depth=1
	v_mov_b32_e32 v136, s73
	v_mov_b32_e32 v182, s72
	s_add_i32 s75, s74, 8
	s_add_i32 s74, s74, 53
	v_cmp_eq_u32_e32 vcc_lo, s75, v132
	s_clause 0x1f
	buffer_load_dword v133, v136, s[0:3], 0 offen offset:8
	buffer_load_dword v134, v136, s[0:3], 0 offen offset:12
	buffer_load_dword v144, v136, s[0:3], 0 offen
	buffer_load_dword v145, v136, s[0:3], 0 offen offset:4
	buffer_load_dword v146, v136, s[0:3], 0 offen offset:24
	;; [unrolled: 1-line block ×29, first 2 shown]
	ds_read_b128 v[136:139], v182
	ds_read_b128 v[140:143], v182 offset:16
	s_addk_i32 s72, 0x80
	s_addk_i32 s73, 0x80
	s_or_b32 s71, vcc_lo, s71
	s_waitcnt vmcnt(30) lgkmcnt(1)
	v_mul_f64 v[174:175], v[138:139], v[133:134]
	v_mul_f64 v[133:134], v[136:137], v[133:134]
	s_waitcnt vmcnt(26) lgkmcnt(0)
	v_mul_f64 v[176:177], v[142:143], v[146:147]
	v_mul_f64 v[178:179], v[140:141], v[146:147]
	v_fma_f64 v[174:175], v[136:137], v[144:145], -v[174:175]
	v_fma_f64 v[133:134], v[138:139], v[144:145], v[133:134]
	ds_read_b128 v[136:139], v182 offset:32
	ds_read_b128 v[144:147], v182 offset:48
	s_waitcnt vmcnt(24)
	v_fma_f64 v[140:141], v[140:141], v[148:149], -v[176:177]
	v_fma_f64 v[142:143], v[142:143], v[148:149], v[178:179]
	s_waitcnt vmcnt(22) lgkmcnt(1)
	v_mul_f64 v[180:181], v[138:139], v[150:151]
	v_mul_f64 v[150:151], v[136:137], v[150:151]
	v_add_f64 v[1:2], v[1:2], v[174:175]
	v_add_f64 v[3:4], v[3:4], v[133:134]
	s_waitcnt vmcnt(18) lgkmcnt(0)
	v_mul_f64 v[133:134], v[146:147], v[154:155]
	v_mul_f64 v[148:149], v[144:145], v[154:155]
	v_fma_f64 v[154:155], v[136:137], v[152:153], -v[180:181]
	v_fma_f64 v[150:151], v[138:139], v[152:153], v[150:151]
	v_add_f64 v[140:141], v[1:2], v[140:141]
	v_add_f64 v[142:143], v[3:4], v[142:143]
	ds_read_b128 v[1:4], v182 offset:64
	ds_read_b128 v[136:139], v182 offset:80
	s_waitcnt vmcnt(16)
	v_fma_f64 v[133:134], v[144:145], v[156:157], -v[133:134]
	v_fma_f64 v[144:145], v[146:147], v[156:157], v[148:149]
	s_waitcnt vmcnt(12) lgkmcnt(1)
	v_mul_f64 v[152:153], v[3:4], v[158:159]
	v_mul_f64 v[158:159], v[1:2], v[158:159]
	v_add_f64 v[140:141], v[140:141], v[154:155]
	v_add_f64 v[142:143], v[142:143], v[150:151]
	s_waitcnt vmcnt(10) lgkmcnt(0)
	v_mul_f64 v[146:147], v[138:139], v[160:161]
	v_mul_f64 v[148:149], v[136:137], v[160:161]
	s_waitcnt vmcnt(8)
	v_fma_f64 v[150:151], v[1:2], v[164:165], -v[152:153]
	v_fma_f64 v[152:153], v[3:4], v[164:165], v[158:159]
	v_add_f64 v[133:134], v[140:141], v[133:134]
	v_add_f64 v[144:145], v[142:143], v[144:145]
	ds_read_b128 v[1:4], v182 offset:96
	ds_read_b128 v[140:143], v182 offset:112
	v_fma_f64 v[136:137], v[136:137], v[162:163], -v[146:147]
	v_fma_f64 v[138:139], v[138:139], v[162:163], v[148:149]
	s_waitcnt vmcnt(4) lgkmcnt(1)
	v_mul_f64 v[154:155], v[3:4], v[166:167]
	v_mul_f64 v[156:157], v[1:2], v[166:167]
	v_add_f64 v[133:134], v[133:134], v[150:151]
	v_add_f64 v[144:145], v[144:145], v[152:153]
	s_waitcnt vmcnt(2) lgkmcnt(0)
	v_mul_f64 v[146:147], v[142:143], v[168:169]
	v_mul_f64 v[148:149], v[140:141], v[168:169]
	s_waitcnt vmcnt(0)
	v_fma_f64 v[1:2], v[1:2], v[172:173], -v[154:155]
	v_fma_f64 v[3:4], v[3:4], v[172:173], v[156:157]
	v_add_f64 v[133:134], v[133:134], v[136:137]
	v_add_f64 v[136:137], v[144:145], v[138:139]
	v_fma_f64 v[138:139], v[140:141], v[170:171], -v[146:147]
	v_fma_f64 v[140:141], v[142:143], v[170:171], v[148:149]
	v_add_f64 v[1:2], v[133:134], v[1:2]
	v_add_f64 v[3:4], v[136:137], v[3:4]
	v_mov_b32_e32 v133, s74
	s_mov_b32 s74, s75
	v_add_f64 v[1:2], v[1:2], v[138:139]
	v_add_f64 v[3:4], v[3:4], v[140:141]
	s_andn2_b32 exec_lo, exec_lo, s71
	s_cbranch_execnz .LBB61_221
; %bb.222:
	s_or_b32 exec_lo, exec_lo, s71
.LBB61_223:
	s_or_b32 exec_lo, exec_lo, s5
	v_and_b32_e32 v131, 7, v131
	s_mov_b32 s71, 0
	s_mov_b32 s5, exec_lo
	v_cmpx_ne_u32_e32 0, v131
	s_cbranch_execz .LBB61_227
; %bb.224:
	v_lshlrev_b32_e32 v133, 4, v133
	v_add_nc_u32_e32 v132, 0x3e0, v133
	.p2align	6
.LBB61_225:                             ; =>This Inner Loop Header: Depth=1
	s_clause 0x3
	buffer_load_dword v140, v133, s[0:3], 0 offen offset:8
	buffer_load_dword v141, v133, s[0:3], 0 offen offset:12
	buffer_load_dword v142, v133, s[0:3], 0 offen
	buffer_load_dword v143, v133, s[0:3], 0 offen offset:4
	ds_read_b128 v[136:139], v132
	v_add_nc_u32_e32 v131, -1, v131
	v_add_nc_u32_e32 v132, 16, v132
	v_add_nc_u32_e32 v133, 16, v133
	v_cmp_eq_u32_e32 vcc_lo, 0, v131
	s_or_b32 s71, vcc_lo, s71
	s_waitcnt vmcnt(2) lgkmcnt(0)
	v_mul_f64 v[144:145], v[138:139], v[140:141]
	v_mul_f64 v[140:141], v[136:137], v[140:141]
	s_waitcnt vmcnt(0)
	v_fma_f64 v[136:137], v[136:137], v[142:143], -v[144:145]
	v_fma_f64 v[138:139], v[138:139], v[142:143], v[140:141]
	v_add_f64 v[1:2], v[1:2], v[136:137]
	v_add_f64 v[3:4], v[3:4], v[138:139]
	s_andn2_b32 exec_lo, exec_lo, s71
	s_cbranch_execnz .LBB61_225
; %bb.226:
	s_or_b32 exec_lo, exec_lo, s71
.LBB61_227:
	s_or_b32 exec_lo, exec_lo, s5
.LBB61_228:
	s_or_b32 exec_lo, exec_lo, s8
	v_mov_b32_e32 v131, 0
	ds_read_b128 v[131:134], v131 offset:704
	s_waitcnt lgkmcnt(0)
	v_mul_f64 v[136:137], v[3:4], v[133:134]
	v_mul_f64 v[133:134], v[1:2], v[133:134]
	v_fma_f64 v[1:2], v[1:2], v[131:132], -v[136:137]
	v_fma_f64 v[3:4], v[3:4], v[131:132], v[133:134]
	buffer_store_dword v2, off, s[0:3], 0 offset:708
	buffer_store_dword v1, off, s[0:3], 0 offset:704
	buffer_store_dword v4, off, s[0:3], 0 offset:716
	buffer_store_dword v3, off, s[0:3], 0 offset:712
.LBB61_229:
	s_or_b32 exec_lo, exec_lo, s6
	v_mov_b32_e32 v4, s27
	v_cmp_lt_u32_e64 s5, 43, v0
	s_clause 0x3
	buffer_load_dword v1, v4, s[0:3], 0 offen
	buffer_load_dword v2, v4, s[0:3], 0 offen offset:4
	buffer_load_dword v3, v4, s[0:3], 0 offen offset:8
	;; [unrolled: 1-line block ×3, first 2 shown]
	s_waitcnt vmcnt(0)
	ds_write_b128 v130, v[1:4]
	s_waitcnt lgkmcnt(0)
	s_waitcnt_vscnt null, 0x0
	s_barrier
	buffer_gl0_inv
	s_and_saveexec_b32 s6, s5
	s_cbranch_execz .LBB61_243
; %bb.230:
	ds_read_b128 v[1:4], v130
	s_andn2_b32 vcc_lo, exec_lo, s7
	s_cbranch_vccnz .LBB61_232
; %bb.231:
	s_clause 0x3
	buffer_load_dword v131, v129, s[0:3], 0 offen offset:8
	buffer_load_dword v132, v129, s[0:3], 0 offen offset:12
	buffer_load_dword v133, v129, s[0:3], 0 offen
	buffer_load_dword v134, v129, s[0:3], 0 offen offset:4
	s_waitcnt vmcnt(2) lgkmcnt(0)
	v_mul_f64 v[136:137], v[3:4], v[131:132]
	v_mul_f64 v[131:132], v[1:2], v[131:132]
	s_waitcnt vmcnt(0)
	v_fma_f64 v[1:2], v[1:2], v[133:134], -v[136:137]
	v_fma_f64 v[3:4], v[3:4], v[133:134], v[131:132]
.LBB61_232:
	s_and_saveexec_b32 s8, s4
	s_cbranch_execz .LBB61_242
; %bb.233:
	v_subrev_nc_u32_e32 v132, 45, v0
	v_mov_b32_e32 v133, 44
	v_subrev_nc_u32_e32 v131, 44, v0
	s_mov_b32 s4, exec_lo
	v_cmpx_lt_u32_e32 6, v132
	s_cbranch_execz .LBB61_237
; %bb.234:
	v_and_b32_e32 v132, -8, v131
	s_movk_i32 s72, 0x6a0
	s_mov_b32 s71, 0
	s_mov_b32 s73, s26
	;; [unrolled: 1-line block ×3, first 2 shown]
.LBB61_235:                             ; =>This Inner Loop Header: Depth=1
	v_mov_b32_e32 v136, s73
	v_mov_b32_e32 v182, s72
	s_add_i32 s75, s74, 8
	s_add_i32 s74, s74, 52
	v_cmp_eq_u32_e32 vcc_lo, s75, v132
	s_clause 0x1f
	buffer_load_dword v133, v136, s[0:3], 0 offen offset:8
	buffer_load_dword v134, v136, s[0:3], 0 offen offset:12
	buffer_load_dword v144, v136, s[0:3], 0 offen
	buffer_load_dword v145, v136, s[0:3], 0 offen offset:4
	buffer_load_dword v146, v136, s[0:3], 0 offen offset:24
	;; [unrolled: 1-line block ×29, first 2 shown]
	ds_read_b128 v[136:139], v182
	ds_read_b128 v[140:143], v182 offset:16
	s_addk_i32 s72, 0x80
	s_addk_i32 s73, 0x80
	s_or_b32 s71, vcc_lo, s71
	s_waitcnt vmcnt(30) lgkmcnt(1)
	v_mul_f64 v[174:175], v[138:139], v[133:134]
	v_mul_f64 v[133:134], v[136:137], v[133:134]
	s_waitcnt vmcnt(26) lgkmcnt(0)
	v_mul_f64 v[176:177], v[142:143], v[146:147]
	v_mul_f64 v[178:179], v[140:141], v[146:147]
	v_fma_f64 v[174:175], v[136:137], v[144:145], -v[174:175]
	v_fma_f64 v[133:134], v[138:139], v[144:145], v[133:134]
	ds_read_b128 v[136:139], v182 offset:32
	ds_read_b128 v[144:147], v182 offset:48
	s_waitcnt vmcnt(24)
	v_fma_f64 v[140:141], v[140:141], v[148:149], -v[176:177]
	v_fma_f64 v[142:143], v[142:143], v[148:149], v[178:179]
	s_waitcnt vmcnt(22) lgkmcnt(1)
	v_mul_f64 v[180:181], v[138:139], v[150:151]
	v_mul_f64 v[150:151], v[136:137], v[150:151]
	v_add_f64 v[1:2], v[1:2], v[174:175]
	v_add_f64 v[3:4], v[3:4], v[133:134]
	s_waitcnt vmcnt(18) lgkmcnt(0)
	v_mul_f64 v[133:134], v[146:147], v[154:155]
	v_mul_f64 v[148:149], v[144:145], v[154:155]
	v_fma_f64 v[154:155], v[136:137], v[152:153], -v[180:181]
	v_fma_f64 v[150:151], v[138:139], v[152:153], v[150:151]
	v_add_f64 v[140:141], v[1:2], v[140:141]
	v_add_f64 v[142:143], v[3:4], v[142:143]
	ds_read_b128 v[1:4], v182 offset:64
	ds_read_b128 v[136:139], v182 offset:80
	s_waitcnt vmcnt(16)
	v_fma_f64 v[133:134], v[144:145], v[156:157], -v[133:134]
	v_fma_f64 v[144:145], v[146:147], v[156:157], v[148:149]
	s_waitcnt vmcnt(12) lgkmcnt(1)
	v_mul_f64 v[152:153], v[3:4], v[158:159]
	v_mul_f64 v[158:159], v[1:2], v[158:159]
	v_add_f64 v[140:141], v[140:141], v[154:155]
	v_add_f64 v[142:143], v[142:143], v[150:151]
	s_waitcnt vmcnt(10) lgkmcnt(0)
	v_mul_f64 v[146:147], v[138:139], v[160:161]
	v_mul_f64 v[148:149], v[136:137], v[160:161]
	s_waitcnt vmcnt(8)
	v_fma_f64 v[150:151], v[1:2], v[164:165], -v[152:153]
	v_fma_f64 v[152:153], v[3:4], v[164:165], v[158:159]
	v_add_f64 v[133:134], v[140:141], v[133:134]
	v_add_f64 v[144:145], v[142:143], v[144:145]
	ds_read_b128 v[1:4], v182 offset:96
	ds_read_b128 v[140:143], v182 offset:112
	v_fma_f64 v[136:137], v[136:137], v[162:163], -v[146:147]
	v_fma_f64 v[138:139], v[138:139], v[162:163], v[148:149]
	s_waitcnt vmcnt(4) lgkmcnt(1)
	v_mul_f64 v[154:155], v[3:4], v[166:167]
	v_mul_f64 v[156:157], v[1:2], v[166:167]
	v_add_f64 v[133:134], v[133:134], v[150:151]
	v_add_f64 v[144:145], v[144:145], v[152:153]
	s_waitcnt vmcnt(2) lgkmcnt(0)
	v_mul_f64 v[146:147], v[142:143], v[168:169]
	v_mul_f64 v[148:149], v[140:141], v[168:169]
	s_waitcnt vmcnt(0)
	v_fma_f64 v[1:2], v[1:2], v[172:173], -v[154:155]
	v_fma_f64 v[3:4], v[3:4], v[172:173], v[156:157]
	v_add_f64 v[133:134], v[133:134], v[136:137]
	v_add_f64 v[136:137], v[144:145], v[138:139]
	v_fma_f64 v[138:139], v[140:141], v[170:171], -v[146:147]
	v_fma_f64 v[140:141], v[142:143], v[170:171], v[148:149]
	v_add_f64 v[1:2], v[133:134], v[1:2]
	v_add_f64 v[3:4], v[136:137], v[3:4]
	v_mov_b32_e32 v133, s74
	s_mov_b32 s74, s75
	v_add_f64 v[1:2], v[1:2], v[138:139]
	v_add_f64 v[3:4], v[3:4], v[140:141]
	s_andn2_b32 exec_lo, exec_lo, s71
	s_cbranch_execnz .LBB61_235
; %bb.236:
	s_or_b32 exec_lo, exec_lo, s71
.LBB61_237:
	s_or_b32 exec_lo, exec_lo, s4
	v_and_b32_e32 v131, 7, v131
	s_mov_b32 s71, 0
	s_mov_b32 s4, exec_lo
	v_cmpx_ne_u32_e32 0, v131
	s_cbranch_execz .LBB61_241
; %bb.238:
	v_lshlrev_b32_e32 v133, 4, v133
	v_add_nc_u32_e32 v132, 0x3e0, v133
	.p2align	6
.LBB61_239:                             ; =>This Inner Loop Header: Depth=1
	s_clause 0x3
	buffer_load_dword v140, v133, s[0:3], 0 offen offset:8
	buffer_load_dword v141, v133, s[0:3], 0 offen offset:12
	buffer_load_dword v142, v133, s[0:3], 0 offen
	buffer_load_dword v143, v133, s[0:3], 0 offen offset:4
	ds_read_b128 v[136:139], v132
	v_add_nc_u32_e32 v131, -1, v131
	v_add_nc_u32_e32 v132, 16, v132
	v_add_nc_u32_e32 v133, 16, v133
	v_cmp_eq_u32_e32 vcc_lo, 0, v131
	s_or_b32 s71, vcc_lo, s71
	s_waitcnt vmcnt(2) lgkmcnt(0)
	v_mul_f64 v[144:145], v[138:139], v[140:141]
	v_mul_f64 v[140:141], v[136:137], v[140:141]
	s_waitcnt vmcnt(0)
	v_fma_f64 v[136:137], v[136:137], v[142:143], -v[144:145]
	v_fma_f64 v[138:139], v[138:139], v[142:143], v[140:141]
	v_add_f64 v[1:2], v[1:2], v[136:137]
	v_add_f64 v[3:4], v[3:4], v[138:139]
	s_andn2_b32 exec_lo, exec_lo, s71
	s_cbranch_execnz .LBB61_239
; %bb.240:
	s_or_b32 exec_lo, exec_lo, s71
.LBB61_241:
	s_or_b32 exec_lo, exec_lo, s4
.LBB61_242:
	s_or_b32 exec_lo, exec_lo, s8
	v_mov_b32_e32 v131, 0
	ds_read_b128 v[131:134], v131 offset:688
	s_waitcnt lgkmcnt(0)
	v_mul_f64 v[136:137], v[3:4], v[133:134]
	v_mul_f64 v[133:134], v[1:2], v[133:134]
	v_fma_f64 v[1:2], v[1:2], v[131:132], -v[136:137]
	v_fma_f64 v[3:4], v[3:4], v[131:132], v[133:134]
	buffer_store_dword v2, off, s[0:3], 0 offset:692
	buffer_store_dword v1, off, s[0:3], 0 offset:688
	;; [unrolled: 1-line block ×4, first 2 shown]
.LBB61_243:
	s_or_b32 exec_lo, exec_lo, s6
	v_mov_b32_e32 v4, s28
	v_cmp_lt_u32_e64 s4, 42, v0
	s_clause 0x3
	buffer_load_dword v1, v4, s[0:3], 0 offen
	buffer_load_dword v2, v4, s[0:3], 0 offen offset:4
	buffer_load_dword v3, v4, s[0:3], 0 offen offset:8
	;; [unrolled: 1-line block ×3, first 2 shown]
	s_waitcnt vmcnt(0)
	ds_write_b128 v130, v[1:4]
	s_waitcnt lgkmcnt(0)
	s_waitcnt_vscnt null, 0x0
	s_barrier
	buffer_gl0_inv
	s_and_saveexec_b32 s6, s4
	s_cbranch_execz .LBB61_257
; %bb.244:
	ds_read_b128 v[1:4], v130
	s_andn2_b32 vcc_lo, exec_lo, s7
	s_cbranch_vccnz .LBB61_246
; %bb.245:
	s_clause 0x3
	buffer_load_dword v131, v129, s[0:3], 0 offen offset:8
	buffer_load_dword v132, v129, s[0:3], 0 offen offset:12
	buffer_load_dword v133, v129, s[0:3], 0 offen
	buffer_load_dword v134, v129, s[0:3], 0 offen offset:4
	s_waitcnt vmcnt(2) lgkmcnt(0)
	v_mul_f64 v[136:137], v[3:4], v[131:132]
	v_mul_f64 v[131:132], v[1:2], v[131:132]
	s_waitcnt vmcnt(0)
	v_fma_f64 v[1:2], v[1:2], v[133:134], -v[136:137]
	v_fma_f64 v[3:4], v[3:4], v[133:134], v[131:132]
.LBB61_246:
	s_and_saveexec_b32 s8, s5
	s_cbranch_execz .LBB61_256
; %bb.247:
	v_subrev_nc_u32_e32 v132, 44, v0
	v_mov_b32_e32 v133, 43
	v_subrev_nc_u32_e32 v131, 43, v0
	s_mov_b32 s5, exec_lo
	v_cmpx_lt_u32_e32 6, v132
	s_cbranch_execz .LBB61_251
; %bb.248:
	v_and_b32_e32 v132, -8, v131
	s_movk_i32 s72, 0x690
	s_mov_b32 s71, 0
	s_mov_b32 s73, s27
	;; [unrolled: 1-line block ×3, first 2 shown]
.LBB61_249:                             ; =>This Inner Loop Header: Depth=1
	v_mov_b32_e32 v136, s73
	v_mov_b32_e32 v182, s72
	s_add_i32 s75, s74, 8
	s_add_i32 s74, s74, 51
	v_cmp_eq_u32_e32 vcc_lo, s75, v132
	s_clause 0x1f
	buffer_load_dword v133, v136, s[0:3], 0 offen offset:8
	buffer_load_dword v134, v136, s[0:3], 0 offen offset:12
	buffer_load_dword v144, v136, s[0:3], 0 offen
	buffer_load_dword v145, v136, s[0:3], 0 offen offset:4
	buffer_load_dword v146, v136, s[0:3], 0 offen offset:24
	;; [unrolled: 1-line block ×29, first 2 shown]
	ds_read_b128 v[136:139], v182
	ds_read_b128 v[140:143], v182 offset:16
	s_addk_i32 s72, 0x80
	s_addk_i32 s73, 0x80
	s_or_b32 s71, vcc_lo, s71
	s_waitcnt vmcnt(30) lgkmcnt(1)
	v_mul_f64 v[174:175], v[138:139], v[133:134]
	v_mul_f64 v[133:134], v[136:137], v[133:134]
	s_waitcnt vmcnt(26) lgkmcnt(0)
	v_mul_f64 v[176:177], v[142:143], v[146:147]
	v_mul_f64 v[178:179], v[140:141], v[146:147]
	v_fma_f64 v[174:175], v[136:137], v[144:145], -v[174:175]
	v_fma_f64 v[133:134], v[138:139], v[144:145], v[133:134]
	ds_read_b128 v[136:139], v182 offset:32
	ds_read_b128 v[144:147], v182 offset:48
	s_waitcnt vmcnt(24)
	v_fma_f64 v[140:141], v[140:141], v[148:149], -v[176:177]
	v_fma_f64 v[142:143], v[142:143], v[148:149], v[178:179]
	s_waitcnt vmcnt(22) lgkmcnt(1)
	v_mul_f64 v[180:181], v[138:139], v[150:151]
	v_mul_f64 v[150:151], v[136:137], v[150:151]
	v_add_f64 v[1:2], v[1:2], v[174:175]
	v_add_f64 v[3:4], v[3:4], v[133:134]
	s_waitcnt vmcnt(18) lgkmcnt(0)
	v_mul_f64 v[133:134], v[146:147], v[154:155]
	v_mul_f64 v[148:149], v[144:145], v[154:155]
	v_fma_f64 v[154:155], v[136:137], v[152:153], -v[180:181]
	v_fma_f64 v[150:151], v[138:139], v[152:153], v[150:151]
	v_add_f64 v[140:141], v[1:2], v[140:141]
	v_add_f64 v[142:143], v[3:4], v[142:143]
	ds_read_b128 v[1:4], v182 offset:64
	ds_read_b128 v[136:139], v182 offset:80
	s_waitcnt vmcnt(16)
	v_fma_f64 v[133:134], v[144:145], v[156:157], -v[133:134]
	v_fma_f64 v[144:145], v[146:147], v[156:157], v[148:149]
	s_waitcnt vmcnt(12) lgkmcnt(1)
	v_mul_f64 v[152:153], v[3:4], v[158:159]
	v_mul_f64 v[158:159], v[1:2], v[158:159]
	v_add_f64 v[140:141], v[140:141], v[154:155]
	v_add_f64 v[142:143], v[142:143], v[150:151]
	s_waitcnt vmcnt(10) lgkmcnt(0)
	v_mul_f64 v[146:147], v[138:139], v[160:161]
	v_mul_f64 v[148:149], v[136:137], v[160:161]
	s_waitcnt vmcnt(8)
	v_fma_f64 v[150:151], v[1:2], v[164:165], -v[152:153]
	v_fma_f64 v[152:153], v[3:4], v[164:165], v[158:159]
	v_add_f64 v[133:134], v[140:141], v[133:134]
	v_add_f64 v[144:145], v[142:143], v[144:145]
	ds_read_b128 v[1:4], v182 offset:96
	ds_read_b128 v[140:143], v182 offset:112
	v_fma_f64 v[136:137], v[136:137], v[162:163], -v[146:147]
	v_fma_f64 v[138:139], v[138:139], v[162:163], v[148:149]
	s_waitcnt vmcnt(4) lgkmcnt(1)
	v_mul_f64 v[154:155], v[3:4], v[166:167]
	v_mul_f64 v[156:157], v[1:2], v[166:167]
	v_add_f64 v[133:134], v[133:134], v[150:151]
	v_add_f64 v[144:145], v[144:145], v[152:153]
	s_waitcnt vmcnt(2) lgkmcnt(0)
	v_mul_f64 v[146:147], v[142:143], v[168:169]
	v_mul_f64 v[148:149], v[140:141], v[168:169]
	s_waitcnt vmcnt(0)
	v_fma_f64 v[1:2], v[1:2], v[172:173], -v[154:155]
	v_fma_f64 v[3:4], v[3:4], v[172:173], v[156:157]
	v_add_f64 v[133:134], v[133:134], v[136:137]
	v_add_f64 v[136:137], v[144:145], v[138:139]
	v_fma_f64 v[138:139], v[140:141], v[170:171], -v[146:147]
	v_fma_f64 v[140:141], v[142:143], v[170:171], v[148:149]
	v_add_f64 v[1:2], v[133:134], v[1:2]
	v_add_f64 v[3:4], v[136:137], v[3:4]
	v_mov_b32_e32 v133, s74
	s_mov_b32 s74, s75
	v_add_f64 v[1:2], v[1:2], v[138:139]
	v_add_f64 v[3:4], v[3:4], v[140:141]
	s_andn2_b32 exec_lo, exec_lo, s71
	s_cbranch_execnz .LBB61_249
; %bb.250:
	s_or_b32 exec_lo, exec_lo, s71
.LBB61_251:
	s_or_b32 exec_lo, exec_lo, s5
	v_and_b32_e32 v131, 7, v131
	s_mov_b32 s71, 0
	s_mov_b32 s5, exec_lo
	v_cmpx_ne_u32_e32 0, v131
	s_cbranch_execz .LBB61_255
; %bb.252:
	v_lshlrev_b32_e32 v133, 4, v133
	v_add_nc_u32_e32 v132, 0x3e0, v133
	.p2align	6
.LBB61_253:                             ; =>This Inner Loop Header: Depth=1
	s_clause 0x3
	buffer_load_dword v140, v133, s[0:3], 0 offen offset:8
	buffer_load_dword v141, v133, s[0:3], 0 offen offset:12
	buffer_load_dword v142, v133, s[0:3], 0 offen
	buffer_load_dword v143, v133, s[0:3], 0 offen offset:4
	ds_read_b128 v[136:139], v132
	v_add_nc_u32_e32 v131, -1, v131
	v_add_nc_u32_e32 v132, 16, v132
	v_add_nc_u32_e32 v133, 16, v133
	v_cmp_eq_u32_e32 vcc_lo, 0, v131
	s_or_b32 s71, vcc_lo, s71
	s_waitcnt vmcnt(2) lgkmcnt(0)
	v_mul_f64 v[144:145], v[138:139], v[140:141]
	v_mul_f64 v[140:141], v[136:137], v[140:141]
	s_waitcnt vmcnt(0)
	v_fma_f64 v[136:137], v[136:137], v[142:143], -v[144:145]
	v_fma_f64 v[138:139], v[138:139], v[142:143], v[140:141]
	v_add_f64 v[1:2], v[1:2], v[136:137]
	v_add_f64 v[3:4], v[3:4], v[138:139]
	s_andn2_b32 exec_lo, exec_lo, s71
	s_cbranch_execnz .LBB61_253
; %bb.254:
	s_or_b32 exec_lo, exec_lo, s71
.LBB61_255:
	s_or_b32 exec_lo, exec_lo, s5
.LBB61_256:
	s_or_b32 exec_lo, exec_lo, s8
	v_mov_b32_e32 v131, 0
	ds_read_b128 v[131:134], v131 offset:672
	s_waitcnt lgkmcnt(0)
	v_mul_f64 v[136:137], v[3:4], v[133:134]
	v_mul_f64 v[133:134], v[1:2], v[133:134]
	v_fma_f64 v[1:2], v[1:2], v[131:132], -v[136:137]
	v_fma_f64 v[3:4], v[3:4], v[131:132], v[133:134]
	buffer_store_dword v2, off, s[0:3], 0 offset:676
	buffer_store_dword v1, off, s[0:3], 0 offset:672
	;; [unrolled: 1-line block ×4, first 2 shown]
.LBB61_257:
	s_or_b32 exec_lo, exec_lo, s6
	v_mov_b32_e32 v4, s29
	v_cmp_lt_u32_e64 s5, 41, v0
	s_clause 0x3
	buffer_load_dword v1, v4, s[0:3], 0 offen
	buffer_load_dword v2, v4, s[0:3], 0 offen offset:4
	buffer_load_dword v3, v4, s[0:3], 0 offen offset:8
	;; [unrolled: 1-line block ×3, first 2 shown]
	s_waitcnt vmcnt(0)
	ds_write_b128 v130, v[1:4]
	s_waitcnt lgkmcnt(0)
	s_waitcnt_vscnt null, 0x0
	s_barrier
	buffer_gl0_inv
	s_and_saveexec_b32 s6, s5
	s_cbranch_execz .LBB61_271
; %bb.258:
	ds_read_b128 v[1:4], v130
	s_andn2_b32 vcc_lo, exec_lo, s7
	s_cbranch_vccnz .LBB61_260
; %bb.259:
	s_clause 0x3
	buffer_load_dword v131, v129, s[0:3], 0 offen offset:8
	buffer_load_dword v132, v129, s[0:3], 0 offen offset:12
	buffer_load_dword v133, v129, s[0:3], 0 offen
	buffer_load_dword v134, v129, s[0:3], 0 offen offset:4
	s_waitcnt vmcnt(2) lgkmcnt(0)
	v_mul_f64 v[136:137], v[3:4], v[131:132]
	v_mul_f64 v[131:132], v[1:2], v[131:132]
	s_waitcnt vmcnt(0)
	v_fma_f64 v[1:2], v[1:2], v[133:134], -v[136:137]
	v_fma_f64 v[3:4], v[3:4], v[133:134], v[131:132]
.LBB61_260:
	s_and_saveexec_b32 s8, s4
	s_cbranch_execz .LBB61_270
; %bb.261:
	v_subrev_nc_u32_e32 v132, 43, v0
	v_mov_b32_e32 v133, 42
	v_subrev_nc_u32_e32 v131, 42, v0
	s_mov_b32 s4, exec_lo
	v_cmpx_lt_u32_e32 6, v132
	s_cbranch_execz .LBB61_265
; %bb.262:
	v_and_b32_e32 v132, -8, v131
	s_movk_i32 s72, 0x680
	s_mov_b32 s71, 0
	s_mov_b32 s73, s28
	;; [unrolled: 1-line block ×3, first 2 shown]
.LBB61_263:                             ; =>This Inner Loop Header: Depth=1
	v_mov_b32_e32 v136, s73
	v_mov_b32_e32 v182, s72
	s_add_i32 s75, s74, 8
	s_add_i32 s74, s74, 50
	v_cmp_eq_u32_e32 vcc_lo, s75, v132
	s_clause 0x1f
	buffer_load_dword v133, v136, s[0:3], 0 offen offset:8
	buffer_load_dword v134, v136, s[0:3], 0 offen offset:12
	buffer_load_dword v144, v136, s[0:3], 0 offen
	buffer_load_dword v145, v136, s[0:3], 0 offen offset:4
	buffer_load_dword v146, v136, s[0:3], 0 offen offset:24
	;; [unrolled: 1-line block ×29, first 2 shown]
	ds_read_b128 v[136:139], v182
	ds_read_b128 v[140:143], v182 offset:16
	s_addk_i32 s72, 0x80
	s_addk_i32 s73, 0x80
	s_or_b32 s71, vcc_lo, s71
	s_waitcnt vmcnt(30) lgkmcnt(1)
	v_mul_f64 v[174:175], v[138:139], v[133:134]
	v_mul_f64 v[133:134], v[136:137], v[133:134]
	s_waitcnt vmcnt(26) lgkmcnt(0)
	v_mul_f64 v[176:177], v[142:143], v[146:147]
	v_mul_f64 v[178:179], v[140:141], v[146:147]
	v_fma_f64 v[174:175], v[136:137], v[144:145], -v[174:175]
	v_fma_f64 v[133:134], v[138:139], v[144:145], v[133:134]
	ds_read_b128 v[136:139], v182 offset:32
	ds_read_b128 v[144:147], v182 offset:48
	s_waitcnt vmcnt(24)
	v_fma_f64 v[140:141], v[140:141], v[148:149], -v[176:177]
	v_fma_f64 v[142:143], v[142:143], v[148:149], v[178:179]
	s_waitcnt vmcnt(22) lgkmcnt(1)
	v_mul_f64 v[180:181], v[138:139], v[150:151]
	v_mul_f64 v[150:151], v[136:137], v[150:151]
	v_add_f64 v[1:2], v[1:2], v[174:175]
	v_add_f64 v[3:4], v[3:4], v[133:134]
	s_waitcnt vmcnt(18) lgkmcnt(0)
	v_mul_f64 v[133:134], v[146:147], v[154:155]
	v_mul_f64 v[148:149], v[144:145], v[154:155]
	v_fma_f64 v[154:155], v[136:137], v[152:153], -v[180:181]
	v_fma_f64 v[150:151], v[138:139], v[152:153], v[150:151]
	v_add_f64 v[140:141], v[1:2], v[140:141]
	v_add_f64 v[142:143], v[3:4], v[142:143]
	ds_read_b128 v[1:4], v182 offset:64
	ds_read_b128 v[136:139], v182 offset:80
	s_waitcnt vmcnt(16)
	v_fma_f64 v[133:134], v[144:145], v[156:157], -v[133:134]
	v_fma_f64 v[144:145], v[146:147], v[156:157], v[148:149]
	s_waitcnt vmcnt(12) lgkmcnt(1)
	v_mul_f64 v[152:153], v[3:4], v[158:159]
	v_mul_f64 v[158:159], v[1:2], v[158:159]
	v_add_f64 v[140:141], v[140:141], v[154:155]
	v_add_f64 v[142:143], v[142:143], v[150:151]
	s_waitcnt vmcnt(10) lgkmcnt(0)
	v_mul_f64 v[146:147], v[138:139], v[160:161]
	v_mul_f64 v[148:149], v[136:137], v[160:161]
	s_waitcnt vmcnt(8)
	v_fma_f64 v[150:151], v[1:2], v[164:165], -v[152:153]
	v_fma_f64 v[152:153], v[3:4], v[164:165], v[158:159]
	v_add_f64 v[133:134], v[140:141], v[133:134]
	v_add_f64 v[144:145], v[142:143], v[144:145]
	ds_read_b128 v[1:4], v182 offset:96
	ds_read_b128 v[140:143], v182 offset:112
	v_fma_f64 v[136:137], v[136:137], v[162:163], -v[146:147]
	v_fma_f64 v[138:139], v[138:139], v[162:163], v[148:149]
	s_waitcnt vmcnt(4) lgkmcnt(1)
	v_mul_f64 v[154:155], v[3:4], v[166:167]
	v_mul_f64 v[156:157], v[1:2], v[166:167]
	v_add_f64 v[133:134], v[133:134], v[150:151]
	v_add_f64 v[144:145], v[144:145], v[152:153]
	s_waitcnt vmcnt(2) lgkmcnt(0)
	v_mul_f64 v[146:147], v[142:143], v[168:169]
	v_mul_f64 v[148:149], v[140:141], v[168:169]
	s_waitcnt vmcnt(0)
	v_fma_f64 v[1:2], v[1:2], v[172:173], -v[154:155]
	v_fma_f64 v[3:4], v[3:4], v[172:173], v[156:157]
	v_add_f64 v[133:134], v[133:134], v[136:137]
	v_add_f64 v[136:137], v[144:145], v[138:139]
	v_fma_f64 v[138:139], v[140:141], v[170:171], -v[146:147]
	v_fma_f64 v[140:141], v[142:143], v[170:171], v[148:149]
	v_add_f64 v[1:2], v[133:134], v[1:2]
	v_add_f64 v[3:4], v[136:137], v[3:4]
	v_mov_b32_e32 v133, s74
	s_mov_b32 s74, s75
	v_add_f64 v[1:2], v[1:2], v[138:139]
	v_add_f64 v[3:4], v[3:4], v[140:141]
	s_andn2_b32 exec_lo, exec_lo, s71
	s_cbranch_execnz .LBB61_263
; %bb.264:
	s_or_b32 exec_lo, exec_lo, s71
.LBB61_265:
	s_or_b32 exec_lo, exec_lo, s4
	v_and_b32_e32 v131, 7, v131
	s_mov_b32 s71, 0
	s_mov_b32 s4, exec_lo
	v_cmpx_ne_u32_e32 0, v131
	s_cbranch_execz .LBB61_269
; %bb.266:
	v_lshlrev_b32_e32 v133, 4, v133
	v_add_nc_u32_e32 v132, 0x3e0, v133
	.p2align	6
.LBB61_267:                             ; =>This Inner Loop Header: Depth=1
	s_clause 0x3
	buffer_load_dword v140, v133, s[0:3], 0 offen offset:8
	buffer_load_dword v141, v133, s[0:3], 0 offen offset:12
	buffer_load_dword v142, v133, s[0:3], 0 offen
	buffer_load_dword v143, v133, s[0:3], 0 offen offset:4
	ds_read_b128 v[136:139], v132
	v_add_nc_u32_e32 v131, -1, v131
	v_add_nc_u32_e32 v132, 16, v132
	v_add_nc_u32_e32 v133, 16, v133
	v_cmp_eq_u32_e32 vcc_lo, 0, v131
	s_or_b32 s71, vcc_lo, s71
	s_waitcnt vmcnt(2) lgkmcnt(0)
	v_mul_f64 v[144:145], v[138:139], v[140:141]
	v_mul_f64 v[140:141], v[136:137], v[140:141]
	s_waitcnt vmcnt(0)
	v_fma_f64 v[136:137], v[136:137], v[142:143], -v[144:145]
	v_fma_f64 v[138:139], v[138:139], v[142:143], v[140:141]
	v_add_f64 v[1:2], v[1:2], v[136:137]
	v_add_f64 v[3:4], v[3:4], v[138:139]
	s_andn2_b32 exec_lo, exec_lo, s71
	s_cbranch_execnz .LBB61_267
; %bb.268:
	s_or_b32 exec_lo, exec_lo, s71
.LBB61_269:
	s_or_b32 exec_lo, exec_lo, s4
.LBB61_270:
	s_or_b32 exec_lo, exec_lo, s8
	v_mov_b32_e32 v131, 0
	ds_read_b128 v[131:134], v131 offset:656
	s_waitcnt lgkmcnt(0)
	v_mul_f64 v[136:137], v[3:4], v[133:134]
	v_mul_f64 v[133:134], v[1:2], v[133:134]
	v_fma_f64 v[1:2], v[1:2], v[131:132], -v[136:137]
	v_fma_f64 v[3:4], v[3:4], v[131:132], v[133:134]
	buffer_store_dword v2, off, s[0:3], 0 offset:660
	buffer_store_dword v1, off, s[0:3], 0 offset:656
	;; [unrolled: 1-line block ×4, first 2 shown]
.LBB61_271:
	s_or_b32 exec_lo, exec_lo, s6
	v_mov_b32_e32 v4, s30
	v_cmp_lt_u32_e64 s4, 40, v0
	s_clause 0x3
	buffer_load_dword v1, v4, s[0:3], 0 offen
	buffer_load_dword v2, v4, s[0:3], 0 offen offset:4
	buffer_load_dword v3, v4, s[0:3], 0 offen offset:8
	;; [unrolled: 1-line block ×3, first 2 shown]
	s_waitcnt vmcnt(0)
	ds_write_b128 v130, v[1:4]
	s_waitcnt lgkmcnt(0)
	s_waitcnt_vscnt null, 0x0
	s_barrier
	buffer_gl0_inv
	s_and_saveexec_b32 s6, s4
	s_cbranch_execz .LBB61_285
; %bb.272:
	ds_read_b128 v[1:4], v130
	s_andn2_b32 vcc_lo, exec_lo, s7
	s_cbranch_vccnz .LBB61_274
; %bb.273:
	s_clause 0x3
	buffer_load_dword v131, v129, s[0:3], 0 offen offset:8
	buffer_load_dword v132, v129, s[0:3], 0 offen offset:12
	buffer_load_dword v133, v129, s[0:3], 0 offen
	buffer_load_dword v134, v129, s[0:3], 0 offen offset:4
	s_waitcnt vmcnt(2) lgkmcnt(0)
	v_mul_f64 v[136:137], v[3:4], v[131:132]
	v_mul_f64 v[131:132], v[1:2], v[131:132]
	s_waitcnt vmcnt(0)
	v_fma_f64 v[1:2], v[1:2], v[133:134], -v[136:137]
	v_fma_f64 v[3:4], v[3:4], v[133:134], v[131:132]
.LBB61_274:
	s_and_saveexec_b32 s8, s5
	s_cbranch_execz .LBB61_284
; %bb.275:
	v_subrev_nc_u32_e32 v132, 42, v0
	v_mov_b32_e32 v133, 41
	v_subrev_nc_u32_e32 v131, 41, v0
	s_mov_b32 s5, exec_lo
	v_cmpx_lt_u32_e32 6, v132
	s_cbranch_execz .LBB61_279
; %bb.276:
	v_and_b32_e32 v132, -8, v131
	s_movk_i32 s72, 0x670
	s_mov_b32 s71, 0
	s_mov_b32 s73, s29
	;; [unrolled: 1-line block ×3, first 2 shown]
.LBB61_277:                             ; =>This Inner Loop Header: Depth=1
	v_mov_b32_e32 v136, s73
	v_mov_b32_e32 v182, s72
	s_add_i32 s75, s74, 8
	s_add_i32 s74, s74, 49
	v_cmp_eq_u32_e32 vcc_lo, s75, v132
	s_clause 0x1f
	buffer_load_dword v133, v136, s[0:3], 0 offen offset:8
	buffer_load_dword v134, v136, s[0:3], 0 offen offset:12
	buffer_load_dword v144, v136, s[0:3], 0 offen
	buffer_load_dword v145, v136, s[0:3], 0 offen offset:4
	buffer_load_dword v146, v136, s[0:3], 0 offen offset:24
	;; [unrolled: 1-line block ×29, first 2 shown]
	ds_read_b128 v[136:139], v182
	ds_read_b128 v[140:143], v182 offset:16
	s_addk_i32 s72, 0x80
	s_addk_i32 s73, 0x80
	s_or_b32 s71, vcc_lo, s71
	s_waitcnt vmcnt(30) lgkmcnt(1)
	v_mul_f64 v[174:175], v[138:139], v[133:134]
	v_mul_f64 v[133:134], v[136:137], v[133:134]
	s_waitcnt vmcnt(26) lgkmcnt(0)
	v_mul_f64 v[176:177], v[142:143], v[146:147]
	v_mul_f64 v[178:179], v[140:141], v[146:147]
	v_fma_f64 v[174:175], v[136:137], v[144:145], -v[174:175]
	v_fma_f64 v[133:134], v[138:139], v[144:145], v[133:134]
	ds_read_b128 v[136:139], v182 offset:32
	ds_read_b128 v[144:147], v182 offset:48
	s_waitcnt vmcnt(24)
	v_fma_f64 v[140:141], v[140:141], v[148:149], -v[176:177]
	v_fma_f64 v[142:143], v[142:143], v[148:149], v[178:179]
	s_waitcnt vmcnt(22) lgkmcnt(1)
	v_mul_f64 v[180:181], v[138:139], v[150:151]
	v_mul_f64 v[150:151], v[136:137], v[150:151]
	v_add_f64 v[1:2], v[1:2], v[174:175]
	v_add_f64 v[3:4], v[3:4], v[133:134]
	s_waitcnt vmcnt(18) lgkmcnt(0)
	v_mul_f64 v[133:134], v[146:147], v[154:155]
	v_mul_f64 v[148:149], v[144:145], v[154:155]
	v_fma_f64 v[154:155], v[136:137], v[152:153], -v[180:181]
	v_fma_f64 v[150:151], v[138:139], v[152:153], v[150:151]
	v_add_f64 v[140:141], v[1:2], v[140:141]
	v_add_f64 v[142:143], v[3:4], v[142:143]
	ds_read_b128 v[1:4], v182 offset:64
	ds_read_b128 v[136:139], v182 offset:80
	s_waitcnt vmcnt(16)
	v_fma_f64 v[133:134], v[144:145], v[156:157], -v[133:134]
	v_fma_f64 v[144:145], v[146:147], v[156:157], v[148:149]
	s_waitcnt vmcnt(12) lgkmcnt(1)
	v_mul_f64 v[152:153], v[3:4], v[158:159]
	v_mul_f64 v[158:159], v[1:2], v[158:159]
	v_add_f64 v[140:141], v[140:141], v[154:155]
	v_add_f64 v[142:143], v[142:143], v[150:151]
	s_waitcnt vmcnt(10) lgkmcnt(0)
	v_mul_f64 v[146:147], v[138:139], v[160:161]
	v_mul_f64 v[148:149], v[136:137], v[160:161]
	s_waitcnt vmcnt(8)
	v_fma_f64 v[150:151], v[1:2], v[164:165], -v[152:153]
	v_fma_f64 v[152:153], v[3:4], v[164:165], v[158:159]
	v_add_f64 v[133:134], v[140:141], v[133:134]
	v_add_f64 v[144:145], v[142:143], v[144:145]
	ds_read_b128 v[1:4], v182 offset:96
	ds_read_b128 v[140:143], v182 offset:112
	v_fma_f64 v[136:137], v[136:137], v[162:163], -v[146:147]
	v_fma_f64 v[138:139], v[138:139], v[162:163], v[148:149]
	s_waitcnt vmcnt(4) lgkmcnt(1)
	v_mul_f64 v[154:155], v[3:4], v[166:167]
	v_mul_f64 v[156:157], v[1:2], v[166:167]
	v_add_f64 v[133:134], v[133:134], v[150:151]
	v_add_f64 v[144:145], v[144:145], v[152:153]
	s_waitcnt vmcnt(2) lgkmcnt(0)
	v_mul_f64 v[146:147], v[142:143], v[168:169]
	v_mul_f64 v[148:149], v[140:141], v[168:169]
	s_waitcnt vmcnt(0)
	v_fma_f64 v[1:2], v[1:2], v[172:173], -v[154:155]
	v_fma_f64 v[3:4], v[3:4], v[172:173], v[156:157]
	v_add_f64 v[133:134], v[133:134], v[136:137]
	v_add_f64 v[136:137], v[144:145], v[138:139]
	v_fma_f64 v[138:139], v[140:141], v[170:171], -v[146:147]
	v_fma_f64 v[140:141], v[142:143], v[170:171], v[148:149]
	v_add_f64 v[1:2], v[133:134], v[1:2]
	v_add_f64 v[3:4], v[136:137], v[3:4]
	v_mov_b32_e32 v133, s74
	s_mov_b32 s74, s75
	v_add_f64 v[1:2], v[1:2], v[138:139]
	v_add_f64 v[3:4], v[3:4], v[140:141]
	s_andn2_b32 exec_lo, exec_lo, s71
	s_cbranch_execnz .LBB61_277
; %bb.278:
	s_or_b32 exec_lo, exec_lo, s71
.LBB61_279:
	s_or_b32 exec_lo, exec_lo, s5
	v_and_b32_e32 v131, 7, v131
	s_mov_b32 s71, 0
	s_mov_b32 s5, exec_lo
	v_cmpx_ne_u32_e32 0, v131
	s_cbranch_execz .LBB61_283
; %bb.280:
	v_lshlrev_b32_e32 v133, 4, v133
	v_add_nc_u32_e32 v132, 0x3e0, v133
	.p2align	6
.LBB61_281:                             ; =>This Inner Loop Header: Depth=1
	s_clause 0x3
	buffer_load_dword v140, v133, s[0:3], 0 offen offset:8
	buffer_load_dword v141, v133, s[0:3], 0 offen offset:12
	buffer_load_dword v142, v133, s[0:3], 0 offen
	buffer_load_dword v143, v133, s[0:3], 0 offen offset:4
	ds_read_b128 v[136:139], v132
	v_add_nc_u32_e32 v131, -1, v131
	v_add_nc_u32_e32 v132, 16, v132
	v_add_nc_u32_e32 v133, 16, v133
	v_cmp_eq_u32_e32 vcc_lo, 0, v131
	s_or_b32 s71, vcc_lo, s71
	s_waitcnt vmcnt(2) lgkmcnt(0)
	v_mul_f64 v[144:145], v[138:139], v[140:141]
	v_mul_f64 v[140:141], v[136:137], v[140:141]
	s_waitcnt vmcnt(0)
	v_fma_f64 v[136:137], v[136:137], v[142:143], -v[144:145]
	v_fma_f64 v[138:139], v[138:139], v[142:143], v[140:141]
	v_add_f64 v[1:2], v[1:2], v[136:137]
	v_add_f64 v[3:4], v[3:4], v[138:139]
	s_andn2_b32 exec_lo, exec_lo, s71
	s_cbranch_execnz .LBB61_281
; %bb.282:
	s_or_b32 exec_lo, exec_lo, s71
.LBB61_283:
	s_or_b32 exec_lo, exec_lo, s5
.LBB61_284:
	s_or_b32 exec_lo, exec_lo, s8
	v_mov_b32_e32 v131, 0
	ds_read_b128 v[131:134], v131 offset:640
	s_waitcnt lgkmcnt(0)
	v_mul_f64 v[136:137], v[3:4], v[133:134]
	v_mul_f64 v[133:134], v[1:2], v[133:134]
	v_fma_f64 v[1:2], v[1:2], v[131:132], -v[136:137]
	v_fma_f64 v[3:4], v[3:4], v[131:132], v[133:134]
	buffer_store_dword v2, off, s[0:3], 0 offset:644
	buffer_store_dword v1, off, s[0:3], 0 offset:640
	;; [unrolled: 1-line block ×4, first 2 shown]
.LBB61_285:
	s_or_b32 exec_lo, exec_lo, s6
	v_mov_b32_e32 v4, s31
	v_cmp_lt_u32_e64 s5, 39, v0
	s_clause 0x3
	buffer_load_dword v1, v4, s[0:3], 0 offen
	buffer_load_dword v2, v4, s[0:3], 0 offen offset:4
	buffer_load_dword v3, v4, s[0:3], 0 offen offset:8
	buffer_load_dword v4, v4, s[0:3], 0 offen offset:12
	s_waitcnt vmcnt(0)
	ds_write_b128 v130, v[1:4]
	s_waitcnt lgkmcnt(0)
	s_waitcnt_vscnt null, 0x0
	s_barrier
	buffer_gl0_inv
	s_and_saveexec_b32 s6, s5
	s_cbranch_execz .LBB61_299
; %bb.286:
	ds_read_b128 v[1:4], v130
	s_andn2_b32 vcc_lo, exec_lo, s7
	s_cbranch_vccnz .LBB61_288
; %bb.287:
	s_clause 0x3
	buffer_load_dword v131, v129, s[0:3], 0 offen offset:8
	buffer_load_dword v132, v129, s[0:3], 0 offen offset:12
	buffer_load_dword v133, v129, s[0:3], 0 offen
	buffer_load_dword v134, v129, s[0:3], 0 offen offset:4
	s_waitcnt vmcnt(2) lgkmcnt(0)
	v_mul_f64 v[136:137], v[3:4], v[131:132]
	v_mul_f64 v[131:132], v[1:2], v[131:132]
	s_waitcnt vmcnt(0)
	v_fma_f64 v[1:2], v[1:2], v[133:134], -v[136:137]
	v_fma_f64 v[3:4], v[3:4], v[133:134], v[131:132]
.LBB61_288:
	s_and_saveexec_b32 s8, s4
	s_cbranch_execz .LBB61_298
; %bb.289:
	v_subrev_nc_u32_e32 v131, 41, v0
	v_cmp_lt_u32_e32 vcc_lo, 6, v131
	v_mov_b32_e32 v131, 40
	s_and_saveexec_b32 s4, vcc_lo
	s_cbranch_execz .LBB61_293
; %bb.290:
	v_and_b32_e32 v131, 56, v0
	s_mov_b32 s71, 40
	s_movk_i32 s73, 0x660
	s_mov_b32 s72, 0
	s_mov_b32 s74, s30
.LBB61_291:                             ; =>This Inner Loop Header: Depth=1
	v_mov_b32_e32 v134, s74
	s_add_i32 s71, s71, 8
	s_addk_i32 s74, 0x80
	v_cmp_eq_u32_e32 vcc_lo, s71, v131
	s_clause 0x1f
	buffer_load_dword v132, v134, s[0:3], 0 offen offset:8
	buffer_load_dword v133, v134, s[0:3], 0 offen offset:12
	buffer_load_dword v144, v134, s[0:3], 0 offen
	buffer_load_dword v145, v134, s[0:3], 0 offen offset:4
	buffer_load_dword v146, v134, s[0:3], 0 offen offset:24
	;; [unrolled: 1-line block ×29, first 2 shown]
	v_mov_b32_e32 v134, s73
	s_addk_i32 s73, 0x80
	s_or_b32 s72, vcc_lo, s72
	ds_read_b128 v[136:139], v134
	ds_read_b128 v[140:143], v134 offset:16
	s_waitcnt vmcnt(30) lgkmcnt(1)
	v_mul_f64 v[174:175], v[138:139], v[132:133]
	v_mul_f64 v[132:133], v[136:137], v[132:133]
	s_waitcnt vmcnt(26) lgkmcnt(0)
	v_mul_f64 v[176:177], v[142:143], v[146:147]
	v_mul_f64 v[178:179], v[140:141], v[146:147]
	v_fma_f64 v[174:175], v[136:137], v[144:145], -v[174:175]
	v_fma_f64 v[132:133], v[138:139], v[144:145], v[132:133]
	ds_read_b128 v[136:139], v134 offset:32
	ds_read_b128 v[144:147], v134 offset:48
	s_waitcnt vmcnt(24)
	v_fma_f64 v[140:141], v[140:141], v[148:149], -v[176:177]
	v_fma_f64 v[142:143], v[142:143], v[148:149], v[178:179]
	s_waitcnt vmcnt(22) lgkmcnt(1)
	v_mul_f64 v[180:181], v[138:139], v[150:151]
	v_mul_f64 v[150:151], v[136:137], v[150:151]
	v_add_f64 v[1:2], v[1:2], v[174:175]
	v_add_f64 v[3:4], v[3:4], v[132:133]
	s_waitcnt vmcnt(18) lgkmcnt(0)
	v_mul_f64 v[132:133], v[146:147], v[154:155]
	v_mul_f64 v[148:149], v[144:145], v[154:155]
	v_fma_f64 v[154:155], v[136:137], v[152:153], -v[180:181]
	v_fma_f64 v[150:151], v[138:139], v[152:153], v[150:151]
	v_add_f64 v[140:141], v[1:2], v[140:141]
	v_add_f64 v[142:143], v[3:4], v[142:143]
	ds_read_b128 v[1:4], v134 offset:64
	ds_read_b128 v[136:139], v134 offset:80
	s_waitcnt vmcnt(16)
	v_fma_f64 v[132:133], v[144:145], v[156:157], -v[132:133]
	v_fma_f64 v[144:145], v[146:147], v[156:157], v[148:149]
	s_waitcnt vmcnt(12) lgkmcnt(1)
	v_mul_f64 v[152:153], v[3:4], v[158:159]
	v_mul_f64 v[158:159], v[1:2], v[158:159]
	v_add_f64 v[140:141], v[140:141], v[154:155]
	v_add_f64 v[142:143], v[142:143], v[150:151]
	s_waitcnt vmcnt(10) lgkmcnt(0)
	v_mul_f64 v[146:147], v[138:139], v[160:161]
	v_mul_f64 v[148:149], v[136:137], v[160:161]
	s_waitcnt vmcnt(8)
	v_fma_f64 v[150:151], v[1:2], v[164:165], -v[152:153]
	v_fma_f64 v[152:153], v[3:4], v[164:165], v[158:159]
	v_add_f64 v[132:133], v[140:141], v[132:133]
	v_add_f64 v[144:145], v[142:143], v[144:145]
	ds_read_b128 v[1:4], v134 offset:96
	ds_read_b128 v[140:143], v134 offset:112
	v_fma_f64 v[136:137], v[136:137], v[162:163], -v[146:147]
	v_fma_f64 v[138:139], v[138:139], v[162:163], v[148:149]
	s_waitcnt vmcnt(4) lgkmcnt(1)
	v_mul_f64 v[154:155], v[3:4], v[166:167]
	v_mul_f64 v[156:157], v[1:2], v[166:167]
	v_add_f64 v[132:133], v[132:133], v[150:151]
	v_add_f64 v[144:145], v[144:145], v[152:153]
	s_waitcnt vmcnt(2) lgkmcnt(0)
	v_mul_f64 v[146:147], v[142:143], v[168:169]
	v_mul_f64 v[148:149], v[140:141], v[168:169]
	s_waitcnt vmcnt(0)
	v_fma_f64 v[1:2], v[1:2], v[172:173], -v[154:155]
	v_fma_f64 v[3:4], v[3:4], v[172:173], v[156:157]
	v_add_f64 v[132:133], v[132:133], v[136:137]
	v_add_f64 v[136:137], v[144:145], v[138:139]
	v_fma_f64 v[138:139], v[140:141], v[170:171], -v[146:147]
	v_fma_f64 v[140:141], v[142:143], v[170:171], v[148:149]
	v_add_f64 v[1:2], v[132:133], v[1:2]
	v_add_f64 v[3:4], v[136:137], v[3:4]
	;; [unrolled: 1-line block ×4, first 2 shown]
	s_andn2_b32 exec_lo, exec_lo, s72
	s_cbranch_execnz .LBB61_291
; %bb.292:
	s_or_b32 exec_lo, exec_lo, s72
.LBB61_293:
	s_or_b32 exec_lo, exec_lo, s4
	v_and_b32_e32 v132, 7, v0
	s_mov_b32 s71, 0
	s_mov_b32 s4, exec_lo
	v_cmpx_ne_u32_e32 0, v132
	s_cbranch_execz .LBB61_297
; %bb.294:
	v_lshlrev_b32_e32 v133, 4, v131
	v_add_nc_u32_e32 v131, 0x3e0, v133
	.p2align	6
.LBB61_295:                             ; =>This Inner Loop Header: Depth=1
	s_clause 0x3
	buffer_load_dword v140, v133, s[0:3], 0 offen offset:8
	buffer_load_dword v141, v133, s[0:3], 0 offen offset:12
	buffer_load_dword v142, v133, s[0:3], 0 offen
	buffer_load_dword v143, v133, s[0:3], 0 offen offset:4
	ds_read_b128 v[136:139], v131
	v_add_nc_u32_e32 v132, -1, v132
	v_add_nc_u32_e32 v131, 16, v131
	v_add_nc_u32_e32 v133, 16, v133
	v_cmp_eq_u32_e32 vcc_lo, 0, v132
	s_or_b32 s71, vcc_lo, s71
	s_waitcnt vmcnt(2) lgkmcnt(0)
	v_mul_f64 v[144:145], v[138:139], v[140:141]
	v_mul_f64 v[140:141], v[136:137], v[140:141]
	s_waitcnt vmcnt(0)
	v_fma_f64 v[136:137], v[136:137], v[142:143], -v[144:145]
	v_fma_f64 v[138:139], v[138:139], v[142:143], v[140:141]
	v_add_f64 v[1:2], v[1:2], v[136:137]
	v_add_f64 v[3:4], v[3:4], v[138:139]
	s_andn2_b32 exec_lo, exec_lo, s71
	s_cbranch_execnz .LBB61_295
; %bb.296:
	s_or_b32 exec_lo, exec_lo, s71
.LBB61_297:
	s_or_b32 exec_lo, exec_lo, s4
.LBB61_298:
	s_or_b32 exec_lo, exec_lo, s8
	v_mov_b32_e32 v131, 0
	ds_read_b128 v[131:134], v131 offset:624
	s_waitcnt lgkmcnt(0)
	v_mul_f64 v[136:137], v[3:4], v[133:134]
	v_mul_f64 v[133:134], v[1:2], v[133:134]
	v_fma_f64 v[1:2], v[1:2], v[131:132], -v[136:137]
	v_fma_f64 v[3:4], v[3:4], v[131:132], v[133:134]
	buffer_store_dword v2, off, s[0:3], 0 offset:628
	buffer_store_dword v1, off, s[0:3], 0 offset:624
	;; [unrolled: 1-line block ×4, first 2 shown]
.LBB61_299:
	s_or_b32 exec_lo, exec_lo, s6
	v_mov_b32_e32 v4, s33
	v_cmp_lt_u32_e64 s4, 38, v0
	s_clause 0x3
	buffer_load_dword v1, v4, s[0:3], 0 offen
	buffer_load_dword v2, v4, s[0:3], 0 offen offset:4
	buffer_load_dword v3, v4, s[0:3], 0 offen offset:8
	;; [unrolled: 1-line block ×3, first 2 shown]
	s_waitcnt vmcnt(0)
	ds_write_b128 v130, v[1:4]
	s_waitcnt lgkmcnt(0)
	s_waitcnt_vscnt null, 0x0
	s_barrier
	buffer_gl0_inv
	s_and_saveexec_b32 s6, s4
	s_cbranch_execz .LBB61_313
; %bb.300:
	ds_read_b128 v[1:4], v130
	s_andn2_b32 vcc_lo, exec_lo, s7
	s_cbranch_vccnz .LBB61_302
; %bb.301:
	s_clause 0x3
	buffer_load_dword v131, v129, s[0:3], 0 offen offset:8
	buffer_load_dword v132, v129, s[0:3], 0 offen offset:12
	buffer_load_dword v133, v129, s[0:3], 0 offen
	buffer_load_dword v134, v129, s[0:3], 0 offen offset:4
	s_waitcnt vmcnt(2) lgkmcnt(0)
	v_mul_f64 v[136:137], v[3:4], v[131:132]
	v_mul_f64 v[131:132], v[1:2], v[131:132]
	s_waitcnt vmcnt(0)
	v_fma_f64 v[1:2], v[1:2], v[133:134], -v[136:137]
	v_fma_f64 v[3:4], v[3:4], v[133:134], v[131:132]
.LBB61_302:
	s_and_saveexec_b32 s8, s5
	s_cbranch_execz .LBB61_312
; %bb.303:
	v_subrev_nc_u32_e32 v132, 40, v0
	v_mov_b32_e32 v133, 39
	v_subrev_nc_u32_e32 v131, 39, v0
	s_mov_b32 s5, exec_lo
	v_cmpx_lt_u32_e32 6, v132
	s_cbranch_execz .LBB61_307
; %bb.304:
	v_and_b32_e32 v132, -8, v131
	s_movk_i32 s72, 0x650
	s_mov_b32 s71, 0
	s_mov_b32 s73, s31
	;; [unrolled: 1-line block ×3, first 2 shown]
.LBB61_305:                             ; =>This Inner Loop Header: Depth=1
	v_mov_b32_e32 v136, s73
	v_mov_b32_e32 v182, s72
	s_add_i32 s75, s74, 8
	s_add_i32 s74, s74, 47
	v_cmp_eq_u32_e32 vcc_lo, s75, v132
	s_clause 0x1f
	buffer_load_dword v133, v136, s[0:3], 0 offen offset:8
	buffer_load_dword v134, v136, s[0:3], 0 offen offset:12
	buffer_load_dword v144, v136, s[0:3], 0 offen
	buffer_load_dword v145, v136, s[0:3], 0 offen offset:4
	buffer_load_dword v146, v136, s[0:3], 0 offen offset:24
	;; [unrolled: 1-line block ×29, first 2 shown]
	ds_read_b128 v[136:139], v182
	ds_read_b128 v[140:143], v182 offset:16
	s_addk_i32 s72, 0x80
	s_addk_i32 s73, 0x80
	s_or_b32 s71, vcc_lo, s71
	s_waitcnt vmcnt(30) lgkmcnt(1)
	v_mul_f64 v[174:175], v[138:139], v[133:134]
	v_mul_f64 v[133:134], v[136:137], v[133:134]
	s_waitcnt vmcnt(26) lgkmcnt(0)
	v_mul_f64 v[176:177], v[142:143], v[146:147]
	v_mul_f64 v[178:179], v[140:141], v[146:147]
	v_fma_f64 v[174:175], v[136:137], v[144:145], -v[174:175]
	v_fma_f64 v[133:134], v[138:139], v[144:145], v[133:134]
	ds_read_b128 v[136:139], v182 offset:32
	ds_read_b128 v[144:147], v182 offset:48
	s_waitcnt vmcnt(24)
	v_fma_f64 v[140:141], v[140:141], v[148:149], -v[176:177]
	v_fma_f64 v[142:143], v[142:143], v[148:149], v[178:179]
	s_waitcnt vmcnt(22) lgkmcnt(1)
	v_mul_f64 v[180:181], v[138:139], v[150:151]
	v_mul_f64 v[150:151], v[136:137], v[150:151]
	v_add_f64 v[1:2], v[1:2], v[174:175]
	v_add_f64 v[3:4], v[3:4], v[133:134]
	s_waitcnt vmcnt(18) lgkmcnt(0)
	v_mul_f64 v[133:134], v[146:147], v[154:155]
	v_mul_f64 v[148:149], v[144:145], v[154:155]
	v_fma_f64 v[154:155], v[136:137], v[152:153], -v[180:181]
	v_fma_f64 v[150:151], v[138:139], v[152:153], v[150:151]
	v_add_f64 v[140:141], v[1:2], v[140:141]
	v_add_f64 v[142:143], v[3:4], v[142:143]
	ds_read_b128 v[1:4], v182 offset:64
	ds_read_b128 v[136:139], v182 offset:80
	s_waitcnt vmcnt(16)
	v_fma_f64 v[133:134], v[144:145], v[156:157], -v[133:134]
	v_fma_f64 v[144:145], v[146:147], v[156:157], v[148:149]
	s_waitcnt vmcnt(12) lgkmcnt(1)
	v_mul_f64 v[152:153], v[3:4], v[158:159]
	v_mul_f64 v[158:159], v[1:2], v[158:159]
	v_add_f64 v[140:141], v[140:141], v[154:155]
	v_add_f64 v[142:143], v[142:143], v[150:151]
	s_waitcnt vmcnt(10) lgkmcnt(0)
	v_mul_f64 v[146:147], v[138:139], v[160:161]
	v_mul_f64 v[148:149], v[136:137], v[160:161]
	s_waitcnt vmcnt(8)
	v_fma_f64 v[150:151], v[1:2], v[164:165], -v[152:153]
	v_fma_f64 v[152:153], v[3:4], v[164:165], v[158:159]
	v_add_f64 v[133:134], v[140:141], v[133:134]
	v_add_f64 v[144:145], v[142:143], v[144:145]
	ds_read_b128 v[1:4], v182 offset:96
	ds_read_b128 v[140:143], v182 offset:112
	v_fma_f64 v[136:137], v[136:137], v[162:163], -v[146:147]
	v_fma_f64 v[138:139], v[138:139], v[162:163], v[148:149]
	s_waitcnt vmcnt(4) lgkmcnt(1)
	v_mul_f64 v[154:155], v[3:4], v[166:167]
	v_mul_f64 v[156:157], v[1:2], v[166:167]
	v_add_f64 v[133:134], v[133:134], v[150:151]
	v_add_f64 v[144:145], v[144:145], v[152:153]
	s_waitcnt vmcnt(2) lgkmcnt(0)
	v_mul_f64 v[146:147], v[142:143], v[168:169]
	v_mul_f64 v[148:149], v[140:141], v[168:169]
	s_waitcnt vmcnt(0)
	v_fma_f64 v[1:2], v[1:2], v[172:173], -v[154:155]
	v_fma_f64 v[3:4], v[3:4], v[172:173], v[156:157]
	v_add_f64 v[133:134], v[133:134], v[136:137]
	v_add_f64 v[136:137], v[144:145], v[138:139]
	v_fma_f64 v[138:139], v[140:141], v[170:171], -v[146:147]
	v_fma_f64 v[140:141], v[142:143], v[170:171], v[148:149]
	v_add_f64 v[1:2], v[133:134], v[1:2]
	v_add_f64 v[3:4], v[136:137], v[3:4]
	v_mov_b32_e32 v133, s74
	s_mov_b32 s74, s75
	v_add_f64 v[1:2], v[1:2], v[138:139]
	v_add_f64 v[3:4], v[3:4], v[140:141]
	s_andn2_b32 exec_lo, exec_lo, s71
	s_cbranch_execnz .LBB61_305
; %bb.306:
	s_or_b32 exec_lo, exec_lo, s71
.LBB61_307:
	s_or_b32 exec_lo, exec_lo, s5
	v_and_b32_e32 v131, 7, v131
	s_mov_b32 s71, 0
	s_mov_b32 s5, exec_lo
	v_cmpx_ne_u32_e32 0, v131
	s_cbranch_execz .LBB61_311
; %bb.308:
	v_lshlrev_b32_e32 v133, 4, v133
	v_add_nc_u32_e32 v132, 0x3e0, v133
	.p2align	6
.LBB61_309:                             ; =>This Inner Loop Header: Depth=1
	s_clause 0x3
	buffer_load_dword v140, v133, s[0:3], 0 offen offset:8
	buffer_load_dword v141, v133, s[0:3], 0 offen offset:12
	buffer_load_dword v142, v133, s[0:3], 0 offen
	buffer_load_dword v143, v133, s[0:3], 0 offen offset:4
	ds_read_b128 v[136:139], v132
	v_add_nc_u32_e32 v131, -1, v131
	v_add_nc_u32_e32 v132, 16, v132
	v_add_nc_u32_e32 v133, 16, v133
	v_cmp_eq_u32_e32 vcc_lo, 0, v131
	s_or_b32 s71, vcc_lo, s71
	s_waitcnt vmcnt(2) lgkmcnt(0)
	v_mul_f64 v[144:145], v[138:139], v[140:141]
	v_mul_f64 v[140:141], v[136:137], v[140:141]
	s_waitcnt vmcnt(0)
	v_fma_f64 v[136:137], v[136:137], v[142:143], -v[144:145]
	v_fma_f64 v[138:139], v[138:139], v[142:143], v[140:141]
	v_add_f64 v[1:2], v[1:2], v[136:137]
	v_add_f64 v[3:4], v[3:4], v[138:139]
	s_andn2_b32 exec_lo, exec_lo, s71
	s_cbranch_execnz .LBB61_309
; %bb.310:
	s_or_b32 exec_lo, exec_lo, s71
.LBB61_311:
	s_or_b32 exec_lo, exec_lo, s5
.LBB61_312:
	s_or_b32 exec_lo, exec_lo, s8
	v_mov_b32_e32 v131, 0
	ds_read_b128 v[131:134], v131 offset:608
	s_waitcnt lgkmcnt(0)
	v_mul_f64 v[136:137], v[3:4], v[133:134]
	v_mul_f64 v[133:134], v[1:2], v[133:134]
	v_fma_f64 v[1:2], v[1:2], v[131:132], -v[136:137]
	v_fma_f64 v[3:4], v[3:4], v[131:132], v[133:134]
	buffer_store_dword v2, off, s[0:3], 0 offset:612
	buffer_store_dword v1, off, s[0:3], 0 offset:608
	;; [unrolled: 1-line block ×4, first 2 shown]
.LBB61_313:
	s_or_b32 exec_lo, exec_lo, s6
	v_mov_b32_e32 v4, s34
	v_cmp_lt_u32_e64 s5, 37, v0
	s_clause 0x3
	buffer_load_dword v1, v4, s[0:3], 0 offen
	buffer_load_dword v2, v4, s[0:3], 0 offen offset:4
	buffer_load_dword v3, v4, s[0:3], 0 offen offset:8
	;; [unrolled: 1-line block ×3, first 2 shown]
	s_waitcnt vmcnt(0)
	ds_write_b128 v130, v[1:4]
	s_waitcnt lgkmcnt(0)
	s_waitcnt_vscnt null, 0x0
	s_barrier
	buffer_gl0_inv
	s_and_saveexec_b32 s6, s5
	s_cbranch_execz .LBB61_327
; %bb.314:
	ds_read_b128 v[1:4], v130
	s_andn2_b32 vcc_lo, exec_lo, s7
	s_cbranch_vccnz .LBB61_316
; %bb.315:
	s_clause 0x3
	buffer_load_dword v131, v129, s[0:3], 0 offen offset:8
	buffer_load_dword v132, v129, s[0:3], 0 offen offset:12
	buffer_load_dword v133, v129, s[0:3], 0 offen
	buffer_load_dword v134, v129, s[0:3], 0 offen offset:4
	s_waitcnt vmcnt(2) lgkmcnt(0)
	v_mul_f64 v[136:137], v[3:4], v[131:132]
	v_mul_f64 v[131:132], v[1:2], v[131:132]
	s_waitcnt vmcnt(0)
	v_fma_f64 v[1:2], v[1:2], v[133:134], -v[136:137]
	v_fma_f64 v[3:4], v[3:4], v[133:134], v[131:132]
.LBB61_316:
	s_and_saveexec_b32 s8, s4
	s_cbranch_execz .LBB61_326
; %bb.317:
	v_subrev_nc_u32_e32 v132, 39, v0
	v_mov_b32_e32 v133, 38
	v_subrev_nc_u32_e32 v131, 38, v0
	s_mov_b32 s4, exec_lo
	v_cmpx_lt_u32_e32 6, v132
	s_cbranch_execz .LBB61_321
; %bb.318:
	v_and_b32_e32 v132, -8, v131
	s_movk_i32 s72, 0x640
	s_mov_b32 s71, 0
	s_mov_b32 s73, s33
	;; [unrolled: 1-line block ×3, first 2 shown]
.LBB61_319:                             ; =>This Inner Loop Header: Depth=1
	v_mov_b32_e32 v136, s73
	v_mov_b32_e32 v182, s72
	s_add_i32 s75, s74, 8
	s_add_i32 s74, s74, 46
	v_cmp_eq_u32_e32 vcc_lo, s75, v132
	s_clause 0x1f
	buffer_load_dword v133, v136, s[0:3], 0 offen offset:8
	buffer_load_dword v134, v136, s[0:3], 0 offen offset:12
	buffer_load_dword v144, v136, s[0:3], 0 offen
	buffer_load_dword v145, v136, s[0:3], 0 offen offset:4
	buffer_load_dword v146, v136, s[0:3], 0 offen offset:24
	;; [unrolled: 1-line block ×29, first 2 shown]
	ds_read_b128 v[136:139], v182
	ds_read_b128 v[140:143], v182 offset:16
	s_addk_i32 s72, 0x80
	s_addk_i32 s73, 0x80
	s_or_b32 s71, vcc_lo, s71
	s_waitcnt vmcnt(30) lgkmcnt(1)
	v_mul_f64 v[174:175], v[138:139], v[133:134]
	v_mul_f64 v[133:134], v[136:137], v[133:134]
	s_waitcnt vmcnt(26) lgkmcnt(0)
	v_mul_f64 v[176:177], v[142:143], v[146:147]
	v_mul_f64 v[178:179], v[140:141], v[146:147]
	v_fma_f64 v[174:175], v[136:137], v[144:145], -v[174:175]
	v_fma_f64 v[133:134], v[138:139], v[144:145], v[133:134]
	ds_read_b128 v[136:139], v182 offset:32
	ds_read_b128 v[144:147], v182 offset:48
	s_waitcnt vmcnt(24)
	v_fma_f64 v[140:141], v[140:141], v[148:149], -v[176:177]
	v_fma_f64 v[142:143], v[142:143], v[148:149], v[178:179]
	s_waitcnt vmcnt(22) lgkmcnt(1)
	v_mul_f64 v[180:181], v[138:139], v[150:151]
	v_mul_f64 v[150:151], v[136:137], v[150:151]
	v_add_f64 v[1:2], v[1:2], v[174:175]
	v_add_f64 v[3:4], v[3:4], v[133:134]
	s_waitcnt vmcnt(18) lgkmcnt(0)
	v_mul_f64 v[133:134], v[146:147], v[154:155]
	v_mul_f64 v[148:149], v[144:145], v[154:155]
	v_fma_f64 v[154:155], v[136:137], v[152:153], -v[180:181]
	v_fma_f64 v[150:151], v[138:139], v[152:153], v[150:151]
	v_add_f64 v[140:141], v[1:2], v[140:141]
	v_add_f64 v[142:143], v[3:4], v[142:143]
	ds_read_b128 v[1:4], v182 offset:64
	ds_read_b128 v[136:139], v182 offset:80
	s_waitcnt vmcnt(16)
	v_fma_f64 v[133:134], v[144:145], v[156:157], -v[133:134]
	v_fma_f64 v[144:145], v[146:147], v[156:157], v[148:149]
	s_waitcnt vmcnt(12) lgkmcnt(1)
	v_mul_f64 v[152:153], v[3:4], v[158:159]
	v_mul_f64 v[158:159], v[1:2], v[158:159]
	v_add_f64 v[140:141], v[140:141], v[154:155]
	v_add_f64 v[142:143], v[142:143], v[150:151]
	s_waitcnt vmcnt(10) lgkmcnt(0)
	v_mul_f64 v[146:147], v[138:139], v[160:161]
	v_mul_f64 v[148:149], v[136:137], v[160:161]
	s_waitcnt vmcnt(8)
	v_fma_f64 v[150:151], v[1:2], v[164:165], -v[152:153]
	v_fma_f64 v[152:153], v[3:4], v[164:165], v[158:159]
	v_add_f64 v[133:134], v[140:141], v[133:134]
	v_add_f64 v[144:145], v[142:143], v[144:145]
	ds_read_b128 v[1:4], v182 offset:96
	ds_read_b128 v[140:143], v182 offset:112
	v_fma_f64 v[136:137], v[136:137], v[162:163], -v[146:147]
	v_fma_f64 v[138:139], v[138:139], v[162:163], v[148:149]
	s_waitcnt vmcnt(4) lgkmcnt(1)
	v_mul_f64 v[154:155], v[3:4], v[166:167]
	v_mul_f64 v[156:157], v[1:2], v[166:167]
	v_add_f64 v[133:134], v[133:134], v[150:151]
	v_add_f64 v[144:145], v[144:145], v[152:153]
	s_waitcnt vmcnt(2) lgkmcnt(0)
	v_mul_f64 v[146:147], v[142:143], v[168:169]
	v_mul_f64 v[148:149], v[140:141], v[168:169]
	s_waitcnt vmcnt(0)
	v_fma_f64 v[1:2], v[1:2], v[172:173], -v[154:155]
	v_fma_f64 v[3:4], v[3:4], v[172:173], v[156:157]
	v_add_f64 v[133:134], v[133:134], v[136:137]
	v_add_f64 v[136:137], v[144:145], v[138:139]
	v_fma_f64 v[138:139], v[140:141], v[170:171], -v[146:147]
	v_fma_f64 v[140:141], v[142:143], v[170:171], v[148:149]
	v_add_f64 v[1:2], v[133:134], v[1:2]
	v_add_f64 v[3:4], v[136:137], v[3:4]
	v_mov_b32_e32 v133, s74
	s_mov_b32 s74, s75
	v_add_f64 v[1:2], v[1:2], v[138:139]
	v_add_f64 v[3:4], v[3:4], v[140:141]
	s_andn2_b32 exec_lo, exec_lo, s71
	s_cbranch_execnz .LBB61_319
; %bb.320:
	s_or_b32 exec_lo, exec_lo, s71
.LBB61_321:
	s_or_b32 exec_lo, exec_lo, s4
	v_and_b32_e32 v131, 7, v131
	s_mov_b32 s71, 0
	s_mov_b32 s4, exec_lo
	v_cmpx_ne_u32_e32 0, v131
	s_cbranch_execz .LBB61_325
; %bb.322:
	v_lshlrev_b32_e32 v133, 4, v133
	v_add_nc_u32_e32 v132, 0x3e0, v133
	.p2align	6
.LBB61_323:                             ; =>This Inner Loop Header: Depth=1
	s_clause 0x3
	buffer_load_dword v140, v133, s[0:3], 0 offen offset:8
	buffer_load_dword v141, v133, s[0:3], 0 offen offset:12
	buffer_load_dword v142, v133, s[0:3], 0 offen
	buffer_load_dword v143, v133, s[0:3], 0 offen offset:4
	ds_read_b128 v[136:139], v132
	v_add_nc_u32_e32 v131, -1, v131
	v_add_nc_u32_e32 v132, 16, v132
	v_add_nc_u32_e32 v133, 16, v133
	v_cmp_eq_u32_e32 vcc_lo, 0, v131
	s_or_b32 s71, vcc_lo, s71
	s_waitcnt vmcnt(2) lgkmcnt(0)
	v_mul_f64 v[144:145], v[138:139], v[140:141]
	v_mul_f64 v[140:141], v[136:137], v[140:141]
	s_waitcnt vmcnt(0)
	v_fma_f64 v[136:137], v[136:137], v[142:143], -v[144:145]
	v_fma_f64 v[138:139], v[138:139], v[142:143], v[140:141]
	v_add_f64 v[1:2], v[1:2], v[136:137]
	v_add_f64 v[3:4], v[3:4], v[138:139]
	s_andn2_b32 exec_lo, exec_lo, s71
	s_cbranch_execnz .LBB61_323
; %bb.324:
	s_or_b32 exec_lo, exec_lo, s71
.LBB61_325:
	s_or_b32 exec_lo, exec_lo, s4
.LBB61_326:
	s_or_b32 exec_lo, exec_lo, s8
	v_mov_b32_e32 v131, 0
	ds_read_b128 v[131:134], v131 offset:592
	s_waitcnt lgkmcnt(0)
	v_mul_f64 v[136:137], v[3:4], v[133:134]
	v_mul_f64 v[133:134], v[1:2], v[133:134]
	v_fma_f64 v[1:2], v[1:2], v[131:132], -v[136:137]
	v_fma_f64 v[3:4], v[3:4], v[131:132], v[133:134]
	buffer_store_dword v2, off, s[0:3], 0 offset:596
	buffer_store_dword v1, off, s[0:3], 0 offset:592
	buffer_store_dword v4, off, s[0:3], 0 offset:604
	buffer_store_dword v3, off, s[0:3], 0 offset:600
.LBB61_327:
	s_or_b32 exec_lo, exec_lo, s6
	v_mov_b32_e32 v4, s35
	v_cmp_lt_u32_e64 s4, 36, v0
	s_clause 0x3
	buffer_load_dword v1, v4, s[0:3], 0 offen
	buffer_load_dword v2, v4, s[0:3], 0 offen offset:4
	buffer_load_dword v3, v4, s[0:3], 0 offen offset:8
	;; [unrolled: 1-line block ×3, first 2 shown]
	s_waitcnt vmcnt(0)
	ds_write_b128 v130, v[1:4]
	s_waitcnt lgkmcnt(0)
	s_waitcnt_vscnt null, 0x0
	s_barrier
	buffer_gl0_inv
	s_and_saveexec_b32 s6, s4
	s_cbranch_execz .LBB61_341
; %bb.328:
	ds_read_b128 v[1:4], v130
	s_andn2_b32 vcc_lo, exec_lo, s7
	s_cbranch_vccnz .LBB61_330
; %bb.329:
	s_clause 0x3
	buffer_load_dword v131, v129, s[0:3], 0 offen offset:8
	buffer_load_dword v132, v129, s[0:3], 0 offen offset:12
	buffer_load_dword v133, v129, s[0:3], 0 offen
	buffer_load_dword v134, v129, s[0:3], 0 offen offset:4
	s_waitcnt vmcnt(2) lgkmcnt(0)
	v_mul_f64 v[136:137], v[3:4], v[131:132]
	v_mul_f64 v[131:132], v[1:2], v[131:132]
	s_waitcnt vmcnt(0)
	v_fma_f64 v[1:2], v[1:2], v[133:134], -v[136:137]
	v_fma_f64 v[3:4], v[3:4], v[133:134], v[131:132]
.LBB61_330:
	s_and_saveexec_b32 s8, s5
	s_cbranch_execz .LBB61_340
; %bb.331:
	v_subrev_nc_u32_e32 v132, 38, v0
	v_mov_b32_e32 v133, 37
	v_subrev_nc_u32_e32 v131, 37, v0
	s_mov_b32 s5, exec_lo
	v_cmpx_lt_u32_e32 6, v132
	s_cbranch_execz .LBB61_335
; %bb.332:
	v_and_b32_e32 v132, -8, v131
	s_movk_i32 s72, 0x630
	s_mov_b32 s71, 0
	s_mov_b32 s73, s34
	s_mov_b32 s74, 0
.LBB61_333:                             ; =>This Inner Loop Header: Depth=1
	v_mov_b32_e32 v136, s73
	v_mov_b32_e32 v182, s72
	s_add_i32 s75, s74, 8
	s_add_i32 s74, s74, 45
	v_cmp_eq_u32_e32 vcc_lo, s75, v132
	s_clause 0x1f
	buffer_load_dword v133, v136, s[0:3], 0 offen offset:8
	buffer_load_dword v134, v136, s[0:3], 0 offen offset:12
	buffer_load_dword v144, v136, s[0:3], 0 offen
	buffer_load_dword v145, v136, s[0:3], 0 offen offset:4
	buffer_load_dword v146, v136, s[0:3], 0 offen offset:24
	buffer_load_dword v147, v136, s[0:3], 0 offen offset:28
	buffer_load_dword v148, v136, s[0:3], 0 offen offset:16
	buffer_load_dword v149, v136, s[0:3], 0 offen offset:20
	buffer_load_dword v150, v136, s[0:3], 0 offen offset:40
	buffer_load_dword v151, v136, s[0:3], 0 offen offset:44
	buffer_load_dword v152, v136, s[0:3], 0 offen offset:32
	buffer_load_dword v153, v136, s[0:3], 0 offen offset:36
	buffer_load_dword v154, v136, s[0:3], 0 offen offset:56
	buffer_load_dword v155, v136, s[0:3], 0 offen offset:60
	buffer_load_dword v156, v136, s[0:3], 0 offen offset:48
	buffer_load_dword v157, v136, s[0:3], 0 offen offset:52
	buffer_load_dword v159, v136, s[0:3], 0 offen offset:76
	buffer_load_dword v160, v136, s[0:3], 0 offen offset:88
	buffer_load_dword v162, v136, s[0:3], 0 offen offset:80
	buffer_load_dword v158, v136, s[0:3], 0 offen offset:72
	buffer_load_dword v163, v136, s[0:3], 0 offen offset:84
	buffer_load_dword v161, v136, s[0:3], 0 offen offset:92
	buffer_load_dword v165, v136, s[0:3], 0 offen offset:68
	buffer_load_dword v164, v136, s[0:3], 0 offen offset:64
	buffer_load_dword v167, v136, s[0:3], 0 offen offset:108
	buffer_load_dword v168, v136, s[0:3], 0 offen offset:120
	buffer_load_dword v170, v136, s[0:3], 0 offen offset:112
	buffer_load_dword v166, v136, s[0:3], 0 offen offset:104
	buffer_load_dword v171, v136, s[0:3], 0 offen offset:116
	buffer_load_dword v169, v136, s[0:3], 0 offen offset:124
	buffer_load_dword v173, v136, s[0:3], 0 offen offset:100
	buffer_load_dword v172, v136, s[0:3], 0 offen offset:96
	ds_read_b128 v[136:139], v182
	ds_read_b128 v[140:143], v182 offset:16
	s_addk_i32 s72, 0x80
	s_addk_i32 s73, 0x80
	s_or_b32 s71, vcc_lo, s71
	s_waitcnt vmcnt(30) lgkmcnt(1)
	v_mul_f64 v[174:175], v[138:139], v[133:134]
	v_mul_f64 v[133:134], v[136:137], v[133:134]
	s_waitcnt vmcnt(26) lgkmcnt(0)
	v_mul_f64 v[176:177], v[142:143], v[146:147]
	v_mul_f64 v[178:179], v[140:141], v[146:147]
	v_fma_f64 v[174:175], v[136:137], v[144:145], -v[174:175]
	v_fma_f64 v[133:134], v[138:139], v[144:145], v[133:134]
	ds_read_b128 v[136:139], v182 offset:32
	ds_read_b128 v[144:147], v182 offset:48
	s_waitcnt vmcnt(24)
	v_fma_f64 v[140:141], v[140:141], v[148:149], -v[176:177]
	v_fma_f64 v[142:143], v[142:143], v[148:149], v[178:179]
	s_waitcnt vmcnt(22) lgkmcnt(1)
	v_mul_f64 v[180:181], v[138:139], v[150:151]
	v_mul_f64 v[150:151], v[136:137], v[150:151]
	v_add_f64 v[1:2], v[1:2], v[174:175]
	v_add_f64 v[3:4], v[3:4], v[133:134]
	s_waitcnt vmcnt(18) lgkmcnt(0)
	v_mul_f64 v[133:134], v[146:147], v[154:155]
	v_mul_f64 v[148:149], v[144:145], v[154:155]
	v_fma_f64 v[154:155], v[136:137], v[152:153], -v[180:181]
	v_fma_f64 v[150:151], v[138:139], v[152:153], v[150:151]
	v_add_f64 v[140:141], v[1:2], v[140:141]
	v_add_f64 v[142:143], v[3:4], v[142:143]
	ds_read_b128 v[1:4], v182 offset:64
	ds_read_b128 v[136:139], v182 offset:80
	s_waitcnt vmcnt(16)
	v_fma_f64 v[133:134], v[144:145], v[156:157], -v[133:134]
	v_fma_f64 v[144:145], v[146:147], v[156:157], v[148:149]
	s_waitcnt vmcnt(12) lgkmcnt(1)
	v_mul_f64 v[152:153], v[3:4], v[158:159]
	v_mul_f64 v[158:159], v[1:2], v[158:159]
	v_add_f64 v[140:141], v[140:141], v[154:155]
	v_add_f64 v[142:143], v[142:143], v[150:151]
	s_waitcnt vmcnt(10) lgkmcnt(0)
	v_mul_f64 v[146:147], v[138:139], v[160:161]
	v_mul_f64 v[148:149], v[136:137], v[160:161]
	s_waitcnt vmcnt(8)
	v_fma_f64 v[150:151], v[1:2], v[164:165], -v[152:153]
	v_fma_f64 v[152:153], v[3:4], v[164:165], v[158:159]
	v_add_f64 v[133:134], v[140:141], v[133:134]
	v_add_f64 v[144:145], v[142:143], v[144:145]
	ds_read_b128 v[1:4], v182 offset:96
	ds_read_b128 v[140:143], v182 offset:112
	v_fma_f64 v[136:137], v[136:137], v[162:163], -v[146:147]
	v_fma_f64 v[138:139], v[138:139], v[162:163], v[148:149]
	s_waitcnt vmcnt(4) lgkmcnt(1)
	v_mul_f64 v[154:155], v[3:4], v[166:167]
	v_mul_f64 v[156:157], v[1:2], v[166:167]
	v_add_f64 v[133:134], v[133:134], v[150:151]
	v_add_f64 v[144:145], v[144:145], v[152:153]
	s_waitcnt vmcnt(2) lgkmcnt(0)
	v_mul_f64 v[146:147], v[142:143], v[168:169]
	v_mul_f64 v[148:149], v[140:141], v[168:169]
	s_waitcnt vmcnt(0)
	v_fma_f64 v[1:2], v[1:2], v[172:173], -v[154:155]
	v_fma_f64 v[3:4], v[3:4], v[172:173], v[156:157]
	v_add_f64 v[133:134], v[133:134], v[136:137]
	v_add_f64 v[136:137], v[144:145], v[138:139]
	v_fma_f64 v[138:139], v[140:141], v[170:171], -v[146:147]
	v_fma_f64 v[140:141], v[142:143], v[170:171], v[148:149]
	v_add_f64 v[1:2], v[133:134], v[1:2]
	v_add_f64 v[3:4], v[136:137], v[3:4]
	v_mov_b32_e32 v133, s74
	s_mov_b32 s74, s75
	v_add_f64 v[1:2], v[1:2], v[138:139]
	v_add_f64 v[3:4], v[3:4], v[140:141]
	s_andn2_b32 exec_lo, exec_lo, s71
	s_cbranch_execnz .LBB61_333
; %bb.334:
	s_or_b32 exec_lo, exec_lo, s71
.LBB61_335:
	s_or_b32 exec_lo, exec_lo, s5
	v_and_b32_e32 v131, 7, v131
	s_mov_b32 s71, 0
	s_mov_b32 s5, exec_lo
	v_cmpx_ne_u32_e32 0, v131
	s_cbranch_execz .LBB61_339
; %bb.336:
	v_lshlrev_b32_e32 v133, 4, v133
	v_add_nc_u32_e32 v132, 0x3e0, v133
	.p2align	6
.LBB61_337:                             ; =>This Inner Loop Header: Depth=1
	s_clause 0x3
	buffer_load_dword v140, v133, s[0:3], 0 offen offset:8
	buffer_load_dword v141, v133, s[0:3], 0 offen offset:12
	buffer_load_dword v142, v133, s[0:3], 0 offen
	buffer_load_dword v143, v133, s[0:3], 0 offen offset:4
	ds_read_b128 v[136:139], v132
	v_add_nc_u32_e32 v131, -1, v131
	v_add_nc_u32_e32 v132, 16, v132
	v_add_nc_u32_e32 v133, 16, v133
	v_cmp_eq_u32_e32 vcc_lo, 0, v131
	s_or_b32 s71, vcc_lo, s71
	s_waitcnt vmcnt(2) lgkmcnt(0)
	v_mul_f64 v[144:145], v[138:139], v[140:141]
	v_mul_f64 v[140:141], v[136:137], v[140:141]
	s_waitcnt vmcnt(0)
	v_fma_f64 v[136:137], v[136:137], v[142:143], -v[144:145]
	v_fma_f64 v[138:139], v[138:139], v[142:143], v[140:141]
	v_add_f64 v[1:2], v[1:2], v[136:137]
	v_add_f64 v[3:4], v[3:4], v[138:139]
	s_andn2_b32 exec_lo, exec_lo, s71
	s_cbranch_execnz .LBB61_337
; %bb.338:
	s_or_b32 exec_lo, exec_lo, s71
.LBB61_339:
	s_or_b32 exec_lo, exec_lo, s5
.LBB61_340:
	s_or_b32 exec_lo, exec_lo, s8
	v_mov_b32_e32 v131, 0
	ds_read_b128 v[131:134], v131 offset:576
	s_waitcnt lgkmcnt(0)
	v_mul_f64 v[136:137], v[3:4], v[133:134]
	v_mul_f64 v[133:134], v[1:2], v[133:134]
	v_fma_f64 v[1:2], v[1:2], v[131:132], -v[136:137]
	v_fma_f64 v[3:4], v[3:4], v[131:132], v[133:134]
	buffer_store_dword v2, off, s[0:3], 0 offset:580
	buffer_store_dword v1, off, s[0:3], 0 offset:576
	;; [unrolled: 1-line block ×4, first 2 shown]
.LBB61_341:
	s_or_b32 exec_lo, exec_lo, s6
	v_mov_b32_e32 v4, s36
	v_cmp_lt_u32_e64 s5, 35, v0
	s_clause 0x3
	buffer_load_dword v1, v4, s[0:3], 0 offen
	buffer_load_dword v2, v4, s[0:3], 0 offen offset:4
	buffer_load_dword v3, v4, s[0:3], 0 offen offset:8
	;; [unrolled: 1-line block ×3, first 2 shown]
	s_waitcnt vmcnt(0)
	ds_write_b128 v130, v[1:4]
	s_waitcnt lgkmcnt(0)
	s_waitcnt_vscnt null, 0x0
	s_barrier
	buffer_gl0_inv
	s_and_saveexec_b32 s6, s5
	s_cbranch_execz .LBB61_355
; %bb.342:
	ds_read_b128 v[1:4], v130
	s_andn2_b32 vcc_lo, exec_lo, s7
	s_cbranch_vccnz .LBB61_344
; %bb.343:
	s_clause 0x3
	buffer_load_dword v131, v129, s[0:3], 0 offen offset:8
	buffer_load_dword v132, v129, s[0:3], 0 offen offset:12
	buffer_load_dword v133, v129, s[0:3], 0 offen
	buffer_load_dword v134, v129, s[0:3], 0 offen offset:4
	s_waitcnt vmcnt(2) lgkmcnt(0)
	v_mul_f64 v[136:137], v[3:4], v[131:132]
	v_mul_f64 v[131:132], v[1:2], v[131:132]
	s_waitcnt vmcnt(0)
	v_fma_f64 v[1:2], v[1:2], v[133:134], -v[136:137]
	v_fma_f64 v[3:4], v[3:4], v[133:134], v[131:132]
.LBB61_344:
	s_and_saveexec_b32 s8, s4
	s_cbranch_execz .LBB61_354
; %bb.345:
	v_subrev_nc_u32_e32 v132, 37, v0
	v_mov_b32_e32 v133, 36
	v_subrev_nc_u32_e32 v131, 36, v0
	s_mov_b32 s4, exec_lo
	v_cmpx_lt_u32_e32 6, v132
	s_cbranch_execz .LBB61_349
; %bb.346:
	v_and_b32_e32 v132, -8, v131
	s_movk_i32 s72, 0x620
	s_mov_b32 s71, 0
	s_mov_b32 s73, s35
	;; [unrolled: 1-line block ×3, first 2 shown]
.LBB61_347:                             ; =>This Inner Loop Header: Depth=1
	v_mov_b32_e32 v136, s73
	v_mov_b32_e32 v182, s72
	s_add_i32 s75, s74, 8
	s_add_i32 s74, s74, 44
	v_cmp_eq_u32_e32 vcc_lo, s75, v132
	s_clause 0x1f
	buffer_load_dword v133, v136, s[0:3], 0 offen offset:8
	buffer_load_dword v134, v136, s[0:3], 0 offen offset:12
	buffer_load_dword v144, v136, s[0:3], 0 offen
	buffer_load_dword v145, v136, s[0:3], 0 offen offset:4
	buffer_load_dword v146, v136, s[0:3], 0 offen offset:24
	;; [unrolled: 1-line block ×29, first 2 shown]
	ds_read_b128 v[136:139], v182
	ds_read_b128 v[140:143], v182 offset:16
	s_addk_i32 s72, 0x80
	s_addk_i32 s73, 0x80
	s_or_b32 s71, vcc_lo, s71
	s_waitcnt vmcnt(30) lgkmcnt(1)
	v_mul_f64 v[174:175], v[138:139], v[133:134]
	v_mul_f64 v[133:134], v[136:137], v[133:134]
	s_waitcnt vmcnt(26) lgkmcnt(0)
	v_mul_f64 v[176:177], v[142:143], v[146:147]
	v_mul_f64 v[178:179], v[140:141], v[146:147]
	v_fma_f64 v[174:175], v[136:137], v[144:145], -v[174:175]
	v_fma_f64 v[133:134], v[138:139], v[144:145], v[133:134]
	ds_read_b128 v[136:139], v182 offset:32
	ds_read_b128 v[144:147], v182 offset:48
	s_waitcnt vmcnt(24)
	v_fma_f64 v[140:141], v[140:141], v[148:149], -v[176:177]
	v_fma_f64 v[142:143], v[142:143], v[148:149], v[178:179]
	s_waitcnt vmcnt(22) lgkmcnt(1)
	v_mul_f64 v[180:181], v[138:139], v[150:151]
	v_mul_f64 v[150:151], v[136:137], v[150:151]
	v_add_f64 v[1:2], v[1:2], v[174:175]
	v_add_f64 v[3:4], v[3:4], v[133:134]
	s_waitcnt vmcnt(18) lgkmcnt(0)
	v_mul_f64 v[133:134], v[146:147], v[154:155]
	v_mul_f64 v[148:149], v[144:145], v[154:155]
	v_fma_f64 v[154:155], v[136:137], v[152:153], -v[180:181]
	v_fma_f64 v[150:151], v[138:139], v[152:153], v[150:151]
	v_add_f64 v[140:141], v[1:2], v[140:141]
	v_add_f64 v[142:143], v[3:4], v[142:143]
	ds_read_b128 v[1:4], v182 offset:64
	ds_read_b128 v[136:139], v182 offset:80
	s_waitcnt vmcnt(16)
	v_fma_f64 v[133:134], v[144:145], v[156:157], -v[133:134]
	v_fma_f64 v[144:145], v[146:147], v[156:157], v[148:149]
	s_waitcnt vmcnt(12) lgkmcnt(1)
	v_mul_f64 v[152:153], v[3:4], v[158:159]
	v_mul_f64 v[158:159], v[1:2], v[158:159]
	v_add_f64 v[140:141], v[140:141], v[154:155]
	v_add_f64 v[142:143], v[142:143], v[150:151]
	s_waitcnt vmcnt(10) lgkmcnt(0)
	v_mul_f64 v[146:147], v[138:139], v[160:161]
	v_mul_f64 v[148:149], v[136:137], v[160:161]
	s_waitcnt vmcnt(8)
	v_fma_f64 v[150:151], v[1:2], v[164:165], -v[152:153]
	v_fma_f64 v[152:153], v[3:4], v[164:165], v[158:159]
	v_add_f64 v[133:134], v[140:141], v[133:134]
	v_add_f64 v[144:145], v[142:143], v[144:145]
	ds_read_b128 v[1:4], v182 offset:96
	ds_read_b128 v[140:143], v182 offset:112
	v_fma_f64 v[136:137], v[136:137], v[162:163], -v[146:147]
	v_fma_f64 v[138:139], v[138:139], v[162:163], v[148:149]
	s_waitcnt vmcnt(4) lgkmcnt(1)
	v_mul_f64 v[154:155], v[3:4], v[166:167]
	v_mul_f64 v[156:157], v[1:2], v[166:167]
	v_add_f64 v[133:134], v[133:134], v[150:151]
	v_add_f64 v[144:145], v[144:145], v[152:153]
	s_waitcnt vmcnt(2) lgkmcnt(0)
	v_mul_f64 v[146:147], v[142:143], v[168:169]
	v_mul_f64 v[148:149], v[140:141], v[168:169]
	s_waitcnt vmcnt(0)
	v_fma_f64 v[1:2], v[1:2], v[172:173], -v[154:155]
	v_fma_f64 v[3:4], v[3:4], v[172:173], v[156:157]
	v_add_f64 v[133:134], v[133:134], v[136:137]
	v_add_f64 v[136:137], v[144:145], v[138:139]
	v_fma_f64 v[138:139], v[140:141], v[170:171], -v[146:147]
	v_fma_f64 v[140:141], v[142:143], v[170:171], v[148:149]
	v_add_f64 v[1:2], v[133:134], v[1:2]
	v_add_f64 v[3:4], v[136:137], v[3:4]
	v_mov_b32_e32 v133, s74
	s_mov_b32 s74, s75
	v_add_f64 v[1:2], v[1:2], v[138:139]
	v_add_f64 v[3:4], v[3:4], v[140:141]
	s_andn2_b32 exec_lo, exec_lo, s71
	s_cbranch_execnz .LBB61_347
; %bb.348:
	s_or_b32 exec_lo, exec_lo, s71
.LBB61_349:
	s_or_b32 exec_lo, exec_lo, s4
	v_and_b32_e32 v131, 7, v131
	s_mov_b32 s71, 0
	s_mov_b32 s4, exec_lo
	v_cmpx_ne_u32_e32 0, v131
	s_cbranch_execz .LBB61_353
; %bb.350:
	v_lshlrev_b32_e32 v133, 4, v133
	v_add_nc_u32_e32 v132, 0x3e0, v133
	.p2align	6
.LBB61_351:                             ; =>This Inner Loop Header: Depth=1
	s_clause 0x3
	buffer_load_dword v140, v133, s[0:3], 0 offen offset:8
	buffer_load_dword v141, v133, s[0:3], 0 offen offset:12
	buffer_load_dword v142, v133, s[0:3], 0 offen
	buffer_load_dword v143, v133, s[0:3], 0 offen offset:4
	ds_read_b128 v[136:139], v132
	v_add_nc_u32_e32 v131, -1, v131
	v_add_nc_u32_e32 v132, 16, v132
	v_add_nc_u32_e32 v133, 16, v133
	v_cmp_eq_u32_e32 vcc_lo, 0, v131
	s_or_b32 s71, vcc_lo, s71
	s_waitcnt vmcnt(2) lgkmcnt(0)
	v_mul_f64 v[144:145], v[138:139], v[140:141]
	v_mul_f64 v[140:141], v[136:137], v[140:141]
	s_waitcnt vmcnt(0)
	v_fma_f64 v[136:137], v[136:137], v[142:143], -v[144:145]
	v_fma_f64 v[138:139], v[138:139], v[142:143], v[140:141]
	v_add_f64 v[1:2], v[1:2], v[136:137]
	v_add_f64 v[3:4], v[3:4], v[138:139]
	s_andn2_b32 exec_lo, exec_lo, s71
	s_cbranch_execnz .LBB61_351
; %bb.352:
	s_or_b32 exec_lo, exec_lo, s71
.LBB61_353:
	s_or_b32 exec_lo, exec_lo, s4
.LBB61_354:
	s_or_b32 exec_lo, exec_lo, s8
	v_mov_b32_e32 v131, 0
	ds_read_b128 v[131:134], v131 offset:560
	s_waitcnt lgkmcnt(0)
	v_mul_f64 v[136:137], v[3:4], v[133:134]
	v_mul_f64 v[133:134], v[1:2], v[133:134]
	v_fma_f64 v[1:2], v[1:2], v[131:132], -v[136:137]
	v_fma_f64 v[3:4], v[3:4], v[131:132], v[133:134]
	buffer_store_dword v2, off, s[0:3], 0 offset:564
	buffer_store_dword v1, off, s[0:3], 0 offset:560
	;; [unrolled: 1-line block ×4, first 2 shown]
.LBB61_355:
	s_or_b32 exec_lo, exec_lo, s6
	v_mov_b32_e32 v4, s37
	v_cmp_lt_u32_e64 s4, 34, v0
	s_clause 0x3
	buffer_load_dword v1, v4, s[0:3], 0 offen
	buffer_load_dword v2, v4, s[0:3], 0 offen offset:4
	buffer_load_dword v3, v4, s[0:3], 0 offen offset:8
	;; [unrolled: 1-line block ×3, first 2 shown]
	s_waitcnt vmcnt(0)
	ds_write_b128 v130, v[1:4]
	s_waitcnt lgkmcnt(0)
	s_waitcnt_vscnt null, 0x0
	s_barrier
	buffer_gl0_inv
	s_and_saveexec_b32 s6, s4
	s_cbranch_execz .LBB61_369
; %bb.356:
	ds_read_b128 v[1:4], v130
	s_andn2_b32 vcc_lo, exec_lo, s7
	s_cbranch_vccnz .LBB61_358
; %bb.357:
	s_clause 0x3
	buffer_load_dword v131, v129, s[0:3], 0 offen offset:8
	buffer_load_dword v132, v129, s[0:3], 0 offen offset:12
	buffer_load_dword v133, v129, s[0:3], 0 offen
	buffer_load_dword v134, v129, s[0:3], 0 offen offset:4
	s_waitcnt vmcnt(2) lgkmcnt(0)
	v_mul_f64 v[136:137], v[3:4], v[131:132]
	v_mul_f64 v[131:132], v[1:2], v[131:132]
	s_waitcnt vmcnt(0)
	v_fma_f64 v[1:2], v[1:2], v[133:134], -v[136:137]
	v_fma_f64 v[3:4], v[3:4], v[133:134], v[131:132]
.LBB61_358:
	s_and_saveexec_b32 s8, s5
	s_cbranch_execz .LBB61_368
; %bb.359:
	v_subrev_nc_u32_e32 v132, 36, v0
	v_mov_b32_e32 v133, 35
	v_subrev_nc_u32_e32 v131, 35, v0
	s_mov_b32 s5, exec_lo
	v_cmpx_lt_u32_e32 6, v132
	s_cbranch_execz .LBB61_363
; %bb.360:
	v_and_b32_e32 v132, -8, v131
	s_movk_i32 s72, 0x610
	s_mov_b32 s71, 0
	s_mov_b32 s73, s36
	;; [unrolled: 1-line block ×3, first 2 shown]
.LBB61_361:                             ; =>This Inner Loop Header: Depth=1
	v_mov_b32_e32 v136, s73
	v_mov_b32_e32 v182, s72
	s_add_i32 s75, s74, 8
	s_add_i32 s74, s74, 43
	v_cmp_eq_u32_e32 vcc_lo, s75, v132
	s_clause 0x1f
	buffer_load_dword v133, v136, s[0:3], 0 offen offset:8
	buffer_load_dword v134, v136, s[0:3], 0 offen offset:12
	buffer_load_dword v144, v136, s[0:3], 0 offen
	buffer_load_dword v145, v136, s[0:3], 0 offen offset:4
	buffer_load_dword v146, v136, s[0:3], 0 offen offset:24
	;; [unrolled: 1-line block ×29, first 2 shown]
	ds_read_b128 v[136:139], v182
	ds_read_b128 v[140:143], v182 offset:16
	s_addk_i32 s72, 0x80
	s_addk_i32 s73, 0x80
	s_or_b32 s71, vcc_lo, s71
	s_waitcnt vmcnt(30) lgkmcnt(1)
	v_mul_f64 v[174:175], v[138:139], v[133:134]
	v_mul_f64 v[133:134], v[136:137], v[133:134]
	s_waitcnt vmcnt(26) lgkmcnt(0)
	v_mul_f64 v[176:177], v[142:143], v[146:147]
	v_mul_f64 v[178:179], v[140:141], v[146:147]
	v_fma_f64 v[174:175], v[136:137], v[144:145], -v[174:175]
	v_fma_f64 v[133:134], v[138:139], v[144:145], v[133:134]
	ds_read_b128 v[136:139], v182 offset:32
	ds_read_b128 v[144:147], v182 offset:48
	s_waitcnt vmcnt(24)
	v_fma_f64 v[140:141], v[140:141], v[148:149], -v[176:177]
	v_fma_f64 v[142:143], v[142:143], v[148:149], v[178:179]
	s_waitcnt vmcnt(22) lgkmcnt(1)
	v_mul_f64 v[180:181], v[138:139], v[150:151]
	v_mul_f64 v[150:151], v[136:137], v[150:151]
	v_add_f64 v[1:2], v[1:2], v[174:175]
	v_add_f64 v[3:4], v[3:4], v[133:134]
	s_waitcnt vmcnt(18) lgkmcnt(0)
	v_mul_f64 v[133:134], v[146:147], v[154:155]
	v_mul_f64 v[148:149], v[144:145], v[154:155]
	v_fma_f64 v[154:155], v[136:137], v[152:153], -v[180:181]
	v_fma_f64 v[150:151], v[138:139], v[152:153], v[150:151]
	v_add_f64 v[140:141], v[1:2], v[140:141]
	v_add_f64 v[142:143], v[3:4], v[142:143]
	ds_read_b128 v[1:4], v182 offset:64
	ds_read_b128 v[136:139], v182 offset:80
	s_waitcnt vmcnt(16)
	v_fma_f64 v[133:134], v[144:145], v[156:157], -v[133:134]
	v_fma_f64 v[144:145], v[146:147], v[156:157], v[148:149]
	s_waitcnt vmcnt(12) lgkmcnt(1)
	v_mul_f64 v[152:153], v[3:4], v[158:159]
	v_mul_f64 v[158:159], v[1:2], v[158:159]
	v_add_f64 v[140:141], v[140:141], v[154:155]
	v_add_f64 v[142:143], v[142:143], v[150:151]
	s_waitcnt vmcnt(10) lgkmcnt(0)
	v_mul_f64 v[146:147], v[138:139], v[160:161]
	v_mul_f64 v[148:149], v[136:137], v[160:161]
	s_waitcnt vmcnt(8)
	v_fma_f64 v[150:151], v[1:2], v[164:165], -v[152:153]
	v_fma_f64 v[152:153], v[3:4], v[164:165], v[158:159]
	v_add_f64 v[133:134], v[140:141], v[133:134]
	v_add_f64 v[144:145], v[142:143], v[144:145]
	ds_read_b128 v[1:4], v182 offset:96
	ds_read_b128 v[140:143], v182 offset:112
	v_fma_f64 v[136:137], v[136:137], v[162:163], -v[146:147]
	v_fma_f64 v[138:139], v[138:139], v[162:163], v[148:149]
	s_waitcnt vmcnt(4) lgkmcnt(1)
	v_mul_f64 v[154:155], v[3:4], v[166:167]
	v_mul_f64 v[156:157], v[1:2], v[166:167]
	v_add_f64 v[133:134], v[133:134], v[150:151]
	v_add_f64 v[144:145], v[144:145], v[152:153]
	s_waitcnt vmcnt(2) lgkmcnt(0)
	v_mul_f64 v[146:147], v[142:143], v[168:169]
	v_mul_f64 v[148:149], v[140:141], v[168:169]
	s_waitcnt vmcnt(0)
	v_fma_f64 v[1:2], v[1:2], v[172:173], -v[154:155]
	v_fma_f64 v[3:4], v[3:4], v[172:173], v[156:157]
	v_add_f64 v[133:134], v[133:134], v[136:137]
	v_add_f64 v[136:137], v[144:145], v[138:139]
	v_fma_f64 v[138:139], v[140:141], v[170:171], -v[146:147]
	v_fma_f64 v[140:141], v[142:143], v[170:171], v[148:149]
	v_add_f64 v[1:2], v[133:134], v[1:2]
	v_add_f64 v[3:4], v[136:137], v[3:4]
	v_mov_b32_e32 v133, s74
	s_mov_b32 s74, s75
	v_add_f64 v[1:2], v[1:2], v[138:139]
	v_add_f64 v[3:4], v[3:4], v[140:141]
	s_andn2_b32 exec_lo, exec_lo, s71
	s_cbranch_execnz .LBB61_361
; %bb.362:
	s_or_b32 exec_lo, exec_lo, s71
.LBB61_363:
	s_or_b32 exec_lo, exec_lo, s5
	v_and_b32_e32 v131, 7, v131
	s_mov_b32 s71, 0
	s_mov_b32 s5, exec_lo
	v_cmpx_ne_u32_e32 0, v131
	s_cbranch_execz .LBB61_367
; %bb.364:
	v_lshlrev_b32_e32 v133, 4, v133
	v_add_nc_u32_e32 v132, 0x3e0, v133
	.p2align	6
.LBB61_365:                             ; =>This Inner Loop Header: Depth=1
	s_clause 0x3
	buffer_load_dword v140, v133, s[0:3], 0 offen offset:8
	buffer_load_dword v141, v133, s[0:3], 0 offen offset:12
	buffer_load_dword v142, v133, s[0:3], 0 offen
	buffer_load_dword v143, v133, s[0:3], 0 offen offset:4
	ds_read_b128 v[136:139], v132
	v_add_nc_u32_e32 v131, -1, v131
	v_add_nc_u32_e32 v132, 16, v132
	v_add_nc_u32_e32 v133, 16, v133
	v_cmp_eq_u32_e32 vcc_lo, 0, v131
	s_or_b32 s71, vcc_lo, s71
	s_waitcnt vmcnt(2) lgkmcnt(0)
	v_mul_f64 v[144:145], v[138:139], v[140:141]
	v_mul_f64 v[140:141], v[136:137], v[140:141]
	s_waitcnt vmcnt(0)
	v_fma_f64 v[136:137], v[136:137], v[142:143], -v[144:145]
	v_fma_f64 v[138:139], v[138:139], v[142:143], v[140:141]
	v_add_f64 v[1:2], v[1:2], v[136:137]
	v_add_f64 v[3:4], v[3:4], v[138:139]
	s_andn2_b32 exec_lo, exec_lo, s71
	s_cbranch_execnz .LBB61_365
; %bb.366:
	s_or_b32 exec_lo, exec_lo, s71
.LBB61_367:
	s_or_b32 exec_lo, exec_lo, s5
.LBB61_368:
	s_or_b32 exec_lo, exec_lo, s8
	v_mov_b32_e32 v131, 0
	ds_read_b128 v[131:134], v131 offset:544
	s_waitcnt lgkmcnt(0)
	v_mul_f64 v[136:137], v[3:4], v[133:134]
	v_mul_f64 v[133:134], v[1:2], v[133:134]
	v_fma_f64 v[1:2], v[1:2], v[131:132], -v[136:137]
	v_fma_f64 v[3:4], v[3:4], v[131:132], v[133:134]
	buffer_store_dword v2, off, s[0:3], 0 offset:548
	buffer_store_dword v1, off, s[0:3], 0 offset:544
	buffer_store_dword v4, off, s[0:3], 0 offset:556
	buffer_store_dword v3, off, s[0:3], 0 offset:552
.LBB61_369:
	s_or_b32 exec_lo, exec_lo, s6
	v_mov_b32_e32 v4, s38
	v_cmp_lt_u32_e64 s5, 33, v0
	s_clause 0x3
	buffer_load_dword v1, v4, s[0:3], 0 offen
	buffer_load_dword v2, v4, s[0:3], 0 offen offset:4
	buffer_load_dword v3, v4, s[0:3], 0 offen offset:8
	;; [unrolled: 1-line block ×3, first 2 shown]
	s_waitcnt vmcnt(0)
	ds_write_b128 v130, v[1:4]
	s_waitcnt lgkmcnt(0)
	s_waitcnt_vscnt null, 0x0
	s_barrier
	buffer_gl0_inv
	s_and_saveexec_b32 s6, s5
	s_cbranch_execz .LBB61_383
; %bb.370:
	ds_read_b128 v[1:4], v130
	s_andn2_b32 vcc_lo, exec_lo, s7
	s_cbranch_vccnz .LBB61_372
; %bb.371:
	s_clause 0x3
	buffer_load_dword v131, v129, s[0:3], 0 offen offset:8
	buffer_load_dword v132, v129, s[0:3], 0 offen offset:12
	buffer_load_dword v133, v129, s[0:3], 0 offen
	buffer_load_dword v134, v129, s[0:3], 0 offen offset:4
	s_waitcnt vmcnt(2) lgkmcnt(0)
	v_mul_f64 v[136:137], v[3:4], v[131:132]
	v_mul_f64 v[131:132], v[1:2], v[131:132]
	s_waitcnt vmcnt(0)
	v_fma_f64 v[1:2], v[1:2], v[133:134], -v[136:137]
	v_fma_f64 v[3:4], v[3:4], v[133:134], v[131:132]
.LBB61_372:
	s_and_saveexec_b32 s8, s4
	s_cbranch_execz .LBB61_382
; %bb.373:
	v_subrev_nc_u32_e32 v132, 35, v0
	v_mov_b32_e32 v133, 34
	v_subrev_nc_u32_e32 v131, 34, v0
	s_mov_b32 s4, exec_lo
	v_cmpx_lt_u32_e32 6, v132
	s_cbranch_execz .LBB61_377
; %bb.374:
	v_and_b32_e32 v132, -8, v131
	s_movk_i32 s72, 0x600
	s_mov_b32 s71, 0
	s_mov_b32 s73, s37
	;; [unrolled: 1-line block ×3, first 2 shown]
.LBB61_375:                             ; =>This Inner Loop Header: Depth=1
	v_mov_b32_e32 v136, s73
	v_mov_b32_e32 v182, s72
	s_add_i32 s75, s74, 8
	s_add_i32 s74, s74, 42
	v_cmp_eq_u32_e32 vcc_lo, s75, v132
	s_clause 0x1f
	buffer_load_dword v133, v136, s[0:3], 0 offen offset:8
	buffer_load_dword v134, v136, s[0:3], 0 offen offset:12
	buffer_load_dword v144, v136, s[0:3], 0 offen
	buffer_load_dword v145, v136, s[0:3], 0 offen offset:4
	buffer_load_dword v146, v136, s[0:3], 0 offen offset:24
	;; [unrolled: 1-line block ×29, first 2 shown]
	ds_read_b128 v[136:139], v182
	ds_read_b128 v[140:143], v182 offset:16
	s_addk_i32 s72, 0x80
	s_addk_i32 s73, 0x80
	s_or_b32 s71, vcc_lo, s71
	s_waitcnt vmcnt(30) lgkmcnt(1)
	v_mul_f64 v[174:175], v[138:139], v[133:134]
	v_mul_f64 v[133:134], v[136:137], v[133:134]
	s_waitcnt vmcnt(26) lgkmcnt(0)
	v_mul_f64 v[176:177], v[142:143], v[146:147]
	v_mul_f64 v[178:179], v[140:141], v[146:147]
	v_fma_f64 v[174:175], v[136:137], v[144:145], -v[174:175]
	v_fma_f64 v[133:134], v[138:139], v[144:145], v[133:134]
	ds_read_b128 v[136:139], v182 offset:32
	ds_read_b128 v[144:147], v182 offset:48
	s_waitcnt vmcnt(24)
	v_fma_f64 v[140:141], v[140:141], v[148:149], -v[176:177]
	v_fma_f64 v[142:143], v[142:143], v[148:149], v[178:179]
	s_waitcnt vmcnt(22) lgkmcnt(1)
	v_mul_f64 v[180:181], v[138:139], v[150:151]
	v_mul_f64 v[150:151], v[136:137], v[150:151]
	v_add_f64 v[1:2], v[1:2], v[174:175]
	v_add_f64 v[3:4], v[3:4], v[133:134]
	s_waitcnt vmcnt(18) lgkmcnt(0)
	v_mul_f64 v[133:134], v[146:147], v[154:155]
	v_mul_f64 v[148:149], v[144:145], v[154:155]
	v_fma_f64 v[154:155], v[136:137], v[152:153], -v[180:181]
	v_fma_f64 v[150:151], v[138:139], v[152:153], v[150:151]
	v_add_f64 v[140:141], v[1:2], v[140:141]
	v_add_f64 v[142:143], v[3:4], v[142:143]
	ds_read_b128 v[1:4], v182 offset:64
	ds_read_b128 v[136:139], v182 offset:80
	s_waitcnt vmcnt(16)
	v_fma_f64 v[133:134], v[144:145], v[156:157], -v[133:134]
	v_fma_f64 v[144:145], v[146:147], v[156:157], v[148:149]
	s_waitcnt vmcnt(12) lgkmcnt(1)
	v_mul_f64 v[152:153], v[3:4], v[158:159]
	v_mul_f64 v[158:159], v[1:2], v[158:159]
	v_add_f64 v[140:141], v[140:141], v[154:155]
	v_add_f64 v[142:143], v[142:143], v[150:151]
	s_waitcnt vmcnt(10) lgkmcnt(0)
	v_mul_f64 v[146:147], v[138:139], v[160:161]
	v_mul_f64 v[148:149], v[136:137], v[160:161]
	s_waitcnt vmcnt(8)
	v_fma_f64 v[150:151], v[1:2], v[164:165], -v[152:153]
	v_fma_f64 v[152:153], v[3:4], v[164:165], v[158:159]
	v_add_f64 v[133:134], v[140:141], v[133:134]
	v_add_f64 v[144:145], v[142:143], v[144:145]
	ds_read_b128 v[1:4], v182 offset:96
	ds_read_b128 v[140:143], v182 offset:112
	v_fma_f64 v[136:137], v[136:137], v[162:163], -v[146:147]
	v_fma_f64 v[138:139], v[138:139], v[162:163], v[148:149]
	s_waitcnt vmcnt(4) lgkmcnt(1)
	v_mul_f64 v[154:155], v[3:4], v[166:167]
	v_mul_f64 v[156:157], v[1:2], v[166:167]
	v_add_f64 v[133:134], v[133:134], v[150:151]
	v_add_f64 v[144:145], v[144:145], v[152:153]
	s_waitcnt vmcnt(2) lgkmcnt(0)
	v_mul_f64 v[146:147], v[142:143], v[168:169]
	v_mul_f64 v[148:149], v[140:141], v[168:169]
	s_waitcnt vmcnt(0)
	v_fma_f64 v[1:2], v[1:2], v[172:173], -v[154:155]
	v_fma_f64 v[3:4], v[3:4], v[172:173], v[156:157]
	v_add_f64 v[133:134], v[133:134], v[136:137]
	v_add_f64 v[136:137], v[144:145], v[138:139]
	v_fma_f64 v[138:139], v[140:141], v[170:171], -v[146:147]
	v_fma_f64 v[140:141], v[142:143], v[170:171], v[148:149]
	v_add_f64 v[1:2], v[133:134], v[1:2]
	v_add_f64 v[3:4], v[136:137], v[3:4]
	v_mov_b32_e32 v133, s74
	s_mov_b32 s74, s75
	v_add_f64 v[1:2], v[1:2], v[138:139]
	v_add_f64 v[3:4], v[3:4], v[140:141]
	s_andn2_b32 exec_lo, exec_lo, s71
	s_cbranch_execnz .LBB61_375
; %bb.376:
	s_or_b32 exec_lo, exec_lo, s71
.LBB61_377:
	s_or_b32 exec_lo, exec_lo, s4
	v_and_b32_e32 v131, 7, v131
	s_mov_b32 s71, 0
	s_mov_b32 s4, exec_lo
	v_cmpx_ne_u32_e32 0, v131
	s_cbranch_execz .LBB61_381
; %bb.378:
	v_lshlrev_b32_e32 v133, 4, v133
	v_add_nc_u32_e32 v132, 0x3e0, v133
	.p2align	6
.LBB61_379:                             ; =>This Inner Loop Header: Depth=1
	s_clause 0x3
	buffer_load_dword v140, v133, s[0:3], 0 offen offset:8
	buffer_load_dword v141, v133, s[0:3], 0 offen offset:12
	buffer_load_dword v142, v133, s[0:3], 0 offen
	buffer_load_dword v143, v133, s[0:3], 0 offen offset:4
	ds_read_b128 v[136:139], v132
	v_add_nc_u32_e32 v131, -1, v131
	v_add_nc_u32_e32 v132, 16, v132
	v_add_nc_u32_e32 v133, 16, v133
	v_cmp_eq_u32_e32 vcc_lo, 0, v131
	s_or_b32 s71, vcc_lo, s71
	s_waitcnt vmcnt(2) lgkmcnt(0)
	v_mul_f64 v[144:145], v[138:139], v[140:141]
	v_mul_f64 v[140:141], v[136:137], v[140:141]
	s_waitcnt vmcnt(0)
	v_fma_f64 v[136:137], v[136:137], v[142:143], -v[144:145]
	v_fma_f64 v[138:139], v[138:139], v[142:143], v[140:141]
	v_add_f64 v[1:2], v[1:2], v[136:137]
	v_add_f64 v[3:4], v[3:4], v[138:139]
	s_andn2_b32 exec_lo, exec_lo, s71
	s_cbranch_execnz .LBB61_379
; %bb.380:
	s_or_b32 exec_lo, exec_lo, s71
.LBB61_381:
	s_or_b32 exec_lo, exec_lo, s4
.LBB61_382:
	s_or_b32 exec_lo, exec_lo, s8
	v_mov_b32_e32 v131, 0
	ds_read_b128 v[131:134], v131 offset:528
	s_waitcnt lgkmcnt(0)
	v_mul_f64 v[136:137], v[3:4], v[133:134]
	v_mul_f64 v[133:134], v[1:2], v[133:134]
	v_fma_f64 v[1:2], v[1:2], v[131:132], -v[136:137]
	v_fma_f64 v[3:4], v[3:4], v[131:132], v[133:134]
	buffer_store_dword v2, off, s[0:3], 0 offset:532
	buffer_store_dword v1, off, s[0:3], 0 offset:528
	buffer_store_dword v4, off, s[0:3], 0 offset:540
	buffer_store_dword v3, off, s[0:3], 0 offset:536
.LBB61_383:
	s_or_b32 exec_lo, exec_lo, s6
	v_mov_b32_e32 v4, s39
	v_cmp_lt_u32_e64 s4, 32, v0
	s_clause 0x3
	buffer_load_dword v1, v4, s[0:3], 0 offen
	buffer_load_dword v2, v4, s[0:3], 0 offen offset:4
	buffer_load_dword v3, v4, s[0:3], 0 offen offset:8
	;; [unrolled: 1-line block ×3, first 2 shown]
	s_waitcnt vmcnt(0)
	ds_write_b128 v130, v[1:4]
	s_waitcnt lgkmcnt(0)
	s_waitcnt_vscnt null, 0x0
	s_barrier
	buffer_gl0_inv
	s_and_saveexec_b32 s6, s4
	s_cbranch_execz .LBB61_397
; %bb.384:
	ds_read_b128 v[1:4], v130
	s_andn2_b32 vcc_lo, exec_lo, s7
	s_cbranch_vccnz .LBB61_386
; %bb.385:
	s_clause 0x3
	buffer_load_dword v131, v129, s[0:3], 0 offen offset:8
	buffer_load_dword v132, v129, s[0:3], 0 offen offset:12
	buffer_load_dword v133, v129, s[0:3], 0 offen
	buffer_load_dword v134, v129, s[0:3], 0 offen offset:4
	s_waitcnt vmcnt(2) lgkmcnt(0)
	v_mul_f64 v[136:137], v[3:4], v[131:132]
	v_mul_f64 v[131:132], v[1:2], v[131:132]
	s_waitcnt vmcnt(0)
	v_fma_f64 v[1:2], v[1:2], v[133:134], -v[136:137]
	v_fma_f64 v[3:4], v[3:4], v[133:134], v[131:132]
.LBB61_386:
	s_and_saveexec_b32 s8, s5
	s_cbranch_execz .LBB61_396
; %bb.387:
	v_subrev_nc_u32_e32 v132, 34, v0
	v_mov_b32_e32 v133, 33
	v_subrev_nc_u32_e32 v131, 33, v0
	s_mov_b32 s5, exec_lo
	v_cmpx_lt_u32_e32 6, v132
	s_cbranch_execz .LBB61_391
; %bb.388:
	v_and_b32_e32 v132, -8, v131
	s_movk_i32 s72, 0x5f0
	s_mov_b32 s71, 0
	s_mov_b32 s73, s38
	;; [unrolled: 1-line block ×3, first 2 shown]
.LBB61_389:                             ; =>This Inner Loop Header: Depth=1
	v_mov_b32_e32 v136, s73
	v_mov_b32_e32 v182, s72
	s_add_i32 s75, s74, 8
	s_add_i32 s74, s74, 41
	v_cmp_eq_u32_e32 vcc_lo, s75, v132
	s_clause 0x1f
	buffer_load_dword v133, v136, s[0:3], 0 offen offset:8
	buffer_load_dword v134, v136, s[0:3], 0 offen offset:12
	buffer_load_dword v144, v136, s[0:3], 0 offen
	buffer_load_dword v145, v136, s[0:3], 0 offen offset:4
	buffer_load_dword v146, v136, s[0:3], 0 offen offset:24
	;; [unrolled: 1-line block ×29, first 2 shown]
	ds_read_b128 v[136:139], v182
	ds_read_b128 v[140:143], v182 offset:16
	s_addk_i32 s72, 0x80
	s_addk_i32 s73, 0x80
	s_or_b32 s71, vcc_lo, s71
	s_waitcnt vmcnt(30) lgkmcnt(1)
	v_mul_f64 v[174:175], v[138:139], v[133:134]
	v_mul_f64 v[133:134], v[136:137], v[133:134]
	s_waitcnt vmcnt(26) lgkmcnt(0)
	v_mul_f64 v[176:177], v[142:143], v[146:147]
	v_mul_f64 v[178:179], v[140:141], v[146:147]
	v_fma_f64 v[174:175], v[136:137], v[144:145], -v[174:175]
	v_fma_f64 v[133:134], v[138:139], v[144:145], v[133:134]
	ds_read_b128 v[136:139], v182 offset:32
	ds_read_b128 v[144:147], v182 offset:48
	s_waitcnt vmcnt(24)
	v_fma_f64 v[140:141], v[140:141], v[148:149], -v[176:177]
	v_fma_f64 v[142:143], v[142:143], v[148:149], v[178:179]
	s_waitcnt vmcnt(22) lgkmcnt(1)
	v_mul_f64 v[180:181], v[138:139], v[150:151]
	v_mul_f64 v[150:151], v[136:137], v[150:151]
	v_add_f64 v[1:2], v[1:2], v[174:175]
	v_add_f64 v[3:4], v[3:4], v[133:134]
	s_waitcnt vmcnt(18) lgkmcnt(0)
	v_mul_f64 v[133:134], v[146:147], v[154:155]
	v_mul_f64 v[148:149], v[144:145], v[154:155]
	v_fma_f64 v[154:155], v[136:137], v[152:153], -v[180:181]
	v_fma_f64 v[150:151], v[138:139], v[152:153], v[150:151]
	v_add_f64 v[140:141], v[1:2], v[140:141]
	v_add_f64 v[142:143], v[3:4], v[142:143]
	ds_read_b128 v[1:4], v182 offset:64
	ds_read_b128 v[136:139], v182 offset:80
	s_waitcnt vmcnt(16)
	v_fma_f64 v[133:134], v[144:145], v[156:157], -v[133:134]
	v_fma_f64 v[144:145], v[146:147], v[156:157], v[148:149]
	s_waitcnt vmcnt(12) lgkmcnt(1)
	v_mul_f64 v[152:153], v[3:4], v[158:159]
	v_mul_f64 v[158:159], v[1:2], v[158:159]
	v_add_f64 v[140:141], v[140:141], v[154:155]
	v_add_f64 v[142:143], v[142:143], v[150:151]
	s_waitcnt vmcnt(10) lgkmcnt(0)
	v_mul_f64 v[146:147], v[138:139], v[160:161]
	v_mul_f64 v[148:149], v[136:137], v[160:161]
	s_waitcnt vmcnt(8)
	v_fma_f64 v[150:151], v[1:2], v[164:165], -v[152:153]
	v_fma_f64 v[152:153], v[3:4], v[164:165], v[158:159]
	v_add_f64 v[133:134], v[140:141], v[133:134]
	v_add_f64 v[144:145], v[142:143], v[144:145]
	ds_read_b128 v[1:4], v182 offset:96
	ds_read_b128 v[140:143], v182 offset:112
	v_fma_f64 v[136:137], v[136:137], v[162:163], -v[146:147]
	v_fma_f64 v[138:139], v[138:139], v[162:163], v[148:149]
	s_waitcnt vmcnt(4) lgkmcnt(1)
	v_mul_f64 v[154:155], v[3:4], v[166:167]
	v_mul_f64 v[156:157], v[1:2], v[166:167]
	v_add_f64 v[133:134], v[133:134], v[150:151]
	v_add_f64 v[144:145], v[144:145], v[152:153]
	s_waitcnt vmcnt(2) lgkmcnt(0)
	v_mul_f64 v[146:147], v[142:143], v[168:169]
	v_mul_f64 v[148:149], v[140:141], v[168:169]
	s_waitcnt vmcnt(0)
	v_fma_f64 v[1:2], v[1:2], v[172:173], -v[154:155]
	v_fma_f64 v[3:4], v[3:4], v[172:173], v[156:157]
	v_add_f64 v[133:134], v[133:134], v[136:137]
	v_add_f64 v[136:137], v[144:145], v[138:139]
	v_fma_f64 v[138:139], v[140:141], v[170:171], -v[146:147]
	v_fma_f64 v[140:141], v[142:143], v[170:171], v[148:149]
	v_add_f64 v[1:2], v[133:134], v[1:2]
	v_add_f64 v[3:4], v[136:137], v[3:4]
	v_mov_b32_e32 v133, s74
	s_mov_b32 s74, s75
	v_add_f64 v[1:2], v[1:2], v[138:139]
	v_add_f64 v[3:4], v[3:4], v[140:141]
	s_andn2_b32 exec_lo, exec_lo, s71
	s_cbranch_execnz .LBB61_389
; %bb.390:
	s_or_b32 exec_lo, exec_lo, s71
.LBB61_391:
	s_or_b32 exec_lo, exec_lo, s5
	v_and_b32_e32 v131, 7, v131
	s_mov_b32 s71, 0
	s_mov_b32 s5, exec_lo
	v_cmpx_ne_u32_e32 0, v131
	s_cbranch_execz .LBB61_395
; %bb.392:
	v_lshlrev_b32_e32 v133, 4, v133
	v_add_nc_u32_e32 v132, 0x3e0, v133
	.p2align	6
.LBB61_393:                             ; =>This Inner Loop Header: Depth=1
	s_clause 0x3
	buffer_load_dword v140, v133, s[0:3], 0 offen offset:8
	buffer_load_dword v141, v133, s[0:3], 0 offen offset:12
	buffer_load_dword v142, v133, s[0:3], 0 offen
	buffer_load_dword v143, v133, s[0:3], 0 offen offset:4
	ds_read_b128 v[136:139], v132
	v_add_nc_u32_e32 v131, -1, v131
	v_add_nc_u32_e32 v132, 16, v132
	v_add_nc_u32_e32 v133, 16, v133
	v_cmp_eq_u32_e32 vcc_lo, 0, v131
	s_or_b32 s71, vcc_lo, s71
	s_waitcnt vmcnt(2) lgkmcnt(0)
	v_mul_f64 v[144:145], v[138:139], v[140:141]
	v_mul_f64 v[140:141], v[136:137], v[140:141]
	s_waitcnt vmcnt(0)
	v_fma_f64 v[136:137], v[136:137], v[142:143], -v[144:145]
	v_fma_f64 v[138:139], v[138:139], v[142:143], v[140:141]
	v_add_f64 v[1:2], v[1:2], v[136:137]
	v_add_f64 v[3:4], v[3:4], v[138:139]
	s_andn2_b32 exec_lo, exec_lo, s71
	s_cbranch_execnz .LBB61_393
; %bb.394:
	s_or_b32 exec_lo, exec_lo, s71
.LBB61_395:
	s_or_b32 exec_lo, exec_lo, s5
.LBB61_396:
	s_or_b32 exec_lo, exec_lo, s8
	v_mov_b32_e32 v131, 0
	ds_read_b128 v[131:134], v131 offset:512
	s_waitcnt lgkmcnt(0)
	v_mul_f64 v[136:137], v[3:4], v[133:134]
	v_mul_f64 v[133:134], v[1:2], v[133:134]
	v_fma_f64 v[1:2], v[1:2], v[131:132], -v[136:137]
	v_fma_f64 v[3:4], v[3:4], v[131:132], v[133:134]
	buffer_store_dword v2, off, s[0:3], 0 offset:516
	buffer_store_dword v1, off, s[0:3], 0 offset:512
	;; [unrolled: 1-line block ×4, first 2 shown]
.LBB61_397:
	s_or_b32 exec_lo, exec_lo, s6
	v_mov_b32_e32 v4, s40
	v_cmp_lt_u32_e64 s5, 31, v0
	s_clause 0x3
	buffer_load_dword v1, v4, s[0:3], 0 offen
	buffer_load_dword v2, v4, s[0:3], 0 offen offset:4
	buffer_load_dword v3, v4, s[0:3], 0 offen offset:8
	buffer_load_dword v4, v4, s[0:3], 0 offen offset:12
	s_waitcnt vmcnt(0)
	ds_write_b128 v130, v[1:4]
	s_waitcnt lgkmcnt(0)
	s_waitcnt_vscnt null, 0x0
	s_barrier
	buffer_gl0_inv
	s_and_saveexec_b32 s6, s5
	s_cbranch_execz .LBB61_411
; %bb.398:
	ds_read_b128 v[1:4], v130
	s_andn2_b32 vcc_lo, exec_lo, s7
	s_cbranch_vccnz .LBB61_400
; %bb.399:
	s_clause 0x3
	buffer_load_dword v131, v129, s[0:3], 0 offen offset:8
	buffer_load_dword v132, v129, s[0:3], 0 offen offset:12
	buffer_load_dword v133, v129, s[0:3], 0 offen
	buffer_load_dword v134, v129, s[0:3], 0 offen offset:4
	s_waitcnt vmcnt(2) lgkmcnt(0)
	v_mul_f64 v[136:137], v[3:4], v[131:132]
	v_mul_f64 v[131:132], v[1:2], v[131:132]
	s_waitcnt vmcnt(0)
	v_fma_f64 v[1:2], v[1:2], v[133:134], -v[136:137]
	v_fma_f64 v[3:4], v[3:4], v[133:134], v[131:132]
.LBB61_400:
	s_and_saveexec_b32 s8, s4
	s_cbranch_execz .LBB61_410
; %bb.401:
	v_subrev_nc_u32_e32 v131, 33, v0
	v_cmp_lt_u32_e32 vcc_lo, 6, v131
	v_mov_b32_e32 v131, 32
	s_and_saveexec_b32 s4, vcc_lo
	s_cbranch_execz .LBB61_405
; %bb.402:
	v_and_b32_e32 v131, 56, v0
	s_mov_b32 s71, 32
	s_movk_i32 s73, 0x5e0
	s_mov_b32 s72, 0
	s_mov_b32 s74, s39
.LBB61_403:                             ; =>This Inner Loop Header: Depth=1
	v_mov_b32_e32 v134, s74
	s_add_i32 s71, s71, 8
	s_addk_i32 s74, 0x80
	v_cmp_eq_u32_e32 vcc_lo, s71, v131
	s_clause 0x1f
	buffer_load_dword v132, v134, s[0:3], 0 offen offset:8
	buffer_load_dword v133, v134, s[0:3], 0 offen offset:12
	buffer_load_dword v144, v134, s[0:3], 0 offen
	buffer_load_dword v145, v134, s[0:3], 0 offen offset:4
	buffer_load_dword v146, v134, s[0:3], 0 offen offset:24
	;; [unrolled: 1-line block ×29, first 2 shown]
	v_mov_b32_e32 v134, s73
	s_addk_i32 s73, 0x80
	s_or_b32 s72, vcc_lo, s72
	ds_read_b128 v[136:139], v134
	ds_read_b128 v[140:143], v134 offset:16
	s_waitcnt vmcnt(30) lgkmcnt(1)
	v_mul_f64 v[174:175], v[138:139], v[132:133]
	v_mul_f64 v[132:133], v[136:137], v[132:133]
	s_waitcnt vmcnt(26) lgkmcnt(0)
	v_mul_f64 v[176:177], v[142:143], v[146:147]
	v_mul_f64 v[178:179], v[140:141], v[146:147]
	v_fma_f64 v[174:175], v[136:137], v[144:145], -v[174:175]
	v_fma_f64 v[132:133], v[138:139], v[144:145], v[132:133]
	ds_read_b128 v[136:139], v134 offset:32
	ds_read_b128 v[144:147], v134 offset:48
	s_waitcnt vmcnt(24)
	v_fma_f64 v[140:141], v[140:141], v[148:149], -v[176:177]
	v_fma_f64 v[142:143], v[142:143], v[148:149], v[178:179]
	s_waitcnt vmcnt(22) lgkmcnt(1)
	v_mul_f64 v[180:181], v[138:139], v[150:151]
	v_mul_f64 v[150:151], v[136:137], v[150:151]
	v_add_f64 v[1:2], v[1:2], v[174:175]
	v_add_f64 v[3:4], v[3:4], v[132:133]
	s_waitcnt vmcnt(18) lgkmcnt(0)
	v_mul_f64 v[132:133], v[146:147], v[154:155]
	v_mul_f64 v[148:149], v[144:145], v[154:155]
	v_fma_f64 v[154:155], v[136:137], v[152:153], -v[180:181]
	v_fma_f64 v[150:151], v[138:139], v[152:153], v[150:151]
	v_add_f64 v[140:141], v[1:2], v[140:141]
	v_add_f64 v[142:143], v[3:4], v[142:143]
	ds_read_b128 v[1:4], v134 offset:64
	ds_read_b128 v[136:139], v134 offset:80
	s_waitcnt vmcnt(16)
	v_fma_f64 v[132:133], v[144:145], v[156:157], -v[132:133]
	v_fma_f64 v[144:145], v[146:147], v[156:157], v[148:149]
	s_waitcnt vmcnt(12) lgkmcnt(1)
	v_mul_f64 v[152:153], v[3:4], v[158:159]
	v_mul_f64 v[158:159], v[1:2], v[158:159]
	v_add_f64 v[140:141], v[140:141], v[154:155]
	v_add_f64 v[142:143], v[142:143], v[150:151]
	s_waitcnt vmcnt(10) lgkmcnt(0)
	v_mul_f64 v[146:147], v[138:139], v[160:161]
	v_mul_f64 v[148:149], v[136:137], v[160:161]
	s_waitcnt vmcnt(8)
	v_fma_f64 v[150:151], v[1:2], v[164:165], -v[152:153]
	v_fma_f64 v[152:153], v[3:4], v[164:165], v[158:159]
	v_add_f64 v[132:133], v[140:141], v[132:133]
	v_add_f64 v[144:145], v[142:143], v[144:145]
	ds_read_b128 v[1:4], v134 offset:96
	ds_read_b128 v[140:143], v134 offset:112
	v_fma_f64 v[136:137], v[136:137], v[162:163], -v[146:147]
	v_fma_f64 v[138:139], v[138:139], v[162:163], v[148:149]
	s_waitcnt vmcnt(4) lgkmcnt(1)
	v_mul_f64 v[154:155], v[3:4], v[166:167]
	v_mul_f64 v[156:157], v[1:2], v[166:167]
	v_add_f64 v[132:133], v[132:133], v[150:151]
	v_add_f64 v[144:145], v[144:145], v[152:153]
	s_waitcnt vmcnt(2) lgkmcnt(0)
	v_mul_f64 v[146:147], v[142:143], v[168:169]
	v_mul_f64 v[148:149], v[140:141], v[168:169]
	s_waitcnt vmcnt(0)
	v_fma_f64 v[1:2], v[1:2], v[172:173], -v[154:155]
	v_fma_f64 v[3:4], v[3:4], v[172:173], v[156:157]
	v_add_f64 v[132:133], v[132:133], v[136:137]
	v_add_f64 v[136:137], v[144:145], v[138:139]
	v_fma_f64 v[138:139], v[140:141], v[170:171], -v[146:147]
	v_fma_f64 v[140:141], v[142:143], v[170:171], v[148:149]
	v_add_f64 v[1:2], v[132:133], v[1:2]
	v_add_f64 v[3:4], v[136:137], v[3:4]
	;; [unrolled: 1-line block ×4, first 2 shown]
	s_andn2_b32 exec_lo, exec_lo, s72
	s_cbranch_execnz .LBB61_403
; %bb.404:
	s_or_b32 exec_lo, exec_lo, s72
.LBB61_405:
	s_or_b32 exec_lo, exec_lo, s4
	v_and_b32_e32 v132, 7, v0
	s_mov_b32 s71, 0
	s_mov_b32 s4, exec_lo
	v_cmpx_ne_u32_e32 0, v132
	s_cbranch_execz .LBB61_409
; %bb.406:
	v_lshlrev_b32_e32 v133, 4, v131
	v_add_nc_u32_e32 v131, 0x3e0, v133
	.p2align	6
.LBB61_407:                             ; =>This Inner Loop Header: Depth=1
	s_clause 0x3
	buffer_load_dword v140, v133, s[0:3], 0 offen offset:8
	buffer_load_dword v141, v133, s[0:3], 0 offen offset:12
	buffer_load_dword v142, v133, s[0:3], 0 offen
	buffer_load_dword v143, v133, s[0:3], 0 offen offset:4
	ds_read_b128 v[136:139], v131
	v_add_nc_u32_e32 v132, -1, v132
	v_add_nc_u32_e32 v131, 16, v131
	v_add_nc_u32_e32 v133, 16, v133
	v_cmp_eq_u32_e32 vcc_lo, 0, v132
	s_or_b32 s71, vcc_lo, s71
	s_waitcnt vmcnt(2) lgkmcnt(0)
	v_mul_f64 v[144:145], v[138:139], v[140:141]
	v_mul_f64 v[140:141], v[136:137], v[140:141]
	s_waitcnt vmcnt(0)
	v_fma_f64 v[136:137], v[136:137], v[142:143], -v[144:145]
	v_fma_f64 v[138:139], v[138:139], v[142:143], v[140:141]
	v_add_f64 v[1:2], v[1:2], v[136:137]
	v_add_f64 v[3:4], v[3:4], v[138:139]
	s_andn2_b32 exec_lo, exec_lo, s71
	s_cbranch_execnz .LBB61_407
; %bb.408:
	s_or_b32 exec_lo, exec_lo, s71
.LBB61_409:
	s_or_b32 exec_lo, exec_lo, s4
.LBB61_410:
	s_or_b32 exec_lo, exec_lo, s8
	v_mov_b32_e32 v131, 0
	ds_read_b128 v[131:134], v131 offset:496
	s_waitcnt lgkmcnt(0)
	v_mul_f64 v[136:137], v[3:4], v[133:134]
	v_mul_f64 v[133:134], v[1:2], v[133:134]
	v_fma_f64 v[1:2], v[1:2], v[131:132], -v[136:137]
	v_fma_f64 v[3:4], v[3:4], v[131:132], v[133:134]
	buffer_store_dword v2, off, s[0:3], 0 offset:500
	buffer_store_dword v1, off, s[0:3], 0 offset:496
	;; [unrolled: 1-line block ×4, first 2 shown]
.LBB61_411:
	s_or_b32 exec_lo, exec_lo, s6
	v_mov_b32_e32 v4, s41
	v_cmp_lt_u32_e64 s4, 30, v0
	s_clause 0x3
	buffer_load_dword v1, v4, s[0:3], 0 offen
	buffer_load_dword v2, v4, s[0:3], 0 offen offset:4
	buffer_load_dword v3, v4, s[0:3], 0 offen offset:8
	;; [unrolled: 1-line block ×3, first 2 shown]
	s_waitcnt vmcnt(0)
	ds_write_b128 v130, v[1:4]
	s_waitcnt lgkmcnt(0)
	s_waitcnt_vscnt null, 0x0
	s_barrier
	buffer_gl0_inv
	s_and_saveexec_b32 s6, s4
	s_cbranch_execz .LBB61_425
; %bb.412:
	ds_read_b128 v[1:4], v130
	s_andn2_b32 vcc_lo, exec_lo, s7
	s_cbranch_vccnz .LBB61_414
; %bb.413:
	s_clause 0x3
	buffer_load_dword v131, v129, s[0:3], 0 offen offset:8
	buffer_load_dword v132, v129, s[0:3], 0 offen offset:12
	buffer_load_dword v133, v129, s[0:3], 0 offen
	buffer_load_dword v134, v129, s[0:3], 0 offen offset:4
	s_waitcnt vmcnt(2) lgkmcnt(0)
	v_mul_f64 v[136:137], v[3:4], v[131:132]
	v_mul_f64 v[131:132], v[1:2], v[131:132]
	s_waitcnt vmcnt(0)
	v_fma_f64 v[1:2], v[1:2], v[133:134], -v[136:137]
	v_fma_f64 v[3:4], v[3:4], v[133:134], v[131:132]
.LBB61_414:
	s_and_saveexec_b32 s8, s5
	s_cbranch_execz .LBB61_424
; %bb.415:
	v_subrev_nc_u32_e32 v132, 32, v0
	v_mov_b32_e32 v133, 31
	v_subrev_nc_u32_e32 v131, 31, v0
	s_mov_b32 s5, exec_lo
	v_cmpx_lt_u32_e32 6, v132
	s_cbranch_execz .LBB61_419
; %bb.416:
	v_and_b32_e32 v132, -8, v131
	s_movk_i32 s72, 0x5d0
	s_mov_b32 s71, 0
	s_mov_b32 s73, s40
	;; [unrolled: 1-line block ×3, first 2 shown]
.LBB61_417:                             ; =>This Inner Loop Header: Depth=1
	v_mov_b32_e32 v136, s73
	v_mov_b32_e32 v182, s72
	s_add_i32 s75, s74, 8
	s_add_i32 s74, s74, 39
	v_cmp_eq_u32_e32 vcc_lo, s75, v132
	s_clause 0x1f
	buffer_load_dword v133, v136, s[0:3], 0 offen offset:8
	buffer_load_dword v134, v136, s[0:3], 0 offen offset:12
	buffer_load_dword v144, v136, s[0:3], 0 offen
	buffer_load_dword v145, v136, s[0:3], 0 offen offset:4
	buffer_load_dword v146, v136, s[0:3], 0 offen offset:24
	buffer_load_dword v147, v136, s[0:3], 0 offen offset:28
	buffer_load_dword v148, v136, s[0:3], 0 offen offset:16
	buffer_load_dword v149, v136, s[0:3], 0 offen offset:20
	buffer_load_dword v150, v136, s[0:3], 0 offen offset:40
	buffer_load_dword v151, v136, s[0:3], 0 offen offset:44
	buffer_load_dword v152, v136, s[0:3], 0 offen offset:32
	buffer_load_dword v153, v136, s[0:3], 0 offen offset:36
	buffer_load_dword v154, v136, s[0:3], 0 offen offset:56
	buffer_load_dword v155, v136, s[0:3], 0 offen offset:60
	buffer_load_dword v156, v136, s[0:3], 0 offen offset:48
	buffer_load_dword v157, v136, s[0:3], 0 offen offset:52
	buffer_load_dword v159, v136, s[0:3], 0 offen offset:76
	buffer_load_dword v160, v136, s[0:3], 0 offen offset:88
	buffer_load_dword v162, v136, s[0:3], 0 offen offset:80
	buffer_load_dword v158, v136, s[0:3], 0 offen offset:72
	buffer_load_dword v163, v136, s[0:3], 0 offen offset:84
	buffer_load_dword v161, v136, s[0:3], 0 offen offset:92
	buffer_load_dword v165, v136, s[0:3], 0 offen offset:68
	buffer_load_dword v164, v136, s[0:3], 0 offen offset:64
	buffer_load_dword v167, v136, s[0:3], 0 offen offset:108
	buffer_load_dword v168, v136, s[0:3], 0 offen offset:120
	buffer_load_dword v170, v136, s[0:3], 0 offen offset:112
	buffer_load_dword v166, v136, s[0:3], 0 offen offset:104
	buffer_load_dword v171, v136, s[0:3], 0 offen offset:116
	buffer_load_dword v169, v136, s[0:3], 0 offen offset:124
	buffer_load_dword v173, v136, s[0:3], 0 offen offset:100
	buffer_load_dword v172, v136, s[0:3], 0 offen offset:96
	ds_read_b128 v[136:139], v182
	ds_read_b128 v[140:143], v182 offset:16
	s_addk_i32 s72, 0x80
	s_addk_i32 s73, 0x80
	s_or_b32 s71, vcc_lo, s71
	s_waitcnt vmcnt(30) lgkmcnt(1)
	v_mul_f64 v[174:175], v[138:139], v[133:134]
	v_mul_f64 v[133:134], v[136:137], v[133:134]
	s_waitcnt vmcnt(26) lgkmcnt(0)
	v_mul_f64 v[176:177], v[142:143], v[146:147]
	v_mul_f64 v[178:179], v[140:141], v[146:147]
	v_fma_f64 v[174:175], v[136:137], v[144:145], -v[174:175]
	v_fma_f64 v[133:134], v[138:139], v[144:145], v[133:134]
	ds_read_b128 v[136:139], v182 offset:32
	ds_read_b128 v[144:147], v182 offset:48
	s_waitcnt vmcnt(24)
	v_fma_f64 v[140:141], v[140:141], v[148:149], -v[176:177]
	v_fma_f64 v[142:143], v[142:143], v[148:149], v[178:179]
	s_waitcnt vmcnt(22) lgkmcnt(1)
	v_mul_f64 v[180:181], v[138:139], v[150:151]
	v_mul_f64 v[150:151], v[136:137], v[150:151]
	v_add_f64 v[1:2], v[1:2], v[174:175]
	v_add_f64 v[3:4], v[3:4], v[133:134]
	s_waitcnt vmcnt(18) lgkmcnt(0)
	v_mul_f64 v[133:134], v[146:147], v[154:155]
	v_mul_f64 v[148:149], v[144:145], v[154:155]
	v_fma_f64 v[154:155], v[136:137], v[152:153], -v[180:181]
	v_fma_f64 v[150:151], v[138:139], v[152:153], v[150:151]
	v_add_f64 v[140:141], v[1:2], v[140:141]
	v_add_f64 v[142:143], v[3:4], v[142:143]
	ds_read_b128 v[1:4], v182 offset:64
	ds_read_b128 v[136:139], v182 offset:80
	s_waitcnt vmcnt(16)
	v_fma_f64 v[133:134], v[144:145], v[156:157], -v[133:134]
	v_fma_f64 v[144:145], v[146:147], v[156:157], v[148:149]
	s_waitcnt vmcnt(12) lgkmcnt(1)
	v_mul_f64 v[152:153], v[3:4], v[158:159]
	v_mul_f64 v[158:159], v[1:2], v[158:159]
	v_add_f64 v[140:141], v[140:141], v[154:155]
	v_add_f64 v[142:143], v[142:143], v[150:151]
	s_waitcnt vmcnt(10) lgkmcnt(0)
	v_mul_f64 v[146:147], v[138:139], v[160:161]
	v_mul_f64 v[148:149], v[136:137], v[160:161]
	s_waitcnt vmcnt(8)
	v_fma_f64 v[150:151], v[1:2], v[164:165], -v[152:153]
	v_fma_f64 v[152:153], v[3:4], v[164:165], v[158:159]
	v_add_f64 v[133:134], v[140:141], v[133:134]
	v_add_f64 v[144:145], v[142:143], v[144:145]
	ds_read_b128 v[1:4], v182 offset:96
	ds_read_b128 v[140:143], v182 offset:112
	v_fma_f64 v[136:137], v[136:137], v[162:163], -v[146:147]
	v_fma_f64 v[138:139], v[138:139], v[162:163], v[148:149]
	s_waitcnt vmcnt(4) lgkmcnt(1)
	v_mul_f64 v[154:155], v[3:4], v[166:167]
	v_mul_f64 v[156:157], v[1:2], v[166:167]
	v_add_f64 v[133:134], v[133:134], v[150:151]
	v_add_f64 v[144:145], v[144:145], v[152:153]
	s_waitcnt vmcnt(2) lgkmcnt(0)
	v_mul_f64 v[146:147], v[142:143], v[168:169]
	v_mul_f64 v[148:149], v[140:141], v[168:169]
	s_waitcnt vmcnt(0)
	v_fma_f64 v[1:2], v[1:2], v[172:173], -v[154:155]
	v_fma_f64 v[3:4], v[3:4], v[172:173], v[156:157]
	v_add_f64 v[133:134], v[133:134], v[136:137]
	v_add_f64 v[136:137], v[144:145], v[138:139]
	v_fma_f64 v[138:139], v[140:141], v[170:171], -v[146:147]
	v_fma_f64 v[140:141], v[142:143], v[170:171], v[148:149]
	v_add_f64 v[1:2], v[133:134], v[1:2]
	v_add_f64 v[3:4], v[136:137], v[3:4]
	v_mov_b32_e32 v133, s74
	s_mov_b32 s74, s75
	v_add_f64 v[1:2], v[1:2], v[138:139]
	v_add_f64 v[3:4], v[3:4], v[140:141]
	s_andn2_b32 exec_lo, exec_lo, s71
	s_cbranch_execnz .LBB61_417
; %bb.418:
	s_or_b32 exec_lo, exec_lo, s71
.LBB61_419:
	s_or_b32 exec_lo, exec_lo, s5
	v_and_b32_e32 v131, 7, v131
	s_mov_b32 s71, 0
	s_mov_b32 s5, exec_lo
	v_cmpx_ne_u32_e32 0, v131
	s_cbranch_execz .LBB61_423
; %bb.420:
	v_lshlrev_b32_e32 v133, 4, v133
	v_add_nc_u32_e32 v132, 0x3e0, v133
	.p2align	6
.LBB61_421:                             ; =>This Inner Loop Header: Depth=1
	s_clause 0x3
	buffer_load_dword v140, v133, s[0:3], 0 offen offset:8
	buffer_load_dword v141, v133, s[0:3], 0 offen offset:12
	buffer_load_dword v142, v133, s[0:3], 0 offen
	buffer_load_dword v143, v133, s[0:3], 0 offen offset:4
	ds_read_b128 v[136:139], v132
	v_add_nc_u32_e32 v131, -1, v131
	v_add_nc_u32_e32 v132, 16, v132
	v_add_nc_u32_e32 v133, 16, v133
	v_cmp_eq_u32_e32 vcc_lo, 0, v131
	s_or_b32 s71, vcc_lo, s71
	s_waitcnt vmcnt(2) lgkmcnt(0)
	v_mul_f64 v[144:145], v[138:139], v[140:141]
	v_mul_f64 v[140:141], v[136:137], v[140:141]
	s_waitcnt vmcnt(0)
	v_fma_f64 v[136:137], v[136:137], v[142:143], -v[144:145]
	v_fma_f64 v[138:139], v[138:139], v[142:143], v[140:141]
	v_add_f64 v[1:2], v[1:2], v[136:137]
	v_add_f64 v[3:4], v[3:4], v[138:139]
	s_andn2_b32 exec_lo, exec_lo, s71
	s_cbranch_execnz .LBB61_421
; %bb.422:
	s_or_b32 exec_lo, exec_lo, s71
.LBB61_423:
	s_or_b32 exec_lo, exec_lo, s5
.LBB61_424:
	s_or_b32 exec_lo, exec_lo, s8
	v_mov_b32_e32 v131, 0
	ds_read_b128 v[131:134], v131 offset:480
	s_waitcnt lgkmcnt(0)
	v_mul_f64 v[136:137], v[3:4], v[133:134]
	v_mul_f64 v[133:134], v[1:2], v[133:134]
	v_fma_f64 v[1:2], v[1:2], v[131:132], -v[136:137]
	v_fma_f64 v[3:4], v[3:4], v[131:132], v[133:134]
	buffer_store_dword v2, off, s[0:3], 0 offset:484
	buffer_store_dword v1, off, s[0:3], 0 offset:480
	;; [unrolled: 1-line block ×4, first 2 shown]
.LBB61_425:
	s_or_b32 exec_lo, exec_lo, s6
	v_mov_b32_e32 v4, s42
	v_cmp_lt_u32_e64 s5, 29, v0
	s_clause 0x3
	buffer_load_dword v1, v4, s[0:3], 0 offen
	buffer_load_dword v2, v4, s[0:3], 0 offen offset:4
	buffer_load_dword v3, v4, s[0:3], 0 offen offset:8
	;; [unrolled: 1-line block ×3, first 2 shown]
	s_waitcnt vmcnt(0)
	ds_write_b128 v130, v[1:4]
	s_waitcnt lgkmcnt(0)
	s_waitcnt_vscnt null, 0x0
	s_barrier
	buffer_gl0_inv
	s_and_saveexec_b32 s6, s5
	s_cbranch_execz .LBB61_439
; %bb.426:
	ds_read_b128 v[1:4], v130
	s_andn2_b32 vcc_lo, exec_lo, s7
	s_cbranch_vccnz .LBB61_428
; %bb.427:
	s_clause 0x3
	buffer_load_dword v131, v129, s[0:3], 0 offen offset:8
	buffer_load_dword v132, v129, s[0:3], 0 offen offset:12
	buffer_load_dword v133, v129, s[0:3], 0 offen
	buffer_load_dword v134, v129, s[0:3], 0 offen offset:4
	s_waitcnt vmcnt(2) lgkmcnt(0)
	v_mul_f64 v[136:137], v[3:4], v[131:132]
	v_mul_f64 v[131:132], v[1:2], v[131:132]
	s_waitcnt vmcnt(0)
	v_fma_f64 v[1:2], v[1:2], v[133:134], -v[136:137]
	v_fma_f64 v[3:4], v[3:4], v[133:134], v[131:132]
.LBB61_428:
	s_and_saveexec_b32 s8, s4
	s_cbranch_execz .LBB61_438
; %bb.429:
	v_subrev_nc_u32_e32 v132, 31, v0
	v_mov_b32_e32 v133, 30
	v_subrev_nc_u32_e32 v131, 30, v0
	s_mov_b32 s4, exec_lo
	v_cmpx_lt_u32_e32 6, v132
	s_cbranch_execz .LBB61_433
; %bb.430:
	v_and_b32_e32 v132, -8, v131
	s_movk_i32 s72, 0x5c0
	s_mov_b32 s71, 0
	s_mov_b32 s73, s41
	;; [unrolled: 1-line block ×3, first 2 shown]
.LBB61_431:                             ; =>This Inner Loop Header: Depth=1
	v_mov_b32_e32 v136, s73
	v_mov_b32_e32 v182, s72
	s_add_i32 s75, s74, 8
	s_add_i32 s74, s74, 38
	v_cmp_eq_u32_e32 vcc_lo, s75, v132
	s_clause 0x1f
	buffer_load_dword v133, v136, s[0:3], 0 offen offset:8
	buffer_load_dword v134, v136, s[0:3], 0 offen offset:12
	buffer_load_dword v144, v136, s[0:3], 0 offen
	buffer_load_dword v145, v136, s[0:3], 0 offen offset:4
	buffer_load_dword v146, v136, s[0:3], 0 offen offset:24
	;; [unrolled: 1-line block ×29, first 2 shown]
	ds_read_b128 v[136:139], v182
	ds_read_b128 v[140:143], v182 offset:16
	s_addk_i32 s72, 0x80
	s_addk_i32 s73, 0x80
	s_or_b32 s71, vcc_lo, s71
	s_waitcnt vmcnt(30) lgkmcnt(1)
	v_mul_f64 v[174:175], v[138:139], v[133:134]
	v_mul_f64 v[133:134], v[136:137], v[133:134]
	s_waitcnt vmcnt(26) lgkmcnt(0)
	v_mul_f64 v[176:177], v[142:143], v[146:147]
	v_mul_f64 v[178:179], v[140:141], v[146:147]
	v_fma_f64 v[174:175], v[136:137], v[144:145], -v[174:175]
	v_fma_f64 v[133:134], v[138:139], v[144:145], v[133:134]
	ds_read_b128 v[136:139], v182 offset:32
	ds_read_b128 v[144:147], v182 offset:48
	s_waitcnt vmcnt(24)
	v_fma_f64 v[140:141], v[140:141], v[148:149], -v[176:177]
	v_fma_f64 v[142:143], v[142:143], v[148:149], v[178:179]
	s_waitcnt vmcnt(22) lgkmcnt(1)
	v_mul_f64 v[180:181], v[138:139], v[150:151]
	v_mul_f64 v[150:151], v[136:137], v[150:151]
	v_add_f64 v[1:2], v[1:2], v[174:175]
	v_add_f64 v[3:4], v[3:4], v[133:134]
	s_waitcnt vmcnt(18) lgkmcnt(0)
	v_mul_f64 v[133:134], v[146:147], v[154:155]
	v_mul_f64 v[148:149], v[144:145], v[154:155]
	v_fma_f64 v[154:155], v[136:137], v[152:153], -v[180:181]
	v_fma_f64 v[150:151], v[138:139], v[152:153], v[150:151]
	v_add_f64 v[140:141], v[1:2], v[140:141]
	v_add_f64 v[142:143], v[3:4], v[142:143]
	ds_read_b128 v[1:4], v182 offset:64
	ds_read_b128 v[136:139], v182 offset:80
	s_waitcnt vmcnt(16)
	v_fma_f64 v[133:134], v[144:145], v[156:157], -v[133:134]
	v_fma_f64 v[144:145], v[146:147], v[156:157], v[148:149]
	s_waitcnt vmcnt(12) lgkmcnt(1)
	v_mul_f64 v[152:153], v[3:4], v[158:159]
	v_mul_f64 v[158:159], v[1:2], v[158:159]
	v_add_f64 v[140:141], v[140:141], v[154:155]
	v_add_f64 v[142:143], v[142:143], v[150:151]
	s_waitcnt vmcnt(10) lgkmcnt(0)
	v_mul_f64 v[146:147], v[138:139], v[160:161]
	v_mul_f64 v[148:149], v[136:137], v[160:161]
	s_waitcnt vmcnt(8)
	v_fma_f64 v[150:151], v[1:2], v[164:165], -v[152:153]
	v_fma_f64 v[152:153], v[3:4], v[164:165], v[158:159]
	v_add_f64 v[133:134], v[140:141], v[133:134]
	v_add_f64 v[144:145], v[142:143], v[144:145]
	ds_read_b128 v[1:4], v182 offset:96
	ds_read_b128 v[140:143], v182 offset:112
	v_fma_f64 v[136:137], v[136:137], v[162:163], -v[146:147]
	v_fma_f64 v[138:139], v[138:139], v[162:163], v[148:149]
	s_waitcnt vmcnt(4) lgkmcnt(1)
	v_mul_f64 v[154:155], v[3:4], v[166:167]
	v_mul_f64 v[156:157], v[1:2], v[166:167]
	v_add_f64 v[133:134], v[133:134], v[150:151]
	v_add_f64 v[144:145], v[144:145], v[152:153]
	s_waitcnt vmcnt(2) lgkmcnt(0)
	v_mul_f64 v[146:147], v[142:143], v[168:169]
	v_mul_f64 v[148:149], v[140:141], v[168:169]
	s_waitcnt vmcnt(0)
	v_fma_f64 v[1:2], v[1:2], v[172:173], -v[154:155]
	v_fma_f64 v[3:4], v[3:4], v[172:173], v[156:157]
	v_add_f64 v[133:134], v[133:134], v[136:137]
	v_add_f64 v[136:137], v[144:145], v[138:139]
	v_fma_f64 v[138:139], v[140:141], v[170:171], -v[146:147]
	v_fma_f64 v[140:141], v[142:143], v[170:171], v[148:149]
	v_add_f64 v[1:2], v[133:134], v[1:2]
	v_add_f64 v[3:4], v[136:137], v[3:4]
	v_mov_b32_e32 v133, s74
	s_mov_b32 s74, s75
	v_add_f64 v[1:2], v[1:2], v[138:139]
	v_add_f64 v[3:4], v[3:4], v[140:141]
	s_andn2_b32 exec_lo, exec_lo, s71
	s_cbranch_execnz .LBB61_431
; %bb.432:
	s_or_b32 exec_lo, exec_lo, s71
.LBB61_433:
	s_or_b32 exec_lo, exec_lo, s4
	v_and_b32_e32 v131, 7, v131
	s_mov_b32 s71, 0
	s_mov_b32 s4, exec_lo
	v_cmpx_ne_u32_e32 0, v131
	s_cbranch_execz .LBB61_437
; %bb.434:
	v_lshlrev_b32_e32 v133, 4, v133
	v_add_nc_u32_e32 v132, 0x3e0, v133
	.p2align	6
.LBB61_435:                             ; =>This Inner Loop Header: Depth=1
	s_clause 0x3
	buffer_load_dword v140, v133, s[0:3], 0 offen offset:8
	buffer_load_dword v141, v133, s[0:3], 0 offen offset:12
	buffer_load_dword v142, v133, s[0:3], 0 offen
	buffer_load_dword v143, v133, s[0:3], 0 offen offset:4
	ds_read_b128 v[136:139], v132
	v_add_nc_u32_e32 v131, -1, v131
	v_add_nc_u32_e32 v132, 16, v132
	v_add_nc_u32_e32 v133, 16, v133
	v_cmp_eq_u32_e32 vcc_lo, 0, v131
	s_or_b32 s71, vcc_lo, s71
	s_waitcnt vmcnt(2) lgkmcnt(0)
	v_mul_f64 v[144:145], v[138:139], v[140:141]
	v_mul_f64 v[140:141], v[136:137], v[140:141]
	s_waitcnt vmcnt(0)
	v_fma_f64 v[136:137], v[136:137], v[142:143], -v[144:145]
	v_fma_f64 v[138:139], v[138:139], v[142:143], v[140:141]
	v_add_f64 v[1:2], v[1:2], v[136:137]
	v_add_f64 v[3:4], v[3:4], v[138:139]
	s_andn2_b32 exec_lo, exec_lo, s71
	s_cbranch_execnz .LBB61_435
; %bb.436:
	s_or_b32 exec_lo, exec_lo, s71
.LBB61_437:
	s_or_b32 exec_lo, exec_lo, s4
.LBB61_438:
	s_or_b32 exec_lo, exec_lo, s8
	v_mov_b32_e32 v131, 0
	ds_read_b128 v[131:134], v131 offset:464
	s_waitcnt lgkmcnt(0)
	v_mul_f64 v[136:137], v[3:4], v[133:134]
	v_mul_f64 v[133:134], v[1:2], v[133:134]
	v_fma_f64 v[1:2], v[1:2], v[131:132], -v[136:137]
	v_fma_f64 v[3:4], v[3:4], v[131:132], v[133:134]
	buffer_store_dword v2, off, s[0:3], 0 offset:468
	buffer_store_dword v1, off, s[0:3], 0 offset:464
	;; [unrolled: 1-line block ×4, first 2 shown]
.LBB61_439:
	s_or_b32 exec_lo, exec_lo, s6
	v_mov_b32_e32 v4, s43
	v_cmp_lt_u32_e64 s4, 28, v0
	s_clause 0x3
	buffer_load_dword v1, v4, s[0:3], 0 offen
	buffer_load_dword v2, v4, s[0:3], 0 offen offset:4
	buffer_load_dword v3, v4, s[0:3], 0 offen offset:8
	;; [unrolled: 1-line block ×3, first 2 shown]
	s_waitcnt vmcnt(0)
	ds_write_b128 v130, v[1:4]
	s_waitcnt lgkmcnt(0)
	s_waitcnt_vscnt null, 0x0
	s_barrier
	buffer_gl0_inv
	s_and_saveexec_b32 s6, s4
	s_cbranch_execz .LBB61_453
; %bb.440:
	ds_read_b128 v[1:4], v130
	s_andn2_b32 vcc_lo, exec_lo, s7
	s_cbranch_vccnz .LBB61_442
; %bb.441:
	s_clause 0x3
	buffer_load_dword v131, v129, s[0:3], 0 offen offset:8
	buffer_load_dword v132, v129, s[0:3], 0 offen offset:12
	buffer_load_dword v133, v129, s[0:3], 0 offen
	buffer_load_dword v134, v129, s[0:3], 0 offen offset:4
	s_waitcnt vmcnt(2) lgkmcnt(0)
	v_mul_f64 v[136:137], v[3:4], v[131:132]
	v_mul_f64 v[131:132], v[1:2], v[131:132]
	s_waitcnt vmcnt(0)
	v_fma_f64 v[1:2], v[1:2], v[133:134], -v[136:137]
	v_fma_f64 v[3:4], v[3:4], v[133:134], v[131:132]
.LBB61_442:
	s_and_saveexec_b32 s8, s5
	s_cbranch_execz .LBB61_452
; %bb.443:
	v_subrev_nc_u32_e32 v132, 30, v0
	v_mov_b32_e32 v133, 29
	v_subrev_nc_u32_e32 v131, 29, v0
	s_mov_b32 s5, exec_lo
	v_cmpx_lt_u32_e32 6, v132
	s_cbranch_execz .LBB61_447
; %bb.444:
	v_and_b32_e32 v132, -8, v131
	s_movk_i32 s72, 0x5b0
	s_mov_b32 s71, 0
	s_mov_b32 s73, s42
	;; [unrolled: 1-line block ×3, first 2 shown]
.LBB61_445:                             ; =>This Inner Loop Header: Depth=1
	v_mov_b32_e32 v136, s73
	v_mov_b32_e32 v182, s72
	s_add_i32 s75, s74, 8
	s_add_i32 s74, s74, 37
	v_cmp_eq_u32_e32 vcc_lo, s75, v132
	s_clause 0x1f
	buffer_load_dword v133, v136, s[0:3], 0 offen offset:8
	buffer_load_dword v134, v136, s[0:3], 0 offen offset:12
	buffer_load_dword v144, v136, s[0:3], 0 offen
	buffer_load_dword v145, v136, s[0:3], 0 offen offset:4
	buffer_load_dword v146, v136, s[0:3], 0 offen offset:24
	;; [unrolled: 1-line block ×29, first 2 shown]
	ds_read_b128 v[136:139], v182
	ds_read_b128 v[140:143], v182 offset:16
	s_addk_i32 s72, 0x80
	s_addk_i32 s73, 0x80
	s_or_b32 s71, vcc_lo, s71
	s_waitcnt vmcnt(30) lgkmcnt(1)
	v_mul_f64 v[174:175], v[138:139], v[133:134]
	v_mul_f64 v[133:134], v[136:137], v[133:134]
	s_waitcnt vmcnt(26) lgkmcnt(0)
	v_mul_f64 v[176:177], v[142:143], v[146:147]
	v_mul_f64 v[178:179], v[140:141], v[146:147]
	v_fma_f64 v[174:175], v[136:137], v[144:145], -v[174:175]
	v_fma_f64 v[133:134], v[138:139], v[144:145], v[133:134]
	ds_read_b128 v[136:139], v182 offset:32
	ds_read_b128 v[144:147], v182 offset:48
	s_waitcnt vmcnt(24)
	v_fma_f64 v[140:141], v[140:141], v[148:149], -v[176:177]
	v_fma_f64 v[142:143], v[142:143], v[148:149], v[178:179]
	s_waitcnt vmcnt(22) lgkmcnt(1)
	v_mul_f64 v[180:181], v[138:139], v[150:151]
	v_mul_f64 v[150:151], v[136:137], v[150:151]
	v_add_f64 v[1:2], v[1:2], v[174:175]
	v_add_f64 v[3:4], v[3:4], v[133:134]
	s_waitcnt vmcnt(18) lgkmcnt(0)
	v_mul_f64 v[133:134], v[146:147], v[154:155]
	v_mul_f64 v[148:149], v[144:145], v[154:155]
	v_fma_f64 v[154:155], v[136:137], v[152:153], -v[180:181]
	v_fma_f64 v[150:151], v[138:139], v[152:153], v[150:151]
	v_add_f64 v[140:141], v[1:2], v[140:141]
	v_add_f64 v[142:143], v[3:4], v[142:143]
	ds_read_b128 v[1:4], v182 offset:64
	ds_read_b128 v[136:139], v182 offset:80
	s_waitcnt vmcnt(16)
	v_fma_f64 v[133:134], v[144:145], v[156:157], -v[133:134]
	v_fma_f64 v[144:145], v[146:147], v[156:157], v[148:149]
	s_waitcnt vmcnt(12) lgkmcnt(1)
	v_mul_f64 v[152:153], v[3:4], v[158:159]
	v_mul_f64 v[158:159], v[1:2], v[158:159]
	v_add_f64 v[140:141], v[140:141], v[154:155]
	v_add_f64 v[142:143], v[142:143], v[150:151]
	s_waitcnt vmcnt(10) lgkmcnt(0)
	v_mul_f64 v[146:147], v[138:139], v[160:161]
	v_mul_f64 v[148:149], v[136:137], v[160:161]
	s_waitcnt vmcnt(8)
	v_fma_f64 v[150:151], v[1:2], v[164:165], -v[152:153]
	v_fma_f64 v[152:153], v[3:4], v[164:165], v[158:159]
	v_add_f64 v[133:134], v[140:141], v[133:134]
	v_add_f64 v[144:145], v[142:143], v[144:145]
	ds_read_b128 v[1:4], v182 offset:96
	ds_read_b128 v[140:143], v182 offset:112
	v_fma_f64 v[136:137], v[136:137], v[162:163], -v[146:147]
	v_fma_f64 v[138:139], v[138:139], v[162:163], v[148:149]
	s_waitcnt vmcnt(4) lgkmcnt(1)
	v_mul_f64 v[154:155], v[3:4], v[166:167]
	v_mul_f64 v[156:157], v[1:2], v[166:167]
	v_add_f64 v[133:134], v[133:134], v[150:151]
	v_add_f64 v[144:145], v[144:145], v[152:153]
	s_waitcnt vmcnt(2) lgkmcnt(0)
	v_mul_f64 v[146:147], v[142:143], v[168:169]
	v_mul_f64 v[148:149], v[140:141], v[168:169]
	s_waitcnt vmcnt(0)
	v_fma_f64 v[1:2], v[1:2], v[172:173], -v[154:155]
	v_fma_f64 v[3:4], v[3:4], v[172:173], v[156:157]
	v_add_f64 v[133:134], v[133:134], v[136:137]
	v_add_f64 v[136:137], v[144:145], v[138:139]
	v_fma_f64 v[138:139], v[140:141], v[170:171], -v[146:147]
	v_fma_f64 v[140:141], v[142:143], v[170:171], v[148:149]
	v_add_f64 v[1:2], v[133:134], v[1:2]
	v_add_f64 v[3:4], v[136:137], v[3:4]
	v_mov_b32_e32 v133, s74
	s_mov_b32 s74, s75
	v_add_f64 v[1:2], v[1:2], v[138:139]
	v_add_f64 v[3:4], v[3:4], v[140:141]
	s_andn2_b32 exec_lo, exec_lo, s71
	s_cbranch_execnz .LBB61_445
; %bb.446:
	s_or_b32 exec_lo, exec_lo, s71
.LBB61_447:
	s_or_b32 exec_lo, exec_lo, s5
	v_and_b32_e32 v131, 7, v131
	s_mov_b32 s71, 0
	s_mov_b32 s5, exec_lo
	v_cmpx_ne_u32_e32 0, v131
	s_cbranch_execz .LBB61_451
; %bb.448:
	v_lshlrev_b32_e32 v133, 4, v133
	v_add_nc_u32_e32 v132, 0x3e0, v133
	.p2align	6
.LBB61_449:                             ; =>This Inner Loop Header: Depth=1
	s_clause 0x3
	buffer_load_dword v140, v133, s[0:3], 0 offen offset:8
	buffer_load_dword v141, v133, s[0:3], 0 offen offset:12
	buffer_load_dword v142, v133, s[0:3], 0 offen
	buffer_load_dword v143, v133, s[0:3], 0 offen offset:4
	ds_read_b128 v[136:139], v132
	v_add_nc_u32_e32 v131, -1, v131
	v_add_nc_u32_e32 v132, 16, v132
	v_add_nc_u32_e32 v133, 16, v133
	v_cmp_eq_u32_e32 vcc_lo, 0, v131
	s_or_b32 s71, vcc_lo, s71
	s_waitcnt vmcnt(2) lgkmcnt(0)
	v_mul_f64 v[144:145], v[138:139], v[140:141]
	v_mul_f64 v[140:141], v[136:137], v[140:141]
	s_waitcnt vmcnt(0)
	v_fma_f64 v[136:137], v[136:137], v[142:143], -v[144:145]
	v_fma_f64 v[138:139], v[138:139], v[142:143], v[140:141]
	v_add_f64 v[1:2], v[1:2], v[136:137]
	v_add_f64 v[3:4], v[3:4], v[138:139]
	s_andn2_b32 exec_lo, exec_lo, s71
	s_cbranch_execnz .LBB61_449
; %bb.450:
	s_or_b32 exec_lo, exec_lo, s71
.LBB61_451:
	s_or_b32 exec_lo, exec_lo, s5
.LBB61_452:
	s_or_b32 exec_lo, exec_lo, s8
	v_mov_b32_e32 v131, 0
	ds_read_b128 v[131:134], v131 offset:448
	s_waitcnt lgkmcnt(0)
	v_mul_f64 v[136:137], v[3:4], v[133:134]
	v_mul_f64 v[133:134], v[1:2], v[133:134]
	v_fma_f64 v[1:2], v[1:2], v[131:132], -v[136:137]
	v_fma_f64 v[3:4], v[3:4], v[131:132], v[133:134]
	buffer_store_dword v2, off, s[0:3], 0 offset:452
	buffer_store_dword v1, off, s[0:3], 0 offset:448
	;; [unrolled: 1-line block ×4, first 2 shown]
.LBB61_453:
	s_or_b32 exec_lo, exec_lo, s6
	v_mov_b32_e32 v4, s44
	v_cmp_lt_u32_e64 s5, 27, v0
	s_clause 0x3
	buffer_load_dword v1, v4, s[0:3], 0 offen
	buffer_load_dword v2, v4, s[0:3], 0 offen offset:4
	buffer_load_dword v3, v4, s[0:3], 0 offen offset:8
	;; [unrolled: 1-line block ×3, first 2 shown]
	s_waitcnt vmcnt(0)
	ds_write_b128 v130, v[1:4]
	s_waitcnt lgkmcnt(0)
	s_waitcnt_vscnt null, 0x0
	s_barrier
	buffer_gl0_inv
	s_and_saveexec_b32 s6, s5
	s_cbranch_execz .LBB61_467
; %bb.454:
	ds_read_b128 v[1:4], v130
	s_andn2_b32 vcc_lo, exec_lo, s7
	s_cbranch_vccnz .LBB61_456
; %bb.455:
	s_clause 0x3
	buffer_load_dword v131, v129, s[0:3], 0 offen offset:8
	buffer_load_dword v132, v129, s[0:3], 0 offen offset:12
	buffer_load_dword v133, v129, s[0:3], 0 offen
	buffer_load_dword v134, v129, s[0:3], 0 offen offset:4
	s_waitcnt vmcnt(2) lgkmcnt(0)
	v_mul_f64 v[136:137], v[3:4], v[131:132]
	v_mul_f64 v[131:132], v[1:2], v[131:132]
	s_waitcnt vmcnt(0)
	v_fma_f64 v[1:2], v[1:2], v[133:134], -v[136:137]
	v_fma_f64 v[3:4], v[3:4], v[133:134], v[131:132]
.LBB61_456:
	s_and_saveexec_b32 s8, s4
	s_cbranch_execz .LBB61_466
; %bb.457:
	v_subrev_nc_u32_e32 v132, 29, v0
	v_mov_b32_e32 v133, 28
	v_subrev_nc_u32_e32 v131, 28, v0
	s_mov_b32 s4, exec_lo
	v_cmpx_lt_u32_e32 6, v132
	s_cbranch_execz .LBB61_461
; %bb.458:
	v_and_b32_e32 v132, -8, v131
	s_movk_i32 s72, 0x5a0
	s_mov_b32 s71, 0
	s_mov_b32 s73, s43
	;; [unrolled: 1-line block ×3, first 2 shown]
.LBB61_459:                             ; =>This Inner Loop Header: Depth=1
	v_mov_b32_e32 v136, s73
	v_mov_b32_e32 v182, s72
	s_add_i32 s75, s74, 8
	s_add_i32 s74, s74, 36
	v_cmp_eq_u32_e32 vcc_lo, s75, v132
	s_clause 0x1f
	buffer_load_dword v133, v136, s[0:3], 0 offen offset:8
	buffer_load_dword v134, v136, s[0:3], 0 offen offset:12
	buffer_load_dword v144, v136, s[0:3], 0 offen
	buffer_load_dword v145, v136, s[0:3], 0 offen offset:4
	buffer_load_dword v146, v136, s[0:3], 0 offen offset:24
	;; [unrolled: 1-line block ×29, first 2 shown]
	ds_read_b128 v[136:139], v182
	ds_read_b128 v[140:143], v182 offset:16
	s_addk_i32 s72, 0x80
	s_addk_i32 s73, 0x80
	s_or_b32 s71, vcc_lo, s71
	s_waitcnt vmcnt(30) lgkmcnt(1)
	v_mul_f64 v[174:175], v[138:139], v[133:134]
	v_mul_f64 v[133:134], v[136:137], v[133:134]
	s_waitcnt vmcnt(26) lgkmcnt(0)
	v_mul_f64 v[176:177], v[142:143], v[146:147]
	v_mul_f64 v[178:179], v[140:141], v[146:147]
	v_fma_f64 v[174:175], v[136:137], v[144:145], -v[174:175]
	v_fma_f64 v[133:134], v[138:139], v[144:145], v[133:134]
	ds_read_b128 v[136:139], v182 offset:32
	ds_read_b128 v[144:147], v182 offset:48
	s_waitcnt vmcnt(24)
	v_fma_f64 v[140:141], v[140:141], v[148:149], -v[176:177]
	v_fma_f64 v[142:143], v[142:143], v[148:149], v[178:179]
	s_waitcnt vmcnt(22) lgkmcnt(1)
	v_mul_f64 v[180:181], v[138:139], v[150:151]
	v_mul_f64 v[150:151], v[136:137], v[150:151]
	v_add_f64 v[1:2], v[1:2], v[174:175]
	v_add_f64 v[3:4], v[3:4], v[133:134]
	s_waitcnt vmcnt(18) lgkmcnt(0)
	v_mul_f64 v[133:134], v[146:147], v[154:155]
	v_mul_f64 v[148:149], v[144:145], v[154:155]
	v_fma_f64 v[154:155], v[136:137], v[152:153], -v[180:181]
	v_fma_f64 v[150:151], v[138:139], v[152:153], v[150:151]
	v_add_f64 v[140:141], v[1:2], v[140:141]
	v_add_f64 v[142:143], v[3:4], v[142:143]
	ds_read_b128 v[1:4], v182 offset:64
	ds_read_b128 v[136:139], v182 offset:80
	s_waitcnt vmcnt(16)
	v_fma_f64 v[133:134], v[144:145], v[156:157], -v[133:134]
	v_fma_f64 v[144:145], v[146:147], v[156:157], v[148:149]
	s_waitcnt vmcnt(12) lgkmcnt(1)
	v_mul_f64 v[152:153], v[3:4], v[158:159]
	v_mul_f64 v[158:159], v[1:2], v[158:159]
	v_add_f64 v[140:141], v[140:141], v[154:155]
	v_add_f64 v[142:143], v[142:143], v[150:151]
	s_waitcnt vmcnt(10) lgkmcnt(0)
	v_mul_f64 v[146:147], v[138:139], v[160:161]
	v_mul_f64 v[148:149], v[136:137], v[160:161]
	s_waitcnt vmcnt(8)
	v_fma_f64 v[150:151], v[1:2], v[164:165], -v[152:153]
	v_fma_f64 v[152:153], v[3:4], v[164:165], v[158:159]
	v_add_f64 v[133:134], v[140:141], v[133:134]
	v_add_f64 v[144:145], v[142:143], v[144:145]
	ds_read_b128 v[1:4], v182 offset:96
	ds_read_b128 v[140:143], v182 offset:112
	v_fma_f64 v[136:137], v[136:137], v[162:163], -v[146:147]
	v_fma_f64 v[138:139], v[138:139], v[162:163], v[148:149]
	s_waitcnt vmcnt(4) lgkmcnt(1)
	v_mul_f64 v[154:155], v[3:4], v[166:167]
	v_mul_f64 v[156:157], v[1:2], v[166:167]
	v_add_f64 v[133:134], v[133:134], v[150:151]
	v_add_f64 v[144:145], v[144:145], v[152:153]
	s_waitcnt vmcnt(2) lgkmcnt(0)
	v_mul_f64 v[146:147], v[142:143], v[168:169]
	v_mul_f64 v[148:149], v[140:141], v[168:169]
	s_waitcnt vmcnt(0)
	v_fma_f64 v[1:2], v[1:2], v[172:173], -v[154:155]
	v_fma_f64 v[3:4], v[3:4], v[172:173], v[156:157]
	v_add_f64 v[133:134], v[133:134], v[136:137]
	v_add_f64 v[136:137], v[144:145], v[138:139]
	v_fma_f64 v[138:139], v[140:141], v[170:171], -v[146:147]
	v_fma_f64 v[140:141], v[142:143], v[170:171], v[148:149]
	v_add_f64 v[1:2], v[133:134], v[1:2]
	v_add_f64 v[3:4], v[136:137], v[3:4]
	v_mov_b32_e32 v133, s74
	s_mov_b32 s74, s75
	v_add_f64 v[1:2], v[1:2], v[138:139]
	v_add_f64 v[3:4], v[3:4], v[140:141]
	s_andn2_b32 exec_lo, exec_lo, s71
	s_cbranch_execnz .LBB61_459
; %bb.460:
	s_or_b32 exec_lo, exec_lo, s71
.LBB61_461:
	s_or_b32 exec_lo, exec_lo, s4
	v_and_b32_e32 v131, 7, v131
	s_mov_b32 s71, 0
	s_mov_b32 s4, exec_lo
	v_cmpx_ne_u32_e32 0, v131
	s_cbranch_execz .LBB61_465
; %bb.462:
	v_lshlrev_b32_e32 v133, 4, v133
	v_add_nc_u32_e32 v132, 0x3e0, v133
	.p2align	6
.LBB61_463:                             ; =>This Inner Loop Header: Depth=1
	s_clause 0x3
	buffer_load_dword v140, v133, s[0:3], 0 offen offset:8
	buffer_load_dword v141, v133, s[0:3], 0 offen offset:12
	buffer_load_dword v142, v133, s[0:3], 0 offen
	buffer_load_dword v143, v133, s[0:3], 0 offen offset:4
	ds_read_b128 v[136:139], v132
	v_add_nc_u32_e32 v131, -1, v131
	v_add_nc_u32_e32 v132, 16, v132
	v_add_nc_u32_e32 v133, 16, v133
	v_cmp_eq_u32_e32 vcc_lo, 0, v131
	s_or_b32 s71, vcc_lo, s71
	s_waitcnt vmcnt(2) lgkmcnt(0)
	v_mul_f64 v[144:145], v[138:139], v[140:141]
	v_mul_f64 v[140:141], v[136:137], v[140:141]
	s_waitcnt vmcnt(0)
	v_fma_f64 v[136:137], v[136:137], v[142:143], -v[144:145]
	v_fma_f64 v[138:139], v[138:139], v[142:143], v[140:141]
	v_add_f64 v[1:2], v[1:2], v[136:137]
	v_add_f64 v[3:4], v[3:4], v[138:139]
	s_andn2_b32 exec_lo, exec_lo, s71
	s_cbranch_execnz .LBB61_463
; %bb.464:
	s_or_b32 exec_lo, exec_lo, s71
.LBB61_465:
	s_or_b32 exec_lo, exec_lo, s4
.LBB61_466:
	s_or_b32 exec_lo, exec_lo, s8
	v_mov_b32_e32 v131, 0
	ds_read_b128 v[131:134], v131 offset:432
	s_waitcnt lgkmcnt(0)
	v_mul_f64 v[136:137], v[3:4], v[133:134]
	v_mul_f64 v[133:134], v[1:2], v[133:134]
	v_fma_f64 v[1:2], v[1:2], v[131:132], -v[136:137]
	v_fma_f64 v[3:4], v[3:4], v[131:132], v[133:134]
	buffer_store_dword v2, off, s[0:3], 0 offset:436
	buffer_store_dword v1, off, s[0:3], 0 offset:432
	;; [unrolled: 1-line block ×4, first 2 shown]
.LBB61_467:
	s_or_b32 exec_lo, exec_lo, s6
	v_mov_b32_e32 v4, s45
	v_cmp_lt_u32_e64 s4, 26, v0
	s_clause 0x3
	buffer_load_dword v1, v4, s[0:3], 0 offen
	buffer_load_dword v2, v4, s[0:3], 0 offen offset:4
	buffer_load_dword v3, v4, s[0:3], 0 offen offset:8
	;; [unrolled: 1-line block ×3, first 2 shown]
	s_waitcnt vmcnt(0)
	ds_write_b128 v130, v[1:4]
	s_waitcnt lgkmcnt(0)
	s_waitcnt_vscnt null, 0x0
	s_barrier
	buffer_gl0_inv
	s_and_saveexec_b32 s6, s4
	s_cbranch_execz .LBB61_481
; %bb.468:
	ds_read_b128 v[1:4], v130
	s_andn2_b32 vcc_lo, exec_lo, s7
	s_cbranch_vccnz .LBB61_470
; %bb.469:
	s_clause 0x3
	buffer_load_dword v131, v129, s[0:3], 0 offen offset:8
	buffer_load_dword v132, v129, s[0:3], 0 offen offset:12
	buffer_load_dword v133, v129, s[0:3], 0 offen
	buffer_load_dword v134, v129, s[0:3], 0 offen offset:4
	s_waitcnt vmcnt(2) lgkmcnt(0)
	v_mul_f64 v[136:137], v[3:4], v[131:132]
	v_mul_f64 v[131:132], v[1:2], v[131:132]
	s_waitcnt vmcnt(0)
	v_fma_f64 v[1:2], v[1:2], v[133:134], -v[136:137]
	v_fma_f64 v[3:4], v[3:4], v[133:134], v[131:132]
.LBB61_470:
	s_and_saveexec_b32 s8, s5
	s_cbranch_execz .LBB61_480
; %bb.471:
	v_subrev_nc_u32_e32 v132, 28, v0
	v_mov_b32_e32 v133, 27
	v_subrev_nc_u32_e32 v131, 27, v0
	s_mov_b32 s5, exec_lo
	v_cmpx_lt_u32_e32 6, v132
	s_cbranch_execz .LBB61_475
; %bb.472:
	v_and_b32_e32 v132, -8, v131
	s_movk_i32 s72, 0x590
	s_mov_b32 s71, 0
	s_mov_b32 s73, s44
	;; [unrolled: 1-line block ×3, first 2 shown]
.LBB61_473:                             ; =>This Inner Loop Header: Depth=1
	v_mov_b32_e32 v136, s73
	v_mov_b32_e32 v182, s72
	s_add_i32 s75, s74, 8
	s_add_i32 s74, s74, 35
	v_cmp_eq_u32_e32 vcc_lo, s75, v132
	s_clause 0x1f
	buffer_load_dword v133, v136, s[0:3], 0 offen offset:8
	buffer_load_dword v134, v136, s[0:3], 0 offen offset:12
	buffer_load_dword v144, v136, s[0:3], 0 offen
	buffer_load_dword v145, v136, s[0:3], 0 offen offset:4
	buffer_load_dword v146, v136, s[0:3], 0 offen offset:24
	;; [unrolled: 1-line block ×29, first 2 shown]
	ds_read_b128 v[136:139], v182
	ds_read_b128 v[140:143], v182 offset:16
	s_addk_i32 s72, 0x80
	s_addk_i32 s73, 0x80
	s_or_b32 s71, vcc_lo, s71
	s_waitcnt vmcnt(30) lgkmcnt(1)
	v_mul_f64 v[174:175], v[138:139], v[133:134]
	v_mul_f64 v[133:134], v[136:137], v[133:134]
	s_waitcnt vmcnt(26) lgkmcnt(0)
	v_mul_f64 v[176:177], v[142:143], v[146:147]
	v_mul_f64 v[178:179], v[140:141], v[146:147]
	v_fma_f64 v[174:175], v[136:137], v[144:145], -v[174:175]
	v_fma_f64 v[133:134], v[138:139], v[144:145], v[133:134]
	ds_read_b128 v[136:139], v182 offset:32
	ds_read_b128 v[144:147], v182 offset:48
	s_waitcnt vmcnt(24)
	v_fma_f64 v[140:141], v[140:141], v[148:149], -v[176:177]
	v_fma_f64 v[142:143], v[142:143], v[148:149], v[178:179]
	s_waitcnt vmcnt(22) lgkmcnt(1)
	v_mul_f64 v[180:181], v[138:139], v[150:151]
	v_mul_f64 v[150:151], v[136:137], v[150:151]
	v_add_f64 v[1:2], v[1:2], v[174:175]
	v_add_f64 v[3:4], v[3:4], v[133:134]
	s_waitcnt vmcnt(18) lgkmcnt(0)
	v_mul_f64 v[133:134], v[146:147], v[154:155]
	v_mul_f64 v[148:149], v[144:145], v[154:155]
	v_fma_f64 v[154:155], v[136:137], v[152:153], -v[180:181]
	v_fma_f64 v[150:151], v[138:139], v[152:153], v[150:151]
	v_add_f64 v[140:141], v[1:2], v[140:141]
	v_add_f64 v[142:143], v[3:4], v[142:143]
	ds_read_b128 v[1:4], v182 offset:64
	ds_read_b128 v[136:139], v182 offset:80
	s_waitcnt vmcnt(16)
	v_fma_f64 v[133:134], v[144:145], v[156:157], -v[133:134]
	v_fma_f64 v[144:145], v[146:147], v[156:157], v[148:149]
	s_waitcnt vmcnt(12) lgkmcnt(1)
	v_mul_f64 v[152:153], v[3:4], v[158:159]
	v_mul_f64 v[158:159], v[1:2], v[158:159]
	v_add_f64 v[140:141], v[140:141], v[154:155]
	v_add_f64 v[142:143], v[142:143], v[150:151]
	s_waitcnt vmcnt(10) lgkmcnt(0)
	v_mul_f64 v[146:147], v[138:139], v[160:161]
	v_mul_f64 v[148:149], v[136:137], v[160:161]
	s_waitcnt vmcnt(8)
	v_fma_f64 v[150:151], v[1:2], v[164:165], -v[152:153]
	v_fma_f64 v[152:153], v[3:4], v[164:165], v[158:159]
	v_add_f64 v[133:134], v[140:141], v[133:134]
	v_add_f64 v[144:145], v[142:143], v[144:145]
	ds_read_b128 v[1:4], v182 offset:96
	ds_read_b128 v[140:143], v182 offset:112
	v_fma_f64 v[136:137], v[136:137], v[162:163], -v[146:147]
	v_fma_f64 v[138:139], v[138:139], v[162:163], v[148:149]
	s_waitcnt vmcnt(4) lgkmcnt(1)
	v_mul_f64 v[154:155], v[3:4], v[166:167]
	v_mul_f64 v[156:157], v[1:2], v[166:167]
	v_add_f64 v[133:134], v[133:134], v[150:151]
	v_add_f64 v[144:145], v[144:145], v[152:153]
	s_waitcnt vmcnt(2) lgkmcnt(0)
	v_mul_f64 v[146:147], v[142:143], v[168:169]
	v_mul_f64 v[148:149], v[140:141], v[168:169]
	s_waitcnt vmcnt(0)
	v_fma_f64 v[1:2], v[1:2], v[172:173], -v[154:155]
	v_fma_f64 v[3:4], v[3:4], v[172:173], v[156:157]
	v_add_f64 v[133:134], v[133:134], v[136:137]
	v_add_f64 v[136:137], v[144:145], v[138:139]
	v_fma_f64 v[138:139], v[140:141], v[170:171], -v[146:147]
	v_fma_f64 v[140:141], v[142:143], v[170:171], v[148:149]
	v_add_f64 v[1:2], v[133:134], v[1:2]
	v_add_f64 v[3:4], v[136:137], v[3:4]
	v_mov_b32_e32 v133, s74
	s_mov_b32 s74, s75
	v_add_f64 v[1:2], v[1:2], v[138:139]
	v_add_f64 v[3:4], v[3:4], v[140:141]
	s_andn2_b32 exec_lo, exec_lo, s71
	s_cbranch_execnz .LBB61_473
; %bb.474:
	s_or_b32 exec_lo, exec_lo, s71
.LBB61_475:
	s_or_b32 exec_lo, exec_lo, s5
	v_and_b32_e32 v131, 7, v131
	s_mov_b32 s71, 0
	s_mov_b32 s5, exec_lo
	v_cmpx_ne_u32_e32 0, v131
	s_cbranch_execz .LBB61_479
; %bb.476:
	v_lshlrev_b32_e32 v133, 4, v133
	v_add_nc_u32_e32 v132, 0x3e0, v133
	.p2align	6
.LBB61_477:                             ; =>This Inner Loop Header: Depth=1
	s_clause 0x3
	buffer_load_dword v140, v133, s[0:3], 0 offen offset:8
	buffer_load_dword v141, v133, s[0:3], 0 offen offset:12
	buffer_load_dword v142, v133, s[0:3], 0 offen
	buffer_load_dword v143, v133, s[0:3], 0 offen offset:4
	ds_read_b128 v[136:139], v132
	v_add_nc_u32_e32 v131, -1, v131
	v_add_nc_u32_e32 v132, 16, v132
	v_add_nc_u32_e32 v133, 16, v133
	v_cmp_eq_u32_e32 vcc_lo, 0, v131
	s_or_b32 s71, vcc_lo, s71
	s_waitcnt vmcnt(2) lgkmcnt(0)
	v_mul_f64 v[144:145], v[138:139], v[140:141]
	v_mul_f64 v[140:141], v[136:137], v[140:141]
	s_waitcnt vmcnt(0)
	v_fma_f64 v[136:137], v[136:137], v[142:143], -v[144:145]
	v_fma_f64 v[138:139], v[138:139], v[142:143], v[140:141]
	v_add_f64 v[1:2], v[1:2], v[136:137]
	v_add_f64 v[3:4], v[3:4], v[138:139]
	s_andn2_b32 exec_lo, exec_lo, s71
	s_cbranch_execnz .LBB61_477
; %bb.478:
	s_or_b32 exec_lo, exec_lo, s71
.LBB61_479:
	s_or_b32 exec_lo, exec_lo, s5
.LBB61_480:
	s_or_b32 exec_lo, exec_lo, s8
	v_mov_b32_e32 v131, 0
	ds_read_b128 v[131:134], v131 offset:416
	s_waitcnt lgkmcnt(0)
	v_mul_f64 v[136:137], v[3:4], v[133:134]
	v_mul_f64 v[133:134], v[1:2], v[133:134]
	v_fma_f64 v[1:2], v[1:2], v[131:132], -v[136:137]
	v_fma_f64 v[3:4], v[3:4], v[131:132], v[133:134]
	buffer_store_dword v2, off, s[0:3], 0 offset:420
	buffer_store_dword v1, off, s[0:3], 0 offset:416
	;; [unrolled: 1-line block ×4, first 2 shown]
.LBB61_481:
	s_or_b32 exec_lo, exec_lo, s6
	v_mov_b32_e32 v4, s46
	v_cmp_lt_u32_e64 s5, 25, v0
	s_clause 0x3
	buffer_load_dword v1, v4, s[0:3], 0 offen
	buffer_load_dword v2, v4, s[0:3], 0 offen offset:4
	buffer_load_dword v3, v4, s[0:3], 0 offen offset:8
	;; [unrolled: 1-line block ×3, first 2 shown]
	s_waitcnt vmcnt(0)
	ds_write_b128 v130, v[1:4]
	s_waitcnt lgkmcnt(0)
	s_waitcnt_vscnt null, 0x0
	s_barrier
	buffer_gl0_inv
	s_and_saveexec_b32 s6, s5
	s_cbranch_execz .LBB61_495
; %bb.482:
	ds_read_b128 v[1:4], v130
	s_andn2_b32 vcc_lo, exec_lo, s7
	s_cbranch_vccnz .LBB61_484
; %bb.483:
	s_clause 0x3
	buffer_load_dword v131, v129, s[0:3], 0 offen offset:8
	buffer_load_dword v132, v129, s[0:3], 0 offen offset:12
	buffer_load_dword v133, v129, s[0:3], 0 offen
	buffer_load_dword v134, v129, s[0:3], 0 offen offset:4
	s_waitcnt vmcnt(2) lgkmcnt(0)
	v_mul_f64 v[136:137], v[3:4], v[131:132]
	v_mul_f64 v[131:132], v[1:2], v[131:132]
	s_waitcnt vmcnt(0)
	v_fma_f64 v[1:2], v[1:2], v[133:134], -v[136:137]
	v_fma_f64 v[3:4], v[3:4], v[133:134], v[131:132]
.LBB61_484:
	s_and_saveexec_b32 s8, s4
	s_cbranch_execz .LBB61_494
; %bb.485:
	v_subrev_nc_u32_e32 v132, 27, v0
	v_mov_b32_e32 v133, 26
	v_subrev_nc_u32_e32 v131, 26, v0
	s_mov_b32 s4, exec_lo
	v_cmpx_lt_u32_e32 6, v132
	s_cbranch_execz .LBB61_489
; %bb.486:
	v_and_b32_e32 v132, -8, v131
	s_movk_i32 s72, 0x580
	s_mov_b32 s71, 0
	s_mov_b32 s73, s45
	;; [unrolled: 1-line block ×3, first 2 shown]
.LBB61_487:                             ; =>This Inner Loop Header: Depth=1
	v_mov_b32_e32 v136, s73
	v_mov_b32_e32 v182, s72
	s_add_i32 s75, s74, 8
	s_add_i32 s74, s74, 34
	v_cmp_eq_u32_e32 vcc_lo, s75, v132
	s_clause 0x1f
	buffer_load_dword v133, v136, s[0:3], 0 offen offset:8
	buffer_load_dword v134, v136, s[0:3], 0 offen offset:12
	buffer_load_dword v144, v136, s[0:3], 0 offen
	buffer_load_dword v145, v136, s[0:3], 0 offen offset:4
	buffer_load_dword v146, v136, s[0:3], 0 offen offset:24
	;; [unrolled: 1-line block ×29, first 2 shown]
	ds_read_b128 v[136:139], v182
	ds_read_b128 v[140:143], v182 offset:16
	s_addk_i32 s72, 0x80
	s_addk_i32 s73, 0x80
	s_or_b32 s71, vcc_lo, s71
	s_waitcnt vmcnt(30) lgkmcnt(1)
	v_mul_f64 v[174:175], v[138:139], v[133:134]
	v_mul_f64 v[133:134], v[136:137], v[133:134]
	s_waitcnt vmcnt(26) lgkmcnt(0)
	v_mul_f64 v[176:177], v[142:143], v[146:147]
	v_mul_f64 v[178:179], v[140:141], v[146:147]
	v_fma_f64 v[174:175], v[136:137], v[144:145], -v[174:175]
	v_fma_f64 v[133:134], v[138:139], v[144:145], v[133:134]
	ds_read_b128 v[136:139], v182 offset:32
	ds_read_b128 v[144:147], v182 offset:48
	s_waitcnt vmcnt(24)
	v_fma_f64 v[140:141], v[140:141], v[148:149], -v[176:177]
	v_fma_f64 v[142:143], v[142:143], v[148:149], v[178:179]
	s_waitcnt vmcnt(22) lgkmcnt(1)
	v_mul_f64 v[180:181], v[138:139], v[150:151]
	v_mul_f64 v[150:151], v[136:137], v[150:151]
	v_add_f64 v[1:2], v[1:2], v[174:175]
	v_add_f64 v[3:4], v[3:4], v[133:134]
	s_waitcnt vmcnt(18) lgkmcnt(0)
	v_mul_f64 v[133:134], v[146:147], v[154:155]
	v_mul_f64 v[148:149], v[144:145], v[154:155]
	v_fma_f64 v[154:155], v[136:137], v[152:153], -v[180:181]
	v_fma_f64 v[150:151], v[138:139], v[152:153], v[150:151]
	v_add_f64 v[140:141], v[1:2], v[140:141]
	v_add_f64 v[142:143], v[3:4], v[142:143]
	ds_read_b128 v[1:4], v182 offset:64
	ds_read_b128 v[136:139], v182 offset:80
	s_waitcnt vmcnt(16)
	v_fma_f64 v[133:134], v[144:145], v[156:157], -v[133:134]
	v_fma_f64 v[144:145], v[146:147], v[156:157], v[148:149]
	s_waitcnt vmcnt(12) lgkmcnt(1)
	v_mul_f64 v[152:153], v[3:4], v[158:159]
	v_mul_f64 v[158:159], v[1:2], v[158:159]
	v_add_f64 v[140:141], v[140:141], v[154:155]
	v_add_f64 v[142:143], v[142:143], v[150:151]
	s_waitcnt vmcnt(10) lgkmcnt(0)
	v_mul_f64 v[146:147], v[138:139], v[160:161]
	v_mul_f64 v[148:149], v[136:137], v[160:161]
	s_waitcnt vmcnt(8)
	v_fma_f64 v[150:151], v[1:2], v[164:165], -v[152:153]
	v_fma_f64 v[152:153], v[3:4], v[164:165], v[158:159]
	v_add_f64 v[133:134], v[140:141], v[133:134]
	v_add_f64 v[144:145], v[142:143], v[144:145]
	ds_read_b128 v[1:4], v182 offset:96
	ds_read_b128 v[140:143], v182 offset:112
	v_fma_f64 v[136:137], v[136:137], v[162:163], -v[146:147]
	v_fma_f64 v[138:139], v[138:139], v[162:163], v[148:149]
	s_waitcnt vmcnt(4) lgkmcnt(1)
	v_mul_f64 v[154:155], v[3:4], v[166:167]
	v_mul_f64 v[156:157], v[1:2], v[166:167]
	v_add_f64 v[133:134], v[133:134], v[150:151]
	v_add_f64 v[144:145], v[144:145], v[152:153]
	s_waitcnt vmcnt(2) lgkmcnt(0)
	v_mul_f64 v[146:147], v[142:143], v[168:169]
	v_mul_f64 v[148:149], v[140:141], v[168:169]
	s_waitcnt vmcnt(0)
	v_fma_f64 v[1:2], v[1:2], v[172:173], -v[154:155]
	v_fma_f64 v[3:4], v[3:4], v[172:173], v[156:157]
	v_add_f64 v[133:134], v[133:134], v[136:137]
	v_add_f64 v[136:137], v[144:145], v[138:139]
	v_fma_f64 v[138:139], v[140:141], v[170:171], -v[146:147]
	v_fma_f64 v[140:141], v[142:143], v[170:171], v[148:149]
	v_add_f64 v[1:2], v[133:134], v[1:2]
	v_add_f64 v[3:4], v[136:137], v[3:4]
	v_mov_b32_e32 v133, s74
	s_mov_b32 s74, s75
	v_add_f64 v[1:2], v[1:2], v[138:139]
	v_add_f64 v[3:4], v[3:4], v[140:141]
	s_andn2_b32 exec_lo, exec_lo, s71
	s_cbranch_execnz .LBB61_487
; %bb.488:
	s_or_b32 exec_lo, exec_lo, s71
.LBB61_489:
	s_or_b32 exec_lo, exec_lo, s4
	v_and_b32_e32 v131, 7, v131
	s_mov_b32 s71, 0
	s_mov_b32 s4, exec_lo
	v_cmpx_ne_u32_e32 0, v131
	s_cbranch_execz .LBB61_493
; %bb.490:
	v_lshlrev_b32_e32 v133, 4, v133
	v_add_nc_u32_e32 v132, 0x3e0, v133
	.p2align	6
.LBB61_491:                             ; =>This Inner Loop Header: Depth=1
	s_clause 0x3
	buffer_load_dword v140, v133, s[0:3], 0 offen offset:8
	buffer_load_dword v141, v133, s[0:3], 0 offen offset:12
	buffer_load_dword v142, v133, s[0:3], 0 offen
	buffer_load_dword v143, v133, s[0:3], 0 offen offset:4
	ds_read_b128 v[136:139], v132
	v_add_nc_u32_e32 v131, -1, v131
	v_add_nc_u32_e32 v132, 16, v132
	v_add_nc_u32_e32 v133, 16, v133
	v_cmp_eq_u32_e32 vcc_lo, 0, v131
	s_or_b32 s71, vcc_lo, s71
	s_waitcnt vmcnt(2) lgkmcnt(0)
	v_mul_f64 v[144:145], v[138:139], v[140:141]
	v_mul_f64 v[140:141], v[136:137], v[140:141]
	s_waitcnt vmcnt(0)
	v_fma_f64 v[136:137], v[136:137], v[142:143], -v[144:145]
	v_fma_f64 v[138:139], v[138:139], v[142:143], v[140:141]
	v_add_f64 v[1:2], v[1:2], v[136:137]
	v_add_f64 v[3:4], v[3:4], v[138:139]
	s_andn2_b32 exec_lo, exec_lo, s71
	s_cbranch_execnz .LBB61_491
; %bb.492:
	s_or_b32 exec_lo, exec_lo, s71
.LBB61_493:
	s_or_b32 exec_lo, exec_lo, s4
.LBB61_494:
	s_or_b32 exec_lo, exec_lo, s8
	v_mov_b32_e32 v131, 0
	ds_read_b128 v[131:134], v131 offset:400
	s_waitcnt lgkmcnt(0)
	v_mul_f64 v[136:137], v[3:4], v[133:134]
	v_mul_f64 v[133:134], v[1:2], v[133:134]
	v_fma_f64 v[1:2], v[1:2], v[131:132], -v[136:137]
	v_fma_f64 v[3:4], v[3:4], v[131:132], v[133:134]
	buffer_store_dword v2, off, s[0:3], 0 offset:404
	buffer_store_dword v1, off, s[0:3], 0 offset:400
	;; [unrolled: 1-line block ×4, first 2 shown]
.LBB61_495:
	s_or_b32 exec_lo, exec_lo, s6
	v_mov_b32_e32 v4, s47
	v_cmp_lt_u32_e64 s4, 24, v0
	s_clause 0x3
	buffer_load_dword v1, v4, s[0:3], 0 offen
	buffer_load_dword v2, v4, s[0:3], 0 offen offset:4
	buffer_load_dword v3, v4, s[0:3], 0 offen offset:8
	;; [unrolled: 1-line block ×3, first 2 shown]
	s_waitcnt vmcnt(0)
	ds_write_b128 v130, v[1:4]
	s_waitcnt lgkmcnt(0)
	s_waitcnt_vscnt null, 0x0
	s_barrier
	buffer_gl0_inv
	s_and_saveexec_b32 s6, s4
	s_cbranch_execz .LBB61_509
; %bb.496:
	ds_read_b128 v[1:4], v130
	s_andn2_b32 vcc_lo, exec_lo, s7
	s_cbranch_vccnz .LBB61_498
; %bb.497:
	s_clause 0x3
	buffer_load_dword v131, v129, s[0:3], 0 offen offset:8
	buffer_load_dword v132, v129, s[0:3], 0 offen offset:12
	buffer_load_dword v133, v129, s[0:3], 0 offen
	buffer_load_dword v134, v129, s[0:3], 0 offen offset:4
	s_waitcnt vmcnt(2) lgkmcnt(0)
	v_mul_f64 v[136:137], v[3:4], v[131:132]
	v_mul_f64 v[131:132], v[1:2], v[131:132]
	s_waitcnt vmcnt(0)
	v_fma_f64 v[1:2], v[1:2], v[133:134], -v[136:137]
	v_fma_f64 v[3:4], v[3:4], v[133:134], v[131:132]
.LBB61_498:
	s_and_saveexec_b32 s8, s5
	s_cbranch_execz .LBB61_508
; %bb.499:
	v_subrev_nc_u32_e32 v132, 26, v0
	v_mov_b32_e32 v133, 25
	v_subrev_nc_u32_e32 v131, 25, v0
	s_mov_b32 s5, exec_lo
	v_cmpx_lt_u32_e32 6, v132
	s_cbranch_execz .LBB61_503
; %bb.500:
	v_and_b32_e32 v132, -8, v131
	s_movk_i32 s72, 0x570
	s_mov_b32 s71, 0
	s_mov_b32 s73, s46
	;; [unrolled: 1-line block ×3, first 2 shown]
.LBB61_501:                             ; =>This Inner Loop Header: Depth=1
	v_mov_b32_e32 v136, s73
	v_mov_b32_e32 v182, s72
	s_add_i32 s75, s74, 8
	s_add_i32 s74, s74, 33
	v_cmp_eq_u32_e32 vcc_lo, s75, v132
	s_clause 0x1f
	buffer_load_dword v133, v136, s[0:3], 0 offen offset:8
	buffer_load_dword v134, v136, s[0:3], 0 offen offset:12
	buffer_load_dword v144, v136, s[0:3], 0 offen
	buffer_load_dword v145, v136, s[0:3], 0 offen offset:4
	buffer_load_dword v146, v136, s[0:3], 0 offen offset:24
	;; [unrolled: 1-line block ×29, first 2 shown]
	ds_read_b128 v[136:139], v182
	ds_read_b128 v[140:143], v182 offset:16
	s_addk_i32 s72, 0x80
	s_addk_i32 s73, 0x80
	s_or_b32 s71, vcc_lo, s71
	s_waitcnt vmcnt(30) lgkmcnt(1)
	v_mul_f64 v[174:175], v[138:139], v[133:134]
	v_mul_f64 v[133:134], v[136:137], v[133:134]
	s_waitcnt vmcnt(26) lgkmcnt(0)
	v_mul_f64 v[176:177], v[142:143], v[146:147]
	v_mul_f64 v[178:179], v[140:141], v[146:147]
	v_fma_f64 v[174:175], v[136:137], v[144:145], -v[174:175]
	v_fma_f64 v[133:134], v[138:139], v[144:145], v[133:134]
	ds_read_b128 v[136:139], v182 offset:32
	ds_read_b128 v[144:147], v182 offset:48
	s_waitcnt vmcnt(24)
	v_fma_f64 v[140:141], v[140:141], v[148:149], -v[176:177]
	v_fma_f64 v[142:143], v[142:143], v[148:149], v[178:179]
	s_waitcnt vmcnt(22) lgkmcnt(1)
	v_mul_f64 v[180:181], v[138:139], v[150:151]
	v_mul_f64 v[150:151], v[136:137], v[150:151]
	v_add_f64 v[1:2], v[1:2], v[174:175]
	v_add_f64 v[3:4], v[3:4], v[133:134]
	s_waitcnt vmcnt(18) lgkmcnt(0)
	v_mul_f64 v[133:134], v[146:147], v[154:155]
	v_mul_f64 v[148:149], v[144:145], v[154:155]
	v_fma_f64 v[154:155], v[136:137], v[152:153], -v[180:181]
	v_fma_f64 v[150:151], v[138:139], v[152:153], v[150:151]
	v_add_f64 v[140:141], v[1:2], v[140:141]
	v_add_f64 v[142:143], v[3:4], v[142:143]
	ds_read_b128 v[1:4], v182 offset:64
	ds_read_b128 v[136:139], v182 offset:80
	s_waitcnt vmcnt(16)
	v_fma_f64 v[133:134], v[144:145], v[156:157], -v[133:134]
	v_fma_f64 v[144:145], v[146:147], v[156:157], v[148:149]
	s_waitcnt vmcnt(12) lgkmcnt(1)
	v_mul_f64 v[152:153], v[3:4], v[158:159]
	v_mul_f64 v[158:159], v[1:2], v[158:159]
	v_add_f64 v[140:141], v[140:141], v[154:155]
	v_add_f64 v[142:143], v[142:143], v[150:151]
	s_waitcnt vmcnt(10) lgkmcnt(0)
	v_mul_f64 v[146:147], v[138:139], v[160:161]
	v_mul_f64 v[148:149], v[136:137], v[160:161]
	s_waitcnt vmcnt(8)
	v_fma_f64 v[150:151], v[1:2], v[164:165], -v[152:153]
	v_fma_f64 v[152:153], v[3:4], v[164:165], v[158:159]
	v_add_f64 v[133:134], v[140:141], v[133:134]
	v_add_f64 v[144:145], v[142:143], v[144:145]
	ds_read_b128 v[1:4], v182 offset:96
	ds_read_b128 v[140:143], v182 offset:112
	v_fma_f64 v[136:137], v[136:137], v[162:163], -v[146:147]
	v_fma_f64 v[138:139], v[138:139], v[162:163], v[148:149]
	s_waitcnt vmcnt(4) lgkmcnt(1)
	v_mul_f64 v[154:155], v[3:4], v[166:167]
	v_mul_f64 v[156:157], v[1:2], v[166:167]
	v_add_f64 v[133:134], v[133:134], v[150:151]
	v_add_f64 v[144:145], v[144:145], v[152:153]
	s_waitcnt vmcnt(2) lgkmcnt(0)
	v_mul_f64 v[146:147], v[142:143], v[168:169]
	v_mul_f64 v[148:149], v[140:141], v[168:169]
	s_waitcnt vmcnt(0)
	v_fma_f64 v[1:2], v[1:2], v[172:173], -v[154:155]
	v_fma_f64 v[3:4], v[3:4], v[172:173], v[156:157]
	v_add_f64 v[133:134], v[133:134], v[136:137]
	v_add_f64 v[136:137], v[144:145], v[138:139]
	v_fma_f64 v[138:139], v[140:141], v[170:171], -v[146:147]
	v_fma_f64 v[140:141], v[142:143], v[170:171], v[148:149]
	v_add_f64 v[1:2], v[133:134], v[1:2]
	v_add_f64 v[3:4], v[136:137], v[3:4]
	v_mov_b32_e32 v133, s74
	s_mov_b32 s74, s75
	v_add_f64 v[1:2], v[1:2], v[138:139]
	v_add_f64 v[3:4], v[3:4], v[140:141]
	s_andn2_b32 exec_lo, exec_lo, s71
	s_cbranch_execnz .LBB61_501
; %bb.502:
	s_or_b32 exec_lo, exec_lo, s71
.LBB61_503:
	s_or_b32 exec_lo, exec_lo, s5
	v_and_b32_e32 v131, 7, v131
	s_mov_b32 s71, 0
	s_mov_b32 s5, exec_lo
	v_cmpx_ne_u32_e32 0, v131
	s_cbranch_execz .LBB61_507
; %bb.504:
	v_lshlrev_b32_e32 v133, 4, v133
	v_add_nc_u32_e32 v132, 0x3e0, v133
	.p2align	6
.LBB61_505:                             ; =>This Inner Loop Header: Depth=1
	s_clause 0x3
	buffer_load_dword v140, v133, s[0:3], 0 offen offset:8
	buffer_load_dword v141, v133, s[0:3], 0 offen offset:12
	buffer_load_dword v142, v133, s[0:3], 0 offen
	buffer_load_dword v143, v133, s[0:3], 0 offen offset:4
	ds_read_b128 v[136:139], v132
	v_add_nc_u32_e32 v131, -1, v131
	v_add_nc_u32_e32 v132, 16, v132
	v_add_nc_u32_e32 v133, 16, v133
	v_cmp_eq_u32_e32 vcc_lo, 0, v131
	s_or_b32 s71, vcc_lo, s71
	s_waitcnt vmcnt(2) lgkmcnt(0)
	v_mul_f64 v[144:145], v[138:139], v[140:141]
	v_mul_f64 v[140:141], v[136:137], v[140:141]
	s_waitcnt vmcnt(0)
	v_fma_f64 v[136:137], v[136:137], v[142:143], -v[144:145]
	v_fma_f64 v[138:139], v[138:139], v[142:143], v[140:141]
	v_add_f64 v[1:2], v[1:2], v[136:137]
	v_add_f64 v[3:4], v[3:4], v[138:139]
	s_andn2_b32 exec_lo, exec_lo, s71
	s_cbranch_execnz .LBB61_505
; %bb.506:
	s_or_b32 exec_lo, exec_lo, s71
.LBB61_507:
	s_or_b32 exec_lo, exec_lo, s5
.LBB61_508:
	s_or_b32 exec_lo, exec_lo, s8
	v_mov_b32_e32 v131, 0
	ds_read_b128 v[131:134], v131 offset:384
	s_waitcnt lgkmcnt(0)
	v_mul_f64 v[136:137], v[3:4], v[133:134]
	v_mul_f64 v[133:134], v[1:2], v[133:134]
	v_fma_f64 v[1:2], v[1:2], v[131:132], -v[136:137]
	v_fma_f64 v[3:4], v[3:4], v[131:132], v[133:134]
	buffer_store_dword v2, off, s[0:3], 0 offset:388
	buffer_store_dword v1, off, s[0:3], 0 offset:384
	buffer_store_dword v4, off, s[0:3], 0 offset:396
	buffer_store_dword v3, off, s[0:3], 0 offset:392
.LBB61_509:
	s_or_b32 exec_lo, exec_lo, s6
	v_mov_b32_e32 v4, s48
	v_cmp_lt_u32_e64 s5, 23, v0
	s_clause 0x3
	buffer_load_dword v1, v4, s[0:3], 0 offen
	buffer_load_dword v2, v4, s[0:3], 0 offen offset:4
	buffer_load_dword v3, v4, s[0:3], 0 offen offset:8
	;; [unrolled: 1-line block ×3, first 2 shown]
	s_waitcnt vmcnt(0)
	ds_write_b128 v130, v[1:4]
	s_waitcnt lgkmcnt(0)
	s_waitcnt_vscnt null, 0x0
	s_barrier
	buffer_gl0_inv
	s_and_saveexec_b32 s6, s5
	s_cbranch_execz .LBB61_523
; %bb.510:
	ds_read_b128 v[1:4], v130
	s_andn2_b32 vcc_lo, exec_lo, s7
	s_cbranch_vccnz .LBB61_512
; %bb.511:
	s_clause 0x3
	buffer_load_dword v131, v129, s[0:3], 0 offen offset:8
	buffer_load_dword v132, v129, s[0:3], 0 offen offset:12
	buffer_load_dword v133, v129, s[0:3], 0 offen
	buffer_load_dword v134, v129, s[0:3], 0 offen offset:4
	s_waitcnt vmcnt(2) lgkmcnt(0)
	v_mul_f64 v[136:137], v[3:4], v[131:132]
	v_mul_f64 v[131:132], v[1:2], v[131:132]
	s_waitcnt vmcnt(0)
	v_fma_f64 v[1:2], v[1:2], v[133:134], -v[136:137]
	v_fma_f64 v[3:4], v[3:4], v[133:134], v[131:132]
.LBB61_512:
	s_and_saveexec_b32 s8, s4
	s_cbranch_execz .LBB61_522
; %bb.513:
	v_subrev_nc_u32_e32 v131, 25, v0
	v_cmp_lt_u32_e32 vcc_lo, 6, v131
	v_mov_b32_e32 v131, 24
	s_and_saveexec_b32 s4, vcc_lo
	s_cbranch_execz .LBB61_517
; %bb.514:
	v_and_b32_e32 v131, 56, v0
	s_mov_b32 s71, 24
	s_movk_i32 s73, 0x560
	s_mov_b32 s72, 0
	s_mov_b32 s74, s47
.LBB61_515:                             ; =>This Inner Loop Header: Depth=1
	v_mov_b32_e32 v134, s74
	s_add_i32 s71, s71, 8
	s_addk_i32 s74, 0x80
	v_cmp_eq_u32_e32 vcc_lo, s71, v131
	s_clause 0x1f
	buffer_load_dword v132, v134, s[0:3], 0 offen offset:8
	buffer_load_dword v133, v134, s[0:3], 0 offen offset:12
	buffer_load_dword v144, v134, s[0:3], 0 offen
	buffer_load_dword v145, v134, s[0:3], 0 offen offset:4
	buffer_load_dword v146, v134, s[0:3], 0 offen offset:24
	;; [unrolled: 1-line block ×29, first 2 shown]
	v_mov_b32_e32 v134, s73
	s_addk_i32 s73, 0x80
	s_or_b32 s72, vcc_lo, s72
	ds_read_b128 v[136:139], v134
	ds_read_b128 v[140:143], v134 offset:16
	s_waitcnt vmcnt(30) lgkmcnt(1)
	v_mul_f64 v[174:175], v[138:139], v[132:133]
	v_mul_f64 v[132:133], v[136:137], v[132:133]
	s_waitcnt vmcnt(26) lgkmcnt(0)
	v_mul_f64 v[176:177], v[142:143], v[146:147]
	v_mul_f64 v[178:179], v[140:141], v[146:147]
	v_fma_f64 v[174:175], v[136:137], v[144:145], -v[174:175]
	v_fma_f64 v[132:133], v[138:139], v[144:145], v[132:133]
	ds_read_b128 v[136:139], v134 offset:32
	ds_read_b128 v[144:147], v134 offset:48
	s_waitcnt vmcnt(24)
	v_fma_f64 v[140:141], v[140:141], v[148:149], -v[176:177]
	v_fma_f64 v[142:143], v[142:143], v[148:149], v[178:179]
	s_waitcnt vmcnt(22) lgkmcnt(1)
	v_mul_f64 v[180:181], v[138:139], v[150:151]
	v_mul_f64 v[150:151], v[136:137], v[150:151]
	v_add_f64 v[1:2], v[1:2], v[174:175]
	v_add_f64 v[3:4], v[3:4], v[132:133]
	s_waitcnt vmcnt(18) lgkmcnt(0)
	v_mul_f64 v[132:133], v[146:147], v[154:155]
	v_mul_f64 v[148:149], v[144:145], v[154:155]
	v_fma_f64 v[154:155], v[136:137], v[152:153], -v[180:181]
	v_fma_f64 v[150:151], v[138:139], v[152:153], v[150:151]
	v_add_f64 v[140:141], v[1:2], v[140:141]
	v_add_f64 v[142:143], v[3:4], v[142:143]
	ds_read_b128 v[1:4], v134 offset:64
	ds_read_b128 v[136:139], v134 offset:80
	s_waitcnt vmcnt(16)
	v_fma_f64 v[132:133], v[144:145], v[156:157], -v[132:133]
	v_fma_f64 v[144:145], v[146:147], v[156:157], v[148:149]
	s_waitcnt vmcnt(12) lgkmcnt(1)
	v_mul_f64 v[152:153], v[3:4], v[158:159]
	v_mul_f64 v[158:159], v[1:2], v[158:159]
	v_add_f64 v[140:141], v[140:141], v[154:155]
	v_add_f64 v[142:143], v[142:143], v[150:151]
	s_waitcnt vmcnt(10) lgkmcnt(0)
	v_mul_f64 v[146:147], v[138:139], v[160:161]
	v_mul_f64 v[148:149], v[136:137], v[160:161]
	s_waitcnt vmcnt(8)
	v_fma_f64 v[150:151], v[1:2], v[164:165], -v[152:153]
	v_fma_f64 v[152:153], v[3:4], v[164:165], v[158:159]
	v_add_f64 v[132:133], v[140:141], v[132:133]
	v_add_f64 v[144:145], v[142:143], v[144:145]
	ds_read_b128 v[1:4], v134 offset:96
	ds_read_b128 v[140:143], v134 offset:112
	v_fma_f64 v[136:137], v[136:137], v[162:163], -v[146:147]
	v_fma_f64 v[138:139], v[138:139], v[162:163], v[148:149]
	s_waitcnt vmcnt(4) lgkmcnt(1)
	v_mul_f64 v[154:155], v[3:4], v[166:167]
	v_mul_f64 v[156:157], v[1:2], v[166:167]
	v_add_f64 v[132:133], v[132:133], v[150:151]
	v_add_f64 v[144:145], v[144:145], v[152:153]
	s_waitcnt vmcnt(2) lgkmcnt(0)
	v_mul_f64 v[146:147], v[142:143], v[168:169]
	v_mul_f64 v[148:149], v[140:141], v[168:169]
	s_waitcnt vmcnt(0)
	v_fma_f64 v[1:2], v[1:2], v[172:173], -v[154:155]
	v_fma_f64 v[3:4], v[3:4], v[172:173], v[156:157]
	v_add_f64 v[132:133], v[132:133], v[136:137]
	v_add_f64 v[136:137], v[144:145], v[138:139]
	v_fma_f64 v[138:139], v[140:141], v[170:171], -v[146:147]
	v_fma_f64 v[140:141], v[142:143], v[170:171], v[148:149]
	v_add_f64 v[1:2], v[132:133], v[1:2]
	v_add_f64 v[3:4], v[136:137], v[3:4]
	;; [unrolled: 1-line block ×4, first 2 shown]
	s_andn2_b32 exec_lo, exec_lo, s72
	s_cbranch_execnz .LBB61_515
; %bb.516:
	s_or_b32 exec_lo, exec_lo, s72
.LBB61_517:
	s_or_b32 exec_lo, exec_lo, s4
	v_and_b32_e32 v132, 7, v0
	s_mov_b32 s71, 0
	s_mov_b32 s4, exec_lo
	v_cmpx_ne_u32_e32 0, v132
	s_cbranch_execz .LBB61_521
; %bb.518:
	v_lshlrev_b32_e32 v133, 4, v131
	v_add_nc_u32_e32 v131, 0x3e0, v133
	.p2align	6
.LBB61_519:                             ; =>This Inner Loop Header: Depth=1
	s_clause 0x3
	buffer_load_dword v140, v133, s[0:3], 0 offen offset:8
	buffer_load_dword v141, v133, s[0:3], 0 offen offset:12
	buffer_load_dword v142, v133, s[0:3], 0 offen
	buffer_load_dword v143, v133, s[0:3], 0 offen offset:4
	ds_read_b128 v[136:139], v131
	v_add_nc_u32_e32 v132, -1, v132
	v_add_nc_u32_e32 v131, 16, v131
	v_add_nc_u32_e32 v133, 16, v133
	v_cmp_eq_u32_e32 vcc_lo, 0, v132
	s_or_b32 s71, vcc_lo, s71
	s_waitcnt vmcnt(2) lgkmcnt(0)
	v_mul_f64 v[144:145], v[138:139], v[140:141]
	v_mul_f64 v[140:141], v[136:137], v[140:141]
	s_waitcnt vmcnt(0)
	v_fma_f64 v[136:137], v[136:137], v[142:143], -v[144:145]
	v_fma_f64 v[138:139], v[138:139], v[142:143], v[140:141]
	v_add_f64 v[1:2], v[1:2], v[136:137]
	v_add_f64 v[3:4], v[3:4], v[138:139]
	s_andn2_b32 exec_lo, exec_lo, s71
	s_cbranch_execnz .LBB61_519
; %bb.520:
	s_or_b32 exec_lo, exec_lo, s71
.LBB61_521:
	s_or_b32 exec_lo, exec_lo, s4
.LBB61_522:
	s_or_b32 exec_lo, exec_lo, s8
	v_mov_b32_e32 v131, 0
	ds_read_b128 v[131:134], v131 offset:368
	s_waitcnt lgkmcnt(0)
	v_mul_f64 v[136:137], v[3:4], v[133:134]
	v_mul_f64 v[133:134], v[1:2], v[133:134]
	v_fma_f64 v[1:2], v[1:2], v[131:132], -v[136:137]
	v_fma_f64 v[3:4], v[3:4], v[131:132], v[133:134]
	buffer_store_dword v2, off, s[0:3], 0 offset:372
	buffer_store_dword v1, off, s[0:3], 0 offset:368
	buffer_store_dword v4, off, s[0:3], 0 offset:380
	buffer_store_dword v3, off, s[0:3], 0 offset:376
.LBB61_523:
	s_or_b32 exec_lo, exec_lo, s6
	v_mov_b32_e32 v4, s49
	v_cmp_lt_u32_e64 s4, 22, v0
	s_clause 0x3
	buffer_load_dword v1, v4, s[0:3], 0 offen
	buffer_load_dword v2, v4, s[0:3], 0 offen offset:4
	buffer_load_dword v3, v4, s[0:3], 0 offen offset:8
	;; [unrolled: 1-line block ×3, first 2 shown]
	s_waitcnt vmcnt(0)
	ds_write_b128 v130, v[1:4]
	s_waitcnt lgkmcnt(0)
	s_waitcnt_vscnt null, 0x0
	s_barrier
	buffer_gl0_inv
	s_and_saveexec_b32 s6, s4
	s_cbranch_execz .LBB61_537
; %bb.524:
	ds_read_b128 v[1:4], v130
	s_andn2_b32 vcc_lo, exec_lo, s7
	s_cbranch_vccnz .LBB61_526
; %bb.525:
	s_clause 0x3
	buffer_load_dword v131, v129, s[0:3], 0 offen offset:8
	buffer_load_dword v132, v129, s[0:3], 0 offen offset:12
	buffer_load_dword v133, v129, s[0:3], 0 offen
	buffer_load_dword v134, v129, s[0:3], 0 offen offset:4
	s_waitcnt vmcnt(2) lgkmcnt(0)
	v_mul_f64 v[136:137], v[3:4], v[131:132]
	v_mul_f64 v[131:132], v[1:2], v[131:132]
	s_waitcnt vmcnt(0)
	v_fma_f64 v[1:2], v[1:2], v[133:134], -v[136:137]
	v_fma_f64 v[3:4], v[3:4], v[133:134], v[131:132]
.LBB61_526:
	s_and_saveexec_b32 s8, s5
	s_cbranch_execz .LBB61_536
; %bb.527:
	v_subrev_nc_u32_e32 v132, 24, v0
	v_mov_b32_e32 v133, 23
	v_subrev_nc_u32_e32 v131, 23, v0
	s_mov_b32 s5, exec_lo
	v_cmpx_lt_u32_e32 6, v132
	s_cbranch_execz .LBB61_531
; %bb.528:
	v_and_b32_e32 v132, -8, v131
	s_movk_i32 s72, 0x550
	s_mov_b32 s71, 0
	s_mov_b32 s73, s48
	;; [unrolled: 1-line block ×3, first 2 shown]
.LBB61_529:                             ; =>This Inner Loop Header: Depth=1
	v_mov_b32_e32 v136, s73
	v_mov_b32_e32 v182, s72
	s_add_i32 s75, s74, 8
	s_add_i32 s74, s74, 31
	v_cmp_eq_u32_e32 vcc_lo, s75, v132
	s_clause 0x1f
	buffer_load_dword v133, v136, s[0:3], 0 offen offset:8
	buffer_load_dword v134, v136, s[0:3], 0 offen offset:12
	buffer_load_dword v144, v136, s[0:3], 0 offen
	buffer_load_dword v145, v136, s[0:3], 0 offen offset:4
	buffer_load_dword v146, v136, s[0:3], 0 offen offset:24
	buffer_load_dword v147, v136, s[0:3], 0 offen offset:28
	buffer_load_dword v148, v136, s[0:3], 0 offen offset:16
	buffer_load_dword v149, v136, s[0:3], 0 offen offset:20
	buffer_load_dword v150, v136, s[0:3], 0 offen offset:40
	buffer_load_dword v151, v136, s[0:3], 0 offen offset:44
	buffer_load_dword v152, v136, s[0:3], 0 offen offset:32
	buffer_load_dword v153, v136, s[0:3], 0 offen offset:36
	buffer_load_dword v154, v136, s[0:3], 0 offen offset:56
	buffer_load_dword v155, v136, s[0:3], 0 offen offset:60
	buffer_load_dword v156, v136, s[0:3], 0 offen offset:48
	buffer_load_dword v157, v136, s[0:3], 0 offen offset:52
	buffer_load_dword v159, v136, s[0:3], 0 offen offset:76
	buffer_load_dword v160, v136, s[0:3], 0 offen offset:88
	buffer_load_dword v162, v136, s[0:3], 0 offen offset:80
	buffer_load_dword v158, v136, s[0:3], 0 offen offset:72
	buffer_load_dword v163, v136, s[0:3], 0 offen offset:84
	buffer_load_dword v161, v136, s[0:3], 0 offen offset:92
	buffer_load_dword v165, v136, s[0:3], 0 offen offset:68
	buffer_load_dword v164, v136, s[0:3], 0 offen offset:64
	buffer_load_dword v167, v136, s[0:3], 0 offen offset:108
	buffer_load_dword v168, v136, s[0:3], 0 offen offset:120
	buffer_load_dword v170, v136, s[0:3], 0 offen offset:112
	buffer_load_dword v166, v136, s[0:3], 0 offen offset:104
	buffer_load_dword v171, v136, s[0:3], 0 offen offset:116
	buffer_load_dword v169, v136, s[0:3], 0 offen offset:124
	buffer_load_dword v173, v136, s[0:3], 0 offen offset:100
	buffer_load_dword v172, v136, s[0:3], 0 offen offset:96
	ds_read_b128 v[136:139], v182
	ds_read_b128 v[140:143], v182 offset:16
	s_addk_i32 s72, 0x80
	s_addk_i32 s73, 0x80
	s_or_b32 s71, vcc_lo, s71
	s_waitcnt vmcnt(30) lgkmcnt(1)
	v_mul_f64 v[174:175], v[138:139], v[133:134]
	v_mul_f64 v[133:134], v[136:137], v[133:134]
	s_waitcnt vmcnt(26) lgkmcnt(0)
	v_mul_f64 v[176:177], v[142:143], v[146:147]
	v_mul_f64 v[178:179], v[140:141], v[146:147]
	v_fma_f64 v[174:175], v[136:137], v[144:145], -v[174:175]
	v_fma_f64 v[133:134], v[138:139], v[144:145], v[133:134]
	ds_read_b128 v[136:139], v182 offset:32
	ds_read_b128 v[144:147], v182 offset:48
	s_waitcnt vmcnt(24)
	v_fma_f64 v[140:141], v[140:141], v[148:149], -v[176:177]
	v_fma_f64 v[142:143], v[142:143], v[148:149], v[178:179]
	s_waitcnt vmcnt(22) lgkmcnt(1)
	v_mul_f64 v[180:181], v[138:139], v[150:151]
	v_mul_f64 v[150:151], v[136:137], v[150:151]
	v_add_f64 v[1:2], v[1:2], v[174:175]
	v_add_f64 v[3:4], v[3:4], v[133:134]
	s_waitcnt vmcnt(18) lgkmcnt(0)
	v_mul_f64 v[133:134], v[146:147], v[154:155]
	v_mul_f64 v[148:149], v[144:145], v[154:155]
	v_fma_f64 v[154:155], v[136:137], v[152:153], -v[180:181]
	v_fma_f64 v[150:151], v[138:139], v[152:153], v[150:151]
	v_add_f64 v[140:141], v[1:2], v[140:141]
	v_add_f64 v[142:143], v[3:4], v[142:143]
	ds_read_b128 v[1:4], v182 offset:64
	ds_read_b128 v[136:139], v182 offset:80
	s_waitcnt vmcnt(16)
	v_fma_f64 v[133:134], v[144:145], v[156:157], -v[133:134]
	v_fma_f64 v[144:145], v[146:147], v[156:157], v[148:149]
	s_waitcnt vmcnt(12) lgkmcnt(1)
	v_mul_f64 v[152:153], v[3:4], v[158:159]
	v_mul_f64 v[158:159], v[1:2], v[158:159]
	v_add_f64 v[140:141], v[140:141], v[154:155]
	v_add_f64 v[142:143], v[142:143], v[150:151]
	s_waitcnt vmcnt(10) lgkmcnt(0)
	v_mul_f64 v[146:147], v[138:139], v[160:161]
	v_mul_f64 v[148:149], v[136:137], v[160:161]
	s_waitcnt vmcnt(8)
	v_fma_f64 v[150:151], v[1:2], v[164:165], -v[152:153]
	v_fma_f64 v[152:153], v[3:4], v[164:165], v[158:159]
	v_add_f64 v[133:134], v[140:141], v[133:134]
	v_add_f64 v[144:145], v[142:143], v[144:145]
	ds_read_b128 v[1:4], v182 offset:96
	ds_read_b128 v[140:143], v182 offset:112
	v_fma_f64 v[136:137], v[136:137], v[162:163], -v[146:147]
	v_fma_f64 v[138:139], v[138:139], v[162:163], v[148:149]
	s_waitcnt vmcnt(4) lgkmcnt(1)
	v_mul_f64 v[154:155], v[3:4], v[166:167]
	v_mul_f64 v[156:157], v[1:2], v[166:167]
	v_add_f64 v[133:134], v[133:134], v[150:151]
	v_add_f64 v[144:145], v[144:145], v[152:153]
	s_waitcnt vmcnt(2) lgkmcnt(0)
	v_mul_f64 v[146:147], v[142:143], v[168:169]
	v_mul_f64 v[148:149], v[140:141], v[168:169]
	s_waitcnt vmcnt(0)
	v_fma_f64 v[1:2], v[1:2], v[172:173], -v[154:155]
	v_fma_f64 v[3:4], v[3:4], v[172:173], v[156:157]
	v_add_f64 v[133:134], v[133:134], v[136:137]
	v_add_f64 v[136:137], v[144:145], v[138:139]
	v_fma_f64 v[138:139], v[140:141], v[170:171], -v[146:147]
	v_fma_f64 v[140:141], v[142:143], v[170:171], v[148:149]
	v_add_f64 v[1:2], v[133:134], v[1:2]
	v_add_f64 v[3:4], v[136:137], v[3:4]
	v_mov_b32_e32 v133, s74
	s_mov_b32 s74, s75
	v_add_f64 v[1:2], v[1:2], v[138:139]
	v_add_f64 v[3:4], v[3:4], v[140:141]
	s_andn2_b32 exec_lo, exec_lo, s71
	s_cbranch_execnz .LBB61_529
; %bb.530:
	s_or_b32 exec_lo, exec_lo, s71
.LBB61_531:
	s_or_b32 exec_lo, exec_lo, s5
	v_and_b32_e32 v131, 7, v131
	s_mov_b32 s71, 0
	s_mov_b32 s5, exec_lo
	v_cmpx_ne_u32_e32 0, v131
	s_cbranch_execz .LBB61_535
; %bb.532:
	v_lshlrev_b32_e32 v133, 4, v133
	v_add_nc_u32_e32 v132, 0x3e0, v133
	.p2align	6
.LBB61_533:                             ; =>This Inner Loop Header: Depth=1
	s_clause 0x3
	buffer_load_dword v140, v133, s[0:3], 0 offen offset:8
	buffer_load_dword v141, v133, s[0:3], 0 offen offset:12
	buffer_load_dword v142, v133, s[0:3], 0 offen
	buffer_load_dword v143, v133, s[0:3], 0 offen offset:4
	ds_read_b128 v[136:139], v132
	v_add_nc_u32_e32 v131, -1, v131
	v_add_nc_u32_e32 v132, 16, v132
	v_add_nc_u32_e32 v133, 16, v133
	v_cmp_eq_u32_e32 vcc_lo, 0, v131
	s_or_b32 s71, vcc_lo, s71
	s_waitcnt vmcnt(2) lgkmcnt(0)
	v_mul_f64 v[144:145], v[138:139], v[140:141]
	v_mul_f64 v[140:141], v[136:137], v[140:141]
	s_waitcnt vmcnt(0)
	v_fma_f64 v[136:137], v[136:137], v[142:143], -v[144:145]
	v_fma_f64 v[138:139], v[138:139], v[142:143], v[140:141]
	v_add_f64 v[1:2], v[1:2], v[136:137]
	v_add_f64 v[3:4], v[3:4], v[138:139]
	s_andn2_b32 exec_lo, exec_lo, s71
	s_cbranch_execnz .LBB61_533
; %bb.534:
	s_or_b32 exec_lo, exec_lo, s71
.LBB61_535:
	s_or_b32 exec_lo, exec_lo, s5
.LBB61_536:
	s_or_b32 exec_lo, exec_lo, s8
	v_mov_b32_e32 v131, 0
	ds_read_b128 v[131:134], v131 offset:352
	s_waitcnt lgkmcnt(0)
	v_mul_f64 v[136:137], v[3:4], v[133:134]
	v_mul_f64 v[133:134], v[1:2], v[133:134]
	v_fma_f64 v[1:2], v[1:2], v[131:132], -v[136:137]
	v_fma_f64 v[3:4], v[3:4], v[131:132], v[133:134]
	buffer_store_dword v2, off, s[0:3], 0 offset:356
	buffer_store_dword v1, off, s[0:3], 0 offset:352
	;; [unrolled: 1-line block ×4, first 2 shown]
.LBB61_537:
	s_or_b32 exec_lo, exec_lo, s6
	v_mov_b32_e32 v4, s50
	v_cmp_lt_u32_e64 s5, 21, v0
	s_clause 0x3
	buffer_load_dword v1, v4, s[0:3], 0 offen
	buffer_load_dword v2, v4, s[0:3], 0 offen offset:4
	buffer_load_dword v3, v4, s[0:3], 0 offen offset:8
	;; [unrolled: 1-line block ×3, first 2 shown]
	s_waitcnt vmcnt(0)
	ds_write_b128 v130, v[1:4]
	s_waitcnt lgkmcnt(0)
	s_waitcnt_vscnt null, 0x0
	s_barrier
	buffer_gl0_inv
	s_and_saveexec_b32 s6, s5
	s_cbranch_execz .LBB61_551
; %bb.538:
	ds_read_b128 v[1:4], v130
	s_andn2_b32 vcc_lo, exec_lo, s7
	s_cbranch_vccnz .LBB61_540
; %bb.539:
	s_clause 0x3
	buffer_load_dword v131, v129, s[0:3], 0 offen offset:8
	buffer_load_dword v132, v129, s[0:3], 0 offen offset:12
	buffer_load_dword v133, v129, s[0:3], 0 offen
	buffer_load_dword v134, v129, s[0:3], 0 offen offset:4
	s_waitcnt vmcnt(2) lgkmcnt(0)
	v_mul_f64 v[136:137], v[3:4], v[131:132]
	v_mul_f64 v[131:132], v[1:2], v[131:132]
	s_waitcnt vmcnt(0)
	v_fma_f64 v[1:2], v[1:2], v[133:134], -v[136:137]
	v_fma_f64 v[3:4], v[3:4], v[133:134], v[131:132]
.LBB61_540:
	s_and_saveexec_b32 s8, s4
	s_cbranch_execz .LBB61_550
; %bb.541:
	v_subrev_nc_u32_e32 v132, 23, v0
	v_mov_b32_e32 v133, 22
	v_subrev_nc_u32_e32 v131, 22, v0
	s_mov_b32 s4, exec_lo
	v_cmpx_lt_u32_e32 6, v132
	s_cbranch_execz .LBB61_545
; %bb.542:
	v_and_b32_e32 v132, -8, v131
	s_movk_i32 s72, 0x540
	s_mov_b32 s71, 0
	s_mov_b32 s73, s49
	;; [unrolled: 1-line block ×3, first 2 shown]
.LBB61_543:                             ; =>This Inner Loop Header: Depth=1
	v_mov_b32_e32 v136, s73
	v_mov_b32_e32 v182, s72
	s_add_i32 s75, s74, 8
	s_add_i32 s74, s74, 30
	v_cmp_eq_u32_e32 vcc_lo, s75, v132
	s_clause 0x1f
	buffer_load_dword v133, v136, s[0:3], 0 offen offset:8
	buffer_load_dword v134, v136, s[0:3], 0 offen offset:12
	buffer_load_dword v144, v136, s[0:3], 0 offen
	buffer_load_dword v145, v136, s[0:3], 0 offen offset:4
	buffer_load_dword v146, v136, s[0:3], 0 offen offset:24
	;; [unrolled: 1-line block ×29, first 2 shown]
	ds_read_b128 v[136:139], v182
	ds_read_b128 v[140:143], v182 offset:16
	s_addk_i32 s72, 0x80
	s_addk_i32 s73, 0x80
	s_or_b32 s71, vcc_lo, s71
	s_waitcnt vmcnt(30) lgkmcnt(1)
	v_mul_f64 v[174:175], v[138:139], v[133:134]
	v_mul_f64 v[133:134], v[136:137], v[133:134]
	s_waitcnt vmcnt(26) lgkmcnt(0)
	v_mul_f64 v[176:177], v[142:143], v[146:147]
	v_mul_f64 v[178:179], v[140:141], v[146:147]
	v_fma_f64 v[174:175], v[136:137], v[144:145], -v[174:175]
	v_fma_f64 v[133:134], v[138:139], v[144:145], v[133:134]
	ds_read_b128 v[136:139], v182 offset:32
	ds_read_b128 v[144:147], v182 offset:48
	s_waitcnt vmcnt(24)
	v_fma_f64 v[140:141], v[140:141], v[148:149], -v[176:177]
	v_fma_f64 v[142:143], v[142:143], v[148:149], v[178:179]
	s_waitcnt vmcnt(22) lgkmcnt(1)
	v_mul_f64 v[180:181], v[138:139], v[150:151]
	v_mul_f64 v[150:151], v[136:137], v[150:151]
	v_add_f64 v[1:2], v[1:2], v[174:175]
	v_add_f64 v[3:4], v[3:4], v[133:134]
	s_waitcnt vmcnt(18) lgkmcnt(0)
	v_mul_f64 v[133:134], v[146:147], v[154:155]
	v_mul_f64 v[148:149], v[144:145], v[154:155]
	v_fma_f64 v[154:155], v[136:137], v[152:153], -v[180:181]
	v_fma_f64 v[150:151], v[138:139], v[152:153], v[150:151]
	v_add_f64 v[140:141], v[1:2], v[140:141]
	v_add_f64 v[142:143], v[3:4], v[142:143]
	ds_read_b128 v[1:4], v182 offset:64
	ds_read_b128 v[136:139], v182 offset:80
	s_waitcnt vmcnt(16)
	v_fma_f64 v[133:134], v[144:145], v[156:157], -v[133:134]
	v_fma_f64 v[144:145], v[146:147], v[156:157], v[148:149]
	s_waitcnt vmcnt(12) lgkmcnt(1)
	v_mul_f64 v[152:153], v[3:4], v[158:159]
	v_mul_f64 v[158:159], v[1:2], v[158:159]
	v_add_f64 v[140:141], v[140:141], v[154:155]
	v_add_f64 v[142:143], v[142:143], v[150:151]
	s_waitcnt vmcnt(10) lgkmcnt(0)
	v_mul_f64 v[146:147], v[138:139], v[160:161]
	v_mul_f64 v[148:149], v[136:137], v[160:161]
	s_waitcnt vmcnt(8)
	v_fma_f64 v[150:151], v[1:2], v[164:165], -v[152:153]
	v_fma_f64 v[152:153], v[3:4], v[164:165], v[158:159]
	v_add_f64 v[133:134], v[140:141], v[133:134]
	v_add_f64 v[144:145], v[142:143], v[144:145]
	ds_read_b128 v[1:4], v182 offset:96
	ds_read_b128 v[140:143], v182 offset:112
	v_fma_f64 v[136:137], v[136:137], v[162:163], -v[146:147]
	v_fma_f64 v[138:139], v[138:139], v[162:163], v[148:149]
	s_waitcnt vmcnt(4) lgkmcnt(1)
	v_mul_f64 v[154:155], v[3:4], v[166:167]
	v_mul_f64 v[156:157], v[1:2], v[166:167]
	v_add_f64 v[133:134], v[133:134], v[150:151]
	v_add_f64 v[144:145], v[144:145], v[152:153]
	s_waitcnt vmcnt(2) lgkmcnt(0)
	v_mul_f64 v[146:147], v[142:143], v[168:169]
	v_mul_f64 v[148:149], v[140:141], v[168:169]
	s_waitcnt vmcnt(0)
	v_fma_f64 v[1:2], v[1:2], v[172:173], -v[154:155]
	v_fma_f64 v[3:4], v[3:4], v[172:173], v[156:157]
	v_add_f64 v[133:134], v[133:134], v[136:137]
	v_add_f64 v[136:137], v[144:145], v[138:139]
	v_fma_f64 v[138:139], v[140:141], v[170:171], -v[146:147]
	v_fma_f64 v[140:141], v[142:143], v[170:171], v[148:149]
	v_add_f64 v[1:2], v[133:134], v[1:2]
	v_add_f64 v[3:4], v[136:137], v[3:4]
	v_mov_b32_e32 v133, s74
	s_mov_b32 s74, s75
	v_add_f64 v[1:2], v[1:2], v[138:139]
	v_add_f64 v[3:4], v[3:4], v[140:141]
	s_andn2_b32 exec_lo, exec_lo, s71
	s_cbranch_execnz .LBB61_543
; %bb.544:
	s_or_b32 exec_lo, exec_lo, s71
.LBB61_545:
	s_or_b32 exec_lo, exec_lo, s4
	v_and_b32_e32 v131, 7, v131
	s_mov_b32 s71, 0
	s_mov_b32 s4, exec_lo
	v_cmpx_ne_u32_e32 0, v131
	s_cbranch_execz .LBB61_549
; %bb.546:
	v_lshlrev_b32_e32 v133, 4, v133
	v_add_nc_u32_e32 v132, 0x3e0, v133
	.p2align	6
.LBB61_547:                             ; =>This Inner Loop Header: Depth=1
	s_clause 0x3
	buffer_load_dword v140, v133, s[0:3], 0 offen offset:8
	buffer_load_dword v141, v133, s[0:3], 0 offen offset:12
	buffer_load_dword v142, v133, s[0:3], 0 offen
	buffer_load_dword v143, v133, s[0:3], 0 offen offset:4
	ds_read_b128 v[136:139], v132
	v_add_nc_u32_e32 v131, -1, v131
	v_add_nc_u32_e32 v132, 16, v132
	v_add_nc_u32_e32 v133, 16, v133
	v_cmp_eq_u32_e32 vcc_lo, 0, v131
	s_or_b32 s71, vcc_lo, s71
	s_waitcnt vmcnt(2) lgkmcnt(0)
	v_mul_f64 v[144:145], v[138:139], v[140:141]
	v_mul_f64 v[140:141], v[136:137], v[140:141]
	s_waitcnt vmcnt(0)
	v_fma_f64 v[136:137], v[136:137], v[142:143], -v[144:145]
	v_fma_f64 v[138:139], v[138:139], v[142:143], v[140:141]
	v_add_f64 v[1:2], v[1:2], v[136:137]
	v_add_f64 v[3:4], v[3:4], v[138:139]
	s_andn2_b32 exec_lo, exec_lo, s71
	s_cbranch_execnz .LBB61_547
; %bb.548:
	s_or_b32 exec_lo, exec_lo, s71
.LBB61_549:
	s_or_b32 exec_lo, exec_lo, s4
.LBB61_550:
	s_or_b32 exec_lo, exec_lo, s8
	v_mov_b32_e32 v131, 0
	ds_read_b128 v[131:134], v131 offset:336
	s_waitcnt lgkmcnt(0)
	v_mul_f64 v[136:137], v[3:4], v[133:134]
	v_mul_f64 v[133:134], v[1:2], v[133:134]
	v_fma_f64 v[1:2], v[1:2], v[131:132], -v[136:137]
	v_fma_f64 v[3:4], v[3:4], v[131:132], v[133:134]
	buffer_store_dword v2, off, s[0:3], 0 offset:340
	buffer_store_dword v1, off, s[0:3], 0 offset:336
	;; [unrolled: 1-line block ×4, first 2 shown]
.LBB61_551:
	s_or_b32 exec_lo, exec_lo, s6
	v_mov_b32_e32 v4, s51
	v_cmp_lt_u32_e64 s4, 20, v0
	s_clause 0x3
	buffer_load_dword v1, v4, s[0:3], 0 offen
	buffer_load_dword v2, v4, s[0:3], 0 offen offset:4
	buffer_load_dword v3, v4, s[0:3], 0 offen offset:8
	;; [unrolled: 1-line block ×3, first 2 shown]
	s_waitcnt vmcnt(0)
	ds_write_b128 v130, v[1:4]
	s_waitcnt lgkmcnt(0)
	s_waitcnt_vscnt null, 0x0
	s_barrier
	buffer_gl0_inv
	s_and_saveexec_b32 s6, s4
	s_cbranch_execz .LBB61_565
; %bb.552:
	ds_read_b128 v[1:4], v130
	s_andn2_b32 vcc_lo, exec_lo, s7
	s_cbranch_vccnz .LBB61_554
; %bb.553:
	s_clause 0x3
	buffer_load_dword v131, v129, s[0:3], 0 offen offset:8
	buffer_load_dword v132, v129, s[0:3], 0 offen offset:12
	buffer_load_dword v133, v129, s[0:3], 0 offen
	buffer_load_dword v134, v129, s[0:3], 0 offen offset:4
	s_waitcnt vmcnt(2) lgkmcnt(0)
	v_mul_f64 v[136:137], v[3:4], v[131:132]
	v_mul_f64 v[131:132], v[1:2], v[131:132]
	s_waitcnt vmcnt(0)
	v_fma_f64 v[1:2], v[1:2], v[133:134], -v[136:137]
	v_fma_f64 v[3:4], v[3:4], v[133:134], v[131:132]
.LBB61_554:
	s_and_saveexec_b32 s8, s5
	s_cbranch_execz .LBB61_564
; %bb.555:
	v_subrev_nc_u32_e32 v132, 22, v0
	v_mov_b32_e32 v133, 21
	v_subrev_nc_u32_e32 v131, 21, v0
	s_mov_b32 s5, exec_lo
	v_cmpx_lt_u32_e32 6, v132
	s_cbranch_execz .LBB61_559
; %bb.556:
	v_and_b32_e32 v132, -8, v131
	s_movk_i32 s72, 0x530
	s_mov_b32 s71, 0
	s_mov_b32 s73, s50
	;; [unrolled: 1-line block ×3, first 2 shown]
.LBB61_557:                             ; =>This Inner Loop Header: Depth=1
	v_mov_b32_e32 v136, s73
	v_mov_b32_e32 v182, s72
	s_add_i32 s75, s74, 8
	s_add_i32 s74, s74, 29
	v_cmp_eq_u32_e32 vcc_lo, s75, v132
	s_clause 0x1f
	buffer_load_dword v133, v136, s[0:3], 0 offen offset:8
	buffer_load_dword v134, v136, s[0:3], 0 offen offset:12
	buffer_load_dword v144, v136, s[0:3], 0 offen
	buffer_load_dword v145, v136, s[0:3], 0 offen offset:4
	buffer_load_dword v146, v136, s[0:3], 0 offen offset:24
	;; [unrolled: 1-line block ×29, first 2 shown]
	ds_read_b128 v[136:139], v182
	ds_read_b128 v[140:143], v182 offset:16
	s_addk_i32 s72, 0x80
	s_addk_i32 s73, 0x80
	s_or_b32 s71, vcc_lo, s71
	s_waitcnt vmcnt(30) lgkmcnt(1)
	v_mul_f64 v[174:175], v[138:139], v[133:134]
	v_mul_f64 v[133:134], v[136:137], v[133:134]
	s_waitcnt vmcnt(26) lgkmcnt(0)
	v_mul_f64 v[176:177], v[142:143], v[146:147]
	v_mul_f64 v[178:179], v[140:141], v[146:147]
	v_fma_f64 v[174:175], v[136:137], v[144:145], -v[174:175]
	v_fma_f64 v[133:134], v[138:139], v[144:145], v[133:134]
	ds_read_b128 v[136:139], v182 offset:32
	ds_read_b128 v[144:147], v182 offset:48
	s_waitcnt vmcnt(24)
	v_fma_f64 v[140:141], v[140:141], v[148:149], -v[176:177]
	v_fma_f64 v[142:143], v[142:143], v[148:149], v[178:179]
	s_waitcnt vmcnt(22) lgkmcnt(1)
	v_mul_f64 v[180:181], v[138:139], v[150:151]
	v_mul_f64 v[150:151], v[136:137], v[150:151]
	v_add_f64 v[1:2], v[1:2], v[174:175]
	v_add_f64 v[3:4], v[3:4], v[133:134]
	s_waitcnt vmcnt(18) lgkmcnt(0)
	v_mul_f64 v[133:134], v[146:147], v[154:155]
	v_mul_f64 v[148:149], v[144:145], v[154:155]
	v_fma_f64 v[154:155], v[136:137], v[152:153], -v[180:181]
	v_fma_f64 v[150:151], v[138:139], v[152:153], v[150:151]
	v_add_f64 v[140:141], v[1:2], v[140:141]
	v_add_f64 v[142:143], v[3:4], v[142:143]
	ds_read_b128 v[1:4], v182 offset:64
	ds_read_b128 v[136:139], v182 offset:80
	s_waitcnt vmcnt(16)
	v_fma_f64 v[133:134], v[144:145], v[156:157], -v[133:134]
	v_fma_f64 v[144:145], v[146:147], v[156:157], v[148:149]
	s_waitcnt vmcnt(12) lgkmcnt(1)
	v_mul_f64 v[152:153], v[3:4], v[158:159]
	v_mul_f64 v[158:159], v[1:2], v[158:159]
	v_add_f64 v[140:141], v[140:141], v[154:155]
	v_add_f64 v[142:143], v[142:143], v[150:151]
	s_waitcnt vmcnt(10) lgkmcnt(0)
	v_mul_f64 v[146:147], v[138:139], v[160:161]
	v_mul_f64 v[148:149], v[136:137], v[160:161]
	s_waitcnt vmcnt(8)
	v_fma_f64 v[150:151], v[1:2], v[164:165], -v[152:153]
	v_fma_f64 v[152:153], v[3:4], v[164:165], v[158:159]
	v_add_f64 v[133:134], v[140:141], v[133:134]
	v_add_f64 v[144:145], v[142:143], v[144:145]
	ds_read_b128 v[1:4], v182 offset:96
	ds_read_b128 v[140:143], v182 offset:112
	v_fma_f64 v[136:137], v[136:137], v[162:163], -v[146:147]
	v_fma_f64 v[138:139], v[138:139], v[162:163], v[148:149]
	s_waitcnt vmcnt(4) lgkmcnt(1)
	v_mul_f64 v[154:155], v[3:4], v[166:167]
	v_mul_f64 v[156:157], v[1:2], v[166:167]
	v_add_f64 v[133:134], v[133:134], v[150:151]
	v_add_f64 v[144:145], v[144:145], v[152:153]
	s_waitcnt vmcnt(2) lgkmcnt(0)
	v_mul_f64 v[146:147], v[142:143], v[168:169]
	v_mul_f64 v[148:149], v[140:141], v[168:169]
	s_waitcnt vmcnt(0)
	v_fma_f64 v[1:2], v[1:2], v[172:173], -v[154:155]
	v_fma_f64 v[3:4], v[3:4], v[172:173], v[156:157]
	v_add_f64 v[133:134], v[133:134], v[136:137]
	v_add_f64 v[136:137], v[144:145], v[138:139]
	v_fma_f64 v[138:139], v[140:141], v[170:171], -v[146:147]
	v_fma_f64 v[140:141], v[142:143], v[170:171], v[148:149]
	v_add_f64 v[1:2], v[133:134], v[1:2]
	v_add_f64 v[3:4], v[136:137], v[3:4]
	v_mov_b32_e32 v133, s74
	s_mov_b32 s74, s75
	v_add_f64 v[1:2], v[1:2], v[138:139]
	v_add_f64 v[3:4], v[3:4], v[140:141]
	s_andn2_b32 exec_lo, exec_lo, s71
	s_cbranch_execnz .LBB61_557
; %bb.558:
	s_or_b32 exec_lo, exec_lo, s71
.LBB61_559:
	s_or_b32 exec_lo, exec_lo, s5
	v_and_b32_e32 v131, 7, v131
	s_mov_b32 s71, 0
	s_mov_b32 s5, exec_lo
	v_cmpx_ne_u32_e32 0, v131
	s_cbranch_execz .LBB61_563
; %bb.560:
	v_lshlrev_b32_e32 v133, 4, v133
	v_add_nc_u32_e32 v132, 0x3e0, v133
	.p2align	6
.LBB61_561:                             ; =>This Inner Loop Header: Depth=1
	s_clause 0x3
	buffer_load_dword v140, v133, s[0:3], 0 offen offset:8
	buffer_load_dword v141, v133, s[0:3], 0 offen offset:12
	buffer_load_dword v142, v133, s[0:3], 0 offen
	buffer_load_dword v143, v133, s[0:3], 0 offen offset:4
	ds_read_b128 v[136:139], v132
	v_add_nc_u32_e32 v131, -1, v131
	v_add_nc_u32_e32 v132, 16, v132
	v_add_nc_u32_e32 v133, 16, v133
	v_cmp_eq_u32_e32 vcc_lo, 0, v131
	s_or_b32 s71, vcc_lo, s71
	s_waitcnt vmcnt(2) lgkmcnt(0)
	v_mul_f64 v[144:145], v[138:139], v[140:141]
	v_mul_f64 v[140:141], v[136:137], v[140:141]
	s_waitcnt vmcnt(0)
	v_fma_f64 v[136:137], v[136:137], v[142:143], -v[144:145]
	v_fma_f64 v[138:139], v[138:139], v[142:143], v[140:141]
	v_add_f64 v[1:2], v[1:2], v[136:137]
	v_add_f64 v[3:4], v[3:4], v[138:139]
	s_andn2_b32 exec_lo, exec_lo, s71
	s_cbranch_execnz .LBB61_561
; %bb.562:
	s_or_b32 exec_lo, exec_lo, s71
.LBB61_563:
	s_or_b32 exec_lo, exec_lo, s5
.LBB61_564:
	s_or_b32 exec_lo, exec_lo, s8
	v_mov_b32_e32 v131, 0
	ds_read_b128 v[131:134], v131 offset:320
	s_waitcnt lgkmcnt(0)
	v_mul_f64 v[136:137], v[3:4], v[133:134]
	v_mul_f64 v[133:134], v[1:2], v[133:134]
	v_fma_f64 v[1:2], v[1:2], v[131:132], -v[136:137]
	v_fma_f64 v[3:4], v[3:4], v[131:132], v[133:134]
	buffer_store_dword v2, off, s[0:3], 0 offset:324
	buffer_store_dword v1, off, s[0:3], 0 offset:320
	;; [unrolled: 1-line block ×4, first 2 shown]
.LBB61_565:
	s_or_b32 exec_lo, exec_lo, s6
	v_mov_b32_e32 v4, s52
	v_cmp_lt_u32_e64 s5, 19, v0
	s_clause 0x3
	buffer_load_dword v1, v4, s[0:3], 0 offen
	buffer_load_dword v2, v4, s[0:3], 0 offen offset:4
	buffer_load_dword v3, v4, s[0:3], 0 offen offset:8
	;; [unrolled: 1-line block ×3, first 2 shown]
	s_waitcnt vmcnt(0)
	ds_write_b128 v130, v[1:4]
	s_waitcnt lgkmcnt(0)
	s_waitcnt_vscnt null, 0x0
	s_barrier
	buffer_gl0_inv
	s_and_saveexec_b32 s6, s5
	s_cbranch_execz .LBB61_579
; %bb.566:
	ds_read_b128 v[1:4], v130
	s_andn2_b32 vcc_lo, exec_lo, s7
	s_cbranch_vccnz .LBB61_568
; %bb.567:
	s_clause 0x3
	buffer_load_dword v131, v129, s[0:3], 0 offen offset:8
	buffer_load_dword v132, v129, s[0:3], 0 offen offset:12
	buffer_load_dword v133, v129, s[0:3], 0 offen
	buffer_load_dword v134, v129, s[0:3], 0 offen offset:4
	s_waitcnt vmcnt(2) lgkmcnt(0)
	v_mul_f64 v[136:137], v[3:4], v[131:132]
	v_mul_f64 v[131:132], v[1:2], v[131:132]
	s_waitcnt vmcnt(0)
	v_fma_f64 v[1:2], v[1:2], v[133:134], -v[136:137]
	v_fma_f64 v[3:4], v[3:4], v[133:134], v[131:132]
.LBB61_568:
	s_and_saveexec_b32 s8, s4
	s_cbranch_execz .LBB61_578
; %bb.569:
	v_subrev_nc_u32_e32 v132, 21, v0
	v_mov_b32_e32 v133, 20
	v_subrev_nc_u32_e32 v131, 20, v0
	s_mov_b32 s4, exec_lo
	v_cmpx_lt_u32_e32 6, v132
	s_cbranch_execz .LBB61_573
; %bb.570:
	v_and_b32_e32 v132, -8, v131
	s_movk_i32 s72, 0x520
	s_mov_b32 s71, 0
	s_mov_b32 s73, s51
	;; [unrolled: 1-line block ×3, first 2 shown]
.LBB61_571:                             ; =>This Inner Loop Header: Depth=1
	v_mov_b32_e32 v136, s73
	v_mov_b32_e32 v182, s72
	s_add_i32 s75, s74, 8
	s_add_i32 s74, s74, 28
	v_cmp_eq_u32_e32 vcc_lo, s75, v132
	s_clause 0x1f
	buffer_load_dword v133, v136, s[0:3], 0 offen offset:8
	buffer_load_dword v134, v136, s[0:3], 0 offen offset:12
	buffer_load_dword v144, v136, s[0:3], 0 offen
	buffer_load_dword v145, v136, s[0:3], 0 offen offset:4
	buffer_load_dword v146, v136, s[0:3], 0 offen offset:24
	;; [unrolled: 1-line block ×29, first 2 shown]
	ds_read_b128 v[136:139], v182
	ds_read_b128 v[140:143], v182 offset:16
	s_addk_i32 s72, 0x80
	s_addk_i32 s73, 0x80
	s_or_b32 s71, vcc_lo, s71
	s_waitcnt vmcnt(30) lgkmcnt(1)
	v_mul_f64 v[174:175], v[138:139], v[133:134]
	v_mul_f64 v[133:134], v[136:137], v[133:134]
	s_waitcnt vmcnt(26) lgkmcnt(0)
	v_mul_f64 v[176:177], v[142:143], v[146:147]
	v_mul_f64 v[178:179], v[140:141], v[146:147]
	v_fma_f64 v[174:175], v[136:137], v[144:145], -v[174:175]
	v_fma_f64 v[133:134], v[138:139], v[144:145], v[133:134]
	ds_read_b128 v[136:139], v182 offset:32
	ds_read_b128 v[144:147], v182 offset:48
	s_waitcnt vmcnt(24)
	v_fma_f64 v[140:141], v[140:141], v[148:149], -v[176:177]
	v_fma_f64 v[142:143], v[142:143], v[148:149], v[178:179]
	s_waitcnt vmcnt(22) lgkmcnt(1)
	v_mul_f64 v[180:181], v[138:139], v[150:151]
	v_mul_f64 v[150:151], v[136:137], v[150:151]
	v_add_f64 v[1:2], v[1:2], v[174:175]
	v_add_f64 v[3:4], v[3:4], v[133:134]
	s_waitcnt vmcnt(18) lgkmcnt(0)
	v_mul_f64 v[133:134], v[146:147], v[154:155]
	v_mul_f64 v[148:149], v[144:145], v[154:155]
	v_fma_f64 v[154:155], v[136:137], v[152:153], -v[180:181]
	v_fma_f64 v[150:151], v[138:139], v[152:153], v[150:151]
	v_add_f64 v[140:141], v[1:2], v[140:141]
	v_add_f64 v[142:143], v[3:4], v[142:143]
	ds_read_b128 v[1:4], v182 offset:64
	ds_read_b128 v[136:139], v182 offset:80
	s_waitcnt vmcnt(16)
	v_fma_f64 v[133:134], v[144:145], v[156:157], -v[133:134]
	v_fma_f64 v[144:145], v[146:147], v[156:157], v[148:149]
	s_waitcnt vmcnt(12) lgkmcnt(1)
	v_mul_f64 v[152:153], v[3:4], v[158:159]
	v_mul_f64 v[158:159], v[1:2], v[158:159]
	v_add_f64 v[140:141], v[140:141], v[154:155]
	v_add_f64 v[142:143], v[142:143], v[150:151]
	s_waitcnt vmcnt(10) lgkmcnt(0)
	v_mul_f64 v[146:147], v[138:139], v[160:161]
	v_mul_f64 v[148:149], v[136:137], v[160:161]
	s_waitcnt vmcnt(8)
	v_fma_f64 v[150:151], v[1:2], v[164:165], -v[152:153]
	v_fma_f64 v[152:153], v[3:4], v[164:165], v[158:159]
	v_add_f64 v[133:134], v[140:141], v[133:134]
	v_add_f64 v[144:145], v[142:143], v[144:145]
	ds_read_b128 v[1:4], v182 offset:96
	ds_read_b128 v[140:143], v182 offset:112
	v_fma_f64 v[136:137], v[136:137], v[162:163], -v[146:147]
	v_fma_f64 v[138:139], v[138:139], v[162:163], v[148:149]
	s_waitcnt vmcnt(4) lgkmcnt(1)
	v_mul_f64 v[154:155], v[3:4], v[166:167]
	v_mul_f64 v[156:157], v[1:2], v[166:167]
	v_add_f64 v[133:134], v[133:134], v[150:151]
	v_add_f64 v[144:145], v[144:145], v[152:153]
	s_waitcnt vmcnt(2) lgkmcnt(0)
	v_mul_f64 v[146:147], v[142:143], v[168:169]
	v_mul_f64 v[148:149], v[140:141], v[168:169]
	s_waitcnt vmcnt(0)
	v_fma_f64 v[1:2], v[1:2], v[172:173], -v[154:155]
	v_fma_f64 v[3:4], v[3:4], v[172:173], v[156:157]
	v_add_f64 v[133:134], v[133:134], v[136:137]
	v_add_f64 v[136:137], v[144:145], v[138:139]
	v_fma_f64 v[138:139], v[140:141], v[170:171], -v[146:147]
	v_fma_f64 v[140:141], v[142:143], v[170:171], v[148:149]
	v_add_f64 v[1:2], v[133:134], v[1:2]
	v_add_f64 v[3:4], v[136:137], v[3:4]
	v_mov_b32_e32 v133, s74
	s_mov_b32 s74, s75
	v_add_f64 v[1:2], v[1:2], v[138:139]
	v_add_f64 v[3:4], v[3:4], v[140:141]
	s_andn2_b32 exec_lo, exec_lo, s71
	s_cbranch_execnz .LBB61_571
; %bb.572:
	s_or_b32 exec_lo, exec_lo, s71
.LBB61_573:
	s_or_b32 exec_lo, exec_lo, s4
	v_and_b32_e32 v131, 7, v131
	s_mov_b32 s71, 0
	s_mov_b32 s4, exec_lo
	v_cmpx_ne_u32_e32 0, v131
	s_cbranch_execz .LBB61_577
; %bb.574:
	v_lshlrev_b32_e32 v133, 4, v133
	v_add_nc_u32_e32 v132, 0x3e0, v133
	.p2align	6
.LBB61_575:                             ; =>This Inner Loop Header: Depth=1
	s_clause 0x3
	buffer_load_dword v140, v133, s[0:3], 0 offen offset:8
	buffer_load_dword v141, v133, s[0:3], 0 offen offset:12
	buffer_load_dword v142, v133, s[0:3], 0 offen
	buffer_load_dword v143, v133, s[0:3], 0 offen offset:4
	ds_read_b128 v[136:139], v132
	v_add_nc_u32_e32 v131, -1, v131
	v_add_nc_u32_e32 v132, 16, v132
	v_add_nc_u32_e32 v133, 16, v133
	v_cmp_eq_u32_e32 vcc_lo, 0, v131
	s_or_b32 s71, vcc_lo, s71
	s_waitcnt vmcnt(2) lgkmcnt(0)
	v_mul_f64 v[144:145], v[138:139], v[140:141]
	v_mul_f64 v[140:141], v[136:137], v[140:141]
	s_waitcnt vmcnt(0)
	v_fma_f64 v[136:137], v[136:137], v[142:143], -v[144:145]
	v_fma_f64 v[138:139], v[138:139], v[142:143], v[140:141]
	v_add_f64 v[1:2], v[1:2], v[136:137]
	v_add_f64 v[3:4], v[3:4], v[138:139]
	s_andn2_b32 exec_lo, exec_lo, s71
	s_cbranch_execnz .LBB61_575
; %bb.576:
	s_or_b32 exec_lo, exec_lo, s71
.LBB61_577:
	s_or_b32 exec_lo, exec_lo, s4
.LBB61_578:
	s_or_b32 exec_lo, exec_lo, s8
	v_mov_b32_e32 v131, 0
	ds_read_b128 v[131:134], v131 offset:304
	s_waitcnt lgkmcnt(0)
	v_mul_f64 v[136:137], v[3:4], v[133:134]
	v_mul_f64 v[133:134], v[1:2], v[133:134]
	v_fma_f64 v[1:2], v[1:2], v[131:132], -v[136:137]
	v_fma_f64 v[3:4], v[3:4], v[131:132], v[133:134]
	buffer_store_dword v2, off, s[0:3], 0 offset:308
	buffer_store_dword v1, off, s[0:3], 0 offset:304
	;; [unrolled: 1-line block ×4, first 2 shown]
.LBB61_579:
	s_or_b32 exec_lo, exec_lo, s6
	v_mov_b32_e32 v4, s53
	v_cmp_lt_u32_e64 s4, 18, v0
	s_clause 0x3
	buffer_load_dword v1, v4, s[0:3], 0 offen
	buffer_load_dword v2, v4, s[0:3], 0 offen offset:4
	buffer_load_dword v3, v4, s[0:3], 0 offen offset:8
	;; [unrolled: 1-line block ×3, first 2 shown]
	s_waitcnt vmcnt(0)
	ds_write_b128 v130, v[1:4]
	s_waitcnt lgkmcnt(0)
	s_waitcnt_vscnt null, 0x0
	s_barrier
	buffer_gl0_inv
	s_and_saveexec_b32 s6, s4
	s_cbranch_execz .LBB61_593
; %bb.580:
	ds_read_b128 v[1:4], v130
	s_andn2_b32 vcc_lo, exec_lo, s7
	s_cbranch_vccnz .LBB61_582
; %bb.581:
	s_clause 0x3
	buffer_load_dword v131, v129, s[0:3], 0 offen offset:8
	buffer_load_dword v132, v129, s[0:3], 0 offen offset:12
	buffer_load_dword v133, v129, s[0:3], 0 offen
	buffer_load_dword v134, v129, s[0:3], 0 offen offset:4
	s_waitcnt vmcnt(2) lgkmcnt(0)
	v_mul_f64 v[136:137], v[3:4], v[131:132]
	v_mul_f64 v[131:132], v[1:2], v[131:132]
	s_waitcnt vmcnt(0)
	v_fma_f64 v[1:2], v[1:2], v[133:134], -v[136:137]
	v_fma_f64 v[3:4], v[3:4], v[133:134], v[131:132]
.LBB61_582:
	s_and_saveexec_b32 s8, s5
	s_cbranch_execz .LBB61_592
; %bb.583:
	v_subrev_nc_u32_e32 v132, 20, v0
	v_mov_b32_e32 v133, 19
	v_subrev_nc_u32_e32 v131, 19, v0
	s_mov_b32 s5, exec_lo
	v_cmpx_lt_u32_e32 6, v132
	s_cbranch_execz .LBB61_587
; %bb.584:
	v_and_b32_e32 v132, -8, v131
	s_movk_i32 s72, 0x510
	s_mov_b32 s71, 0
	s_mov_b32 s73, s52
	;; [unrolled: 1-line block ×3, first 2 shown]
.LBB61_585:                             ; =>This Inner Loop Header: Depth=1
	v_mov_b32_e32 v136, s73
	v_mov_b32_e32 v182, s72
	s_add_i32 s75, s74, 8
	s_add_i32 s74, s74, 27
	v_cmp_eq_u32_e32 vcc_lo, s75, v132
	s_clause 0x1f
	buffer_load_dword v133, v136, s[0:3], 0 offen offset:8
	buffer_load_dword v134, v136, s[0:3], 0 offen offset:12
	buffer_load_dword v144, v136, s[0:3], 0 offen
	buffer_load_dword v145, v136, s[0:3], 0 offen offset:4
	buffer_load_dword v146, v136, s[0:3], 0 offen offset:24
	;; [unrolled: 1-line block ×29, first 2 shown]
	ds_read_b128 v[136:139], v182
	ds_read_b128 v[140:143], v182 offset:16
	s_addk_i32 s72, 0x80
	s_addk_i32 s73, 0x80
	s_or_b32 s71, vcc_lo, s71
	s_waitcnt vmcnt(30) lgkmcnt(1)
	v_mul_f64 v[174:175], v[138:139], v[133:134]
	v_mul_f64 v[133:134], v[136:137], v[133:134]
	s_waitcnt vmcnt(26) lgkmcnt(0)
	v_mul_f64 v[176:177], v[142:143], v[146:147]
	v_mul_f64 v[178:179], v[140:141], v[146:147]
	v_fma_f64 v[174:175], v[136:137], v[144:145], -v[174:175]
	v_fma_f64 v[133:134], v[138:139], v[144:145], v[133:134]
	ds_read_b128 v[136:139], v182 offset:32
	ds_read_b128 v[144:147], v182 offset:48
	s_waitcnt vmcnt(24)
	v_fma_f64 v[140:141], v[140:141], v[148:149], -v[176:177]
	v_fma_f64 v[142:143], v[142:143], v[148:149], v[178:179]
	s_waitcnt vmcnt(22) lgkmcnt(1)
	v_mul_f64 v[180:181], v[138:139], v[150:151]
	v_mul_f64 v[150:151], v[136:137], v[150:151]
	v_add_f64 v[1:2], v[1:2], v[174:175]
	v_add_f64 v[3:4], v[3:4], v[133:134]
	s_waitcnt vmcnt(18) lgkmcnt(0)
	v_mul_f64 v[133:134], v[146:147], v[154:155]
	v_mul_f64 v[148:149], v[144:145], v[154:155]
	v_fma_f64 v[154:155], v[136:137], v[152:153], -v[180:181]
	v_fma_f64 v[150:151], v[138:139], v[152:153], v[150:151]
	v_add_f64 v[140:141], v[1:2], v[140:141]
	v_add_f64 v[142:143], v[3:4], v[142:143]
	ds_read_b128 v[1:4], v182 offset:64
	ds_read_b128 v[136:139], v182 offset:80
	s_waitcnt vmcnt(16)
	v_fma_f64 v[133:134], v[144:145], v[156:157], -v[133:134]
	v_fma_f64 v[144:145], v[146:147], v[156:157], v[148:149]
	s_waitcnt vmcnt(12) lgkmcnt(1)
	v_mul_f64 v[152:153], v[3:4], v[158:159]
	v_mul_f64 v[158:159], v[1:2], v[158:159]
	v_add_f64 v[140:141], v[140:141], v[154:155]
	v_add_f64 v[142:143], v[142:143], v[150:151]
	s_waitcnt vmcnt(10) lgkmcnt(0)
	v_mul_f64 v[146:147], v[138:139], v[160:161]
	v_mul_f64 v[148:149], v[136:137], v[160:161]
	s_waitcnt vmcnt(8)
	v_fma_f64 v[150:151], v[1:2], v[164:165], -v[152:153]
	v_fma_f64 v[152:153], v[3:4], v[164:165], v[158:159]
	v_add_f64 v[133:134], v[140:141], v[133:134]
	v_add_f64 v[144:145], v[142:143], v[144:145]
	ds_read_b128 v[1:4], v182 offset:96
	ds_read_b128 v[140:143], v182 offset:112
	v_fma_f64 v[136:137], v[136:137], v[162:163], -v[146:147]
	v_fma_f64 v[138:139], v[138:139], v[162:163], v[148:149]
	s_waitcnt vmcnt(4) lgkmcnt(1)
	v_mul_f64 v[154:155], v[3:4], v[166:167]
	v_mul_f64 v[156:157], v[1:2], v[166:167]
	v_add_f64 v[133:134], v[133:134], v[150:151]
	v_add_f64 v[144:145], v[144:145], v[152:153]
	s_waitcnt vmcnt(2) lgkmcnt(0)
	v_mul_f64 v[146:147], v[142:143], v[168:169]
	v_mul_f64 v[148:149], v[140:141], v[168:169]
	s_waitcnt vmcnt(0)
	v_fma_f64 v[1:2], v[1:2], v[172:173], -v[154:155]
	v_fma_f64 v[3:4], v[3:4], v[172:173], v[156:157]
	v_add_f64 v[133:134], v[133:134], v[136:137]
	v_add_f64 v[136:137], v[144:145], v[138:139]
	v_fma_f64 v[138:139], v[140:141], v[170:171], -v[146:147]
	v_fma_f64 v[140:141], v[142:143], v[170:171], v[148:149]
	v_add_f64 v[1:2], v[133:134], v[1:2]
	v_add_f64 v[3:4], v[136:137], v[3:4]
	v_mov_b32_e32 v133, s74
	s_mov_b32 s74, s75
	v_add_f64 v[1:2], v[1:2], v[138:139]
	v_add_f64 v[3:4], v[3:4], v[140:141]
	s_andn2_b32 exec_lo, exec_lo, s71
	s_cbranch_execnz .LBB61_585
; %bb.586:
	s_or_b32 exec_lo, exec_lo, s71
.LBB61_587:
	s_or_b32 exec_lo, exec_lo, s5
	v_and_b32_e32 v131, 7, v131
	s_mov_b32 s71, 0
	s_mov_b32 s5, exec_lo
	v_cmpx_ne_u32_e32 0, v131
	s_cbranch_execz .LBB61_591
; %bb.588:
	v_lshlrev_b32_e32 v133, 4, v133
	v_add_nc_u32_e32 v132, 0x3e0, v133
	.p2align	6
.LBB61_589:                             ; =>This Inner Loop Header: Depth=1
	s_clause 0x3
	buffer_load_dword v140, v133, s[0:3], 0 offen offset:8
	buffer_load_dword v141, v133, s[0:3], 0 offen offset:12
	buffer_load_dword v142, v133, s[0:3], 0 offen
	buffer_load_dword v143, v133, s[0:3], 0 offen offset:4
	ds_read_b128 v[136:139], v132
	v_add_nc_u32_e32 v131, -1, v131
	v_add_nc_u32_e32 v132, 16, v132
	v_add_nc_u32_e32 v133, 16, v133
	v_cmp_eq_u32_e32 vcc_lo, 0, v131
	s_or_b32 s71, vcc_lo, s71
	s_waitcnt vmcnt(2) lgkmcnt(0)
	v_mul_f64 v[144:145], v[138:139], v[140:141]
	v_mul_f64 v[140:141], v[136:137], v[140:141]
	s_waitcnt vmcnt(0)
	v_fma_f64 v[136:137], v[136:137], v[142:143], -v[144:145]
	v_fma_f64 v[138:139], v[138:139], v[142:143], v[140:141]
	v_add_f64 v[1:2], v[1:2], v[136:137]
	v_add_f64 v[3:4], v[3:4], v[138:139]
	s_andn2_b32 exec_lo, exec_lo, s71
	s_cbranch_execnz .LBB61_589
; %bb.590:
	s_or_b32 exec_lo, exec_lo, s71
.LBB61_591:
	s_or_b32 exec_lo, exec_lo, s5
.LBB61_592:
	s_or_b32 exec_lo, exec_lo, s8
	v_mov_b32_e32 v131, 0
	ds_read_b128 v[131:134], v131 offset:288
	s_waitcnt lgkmcnt(0)
	v_mul_f64 v[136:137], v[3:4], v[133:134]
	v_mul_f64 v[133:134], v[1:2], v[133:134]
	v_fma_f64 v[1:2], v[1:2], v[131:132], -v[136:137]
	v_fma_f64 v[3:4], v[3:4], v[131:132], v[133:134]
	buffer_store_dword v2, off, s[0:3], 0 offset:292
	buffer_store_dword v1, off, s[0:3], 0 offset:288
	;; [unrolled: 1-line block ×4, first 2 shown]
.LBB61_593:
	s_or_b32 exec_lo, exec_lo, s6
	v_mov_b32_e32 v4, s54
	v_cmp_lt_u32_e64 s5, 17, v0
	s_clause 0x3
	buffer_load_dword v1, v4, s[0:3], 0 offen
	buffer_load_dword v2, v4, s[0:3], 0 offen offset:4
	buffer_load_dword v3, v4, s[0:3], 0 offen offset:8
	;; [unrolled: 1-line block ×3, first 2 shown]
	s_waitcnt vmcnt(0)
	ds_write_b128 v130, v[1:4]
	s_waitcnt lgkmcnt(0)
	s_waitcnt_vscnt null, 0x0
	s_barrier
	buffer_gl0_inv
	s_and_saveexec_b32 s6, s5
	s_cbranch_execz .LBB61_607
; %bb.594:
	ds_read_b128 v[1:4], v130
	s_andn2_b32 vcc_lo, exec_lo, s7
	s_cbranch_vccnz .LBB61_596
; %bb.595:
	s_clause 0x3
	buffer_load_dword v131, v129, s[0:3], 0 offen offset:8
	buffer_load_dword v132, v129, s[0:3], 0 offen offset:12
	buffer_load_dword v133, v129, s[0:3], 0 offen
	buffer_load_dword v134, v129, s[0:3], 0 offen offset:4
	s_waitcnt vmcnt(2) lgkmcnt(0)
	v_mul_f64 v[136:137], v[3:4], v[131:132]
	v_mul_f64 v[131:132], v[1:2], v[131:132]
	s_waitcnt vmcnt(0)
	v_fma_f64 v[1:2], v[1:2], v[133:134], -v[136:137]
	v_fma_f64 v[3:4], v[3:4], v[133:134], v[131:132]
.LBB61_596:
	s_and_saveexec_b32 s8, s4
	s_cbranch_execz .LBB61_606
; %bb.597:
	v_subrev_nc_u32_e32 v132, 19, v0
	v_mov_b32_e32 v133, 18
	v_subrev_nc_u32_e32 v131, 18, v0
	s_mov_b32 s4, exec_lo
	v_cmpx_lt_u32_e32 6, v132
	s_cbranch_execz .LBB61_601
; %bb.598:
	v_and_b32_e32 v132, -8, v131
	s_movk_i32 s72, 0x500
	s_mov_b32 s71, 0
	s_mov_b32 s73, s53
	;; [unrolled: 1-line block ×3, first 2 shown]
.LBB61_599:                             ; =>This Inner Loop Header: Depth=1
	v_mov_b32_e32 v136, s73
	v_mov_b32_e32 v182, s72
	s_add_i32 s75, s74, 8
	s_add_i32 s74, s74, 26
	v_cmp_eq_u32_e32 vcc_lo, s75, v132
	s_clause 0x1f
	buffer_load_dword v133, v136, s[0:3], 0 offen offset:8
	buffer_load_dword v134, v136, s[0:3], 0 offen offset:12
	buffer_load_dword v144, v136, s[0:3], 0 offen
	buffer_load_dword v145, v136, s[0:3], 0 offen offset:4
	buffer_load_dword v146, v136, s[0:3], 0 offen offset:24
	;; [unrolled: 1-line block ×29, first 2 shown]
	ds_read_b128 v[136:139], v182
	ds_read_b128 v[140:143], v182 offset:16
	s_addk_i32 s72, 0x80
	s_addk_i32 s73, 0x80
	s_or_b32 s71, vcc_lo, s71
	s_waitcnt vmcnt(30) lgkmcnt(1)
	v_mul_f64 v[174:175], v[138:139], v[133:134]
	v_mul_f64 v[133:134], v[136:137], v[133:134]
	s_waitcnt vmcnt(26) lgkmcnt(0)
	v_mul_f64 v[176:177], v[142:143], v[146:147]
	v_mul_f64 v[178:179], v[140:141], v[146:147]
	v_fma_f64 v[174:175], v[136:137], v[144:145], -v[174:175]
	v_fma_f64 v[133:134], v[138:139], v[144:145], v[133:134]
	ds_read_b128 v[136:139], v182 offset:32
	ds_read_b128 v[144:147], v182 offset:48
	s_waitcnt vmcnt(24)
	v_fma_f64 v[140:141], v[140:141], v[148:149], -v[176:177]
	v_fma_f64 v[142:143], v[142:143], v[148:149], v[178:179]
	s_waitcnt vmcnt(22) lgkmcnt(1)
	v_mul_f64 v[180:181], v[138:139], v[150:151]
	v_mul_f64 v[150:151], v[136:137], v[150:151]
	v_add_f64 v[1:2], v[1:2], v[174:175]
	v_add_f64 v[3:4], v[3:4], v[133:134]
	s_waitcnt vmcnt(18) lgkmcnt(0)
	v_mul_f64 v[133:134], v[146:147], v[154:155]
	v_mul_f64 v[148:149], v[144:145], v[154:155]
	v_fma_f64 v[154:155], v[136:137], v[152:153], -v[180:181]
	v_fma_f64 v[150:151], v[138:139], v[152:153], v[150:151]
	v_add_f64 v[140:141], v[1:2], v[140:141]
	v_add_f64 v[142:143], v[3:4], v[142:143]
	ds_read_b128 v[1:4], v182 offset:64
	ds_read_b128 v[136:139], v182 offset:80
	s_waitcnt vmcnt(16)
	v_fma_f64 v[133:134], v[144:145], v[156:157], -v[133:134]
	v_fma_f64 v[144:145], v[146:147], v[156:157], v[148:149]
	s_waitcnt vmcnt(12) lgkmcnt(1)
	v_mul_f64 v[152:153], v[3:4], v[158:159]
	v_mul_f64 v[158:159], v[1:2], v[158:159]
	v_add_f64 v[140:141], v[140:141], v[154:155]
	v_add_f64 v[142:143], v[142:143], v[150:151]
	s_waitcnt vmcnt(10) lgkmcnt(0)
	v_mul_f64 v[146:147], v[138:139], v[160:161]
	v_mul_f64 v[148:149], v[136:137], v[160:161]
	s_waitcnt vmcnt(8)
	v_fma_f64 v[150:151], v[1:2], v[164:165], -v[152:153]
	v_fma_f64 v[152:153], v[3:4], v[164:165], v[158:159]
	v_add_f64 v[133:134], v[140:141], v[133:134]
	v_add_f64 v[144:145], v[142:143], v[144:145]
	ds_read_b128 v[1:4], v182 offset:96
	ds_read_b128 v[140:143], v182 offset:112
	v_fma_f64 v[136:137], v[136:137], v[162:163], -v[146:147]
	v_fma_f64 v[138:139], v[138:139], v[162:163], v[148:149]
	s_waitcnt vmcnt(4) lgkmcnt(1)
	v_mul_f64 v[154:155], v[3:4], v[166:167]
	v_mul_f64 v[156:157], v[1:2], v[166:167]
	v_add_f64 v[133:134], v[133:134], v[150:151]
	v_add_f64 v[144:145], v[144:145], v[152:153]
	s_waitcnt vmcnt(2) lgkmcnt(0)
	v_mul_f64 v[146:147], v[142:143], v[168:169]
	v_mul_f64 v[148:149], v[140:141], v[168:169]
	s_waitcnt vmcnt(0)
	v_fma_f64 v[1:2], v[1:2], v[172:173], -v[154:155]
	v_fma_f64 v[3:4], v[3:4], v[172:173], v[156:157]
	v_add_f64 v[133:134], v[133:134], v[136:137]
	v_add_f64 v[136:137], v[144:145], v[138:139]
	v_fma_f64 v[138:139], v[140:141], v[170:171], -v[146:147]
	v_fma_f64 v[140:141], v[142:143], v[170:171], v[148:149]
	v_add_f64 v[1:2], v[133:134], v[1:2]
	v_add_f64 v[3:4], v[136:137], v[3:4]
	v_mov_b32_e32 v133, s74
	s_mov_b32 s74, s75
	v_add_f64 v[1:2], v[1:2], v[138:139]
	v_add_f64 v[3:4], v[3:4], v[140:141]
	s_andn2_b32 exec_lo, exec_lo, s71
	s_cbranch_execnz .LBB61_599
; %bb.600:
	s_or_b32 exec_lo, exec_lo, s71
.LBB61_601:
	s_or_b32 exec_lo, exec_lo, s4
	v_and_b32_e32 v131, 7, v131
	s_mov_b32 s71, 0
	s_mov_b32 s4, exec_lo
	v_cmpx_ne_u32_e32 0, v131
	s_cbranch_execz .LBB61_605
; %bb.602:
	v_lshlrev_b32_e32 v133, 4, v133
	v_add_nc_u32_e32 v132, 0x3e0, v133
	.p2align	6
.LBB61_603:                             ; =>This Inner Loop Header: Depth=1
	s_clause 0x3
	buffer_load_dword v140, v133, s[0:3], 0 offen offset:8
	buffer_load_dword v141, v133, s[0:3], 0 offen offset:12
	buffer_load_dword v142, v133, s[0:3], 0 offen
	buffer_load_dword v143, v133, s[0:3], 0 offen offset:4
	ds_read_b128 v[136:139], v132
	v_add_nc_u32_e32 v131, -1, v131
	v_add_nc_u32_e32 v132, 16, v132
	v_add_nc_u32_e32 v133, 16, v133
	v_cmp_eq_u32_e32 vcc_lo, 0, v131
	s_or_b32 s71, vcc_lo, s71
	s_waitcnt vmcnt(2) lgkmcnt(0)
	v_mul_f64 v[144:145], v[138:139], v[140:141]
	v_mul_f64 v[140:141], v[136:137], v[140:141]
	s_waitcnt vmcnt(0)
	v_fma_f64 v[136:137], v[136:137], v[142:143], -v[144:145]
	v_fma_f64 v[138:139], v[138:139], v[142:143], v[140:141]
	v_add_f64 v[1:2], v[1:2], v[136:137]
	v_add_f64 v[3:4], v[3:4], v[138:139]
	s_andn2_b32 exec_lo, exec_lo, s71
	s_cbranch_execnz .LBB61_603
; %bb.604:
	s_or_b32 exec_lo, exec_lo, s71
.LBB61_605:
	s_or_b32 exec_lo, exec_lo, s4
.LBB61_606:
	s_or_b32 exec_lo, exec_lo, s8
	v_mov_b32_e32 v131, 0
	ds_read_b128 v[131:134], v131 offset:272
	s_waitcnt lgkmcnt(0)
	v_mul_f64 v[136:137], v[3:4], v[133:134]
	v_mul_f64 v[133:134], v[1:2], v[133:134]
	v_fma_f64 v[1:2], v[1:2], v[131:132], -v[136:137]
	v_fma_f64 v[3:4], v[3:4], v[131:132], v[133:134]
	buffer_store_dword v2, off, s[0:3], 0 offset:276
	buffer_store_dword v1, off, s[0:3], 0 offset:272
	;; [unrolled: 1-line block ×4, first 2 shown]
.LBB61_607:
	s_or_b32 exec_lo, exec_lo, s6
	v_mov_b32_e32 v4, s55
	v_cmp_lt_u32_e64 s4, 16, v0
	s_clause 0x3
	buffer_load_dword v1, v4, s[0:3], 0 offen
	buffer_load_dword v2, v4, s[0:3], 0 offen offset:4
	buffer_load_dword v3, v4, s[0:3], 0 offen offset:8
	;; [unrolled: 1-line block ×3, first 2 shown]
	s_waitcnt vmcnt(0)
	ds_write_b128 v130, v[1:4]
	s_waitcnt lgkmcnt(0)
	s_waitcnt_vscnt null, 0x0
	s_barrier
	buffer_gl0_inv
	s_and_saveexec_b32 s6, s4
	s_cbranch_execz .LBB61_621
; %bb.608:
	ds_read_b128 v[1:4], v130
	s_andn2_b32 vcc_lo, exec_lo, s7
	s_cbranch_vccnz .LBB61_610
; %bb.609:
	s_clause 0x3
	buffer_load_dword v131, v129, s[0:3], 0 offen offset:8
	buffer_load_dword v132, v129, s[0:3], 0 offen offset:12
	buffer_load_dword v133, v129, s[0:3], 0 offen
	buffer_load_dword v134, v129, s[0:3], 0 offen offset:4
	s_waitcnt vmcnt(2) lgkmcnt(0)
	v_mul_f64 v[136:137], v[3:4], v[131:132]
	v_mul_f64 v[131:132], v[1:2], v[131:132]
	s_waitcnt vmcnt(0)
	v_fma_f64 v[1:2], v[1:2], v[133:134], -v[136:137]
	v_fma_f64 v[3:4], v[3:4], v[133:134], v[131:132]
.LBB61_610:
	s_and_saveexec_b32 s8, s5
	s_cbranch_execz .LBB61_620
; %bb.611:
	v_subrev_nc_u32_e32 v132, 18, v0
	v_mov_b32_e32 v133, 17
	v_subrev_nc_u32_e32 v131, 17, v0
	s_mov_b32 s5, exec_lo
	v_cmpx_lt_u32_e32 6, v132
	s_cbranch_execz .LBB61_615
; %bb.612:
	v_and_b32_e32 v132, -8, v131
	s_movk_i32 s72, 0x4f0
	s_mov_b32 s71, 0
	s_mov_b32 s73, s54
	;; [unrolled: 1-line block ×3, first 2 shown]
.LBB61_613:                             ; =>This Inner Loop Header: Depth=1
	v_mov_b32_e32 v136, s73
	v_mov_b32_e32 v182, s72
	s_add_i32 s75, s74, 8
	s_add_i32 s74, s74, 25
	v_cmp_eq_u32_e32 vcc_lo, s75, v132
	s_clause 0x1f
	buffer_load_dword v133, v136, s[0:3], 0 offen offset:8
	buffer_load_dword v134, v136, s[0:3], 0 offen offset:12
	buffer_load_dword v144, v136, s[0:3], 0 offen
	buffer_load_dword v145, v136, s[0:3], 0 offen offset:4
	buffer_load_dword v146, v136, s[0:3], 0 offen offset:24
	;; [unrolled: 1-line block ×29, first 2 shown]
	ds_read_b128 v[136:139], v182
	ds_read_b128 v[140:143], v182 offset:16
	s_addk_i32 s72, 0x80
	s_addk_i32 s73, 0x80
	s_or_b32 s71, vcc_lo, s71
	s_waitcnt vmcnt(30) lgkmcnt(1)
	v_mul_f64 v[174:175], v[138:139], v[133:134]
	v_mul_f64 v[133:134], v[136:137], v[133:134]
	s_waitcnt vmcnt(26) lgkmcnt(0)
	v_mul_f64 v[176:177], v[142:143], v[146:147]
	v_mul_f64 v[178:179], v[140:141], v[146:147]
	v_fma_f64 v[174:175], v[136:137], v[144:145], -v[174:175]
	v_fma_f64 v[133:134], v[138:139], v[144:145], v[133:134]
	ds_read_b128 v[136:139], v182 offset:32
	ds_read_b128 v[144:147], v182 offset:48
	s_waitcnt vmcnt(24)
	v_fma_f64 v[140:141], v[140:141], v[148:149], -v[176:177]
	v_fma_f64 v[142:143], v[142:143], v[148:149], v[178:179]
	s_waitcnt vmcnt(22) lgkmcnt(1)
	v_mul_f64 v[180:181], v[138:139], v[150:151]
	v_mul_f64 v[150:151], v[136:137], v[150:151]
	v_add_f64 v[1:2], v[1:2], v[174:175]
	v_add_f64 v[3:4], v[3:4], v[133:134]
	s_waitcnt vmcnt(18) lgkmcnt(0)
	v_mul_f64 v[133:134], v[146:147], v[154:155]
	v_mul_f64 v[148:149], v[144:145], v[154:155]
	v_fma_f64 v[154:155], v[136:137], v[152:153], -v[180:181]
	v_fma_f64 v[150:151], v[138:139], v[152:153], v[150:151]
	v_add_f64 v[140:141], v[1:2], v[140:141]
	v_add_f64 v[142:143], v[3:4], v[142:143]
	ds_read_b128 v[1:4], v182 offset:64
	ds_read_b128 v[136:139], v182 offset:80
	s_waitcnt vmcnt(16)
	v_fma_f64 v[133:134], v[144:145], v[156:157], -v[133:134]
	v_fma_f64 v[144:145], v[146:147], v[156:157], v[148:149]
	s_waitcnt vmcnt(12) lgkmcnt(1)
	v_mul_f64 v[152:153], v[3:4], v[158:159]
	v_mul_f64 v[158:159], v[1:2], v[158:159]
	v_add_f64 v[140:141], v[140:141], v[154:155]
	v_add_f64 v[142:143], v[142:143], v[150:151]
	s_waitcnt vmcnt(10) lgkmcnt(0)
	v_mul_f64 v[146:147], v[138:139], v[160:161]
	v_mul_f64 v[148:149], v[136:137], v[160:161]
	s_waitcnt vmcnt(8)
	v_fma_f64 v[150:151], v[1:2], v[164:165], -v[152:153]
	v_fma_f64 v[152:153], v[3:4], v[164:165], v[158:159]
	v_add_f64 v[133:134], v[140:141], v[133:134]
	v_add_f64 v[144:145], v[142:143], v[144:145]
	ds_read_b128 v[1:4], v182 offset:96
	ds_read_b128 v[140:143], v182 offset:112
	v_fma_f64 v[136:137], v[136:137], v[162:163], -v[146:147]
	v_fma_f64 v[138:139], v[138:139], v[162:163], v[148:149]
	s_waitcnt vmcnt(4) lgkmcnt(1)
	v_mul_f64 v[154:155], v[3:4], v[166:167]
	v_mul_f64 v[156:157], v[1:2], v[166:167]
	v_add_f64 v[133:134], v[133:134], v[150:151]
	v_add_f64 v[144:145], v[144:145], v[152:153]
	s_waitcnt vmcnt(2) lgkmcnt(0)
	v_mul_f64 v[146:147], v[142:143], v[168:169]
	v_mul_f64 v[148:149], v[140:141], v[168:169]
	s_waitcnt vmcnt(0)
	v_fma_f64 v[1:2], v[1:2], v[172:173], -v[154:155]
	v_fma_f64 v[3:4], v[3:4], v[172:173], v[156:157]
	v_add_f64 v[133:134], v[133:134], v[136:137]
	v_add_f64 v[136:137], v[144:145], v[138:139]
	v_fma_f64 v[138:139], v[140:141], v[170:171], -v[146:147]
	v_fma_f64 v[140:141], v[142:143], v[170:171], v[148:149]
	v_add_f64 v[1:2], v[133:134], v[1:2]
	v_add_f64 v[3:4], v[136:137], v[3:4]
	v_mov_b32_e32 v133, s74
	s_mov_b32 s74, s75
	v_add_f64 v[1:2], v[1:2], v[138:139]
	v_add_f64 v[3:4], v[3:4], v[140:141]
	s_andn2_b32 exec_lo, exec_lo, s71
	s_cbranch_execnz .LBB61_613
; %bb.614:
	s_or_b32 exec_lo, exec_lo, s71
.LBB61_615:
	s_or_b32 exec_lo, exec_lo, s5
	v_and_b32_e32 v131, 7, v131
	s_mov_b32 s71, 0
	s_mov_b32 s5, exec_lo
	v_cmpx_ne_u32_e32 0, v131
	s_cbranch_execz .LBB61_619
; %bb.616:
	v_lshlrev_b32_e32 v133, 4, v133
	v_add_nc_u32_e32 v132, 0x3e0, v133
	.p2align	6
.LBB61_617:                             ; =>This Inner Loop Header: Depth=1
	s_clause 0x3
	buffer_load_dword v140, v133, s[0:3], 0 offen offset:8
	buffer_load_dword v141, v133, s[0:3], 0 offen offset:12
	buffer_load_dword v142, v133, s[0:3], 0 offen
	buffer_load_dword v143, v133, s[0:3], 0 offen offset:4
	ds_read_b128 v[136:139], v132
	v_add_nc_u32_e32 v131, -1, v131
	v_add_nc_u32_e32 v132, 16, v132
	v_add_nc_u32_e32 v133, 16, v133
	v_cmp_eq_u32_e32 vcc_lo, 0, v131
	s_or_b32 s71, vcc_lo, s71
	s_waitcnt vmcnt(2) lgkmcnt(0)
	v_mul_f64 v[144:145], v[138:139], v[140:141]
	v_mul_f64 v[140:141], v[136:137], v[140:141]
	s_waitcnt vmcnt(0)
	v_fma_f64 v[136:137], v[136:137], v[142:143], -v[144:145]
	v_fma_f64 v[138:139], v[138:139], v[142:143], v[140:141]
	v_add_f64 v[1:2], v[1:2], v[136:137]
	v_add_f64 v[3:4], v[3:4], v[138:139]
	s_andn2_b32 exec_lo, exec_lo, s71
	s_cbranch_execnz .LBB61_617
; %bb.618:
	s_or_b32 exec_lo, exec_lo, s71
.LBB61_619:
	s_or_b32 exec_lo, exec_lo, s5
.LBB61_620:
	s_or_b32 exec_lo, exec_lo, s8
	v_mov_b32_e32 v131, 0
	ds_read_b128 v[131:134], v131 offset:256
	s_waitcnt lgkmcnt(0)
	v_mul_f64 v[136:137], v[3:4], v[133:134]
	v_mul_f64 v[133:134], v[1:2], v[133:134]
	v_fma_f64 v[1:2], v[1:2], v[131:132], -v[136:137]
	v_fma_f64 v[3:4], v[3:4], v[131:132], v[133:134]
	buffer_store_dword v2, off, s[0:3], 0 offset:260
	buffer_store_dword v1, off, s[0:3], 0 offset:256
	;; [unrolled: 1-line block ×4, first 2 shown]
.LBB61_621:
	s_or_b32 exec_lo, exec_lo, s6
	v_mov_b32_e32 v4, s56
	v_cmp_lt_u32_e64 s5, 15, v0
	s_clause 0x3
	buffer_load_dword v1, v4, s[0:3], 0 offen
	buffer_load_dword v2, v4, s[0:3], 0 offen offset:4
	buffer_load_dword v3, v4, s[0:3], 0 offen offset:8
	;; [unrolled: 1-line block ×3, first 2 shown]
	s_waitcnt vmcnt(0)
	ds_write_b128 v130, v[1:4]
	s_waitcnt lgkmcnt(0)
	s_waitcnt_vscnt null, 0x0
	s_barrier
	buffer_gl0_inv
	s_and_saveexec_b32 s6, s5
	s_cbranch_execz .LBB61_635
; %bb.622:
	ds_read_b128 v[1:4], v130
	s_andn2_b32 vcc_lo, exec_lo, s7
	s_cbranch_vccnz .LBB61_624
; %bb.623:
	s_clause 0x3
	buffer_load_dword v131, v129, s[0:3], 0 offen offset:8
	buffer_load_dword v132, v129, s[0:3], 0 offen offset:12
	buffer_load_dword v133, v129, s[0:3], 0 offen
	buffer_load_dword v134, v129, s[0:3], 0 offen offset:4
	s_waitcnt vmcnt(2) lgkmcnt(0)
	v_mul_f64 v[136:137], v[3:4], v[131:132]
	v_mul_f64 v[131:132], v[1:2], v[131:132]
	s_waitcnt vmcnt(0)
	v_fma_f64 v[1:2], v[1:2], v[133:134], -v[136:137]
	v_fma_f64 v[3:4], v[3:4], v[133:134], v[131:132]
.LBB61_624:
	s_and_saveexec_b32 s8, s4
	s_cbranch_execz .LBB61_634
; %bb.625:
	v_subrev_nc_u32_e32 v131, 17, v0
	v_cmp_lt_u32_e32 vcc_lo, 6, v131
	v_mov_b32_e32 v131, 16
	s_and_saveexec_b32 s4, vcc_lo
	s_cbranch_execz .LBB61_629
; %bb.626:
	v_and_b32_e32 v131, 56, v0
	s_mov_b32 s71, 16
	s_movk_i32 s73, 0x4e0
	s_mov_b32 s72, 0
	s_mov_b32 s74, s55
.LBB61_627:                             ; =>This Inner Loop Header: Depth=1
	v_mov_b32_e32 v134, s74
	s_add_i32 s71, s71, 8
	s_addk_i32 s74, 0x80
	v_cmp_eq_u32_e32 vcc_lo, s71, v131
	s_clause 0x1f
	buffer_load_dword v132, v134, s[0:3], 0 offen offset:8
	buffer_load_dword v133, v134, s[0:3], 0 offen offset:12
	buffer_load_dword v144, v134, s[0:3], 0 offen
	buffer_load_dword v145, v134, s[0:3], 0 offen offset:4
	buffer_load_dword v146, v134, s[0:3], 0 offen offset:24
	buffer_load_dword v147, v134, s[0:3], 0 offen offset:28
	buffer_load_dword v148, v134, s[0:3], 0 offen offset:16
	buffer_load_dword v149, v134, s[0:3], 0 offen offset:20
	buffer_load_dword v150, v134, s[0:3], 0 offen offset:40
	buffer_load_dword v151, v134, s[0:3], 0 offen offset:44
	buffer_load_dword v152, v134, s[0:3], 0 offen offset:32
	buffer_load_dword v153, v134, s[0:3], 0 offen offset:36
	buffer_load_dword v154, v134, s[0:3], 0 offen offset:56
	buffer_load_dword v155, v134, s[0:3], 0 offen offset:60
	buffer_load_dword v156, v134, s[0:3], 0 offen offset:48
	buffer_load_dword v157, v134, s[0:3], 0 offen offset:52
	buffer_load_dword v159, v134, s[0:3], 0 offen offset:76
	buffer_load_dword v160, v134, s[0:3], 0 offen offset:88
	buffer_load_dword v162, v134, s[0:3], 0 offen offset:80
	buffer_load_dword v158, v134, s[0:3], 0 offen offset:72
	buffer_load_dword v163, v134, s[0:3], 0 offen offset:84
	buffer_load_dword v161, v134, s[0:3], 0 offen offset:92
	buffer_load_dword v165, v134, s[0:3], 0 offen offset:68
	buffer_load_dword v164, v134, s[0:3], 0 offen offset:64
	buffer_load_dword v167, v134, s[0:3], 0 offen offset:108
	buffer_load_dword v168, v134, s[0:3], 0 offen offset:120
	buffer_load_dword v170, v134, s[0:3], 0 offen offset:112
	buffer_load_dword v166, v134, s[0:3], 0 offen offset:104
	buffer_load_dword v171, v134, s[0:3], 0 offen offset:116
	buffer_load_dword v169, v134, s[0:3], 0 offen offset:124
	buffer_load_dword v173, v134, s[0:3], 0 offen offset:100
	buffer_load_dword v172, v134, s[0:3], 0 offen offset:96
	v_mov_b32_e32 v134, s73
	s_addk_i32 s73, 0x80
	s_or_b32 s72, vcc_lo, s72
	ds_read_b128 v[136:139], v134
	ds_read_b128 v[140:143], v134 offset:16
	s_waitcnt vmcnt(30) lgkmcnt(1)
	v_mul_f64 v[174:175], v[138:139], v[132:133]
	v_mul_f64 v[132:133], v[136:137], v[132:133]
	s_waitcnt vmcnt(26) lgkmcnt(0)
	v_mul_f64 v[176:177], v[142:143], v[146:147]
	v_mul_f64 v[178:179], v[140:141], v[146:147]
	v_fma_f64 v[174:175], v[136:137], v[144:145], -v[174:175]
	v_fma_f64 v[132:133], v[138:139], v[144:145], v[132:133]
	ds_read_b128 v[136:139], v134 offset:32
	ds_read_b128 v[144:147], v134 offset:48
	s_waitcnt vmcnt(24)
	v_fma_f64 v[140:141], v[140:141], v[148:149], -v[176:177]
	v_fma_f64 v[142:143], v[142:143], v[148:149], v[178:179]
	s_waitcnt vmcnt(22) lgkmcnt(1)
	v_mul_f64 v[180:181], v[138:139], v[150:151]
	v_mul_f64 v[150:151], v[136:137], v[150:151]
	v_add_f64 v[1:2], v[1:2], v[174:175]
	v_add_f64 v[3:4], v[3:4], v[132:133]
	s_waitcnt vmcnt(18) lgkmcnt(0)
	v_mul_f64 v[132:133], v[146:147], v[154:155]
	v_mul_f64 v[148:149], v[144:145], v[154:155]
	v_fma_f64 v[154:155], v[136:137], v[152:153], -v[180:181]
	v_fma_f64 v[150:151], v[138:139], v[152:153], v[150:151]
	v_add_f64 v[140:141], v[1:2], v[140:141]
	v_add_f64 v[142:143], v[3:4], v[142:143]
	ds_read_b128 v[1:4], v134 offset:64
	ds_read_b128 v[136:139], v134 offset:80
	s_waitcnt vmcnt(16)
	v_fma_f64 v[132:133], v[144:145], v[156:157], -v[132:133]
	v_fma_f64 v[144:145], v[146:147], v[156:157], v[148:149]
	s_waitcnt vmcnt(12) lgkmcnt(1)
	v_mul_f64 v[152:153], v[3:4], v[158:159]
	v_mul_f64 v[158:159], v[1:2], v[158:159]
	v_add_f64 v[140:141], v[140:141], v[154:155]
	v_add_f64 v[142:143], v[142:143], v[150:151]
	s_waitcnt vmcnt(10) lgkmcnt(0)
	v_mul_f64 v[146:147], v[138:139], v[160:161]
	v_mul_f64 v[148:149], v[136:137], v[160:161]
	s_waitcnt vmcnt(8)
	v_fma_f64 v[150:151], v[1:2], v[164:165], -v[152:153]
	v_fma_f64 v[152:153], v[3:4], v[164:165], v[158:159]
	v_add_f64 v[132:133], v[140:141], v[132:133]
	v_add_f64 v[144:145], v[142:143], v[144:145]
	ds_read_b128 v[1:4], v134 offset:96
	ds_read_b128 v[140:143], v134 offset:112
	v_fma_f64 v[136:137], v[136:137], v[162:163], -v[146:147]
	v_fma_f64 v[138:139], v[138:139], v[162:163], v[148:149]
	s_waitcnt vmcnt(4) lgkmcnt(1)
	v_mul_f64 v[154:155], v[3:4], v[166:167]
	v_mul_f64 v[156:157], v[1:2], v[166:167]
	v_add_f64 v[132:133], v[132:133], v[150:151]
	v_add_f64 v[144:145], v[144:145], v[152:153]
	s_waitcnt vmcnt(2) lgkmcnt(0)
	v_mul_f64 v[146:147], v[142:143], v[168:169]
	v_mul_f64 v[148:149], v[140:141], v[168:169]
	s_waitcnt vmcnt(0)
	v_fma_f64 v[1:2], v[1:2], v[172:173], -v[154:155]
	v_fma_f64 v[3:4], v[3:4], v[172:173], v[156:157]
	v_add_f64 v[132:133], v[132:133], v[136:137]
	v_add_f64 v[136:137], v[144:145], v[138:139]
	v_fma_f64 v[138:139], v[140:141], v[170:171], -v[146:147]
	v_fma_f64 v[140:141], v[142:143], v[170:171], v[148:149]
	v_add_f64 v[1:2], v[132:133], v[1:2]
	v_add_f64 v[3:4], v[136:137], v[3:4]
	v_add_f64 v[1:2], v[1:2], v[138:139]
	v_add_f64 v[3:4], v[3:4], v[140:141]
	s_andn2_b32 exec_lo, exec_lo, s72
	s_cbranch_execnz .LBB61_627
; %bb.628:
	s_or_b32 exec_lo, exec_lo, s72
.LBB61_629:
	s_or_b32 exec_lo, exec_lo, s4
	v_and_b32_e32 v132, 7, v0
	s_mov_b32 s71, 0
	s_mov_b32 s4, exec_lo
	v_cmpx_ne_u32_e32 0, v132
	s_cbranch_execz .LBB61_633
; %bb.630:
	v_lshlrev_b32_e32 v133, 4, v131
	v_add_nc_u32_e32 v131, 0x3e0, v133
	.p2align	6
.LBB61_631:                             ; =>This Inner Loop Header: Depth=1
	s_clause 0x3
	buffer_load_dword v140, v133, s[0:3], 0 offen offset:8
	buffer_load_dword v141, v133, s[0:3], 0 offen offset:12
	buffer_load_dword v142, v133, s[0:3], 0 offen
	buffer_load_dword v143, v133, s[0:3], 0 offen offset:4
	ds_read_b128 v[136:139], v131
	v_add_nc_u32_e32 v132, -1, v132
	v_add_nc_u32_e32 v131, 16, v131
	v_add_nc_u32_e32 v133, 16, v133
	v_cmp_eq_u32_e32 vcc_lo, 0, v132
	s_or_b32 s71, vcc_lo, s71
	s_waitcnt vmcnt(2) lgkmcnt(0)
	v_mul_f64 v[144:145], v[138:139], v[140:141]
	v_mul_f64 v[140:141], v[136:137], v[140:141]
	s_waitcnt vmcnt(0)
	v_fma_f64 v[136:137], v[136:137], v[142:143], -v[144:145]
	v_fma_f64 v[138:139], v[138:139], v[142:143], v[140:141]
	v_add_f64 v[1:2], v[1:2], v[136:137]
	v_add_f64 v[3:4], v[3:4], v[138:139]
	s_andn2_b32 exec_lo, exec_lo, s71
	s_cbranch_execnz .LBB61_631
; %bb.632:
	s_or_b32 exec_lo, exec_lo, s71
.LBB61_633:
	s_or_b32 exec_lo, exec_lo, s4
.LBB61_634:
	s_or_b32 exec_lo, exec_lo, s8
	v_mov_b32_e32 v131, 0
	ds_read_b128 v[131:134], v131 offset:240
	s_waitcnt lgkmcnt(0)
	v_mul_f64 v[136:137], v[3:4], v[133:134]
	v_mul_f64 v[133:134], v[1:2], v[133:134]
	v_fma_f64 v[1:2], v[1:2], v[131:132], -v[136:137]
	v_fma_f64 v[3:4], v[3:4], v[131:132], v[133:134]
	buffer_store_dword v2, off, s[0:3], 0 offset:244
	buffer_store_dword v1, off, s[0:3], 0 offset:240
	;; [unrolled: 1-line block ×4, first 2 shown]
.LBB61_635:
	s_or_b32 exec_lo, exec_lo, s6
	v_mov_b32_e32 v4, s57
	v_cmp_lt_u32_e64 s4, 14, v0
	s_clause 0x3
	buffer_load_dword v1, v4, s[0:3], 0 offen
	buffer_load_dword v2, v4, s[0:3], 0 offen offset:4
	buffer_load_dword v3, v4, s[0:3], 0 offen offset:8
	;; [unrolled: 1-line block ×3, first 2 shown]
	s_waitcnt vmcnt(0)
	ds_write_b128 v130, v[1:4]
	s_waitcnt lgkmcnt(0)
	s_waitcnt_vscnt null, 0x0
	s_barrier
	buffer_gl0_inv
	s_and_saveexec_b32 s6, s4
	s_cbranch_execz .LBB61_649
; %bb.636:
	ds_read_b128 v[1:4], v130
	s_andn2_b32 vcc_lo, exec_lo, s7
	s_cbranch_vccnz .LBB61_638
; %bb.637:
	s_clause 0x3
	buffer_load_dword v131, v129, s[0:3], 0 offen offset:8
	buffer_load_dword v132, v129, s[0:3], 0 offen offset:12
	buffer_load_dword v133, v129, s[0:3], 0 offen
	buffer_load_dword v134, v129, s[0:3], 0 offen offset:4
	s_waitcnt vmcnt(2) lgkmcnt(0)
	v_mul_f64 v[136:137], v[3:4], v[131:132]
	v_mul_f64 v[131:132], v[1:2], v[131:132]
	s_waitcnt vmcnt(0)
	v_fma_f64 v[1:2], v[1:2], v[133:134], -v[136:137]
	v_fma_f64 v[3:4], v[3:4], v[133:134], v[131:132]
.LBB61_638:
	s_and_saveexec_b32 s8, s5
	s_cbranch_execz .LBB61_648
; %bb.639:
	v_add_nc_u32_e32 v132, -16, v0
	v_add_nc_u32_e32 v131, -15, v0
	v_mov_b32_e32 v133, 15
	s_mov_b32 s5, exec_lo
	v_cmpx_lt_u32_e32 6, v132
	s_cbranch_execz .LBB61_643
; %bb.640:
	v_and_b32_e32 v132, -8, v131
	s_movk_i32 s72, 0x4d0
	s_mov_b32 s71, 0
	s_mov_b32 s73, s56
	s_mov_b32 s74, 0
.LBB61_641:                             ; =>This Inner Loop Header: Depth=1
	v_mov_b32_e32 v136, s73
	v_mov_b32_e32 v182, s72
	s_add_i32 s75, s74, 8
	s_add_i32 s74, s74, 23
	v_cmp_eq_u32_e32 vcc_lo, s75, v132
	s_clause 0x1f
	buffer_load_dword v133, v136, s[0:3], 0 offen offset:8
	buffer_load_dword v134, v136, s[0:3], 0 offen offset:12
	buffer_load_dword v144, v136, s[0:3], 0 offen
	buffer_load_dword v145, v136, s[0:3], 0 offen offset:4
	buffer_load_dword v146, v136, s[0:3], 0 offen offset:24
	;; [unrolled: 1-line block ×29, first 2 shown]
	ds_read_b128 v[136:139], v182
	ds_read_b128 v[140:143], v182 offset:16
	s_addk_i32 s72, 0x80
	s_addk_i32 s73, 0x80
	s_or_b32 s71, vcc_lo, s71
	s_waitcnt vmcnt(30) lgkmcnt(1)
	v_mul_f64 v[174:175], v[138:139], v[133:134]
	v_mul_f64 v[133:134], v[136:137], v[133:134]
	s_waitcnt vmcnt(26) lgkmcnt(0)
	v_mul_f64 v[176:177], v[142:143], v[146:147]
	v_mul_f64 v[178:179], v[140:141], v[146:147]
	v_fma_f64 v[174:175], v[136:137], v[144:145], -v[174:175]
	v_fma_f64 v[133:134], v[138:139], v[144:145], v[133:134]
	ds_read_b128 v[136:139], v182 offset:32
	ds_read_b128 v[144:147], v182 offset:48
	s_waitcnt vmcnt(24)
	v_fma_f64 v[140:141], v[140:141], v[148:149], -v[176:177]
	v_fma_f64 v[142:143], v[142:143], v[148:149], v[178:179]
	s_waitcnt vmcnt(22) lgkmcnt(1)
	v_mul_f64 v[180:181], v[138:139], v[150:151]
	v_mul_f64 v[150:151], v[136:137], v[150:151]
	v_add_f64 v[1:2], v[1:2], v[174:175]
	v_add_f64 v[3:4], v[3:4], v[133:134]
	s_waitcnt vmcnt(18) lgkmcnt(0)
	v_mul_f64 v[133:134], v[146:147], v[154:155]
	v_mul_f64 v[148:149], v[144:145], v[154:155]
	v_fma_f64 v[154:155], v[136:137], v[152:153], -v[180:181]
	v_fma_f64 v[150:151], v[138:139], v[152:153], v[150:151]
	v_add_f64 v[140:141], v[1:2], v[140:141]
	v_add_f64 v[142:143], v[3:4], v[142:143]
	ds_read_b128 v[1:4], v182 offset:64
	ds_read_b128 v[136:139], v182 offset:80
	s_waitcnt vmcnt(16)
	v_fma_f64 v[133:134], v[144:145], v[156:157], -v[133:134]
	v_fma_f64 v[144:145], v[146:147], v[156:157], v[148:149]
	s_waitcnt vmcnt(12) lgkmcnt(1)
	v_mul_f64 v[152:153], v[3:4], v[158:159]
	v_mul_f64 v[158:159], v[1:2], v[158:159]
	v_add_f64 v[140:141], v[140:141], v[154:155]
	v_add_f64 v[142:143], v[142:143], v[150:151]
	s_waitcnt vmcnt(10) lgkmcnt(0)
	v_mul_f64 v[146:147], v[138:139], v[160:161]
	v_mul_f64 v[148:149], v[136:137], v[160:161]
	s_waitcnt vmcnt(8)
	v_fma_f64 v[150:151], v[1:2], v[164:165], -v[152:153]
	v_fma_f64 v[152:153], v[3:4], v[164:165], v[158:159]
	v_add_f64 v[133:134], v[140:141], v[133:134]
	v_add_f64 v[144:145], v[142:143], v[144:145]
	ds_read_b128 v[1:4], v182 offset:96
	ds_read_b128 v[140:143], v182 offset:112
	v_fma_f64 v[136:137], v[136:137], v[162:163], -v[146:147]
	v_fma_f64 v[138:139], v[138:139], v[162:163], v[148:149]
	s_waitcnt vmcnt(4) lgkmcnt(1)
	v_mul_f64 v[154:155], v[3:4], v[166:167]
	v_mul_f64 v[156:157], v[1:2], v[166:167]
	v_add_f64 v[133:134], v[133:134], v[150:151]
	v_add_f64 v[144:145], v[144:145], v[152:153]
	s_waitcnt vmcnt(2) lgkmcnt(0)
	v_mul_f64 v[146:147], v[142:143], v[168:169]
	v_mul_f64 v[148:149], v[140:141], v[168:169]
	s_waitcnt vmcnt(0)
	v_fma_f64 v[1:2], v[1:2], v[172:173], -v[154:155]
	v_fma_f64 v[3:4], v[3:4], v[172:173], v[156:157]
	v_add_f64 v[133:134], v[133:134], v[136:137]
	v_add_f64 v[136:137], v[144:145], v[138:139]
	v_fma_f64 v[138:139], v[140:141], v[170:171], -v[146:147]
	v_fma_f64 v[140:141], v[142:143], v[170:171], v[148:149]
	v_add_f64 v[1:2], v[133:134], v[1:2]
	v_add_f64 v[3:4], v[136:137], v[3:4]
	v_mov_b32_e32 v133, s74
	s_mov_b32 s74, s75
	v_add_f64 v[1:2], v[1:2], v[138:139]
	v_add_f64 v[3:4], v[3:4], v[140:141]
	s_andn2_b32 exec_lo, exec_lo, s71
	s_cbranch_execnz .LBB61_641
; %bb.642:
	s_or_b32 exec_lo, exec_lo, s71
.LBB61_643:
	s_or_b32 exec_lo, exec_lo, s5
	v_and_b32_e32 v131, 7, v131
	s_mov_b32 s71, 0
	s_mov_b32 s5, exec_lo
	v_cmpx_ne_u32_e32 0, v131
	s_cbranch_execz .LBB61_647
; %bb.644:
	v_lshlrev_b32_e32 v133, 4, v133
	v_add_nc_u32_e32 v132, 0x3e0, v133
	.p2align	6
.LBB61_645:                             ; =>This Inner Loop Header: Depth=1
	s_clause 0x3
	buffer_load_dword v140, v133, s[0:3], 0 offen offset:8
	buffer_load_dword v141, v133, s[0:3], 0 offen offset:12
	buffer_load_dword v142, v133, s[0:3], 0 offen
	buffer_load_dword v143, v133, s[0:3], 0 offen offset:4
	ds_read_b128 v[136:139], v132
	v_add_nc_u32_e32 v131, -1, v131
	v_add_nc_u32_e32 v132, 16, v132
	v_add_nc_u32_e32 v133, 16, v133
	v_cmp_eq_u32_e32 vcc_lo, 0, v131
	s_or_b32 s71, vcc_lo, s71
	s_waitcnt vmcnt(2) lgkmcnt(0)
	v_mul_f64 v[144:145], v[138:139], v[140:141]
	v_mul_f64 v[140:141], v[136:137], v[140:141]
	s_waitcnt vmcnt(0)
	v_fma_f64 v[136:137], v[136:137], v[142:143], -v[144:145]
	v_fma_f64 v[138:139], v[138:139], v[142:143], v[140:141]
	v_add_f64 v[1:2], v[1:2], v[136:137]
	v_add_f64 v[3:4], v[3:4], v[138:139]
	s_andn2_b32 exec_lo, exec_lo, s71
	s_cbranch_execnz .LBB61_645
; %bb.646:
	s_or_b32 exec_lo, exec_lo, s71
.LBB61_647:
	s_or_b32 exec_lo, exec_lo, s5
.LBB61_648:
	s_or_b32 exec_lo, exec_lo, s8
	v_mov_b32_e32 v131, 0
	ds_read_b128 v[131:134], v131 offset:224
	s_waitcnt lgkmcnt(0)
	v_mul_f64 v[136:137], v[3:4], v[133:134]
	v_mul_f64 v[133:134], v[1:2], v[133:134]
	v_fma_f64 v[1:2], v[1:2], v[131:132], -v[136:137]
	v_fma_f64 v[3:4], v[3:4], v[131:132], v[133:134]
	buffer_store_dword v2, off, s[0:3], 0 offset:228
	buffer_store_dword v1, off, s[0:3], 0 offset:224
	;; [unrolled: 1-line block ×4, first 2 shown]
.LBB61_649:
	s_or_b32 exec_lo, exec_lo, s6
	v_mov_b32_e32 v4, s58
	v_cmp_lt_u32_e64 s5, 13, v0
	s_clause 0x3
	buffer_load_dword v1, v4, s[0:3], 0 offen
	buffer_load_dword v2, v4, s[0:3], 0 offen offset:4
	buffer_load_dword v3, v4, s[0:3], 0 offen offset:8
	;; [unrolled: 1-line block ×3, first 2 shown]
	s_waitcnt vmcnt(0)
	ds_write_b128 v130, v[1:4]
	s_waitcnt lgkmcnt(0)
	s_waitcnt_vscnt null, 0x0
	s_barrier
	buffer_gl0_inv
	s_and_saveexec_b32 s6, s5
	s_cbranch_execz .LBB61_663
; %bb.650:
	ds_read_b128 v[1:4], v130
	s_andn2_b32 vcc_lo, exec_lo, s7
	s_cbranch_vccnz .LBB61_652
; %bb.651:
	s_clause 0x3
	buffer_load_dword v131, v129, s[0:3], 0 offen offset:8
	buffer_load_dword v132, v129, s[0:3], 0 offen offset:12
	buffer_load_dword v133, v129, s[0:3], 0 offen
	buffer_load_dword v134, v129, s[0:3], 0 offen offset:4
	s_waitcnt vmcnt(2) lgkmcnt(0)
	v_mul_f64 v[136:137], v[3:4], v[131:132]
	v_mul_f64 v[131:132], v[1:2], v[131:132]
	s_waitcnt vmcnt(0)
	v_fma_f64 v[1:2], v[1:2], v[133:134], -v[136:137]
	v_fma_f64 v[3:4], v[3:4], v[133:134], v[131:132]
.LBB61_652:
	s_and_saveexec_b32 s8, s4
	s_cbranch_execz .LBB61_662
; %bb.653:
	v_add_nc_u32_e32 v132, -15, v0
	v_add_nc_u32_e32 v131, -14, v0
	v_mov_b32_e32 v133, 14
	s_mov_b32 s4, exec_lo
	v_cmpx_lt_u32_e32 6, v132
	s_cbranch_execz .LBB61_657
; %bb.654:
	v_and_b32_e32 v132, -8, v131
	s_movk_i32 s72, 0x4c0
	s_mov_b32 s71, 0
	s_mov_b32 s73, s57
	;; [unrolled: 1-line block ×3, first 2 shown]
.LBB61_655:                             ; =>This Inner Loop Header: Depth=1
	v_mov_b32_e32 v136, s73
	v_mov_b32_e32 v182, s72
	s_add_i32 s75, s74, 8
	s_add_i32 s74, s74, 22
	v_cmp_eq_u32_e32 vcc_lo, s75, v132
	s_clause 0x1f
	buffer_load_dword v133, v136, s[0:3], 0 offen offset:8
	buffer_load_dword v134, v136, s[0:3], 0 offen offset:12
	buffer_load_dword v144, v136, s[0:3], 0 offen
	buffer_load_dword v145, v136, s[0:3], 0 offen offset:4
	buffer_load_dword v146, v136, s[0:3], 0 offen offset:24
	;; [unrolled: 1-line block ×29, first 2 shown]
	ds_read_b128 v[136:139], v182
	ds_read_b128 v[140:143], v182 offset:16
	s_addk_i32 s72, 0x80
	s_addk_i32 s73, 0x80
	s_or_b32 s71, vcc_lo, s71
	s_waitcnt vmcnt(30) lgkmcnt(1)
	v_mul_f64 v[174:175], v[138:139], v[133:134]
	v_mul_f64 v[133:134], v[136:137], v[133:134]
	s_waitcnt vmcnt(26) lgkmcnt(0)
	v_mul_f64 v[176:177], v[142:143], v[146:147]
	v_mul_f64 v[178:179], v[140:141], v[146:147]
	v_fma_f64 v[174:175], v[136:137], v[144:145], -v[174:175]
	v_fma_f64 v[133:134], v[138:139], v[144:145], v[133:134]
	ds_read_b128 v[136:139], v182 offset:32
	ds_read_b128 v[144:147], v182 offset:48
	s_waitcnt vmcnt(24)
	v_fma_f64 v[140:141], v[140:141], v[148:149], -v[176:177]
	v_fma_f64 v[142:143], v[142:143], v[148:149], v[178:179]
	s_waitcnt vmcnt(22) lgkmcnt(1)
	v_mul_f64 v[180:181], v[138:139], v[150:151]
	v_mul_f64 v[150:151], v[136:137], v[150:151]
	v_add_f64 v[1:2], v[1:2], v[174:175]
	v_add_f64 v[3:4], v[3:4], v[133:134]
	s_waitcnt vmcnt(18) lgkmcnt(0)
	v_mul_f64 v[133:134], v[146:147], v[154:155]
	v_mul_f64 v[148:149], v[144:145], v[154:155]
	v_fma_f64 v[154:155], v[136:137], v[152:153], -v[180:181]
	v_fma_f64 v[150:151], v[138:139], v[152:153], v[150:151]
	v_add_f64 v[140:141], v[1:2], v[140:141]
	v_add_f64 v[142:143], v[3:4], v[142:143]
	ds_read_b128 v[1:4], v182 offset:64
	ds_read_b128 v[136:139], v182 offset:80
	s_waitcnt vmcnt(16)
	v_fma_f64 v[133:134], v[144:145], v[156:157], -v[133:134]
	v_fma_f64 v[144:145], v[146:147], v[156:157], v[148:149]
	s_waitcnt vmcnt(12) lgkmcnt(1)
	v_mul_f64 v[152:153], v[3:4], v[158:159]
	v_mul_f64 v[158:159], v[1:2], v[158:159]
	v_add_f64 v[140:141], v[140:141], v[154:155]
	v_add_f64 v[142:143], v[142:143], v[150:151]
	s_waitcnt vmcnt(10) lgkmcnt(0)
	v_mul_f64 v[146:147], v[138:139], v[160:161]
	v_mul_f64 v[148:149], v[136:137], v[160:161]
	s_waitcnt vmcnt(8)
	v_fma_f64 v[150:151], v[1:2], v[164:165], -v[152:153]
	v_fma_f64 v[152:153], v[3:4], v[164:165], v[158:159]
	v_add_f64 v[133:134], v[140:141], v[133:134]
	v_add_f64 v[144:145], v[142:143], v[144:145]
	ds_read_b128 v[1:4], v182 offset:96
	ds_read_b128 v[140:143], v182 offset:112
	v_fma_f64 v[136:137], v[136:137], v[162:163], -v[146:147]
	v_fma_f64 v[138:139], v[138:139], v[162:163], v[148:149]
	s_waitcnt vmcnt(4) lgkmcnt(1)
	v_mul_f64 v[154:155], v[3:4], v[166:167]
	v_mul_f64 v[156:157], v[1:2], v[166:167]
	v_add_f64 v[133:134], v[133:134], v[150:151]
	v_add_f64 v[144:145], v[144:145], v[152:153]
	s_waitcnt vmcnt(2) lgkmcnt(0)
	v_mul_f64 v[146:147], v[142:143], v[168:169]
	v_mul_f64 v[148:149], v[140:141], v[168:169]
	s_waitcnt vmcnt(0)
	v_fma_f64 v[1:2], v[1:2], v[172:173], -v[154:155]
	v_fma_f64 v[3:4], v[3:4], v[172:173], v[156:157]
	v_add_f64 v[133:134], v[133:134], v[136:137]
	v_add_f64 v[136:137], v[144:145], v[138:139]
	v_fma_f64 v[138:139], v[140:141], v[170:171], -v[146:147]
	v_fma_f64 v[140:141], v[142:143], v[170:171], v[148:149]
	v_add_f64 v[1:2], v[133:134], v[1:2]
	v_add_f64 v[3:4], v[136:137], v[3:4]
	v_mov_b32_e32 v133, s74
	s_mov_b32 s74, s75
	v_add_f64 v[1:2], v[1:2], v[138:139]
	v_add_f64 v[3:4], v[3:4], v[140:141]
	s_andn2_b32 exec_lo, exec_lo, s71
	s_cbranch_execnz .LBB61_655
; %bb.656:
	s_or_b32 exec_lo, exec_lo, s71
.LBB61_657:
	s_or_b32 exec_lo, exec_lo, s4
	v_and_b32_e32 v131, 7, v131
	s_mov_b32 s71, 0
	s_mov_b32 s4, exec_lo
	v_cmpx_ne_u32_e32 0, v131
	s_cbranch_execz .LBB61_661
; %bb.658:
	v_lshlrev_b32_e32 v133, 4, v133
	v_add_nc_u32_e32 v132, 0x3e0, v133
	.p2align	6
.LBB61_659:                             ; =>This Inner Loop Header: Depth=1
	s_clause 0x3
	buffer_load_dword v140, v133, s[0:3], 0 offen offset:8
	buffer_load_dword v141, v133, s[0:3], 0 offen offset:12
	buffer_load_dword v142, v133, s[0:3], 0 offen
	buffer_load_dword v143, v133, s[0:3], 0 offen offset:4
	ds_read_b128 v[136:139], v132
	v_add_nc_u32_e32 v131, -1, v131
	v_add_nc_u32_e32 v132, 16, v132
	v_add_nc_u32_e32 v133, 16, v133
	v_cmp_eq_u32_e32 vcc_lo, 0, v131
	s_or_b32 s71, vcc_lo, s71
	s_waitcnt vmcnt(2) lgkmcnt(0)
	v_mul_f64 v[144:145], v[138:139], v[140:141]
	v_mul_f64 v[140:141], v[136:137], v[140:141]
	s_waitcnt vmcnt(0)
	v_fma_f64 v[136:137], v[136:137], v[142:143], -v[144:145]
	v_fma_f64 v[138:139], v[138:139], v[142:143], v[140:141]
	v_add_f64 v[1:2], v[1:2], v[136:137]
	v_add_f64 v[3:4], v[3:4], v[138:139]
	s_andn2_b32 exec_lo, exec_lo, s71
	s_cbranch_execnz .LBB61_659
; %bb.660:
	s_or_b32 exec_lo, exec_lo, s71
.LBB61_661:
	s_or_b32 exec_lo, exec_lo, s4
.LBB61_662:
	s_or_b32 exec_lo, exec_lo, s8
	v_mov_b32_e32 v131, 0
	ds_read_b128 v[131:134], v131 offset:208
	s_waitcnt lgkmcnt(0)
	v_mul_f64 v[136:137], v[3:4], v[133:134]
	v_mul_f64 v[133:134], v[1:2], v[133:134]
	v_fma_f64 v[1:2], v[1:2], v[131:132], -v[136:137]
	v_fma_f64 v[3:4], v[3:4], v[131:132], v[133:134]
	buffer_store_dword v2, off, s[0:3], 0 offset:212
	buffer_store_dword v1, off, s[0:3], 0 offset:208
	;; [unrolled: 1-line block ×4, first 2 shown]
.LBB61_663:
	s_or_b32 exec_lo, exec_lo, s6
	v_mov_b32_e32 v4, s59
	v_cmp_lt_u32_e64 s4, 12, v0
	s_clause 0x3
	buffer_load_dword v1, v4, s[0:3], 0 offen
	buffer_load_dword v2, v4, s[0:3], 0 offen offset:4
	buffer_load_dword v3, v4, s[0:3], 0 offen offset:8
	;; [unrolled: 1-line block ×3, first 2 shown]
	s_waitcnt vmcnt(0)
	ds_write_b128 v130, v[1:4]
	s_waitcnt lgkmcnt(0)
	s_waitcnt_vscnt null, 0x0
	s_barrier
	buffer_gl0_inv
	s_and_saveexec_b32 s6, s4
	s_cbranch_execz .LBB61_677
; %bb.664:
	ds_read_b128 v[1:4], v130
	s_andn2_b32 vcc_lo, exec_lo, s7
	s_cbranch_vccnz .LBB61_666
; %bb.665:
	s_clause 0x3
	buffer_load_dword v131, v129, s[0:3], 0 offen offset:8
	buffer_load_dword v132, v129, s[0:3], 0 offen offset:12
	buffer_load_dword v133, v129, s[0:3], 0 offen
	buffer_load_dword v134, v129, s[0:3], 0 offen offset:4
	s_waitcnt vmcnt(2) lgkmcnt(0)
	v_mul_f64 v[136:137], v[3:4], v[131:132]
	v_mul_f64 v[131:132], v[1:2], v[131:132]
	s_waitcnt vmcnt(0)
	v_fma_f64 v[1:2], v[1:2], v[133:134], -v[136:137]
	v_fma_f64 v[3:4], v[3:4], v[133:134], v[131:132]
.LBB61_666:
	s_and_saveexec_b32 s8, s5
	s_cbranch_execz .LBB61_676
; %bb.667:
	v_add_nc_u32_e32 v132, -14, v0
	v_add_nc_u32_e32 v131, -13, v0
	v_mov_b32_e32 v133, 13
	s_mov_b32 s5, exec_lo
	v_cmpx_lt_u32_e32 6, v132
	s_cbranch_execz .LBB61_671
; %bb.668:
	v_and_b32_e32 v132, -8, v131
	s_movk_i32 s72, 0x4b0
	s_mov_b32 s71, 0
	s_mov_b32 s73, s58
	;; [unrolled: 1-line block ×3, first 2 shown]
.LBB61_669:                             ; =>This Inner Loop Header: Depth=1
	v_mov_b32_e32 v136, s73
	v_mov_b32_e32 v182, s72
	s_add_i32 s75, s74, 8
	s_add_i32 s74, s74, 21
	v_cmp_eq_u32_e32 vcc_lo, s75, v132
	s_clause 0x1f
	buffer_load_dword v133, v136, s[0:3], 0 offen offset:8
	buffer_load_dword v134, v136, s[0:3], 0 offen offset:12
	buffer_load_dword v144, v136, s[0:3], 0 offen
	buffer_load_dword v145, v136, s[0:3], 0 offen offset:4
	buffer_load_dword v146, v136, s[0:3], 0 offen offset:24
	;; [unrolled: 1-line block ×29, first 2 shown]
	ds_read_b128 v[136:139], v182
	ds_read_b128 v[140:143], v182 offset:16
	s_addk_i32 s72, 0x80
	s_addk_i32 s73, 0x80
	s_or_b32 s71, vcc_lo, s71
	s_waitcnt vmcnt(30) lgkmcnt(1)
	v_mul_f64 v[174:175], v[138:139], v[133:134]
	v_mul_f64 v[133:134], v[136:137], v[133:134]
	s_waitcnt vmcnt(26) lgkmcnt(0)
	v_mul_f64 v[176:177], v[142:143], v[146:147]
	v_mul_f64 v[178:179], v[140:141], v[146:147]
	v_fma_f64 v[174:175], v[136:137], v[144:145], -v[174:175]
	v_fma_f64 v[133:134], v[138:139], v[144:145], v[133:134]
	ds_read_b128 v[136:139], v182 offset:32
	ds_read_b128 v[144:147], v182 offset:48
	s_waitcnt vmcnt(24)
	v_fma_f64 v[140:141], v[140:141], v[148:149], -v[176:177]
	v_fma_f64 v[142:143], v[142:143], v[148:149], v[178:179]
	s_waitcnt vmcnt(22) lgkmcnt(1)
	v_mul_f64 v[180:181], v[138:139], v[150:151]
	v_mul_f64 v[150:151], v[136:137], v[150:151]
	v_add_f64 v[1:2], v[1:2], v[174:175]
	v_add_f64 v[3:4], v[3:4], v[133:134]
	s_waitcnt vmcnt(18) lgkmcnt(0)
	v_mul_f64 v[133:134], v[146:147], v[154:155]
	v_mul_f64 v[148:149], v[144:145], v[154:155]
	v_fma_f64 v[154:155], v[136:137], v[152:153], -v[180:181]
	v_fma_f64 v[150:151], v[138:139], v[152:153], v[150:151]
	v_add_f64 v[140:141], v[1:2], v[140:141]
	v_add_f64 v[142:143], v[3:4], v[142:143]
	ds_read_b128 v[1:4], v182 offset:64
	ds_read_b128 v[136:139], v182 offset:80
	s_waitcnt vmcnt(16)
	v_fma_f64 v[133:134], v[144:145], v[156:157], -v[133:134]
	v_fma_f64 v[144:145], v[146:147], v[156:157], v[148:149]
	s_waitcnt vmcnt(12) lgkmcnt(1)
	v_mul_f64 v[152:153], v[3:4], v[158:159]
	v_mul_f64 v[158:159], v[1:2], v[158:159]
	v_add_f64 v[140:141], v[140:141], v[154:155]
	v_add_f64 v[142:143], v[142:143], v[150:151]
	s_waitcnt vmcnt(10) lgkmcnt(0)
	v_mul_f64 v[146:147], v[138:139], v[160:161]
	v_mul_f64 v[148:149], v[136:137], v[160:161]
	s_waitcnt vmcnt(8)
	v_fma_f64 v[150:151], v[1:2], v[164:165], -v[152:153]
	v_fma_f64 v[152:153], v[3:4], v[164:165], v[158:159]
	v_add_f64 v[133:134], v[140:141], v[133:134]
	v_add_f64 v[144:145], v[142:143], v[144:145]
	ds_read_b128 v[1:4], v182 offset:96
	ds_read_b128 v[140:143], v182 offset:112
	v_fma_f64 v[136:137], v[136:137], v[162:163], -v[146:147]
	v_fma_f64 v[138:139], v[138:139], v[162:163], v[148:149]
	s_waitcnt vmcnt(4) lgkmcnt(1)
	v_mul_f64 v[154:155], v[3:4], v[166:167]
	v_mul_f64 v[156:157], v[1:2], v[166:167]
	v_add_f64 v[133:134], v[133:134], v[150:151]
	v_add_f64 v[144:145], v[144:145], v[152:153]
	s_waitcnt vmcnt(2) lgkmcnt(0)
	v_mul_f64 v[146:147], v[142:143], v[168:169]
	v_mul_f64 v[148:149], v[140:141], v[168:169]
	s_waitcnt vmcnt(0)
	v_fma_f64 v[1:2], v[1:2], v[172:173], -v[154:155]
	v_fma_f64 v[3:4], v[3:4], v[172:173], v[156:157]
	v_add_f64 v[133:134], v[133:134], v[136:137]
	v_add_f64 v[136:137], v[144:145], v[138:139]
	v_fma_f64 v[138:139], v[140:141], v[170:171], -v[146:147]
	v_fma_f64 v[140:141], v[142:143], v[170:171], v[148:149]
	v_add_f64 v[1:2], v[133:134], v[1:2]
	v_add_f64 v[3:4], v[136:137], v[3:4]
	v_mov_b32_e32 v133, s74
	s_mov_b32 s74, s75
	v_add_f64 v[1:2], v[1:2], v[138:139]
	v_add_f64 v[3:4], v[3:4], v[140:141]
	s_andn2_b32 exec_lo, exec_lo, s71
	s_cbranch_execnz .LBB61_669
; %bb.670:
	s_or_b32 exec_lo, exec_lo, s71
.LBB61_671:
	s_or_b32 exec_lo, exec_lo, s5
	v_and_b32_e32 v131, 7, v131
	s_mov_b32 s71, 0
	s_mov_b32 s5, exec_lo
	v_cmpx_ne_u32_e32 0, v131
	s_cbranch_execz .LBB61_675
; %bb.672:
	v_lshlrev_b32_e32 v133, 4, v133
	v_add_nc_u32_e32 v132, 0x3e0, v133
	.p2align	6
.LBB61_673:                             ; =>This Inner Loop Header: Depth=1
	s_clause 0x3
	buffer_load_dword v140, v133, s[0:3], 0 offen offset:8
	buffer_load_dword v141, v133, s[0:3], 0 offen offset:12
	buffer_load_dword v142, v133, s[0:3], 0 offen
	buffer_load_dword v143, v133, s[0:3], 0 offen offset:4
	ds_read_b128 v[136:139], v132
	v_add_nc_u32_e32 v131, -1, v131
	v_add_nc_u32_e32 v132, 16, v132
	v_add_nc_u32_e32 v133, 16, v133
	v_cmp_eq_u32_e32 vcc_lo, 0, v131
	s_or_b32 s71, vcc_lo, s71
	s_waitcnt vmcnt(2) lgkmcnt(0)
	v_mul_f64 v[144:145], v[138:139], v[140:141]
	v_mul_f64 v[140:141], v[136:137], v[140:141]
	s_waitcnt vmcnt(0)
	v_fma_f64 v[136:137], v[136:137], v[142:143], -v[144:145]
	v_fma_f64 v[138:139], v[138:139], v[142:143], v[140:141]
	v_add_f64 v[1:2], v[1:2], v[136:137]
	v_add_f64 v[3:4], v[3:4], v[138:139]
	s_andn2_b32 exec_lo, exec_lo, s71
	s_cbranch_execnz .LBB61_673
; %bb.674:
	s_or_b32 exec_lo, exec_lo, s71
.LBB61_675:
	s_or_b32 exec_lo, exec_lo, s5
.LBB61_676:
	s_or_b32 exec_lo, exec_lo, s8
	v_mov_b32_e32 v131, 0
	ds_read_b128 v[131:134], v131 offset:192
	s_waitcnt lgkmcnt(0)
	v_mul_f64 v[136:137], v[3:4], v[133:134]
	v_mul_f64 v[133:134], v[1:2], v[133:134]
	v_fma_f64 v[1:2], v[1:2], v[131:132], -v[136:137]
	v_fma_f64 v[3:4], v[3:4], v[131:132], v[133:134]
	buffer_store_dword v2, off, s[0:3], 0 offset:196
	buffer_store_dword v1, off, s[0:3], 0 offset:192
	;; [unrolled: 1-line block ×4, first 2 shown]
.LBB61_677:
	s_or_b32 exec_lo, exec_lo, s6
	v_mov_b32_e32 v4, s60
	v_cmp_lt_u32_e64 s5, 11, v0
	s_clause 0x3
	buffer_load_dword v1, v4, s[0:3], 0 offen
	buffer_load_dword v2, v4, s[0:3], 0 offen offset:4
	buffer_load_dword v3, v4, s[0:3], 0 offen offset:8
	;; [unrolled: 1-line block ×3, first 2 shown]
	s_waitcnt vmcnt(0)
	ds_write_b128 v130, v[1:4]
	s_waitcnt lgkmcnt(0)
	s_waitcnt_vscnt null, 0x0
	s_barrier
	buffer_gl0_inv
	s_and_saveexec_b32 s6, s5
	s_cbranch_execz .LBB61_691
; %bb.678:
	ds_read_b128 v[1:4], v130
	s_andn2_b32 vcc_lo, exec_lo, s7
	s_cbranch_vccnz .LBB61_680
; %bb.679:
	s_clause 0x3
	buffer_load_dword v131, v129, s[0:3], 0 offen offset:8
	buffer_load_dword v132, v129, s[0:3], 0 offen offset:12
	buffer_load_dword v133, v129, s[0:3], 0 offen
	buffer_load_dword v134, v129, s[0:3], 0 offen offset:4
	s_waitcnt vmcnt(2) lgkmcnt(0)
	v_mul_f64 v[136:137], v[3:4], v[131:132]
	v_mul_f64 v[131:132], v[1:2], v[131:132]
	s_waitcnt vmcnt(0)
	v_fma_f64 v[1:2], v[1:2], v[133:134], -v[136:137]
	v_fma_f64 v[3:4], v[3:4], v[133:134], v[131:132]
.LBB61_680:
	s_and_saveexec_b32 s8, s4
	s_cbranch_execz .LBB61_690
; %bb.681:
	v_add_nc_u32_e32 v132, -13, v0
	v_add_nc_u32_e32 v131, -12, v0
	v_mov_b32_e32 v133, 12
	s_mov_b32 s4, exec_lo
	v_cmpx_lt_u32_e32 6, v132
	s_cbranch_execz .LBB61_685
; %bb.682:
	v_and_b32_e32 v132, -8, v131
	s_movk_i32 s72, 0x4a0
	s_mov_b32 s71, 0
	s_mov_b32 s73, s59
	;; [unrolled: 1-line block ×3, first 2 shown]
.LBB61_683:                             ; =>This Inner Loop Header: Depth=1
	v_mov_b32_e32 v136, s73
	v_mov_b32_e32 v182, s72
	s_add_i32 s75, s74, 8
	s_add_i32 s74, s74, 20
	v_cmp_eq_u32_e32 vcc_lo, s75, v132
	s_clause 0x1f
	buffer_load_dword v133, v136, s[0:3], 0 offen offset:8
	buffer_load_dword v134, v136, s[0:3], 0 offen offset:12
	buffer_load_dword v144, v136, s[0:3], 0 offen
	buffer_load_dword v145, v136, s[0:3], 0 offen offset:4
	buffer_load_dword v146, v136, s[0:3], 0 offen offset:24
	;; [unrolled: 1-line block ×29, first 2 shown]
	ds_read_b128 v[136:139], v182
	ds_read_b128 v[140:143], v182 offset:16
	s_addk_i32 s72, 0x80
	s_addk_i32 s73, 0x80
	s_or_b32 s71, vcc_lo, s71
	s_waitcnt vmcnt(30) lgkmcnt(1)
	v_mul_f64 v[174:175], v[138:139], v[133:134]
	v_mul_f64 v[133:134], v[136:137], v[133:134]
	s_waitcnt vmcnt(26) lgkmcnt(0)
	v_mul_f64 v[176:177], v[142:143], v[146:147]
	v_mul_f64 v[178:179], v[140:141], v[146:147]
	v_fma_f64 v[174:175], v[136:137], v[144:145], -v[174:175]
	v_fma_f64 v[133:134], v[138:139], v[144:145], v[133:134]
	ds_read_b128 v[136:139], v182 offset:32
	ds_read_b128 v[144:147], v182 offset:48
	s_waitcnt vmcnt(24)
	v_fma_f64 v[140:141], v[140:141], v[148:149], -v[176:177]
	v_fma_f64 v[142:143], v[142:143], v[148:149], v[178:179]
	s_waitcnt vmcnt(22) lgkmcnt(1)
	v_mul_f64 v[180:181], v[138:139], v[150:151]
	v_mul_f64 v[150:151], v[136:137], v[150:151]
	v_add_f64 v[1:2], v[1:2], v[174:175]
	v_add_f64 v[3:4], v[3:4], v[133:134]
	s_waitcnt vmcnt(18) lgkmcnt(0)
	v_mul_f64 v[133:134], v[146:147], v[154:155]
	v_mul_f64 v[148:149], v[144:145], v[154:155]
	v_fma_f64 v[154:155], v[136:137], v[152:153], -v[180:181]
	v_fma_f64 v[150:151], v[138:139], v[152:153], v[150:151]
	v_add_f64 v[140:141], v[1:2], v[140:141]
	v_add_f64 v[142:143], v[3:4], v[142:143]
	ds_read_b128 v[1:4], v182 offset:64
	ds_read_b128 v[136:139], v182 offset:80
	s_waitcnt vmcnt(16)
	v_fma_f64 v[133:134], v[144:145], v[156:157], -v[133:134]
	v_fma_f64 v[144:145], v[146:147], v[156:157], v[148:149]
	s_waitcnt vmcnt(12) lgkmcnt(1)
	v_mul_f64 v[152:153], v[3:4], v[158:159]
	v_mul_f64 v[158:159], v[1:2], v[158:159]
	v_add_f64 v[140:141], v[140:141], v[154:155]
	v_add_f64 v[142:143], v[142:143], v[150:151]
	s_waitcnt vmcnt(10) lgkmcnt(0)
	v_mul_f64 v[146:147], v[138:139], v[160:161]
	v_mul_f64 v[148:149], v[136:137], v[160:161]
	s_waitcnt vmcnt(8)
	v_fma_f64 v[150:151], v[1:2], v[164:165], -v[152:153]
	v_fma_f64 v[152:153], v[3:4], v[164:165], v[158:159]
	v_add_f64 v[133:134], v[140:141], v[133:134]
	v_add_f64 v[144:145], v[142:143], v[144:145]
	ds_read_b128 v[1:4], v182 offset:96
	ds_read_b128 v[140:143], v182 offset:112
	v_fma_f64 v[136:137], v[136:137], v[162:163], -v[146:147]
	v_fma_f64 v[138:139], v[138:139], v[162:163], v[148:149]
	s_waitcnt vmcnt(4) lgkmcnt(1)
	v_mul_f64 v[154:155], v[3:4], v[166:167]
	v_mul_f64 v[156:157], v[1:2], v[166:167]
	v_add_f64 v[133:134], v[133:134], v[150:151]
	v_add_f64 v[144:145], v[144:145], v[152:153]
	s_waitcnt vmcnt(2) lgkmcnt(0)
	v_mul_f64 v[146:147], v[142:143], v[168:169]
	v_mul_f64 v[148:149], v[140:141], v[168:169]
	s_waitcnt vmcnt(0)
	v_fma_f64 v[1:2], v[1:2], v[172:173], -v[154:155]
	v_fma_f64 v[3:4], v[3:4], v[172:173], v[156:157]
	v_add_f64 v[133:134], v[133:134], v[136:137]
	v_add_f64 v[136:137], v[144:145], v[138:139]
	v_fma_f64 v[138:139], v[140:141], v[170:171], -v[146:147]
	v_fma_f64 v[140:141], v[142:143], v[170:171], v[148:149]
	v_add_f64 v[1:2], v[133:134], v[1:2]
	v_add_f64 v[3:4], v[136:137], v[3:4]
	v_mov_b32_e32 v133, s74
	s_mov_b32 s74, s75
	v_add_f64 v[1:2], v[1:2], v[138:139]
	v_add_f64 v[3:4], v[3:4], v[140:141]
	s_andn2_b32 exec_lo, exec_lo, s71
	s_cbranch_execnz .LBB61_683
; %bb.684:
	s_or_b32 exec_lo, exec_lo, s71
.LBB61_685:
	s_or_b32 exec_lo, exec_lo, s4
	v_and_b32_e32 v131, 7, v131
	s_mov_b32 s71, 0
	s_mov_b32 s4, exec_lo
	v_cmpx_ne_u32_e32 0, v131
	s_cbranch_execz .LBB61_689
; %bb.686:
	v_lshlrev_b32_e32 v133, 4, v133
	v_add_nc_u32_e32 v132, 0x3e0, v133
	.p2align	6
.LBB61_687:                             ; =>This Inner Loop Header: Depth=1
	s_clause 0x3
	buffer_load_dword v140, v133, s[0:3], 0 offen offset:8
	buffer_load_dword v141, v133, s[0:3], 0 offen offset:12
	buffer_load_dword v142, v133, s[0:3], 0 offen
	buffer_load_dword v143, v133, s[0:3], 0 offen offset:4
	ds_read_b128 v[136:139], v132
	v_add_nc_u32_e32 v131, -1, v131
	v_add_nc_u32_e32 v132, 16, v132
	v_add_nc_u32_e32 v133, 16, v133
	v_cmp_eq_u32_e32 vcc_lo, 0, v131
	s_or_b32 s71, vcc_lo, s71
	s_waitcnt vmcnt(2) lgkmcnt(0)
	v_mul_f64 v[144:145], v[138:139], v[140:141]
	v_mul_f64 v[140:141], v[136:137], v[140:141]
	s_waitcnt vmcnt(0)
	v_fma_f64 v[136:137], v[136:137], v[142:143], -v[144:145]
	v_fma_f64 v[138:139], v[138:139], v[142:143], v[140:141]
	v_add_f64 v[1:2], v[1:2], v[136:137]
	v_add_f64 v[3:4], v[3:4], v[138:139]
	s_andn2_b32 exec_lo, exec_lo, s71
	s_cbranch_execnz .LBB61_687
; %bb.688:
	s_or_b32 exec_lo, exec_lo, s71
.LBB61_689:
	s_or_b32 exec_lo, exec_lo, s4
.LBB61_690:
	s_or_b32 exec_lo, exec_lo, s8
	v_mov_b32_e32 v131, 0
	ds_read_b128 v[131:134], v131 offset:176
	s_waitcnt lgkmcnt(0)
	v_mul_f64 v[136:137], v[3:4], v[133:134]
	v_mul_f64 v[133:134], v[1:2], v[133:134]
	v_fma_f64 v[1:2], v[1:2], v[131:132], -v[136:137]
	v_fma_f64 v[3:4], v[3:4], v[131:132], v[133:134]
	buffer_store_dword v2, off, s[0:3], 0 offset:180
	buffer_store_dword v1, off, s[0:3], 0 offset:176
	;; [unrolled: 1-line block ×4, first 2 shown]
.LBB61_691:
	s_or_b32 exec_lo, exec_lo, s6
	v_mov_b32_e32 v4, s61
	v_cmp_lt_u32_e64 s4, 10, v0
	s_clause 0x3
	buffer_load_dword v1, v4, s[0:3], 0 offen
	buffer_load_dword v2, v4, s[0:3], 0 offen offset:4
	buffer_load_dword v3, v4, s[0:3], 0 offen offset:8
	;; [unrolled: 1-line block ×3, first 2 shown]
	s_waitcnt vmcnt(0)
	ds_write_b128 v130, v[1:4]
	s_waitcnt lgkmcnt(0)
	s_waitcnt_vscnt null, 0x0
	s_barrier
	buffer_gl0_inv
	s_and_saveexec_b32 s6, s4
	s_cbranch_execz .LBB61_705
; %bb.692:
	ds_read_b128 v[1:4], v130
	s_andn2_b32 vcc_lo, exec_lo, s7
	s_cbranch_vccnz .LBB61_694
; %bb.693:
	s_clause 0x3
	buffer_load_dword v131, v129, s[0:3], 0 offen offset:8
	buffer_load_dword v132, v129, s[0:3], 0 offen offset:12
	buffer_load_dword v133, v129, s[0:3], 0 offen
	buffer_load_dword v134, v129, s[0:3], 0 offen offset:4
	s_waitcnt vmcnt(2) lgkmcnt(0)
	v_mul_f64 v[136:137], v[3:4], v[131:132]
	v_mul_f64 v[131:132], v[1:2], v[131:132]
	s_waitcnt vmcnt(0)
	v_fma_f64 v[1:2], v[1:2], v[133:134], -v[136:137]
	v_fma_f64 v[3:4], v[3:4], v[133:134], v[131:132]
.LBB61_694:
	s_and_saveexec_b32 s8, s5
	s_cbranch_execz .LBB61_704
; %bb.695:
	v_add_nc_u32_e32 v132, -12, v0
	v_add_nc_u32_e32 v131, -11, v0
	v_mov_b32_e32 v133, 11
	s_mov_b32 s5, exec_lo
	v_cmpx_lt_u32_e32 6, v132
	s_cbranch_execz .LBB61_699
; %bb.696:
	v_and_b32_e32 v132, -8, v131
	s_movk_i32 s72, 0x490
	s_mov_b32 s71, 0
	s_mov_b32 s73, s60
	;; [unrolled: 1-line block ×3, first 2 shown]
.LBB61_697:                             ; =>This Inner Loop Header: Depth=1
	v_mov_b32_e32 v136, s73
	v_mov_b32_e32 v182, s72
	s_add_i32 s75, s74, 8
	s_add_i32 s74, s74, 19
	v_cmp_eq_u32_e32 vcc_lo, s75, v132
	s_clause 0x1f
	buffer_load_dword v133, v136, s[0:3], 0 offen offset:8
	buffer_load_dword v134, v136, s[0:3], 0 offen offset:12
	buffer_load_dword v144, v136, s[0:3], 0 offen
	buffer_load_dword v145, v136, s[0:3], 0 offen offset:4
	buffer_load_dword v146, v136, s[0:3], 0 offen offset:24
	;; [unrolled: 1-line block ×29, first 2 shown]
	ds_read_b128 v[136:139], v182
	ds_read_b128 v[140:143], v182 offset:16
	s_addk_i32 s72, 0x80
	s_addk_i32 s73, 0x80
	s_or_b32 s71, vcc_lo, s71
	s_waitcnt vmcnt(30) lgkmcnt(1)
	v_mul_f64 v[174:175], v[138:139], v[133:134]
	v_mul_f64 v[133:134], v[136:137], v[133:134]
	s_waitcnt vmcnt(26) lgkmcnt(0)
	v_mul_f64 v[176:177], v[142:143], v[146:147]
	v_mul_f64 v[178:179], v[140:141], v[146:147]
	v_fma_f64 v[174:175], v[136:137], v[144:145], -v[174:175]
	v_fma_f64 v[133:134], v[138:139], v[144:145], v[133:134]
	ds_read_b128 v[136:139], v182 offset:32
	ds_read_b128 v[144:147], v182 offset:48
	s_waitcnt vmcnt(24)
	v_fma_f64 v[140:141], v[140:141], v[148:149], -v[176:177]
	v_fma_f64 v[142:143], v[142:143], v[148:149], v[178:179]
	s_waitcnt vmcnt(22) lgkmcnt(1)
	v_mul_f64 v[180:181], v[138:139], v[150:151]
	v_mul_f64 v[150:151], v[136:137], v[150:151]
	v_add_f64 v[1:2], v[1:2], v[174:175]
	v_add_f64 v[3:4], v[3:4], v[133:134]
	s_waitcnt vmcnt(18) lgkmcnt(0)
	v_mul_f64 v[133:134], v[146:147], v[154:155]
	v_mul_f64 v[148:149], v[144:145], v[154:155]
	v_fma_f64 v[154:155], v[136:137], v[152:153], -v[180:181]
	v_fma_f64 v[150:151], v[138:139], v[152:153], v[150:151]
	v_add_f64 v[140:141], v[1:2], v[140:141]
	v_add_f64 v[142:143], v[3:4], v[142:143]
	ds_read_b128 v[1:4], v182 offset:64
	ds_read_b128 v[136:139], v182 offset:80
	s_waitcnt vmcnt(16)
	v_fma_f64 v[133:134], v[144:145], v[156:157], -v[133:134]
	v_fma_f64 v[144:145], v[146:147], v[156:157], v[148:149]
	s_waitcnt vmcnt(12) lgkmcnt(1)
	v_mul_f64 v[152:153], v[3:4], v[158:159]
	v_mul_f64 v[158:159], v[1:2], v[158:159]
	v_add_f64 v[140:141], v[140:141], v[154:155]
	v_add_f64 v[142:143], v[142:143], v[150:151]
	s_waitcnt vmcnt(10) lgkmcnt(0)
	v_mul_f64 v[146:147], v[138:139], v[160:161]
	v_mul_f64 v[148:149], v[136:137], v[160:161]
	s_waitcnt vmcnt(8)
	v_fma_f64 v[150:151], v[1:2], v[164:165], -v[152:153]
	v_fma_f64 v[152:153], v[3:4], v[164:165], v[158:159]
	v_add_f64 v[133:134], v[140:141], v[133:134]
	v_add_f64 v[144:145], v[142:143], v[144:145]
	ds_read_b128 v[1:4], v182 offset:96
	ds_read_b128 v[140:143], v182 offset:112
	v_fma_f64 v[136:137], v[136:137], v[162:163], -v[146:147]
	v_fma_f64 v[138:139], v[138:139], v[162:163], v[148:149]
	s_waitcnt vmcnt(4) lgkmcnt(1)
	v_mul_f64 v[154:155], v[3:4], v[166:167]
	v_mul_f64 v[156:157], v[1:2], v[166:167]
	v_add_f64 v[133:134], v[133:134], v[150:151]
	v_add_f64 v[144:145], v[144:145], v[152:153]
	s_waitcnt vmcnt(2) lgkmcnt(0)
	v_mul_f64 v[146:147], v[142:143], v[168:169]
	v_mul_f64 v[148:149], v[140:141], v[168:169]
	s_waitcnt vmcnt(0)
	v_fma_f64 v[1:2], v[1:2], v[172:173], -v[154:155]
	v_fma_f64 v[3:4], v[3:4], v[172:173], v[156:157]
	v_add_f64 v[133:134], v[133:134], v[136:137]
	v_add_f64 v[136:137], v[144:145], v[138:139]
	v_fma_f64 v[138:139], v[140:141], v[170:171], -v[146:147]
	v_fma_f64 v[140:141], v[142:143], v[170:171], v[148:149]
	v_add_f64 v[1:2], v[133:134], v[1:2]
	v_add_f64 v[3:4], v[136:137], v[3:4]
	v_mov_b32_e32 v133, s74
	s_mov_b32 s74, s75
	v_add_f64 v[1:2], v[1:2], v[138:139]
	v_add_f64 v[3:4], v[3:4], v[140:141]
	s_andn2_b32 exec_lo, exec_lo, s71
	s_cbranch_execnz .LBB61_697
; %bb.698:
	s_or_b32 exec_lo, exec_lo, s71
.LBB61_699:
	s_or_b32 exec_lo, exec_lo, s5
	v_and_b32_e32 v131, 7, v131
	s_mov_b32 s71, 0
	s_mov_b32 s5, exec_lo
	v_cmpx_ne_u32_e32 0, v131
	s_cbranch_execz .LBB61_703
; %bb.700:
	v_lshlrev_b32_e32 v133, 4, v133
	v_add_nc_u32_e32 v132, 0x3e0, v133
	.p2align	6
.LBB61_701:                             ; =>This Inner Loop Header: Depth=1
	s_clause 0x3
	buffer_load_dword v140, v133, s[0:3], 0 offen offset:8
	buffer_load_dword v141, v133, s[0:3], 0 offen offset:12
	buffer_load_dword v142, v133, s[0:3], 0 offen
	buffer_load_dword v143, v133, s[0:3], 0 offen offset:4
	ds_read_b128 v[136:139], v132
	v_add_nc_u32_e32 v131, -1, v131
	v_add_nc_u32_e32 v132, 16, v132
	v_add_nc_u32_e32 v133, 16, v133
	v_cmp_eq_u32_e32 vcc_lo, 0, v131
	s_or_b32 s71, vcc_lo, s71
	s_waitcnt vmcnt(2) lgkmcnt(0)
	v_mul_f64 v[144:145], v[138:139], v[140:141]
	v_mul_f64 v[140:141], v[136:137], v[140:141]
	s_waitcnt vmcnt(0)
	v_fma_f64 v[136:137], v[136:137], v[142:143], -v[144:145]
	v_fma_f64 v[138:139], v[138:139], v[142:143], v[140:141]
	v_add_f64 v[1:2], v[1:2], v[136:137]
	v_add_f64 v[3:4], v[3:4], v[138:139]
	s_andn2_b32 exec_lo, exec_lo, s71
	s_cbranch_execnz .LBB61_701
; %bb.702:
	s_or_b32 exec_lo, exec_lo, s71
.LBB61_703:
	s_or_b32 exec_lo, exec_lo, s5
.LBB61_704:
	s_or_b32 exec_lo, exec_lo, s8
	v_mov_b32_e32 v131, 0
	ds_read_b128 v[131:134], v131 offset:160
	s_waitcnt lgkmcnt(0)
	v_mul_f64 v[136:137], v[3:4], v[133:134]
	v_mul_f64 v[133:134], v[1:2], v[133:134]
	v_fma_f64 v[1:2], v[1:2], v[131:132], -v[136:137]
	v_fma_f64 v[3:4], v[3:4], v[131:132], v[133:134]
	buffer_store_dword v2, off, s[0:3], 0 offset:164
	buffer_store_dword v1, off, s[0:3], 0 offset:160
	;; [unrolled: 1-line block ×4, first 2 shown]
.LBB61_705:
	s_or_b32 exec_lo, exec_lo, s6
	v_mov_b32_e32 v4, s62
	v_cmp_lt_u32_e64 s5, 9, v0
	s_clause 0x3
	buffer_load_dword v1, v4, s[0:3], 0 offen
	buffer_load_dword v2, v4, s[0:3], 0 offen offset:4
	buffer_load_dword v3, v4, s[0:3], 0 offen offset:8
	;; [unrolled: 1-line block ×3, first 2 shown]
	s_waitcnt vmcnt(0)
	ds_write_b128 v130, v[1:4]
	s_waitcnt lgkmcnt(0)
	s_waitcnt_vscnt null, 0x0
	s_barrier
	buffer_gl0_inv
	s_and_saveexec_b32 s6, s5
	s_cbranch_execz .LBB61_719
; %bb.706:
	ds_read_b128 v[1:4], v130
	s_andn2_b32 vcc_lo, exec_lo, s7
	s_cbranch_vccnz .LBB61_708
; %bb.707:
	s_clause 0x3
	buffer_load_dword v131, v129, s[0:3], 0 offen offset:8
	buffer_load_dword v132, v129, s[0:3], 0 offen offset:12
	buffer_load_dword v133, v129, s[0:3], 0 offen
	buffer_load_dword v134, v129, s[0:3], 0 offen offset:4
	s_waitcnt vmcnt(2) lgkmcnt(0)
	v_mul_f64 v[136:137], v[3:4], v[131:132]
	v_mul_f64 v[131:132], v[1:2], v[131:132]
	s_waitcnt vmcnt(0)
	v_fma_f64 v[1:2], v[1:2], v[133:134], -v[136:137]
	v_fma_f64 v[3:4], v[3:4], v[133:134], v[131:132]
.LBB61_708:
	s_and_saveexec_b32 s8, s4
	s_cbranch_execz .LBB61_718
; %bb.709:
	v_add_nc_u32_e32 v132, -11, v0
	v_add_nc_u32_e32 v131, -10, v0
	v_mov_b32_e32 v133, 10
	s_mov_b32 s4, exec_lo
	v_cmpx_lt_u32_e32 6, v132
	s_cbranch_execz .LBB61_713
; %bb.710:
	v_and_b32_e32 v132, -8, v131
	s_movk_i32 s72, 0x480
	s_mov_b32 s71, 0
	s_mov_b32 s73, s61
	;; [unrolled: 1-line block ×3, first 2 shown]
.LBB61_711:                             ; =>This Inner Loop Header: Depth=1
	v_mov_b32_e32 v136, s73
	v_mov_b32_e32 v182, s72
	s_add_i32 s75, s74, 8
	s_add_i32 s74, s74, 18
	v_cmp_eq_u32_e32 vcc_lo, s75, v132
	s_clause 0x1f
	buffer_load_dword v133, v136, s[0:3], 0 offen offset:8
	buffer_load_dword v134, v136, s[0:3], 0 offen offset:12
	buffer_load_dword v144, v136, s[0:3], 0 offen
	buffer_load_dword v145, v136, s[0:3], 0 offen offset:4
	buffer_load_dword v146, v136, s[0:3], 0 offen offset:24
	;; [unrolled: 1-line block ×29, first 2 shown]
	ds_read_b128 v[136:139], v182
	ds_read_b128 v[140:143], v182 offset:16
	s_addk_i32 s72, 0x80
	s_addk_i32 s73, 0x80
	s_or_b32 s71, vcc_lo, s71
	s_waitcnt vmcnt(30) lgkmcnt(1)
	v_mul_f64 v[174:175], v[138:139], v[133:134]
	v_mul_f64 v[133:134], v[136:137], v[133:134]
	s_waitcnt vmcnt(26) lgkmcnt(0)
	v_mul_f64 v[176:177], v[142:143], v[146:147]
	v_mul_f64 v[178:179], v[140:141], v[146:147]
	v_fma_f64 v[174:175], v[136:137], v[144:145], -v[174:175]
	v_fma_f64 v[133:134], v[138:139], v[144:145], v[133:134]
	ds_read_b128 v[136:139], v182 offset:32
	ds_read_b128 v[144:147], v182 offset:48
	s_waitcnt vmcnt(24)
	v_fma_f64 v[140:141], v[140:141], v[148:149], -v[176:177]
	v_fma_f64 v[142:143], v[142:143], v[148:149], v[178:179]
	s_waitcnt vmcnt(22) lgkmcnt(1)
	v_mul_f64 v[180:181], v[138:139], v[150:151]
	v_mul_f64 v[150:151], v[136:137], v[150:151]
	v_add_f64 v[1:2], v[1:2], v[174:175]
	v_add_f64 v[3:4], v[3:4], v[133:134]
	s_waitcnt vmcnt(18) lgkmcnt(0)
	v_mul_f64 v[133:134], v[146:147], v[154:155]
	v_mul_f64 v[148:149], v[144:145], v[154:155]
	v_fma_f64 v[154:155], v[136:137], v[152:153], -v[180:181]
	v_fma_f64 v[150:151], v[138:139], v[152:153], v[150:151]
	v_add_f64 v[140:141], v[1:2], v[140:141]
	v_add_f64 v[142:143], v[3:4], v[142:143]
	ds_read_b128 v[1:4], v182 offset:64
	ds_read_b128 v[136:139], v182 offset:80
	s_waitcnt vmcnt(16)
	v_fma_f64 v[133:134], v[144:145], v[156:157], -v[133:134]
	v_fma_f64 v[144:145], v[146:147], v[156:157], v[148:149]
	s_waitcnt vmcnt(12) lgkmcnt(1)
	v_mul_f64 v[152:153], v[3:4], v[158:159]
	v_mul_f64 v[158:159], v[1:2], v[158:159]
	v_add_f64 v[140:141], v[140:141], v[154:155]
	v_add_f64 v[142:143], v[142:143], v[150:151]
	s_waitcnt vmcnt(10) lgkmcnt(0)
	v_mul_f64 v[146:147], v[138:139], v[160:161]
	v_mul_f64 v[148:149], v[136:137], v[160:161]
	s_waitcnt vmcnt(8)
	v_fma_f64 v[150:151], v[1:2], v[164:165], -v[152:153]
	v_fma_f64 v[152:153], v[3:4], v[164:165], v[158:159]
	v_add_f64 v[133:134], v[140:141], v[133:134]
	v_add_f64 v[144:145], v[142:143], v[144:145]
	ds_read_b128 v[1:4], v182 offset:96
	ds_read_b128 v[140:143], v182 offset:112
	v_fma_f64 v[136:137], v[136:137], v[162:163], -v[146:147]
	v_fma_f64 v[138:139], v[138:139], v[162:163], v[148:149]
	s_waitcnt vmcnt(4) lgkmcnt(1)
	v_mul_f64 v[154:155], v[3:4], v[166:167]
	v_mul_f64 v[156:157], v[1:2], v[166:167]
	v_add_f64 v[133:134], v[133:134], v[150:151]
	v_add_f64 v[144:145], v[144:145], v[152:153]
	s_waitcnt vmcnt(2) lgkmcnt(0)
	v_mul_f64 v[146:147], v[142:143], v[168:169]
	v_mul_f64 v[148:149], v[140:141], v[168:169]
	s_waitcnt vmcnt(0)
	v_fma_f64 v[1:2], v[1:2], v[172:173], -v[154:155]
	v_fma_f64 v[3:4], v[3:4], v[172:173], v[156:157]
	v_add_f64 v[133:134], v[133:134], v[136:137]
	v_add_f64 v[136:137], v[144:145], v[138:139]
	v_fma_f64 v[138:139], v[140:141], v[170:171], -v[146:147]
	v_fma_f64 v[140:141], v[142:143], v[170:171], v[148:149]
	v_add_f64 v[1:2], v[133:134], v[1:2]
	v_add_f64 v[3:4], v[136:137], v[3:4]
	v_mov_b32_e32 v133, s74
	s_mov_b32 s74, s75
	v_add_f64 v[1:2], v[1:2], v[138:139]
	v_add_f64 v[3:4], v[3:4], v[140:141]
	s_andn2_b32 exec_lo, exec_lo, s71
	s_cbranch_execnz .LBB61_711
; %bb.712:
	s_or_b32 exec_lo, exec_lo, s71
.LBB61_713:
	s_or_b32 exec_lo, exec_lo, s4
	v_and_b32_e32 v131, 7, v131
	s_mov_b32 s71, 0
	s_mov_b32 s4, exec_lo
	v_cmpx_ne_u32_e32 0, v131
	s_cbranch_execz .LBB61_717
; %bb.714:
	v_lshlrev_b32_e32 v133, 4, v133
	v_add_nc_u32_e32 v132, 0x3e0, v133
	.p2align	6
.LBB61_715:                             ; =>This Inner Loop Header: Depth=1
	s_clause 0x3
	buffer_load_dword v140, v133, s[0:3], 0 offen offset:8
	buffer_load_dword v141, v133, s[0:3], 0 offen offset:12
	buffer_load_dword v142, v133, s[0:3], 0 offen
	buffer_load_dword v143, v133, s[0:3], 0 offen offset:4
	ds_read_b128 v[136:139], v132
	v_add_nc_u32_e32 v131, -1, v131
	v_add_nc_u32_e32 v132, 16, v132
	v_add_nc_u32_e32 v133, 16, v133
	v_cmp_eq_u32_e32 vcc_lo, 0, v131
	s_or_b32 s71, vcc_lo, s71
	s_waitcnt vmcnt(2) lgkmcnt(0)
	v_mul_f64 v[144:145], v[138:139], v[140:141]
	v_mul_f64 v[140:141], v[136:137], v[140:141]
	s_waitcnt vmcnt(0)
	v_fma_f64 v[136:137], v[136:137], v[142:143], -v[144:145]
	v_fma_f64 v[138:139], v[138:139], v[142:143], v[140:141]
	v_add_f64 v[1:2], v[1:2], v[136:137]
	v_add_f64 v[3:4], v[3:4], v[138:139]
	s_andn2_b32 exec_lo, exec_lo, s71
	s_cbranch_execnz .LBB61_715
; %bb.716:
	s_or_b32 exec_lo, exec_lo, s71
.LBB61_717:
	s_or_b32 exec_lo, exec_lo, s4
.LBB61_718:
	s_or_b32 exec_lo, exec_lo, s8
	v_mov_b32_e32 v131, 0
	ds_read_b128 v[131:134], v131 offset:144
	s_waitcnt lgkmcnt(0)
	v_mul_f64 v[136:137], v[3:4], v[133:134]
	v_mul_f64 v[133:134], v[1:2], v[133:134]
	v_fma_f64 v[1:2], v[1:2], v[131:132], -v[136:137]
	v_fma_f64 v[3:4], v[3:4], v[131:132], v[133:134]
	buffer_store_dword v2, off, s[0:3], 0 offset:148
	buffer_store_dword v1, off, s[0:3], 0 offset:144
	;; [unrolled: 1-line block ×4, first 2 shown]
.LBB61_719:
	s_or_b32 exec_lo, exec_lo, s6
	v_mov_b32_e32 v4, s63
	v_cmp_lt_u32_e64 s4, 8, v0
	s_clause 0x3
	buffer_load_dword v1, v4, s[0:3], 0 offen
	buffer_load_dword v2, v4, s[0:3], 0 offen offset:4
	buffer_load_dword v3, v4, s[0:3], 0 offen offset:8
	;; [unrolled: 1-line block ×3, first 2 shown]
	s_waitcnt vmcnt(0)
	ds_write_b128 v130, v[1:4]
	s_waitcnt lgkmcnt(0)
	s_waitcnt_vscnt null, 0x0
	s_barrier
	buffer_gl0_inv
	s_and_saveexec_b32 s6, s4
	s_cbranch_execz .LBB61_733
; %bb.720:
	ds_read_b128 v[1:4], v130
	s_andn2_b32 vcc_lo, exec_lo, s7
	s_cbranch_vccnz .LBB61_722
; %bb.721:
	s_clause 0x3
	buffer_load_dword v131, v129, s[0:3], 0 offen offset:8
	buffer_load_dword v132, v129, s[0:3], 0 offen offset:12
	buffer_load_dword v133, v129, s[0:3], 0 offen
	buffer_load_dword v134, v129, s[0:3], 0 offen offset:4
	s_waitcnt vmcnt(2) lgkmcnt(0)
	v_mul_f64 v[136:137], v[3:4], v[131:132]
	v_mul_f64 v[131:132], v[1:2], v[131:132]
	s_waitcnt vmcnt(0)
	v_fma_f64 v[1:2], v[1:2], v[133:134], -v[136:137]
	v_fma_f64 v[3:4], v[3:4], v[133:134], v[131:132]
.LBB61_722:
	s_and_saveexec_b32 s8, s5
	s_cbranch_execz .LBB61_732
; %bb.723:
	v_add_nc_u32_e32 v132, -10, v0
	v_add_nc_u32_e32 v131, -9, v0
	v_mov_b32_e32 v133, 9
	s_mov_b32 s5, exec_lo
	v_cmpx_lt_u32_e32 6, v132
	s_cbranch_execz .LBB61_727
; %bb.724:
	v_and_b32_e32 v132, -8, v131
	s_movk_i32 s72, 0x470
	s_mov_b32 s71, 0
	s_mov_b32 s73, s62
	;; [unrolled: 1-line block ×3, first 2 shown]
.LBB61_725:                             ; =>This Inner Loop Header: Depth=1
	v_mov_b32_e32 v136, s73
	v_mov_b32_e32 v182, s72
	s_add_i32 s75, s74, 8
	s_add_i32 s74, s74, 17
	v_cmp_eq_u32_e32 vcc_lo, s75, v132
	s_clause 0x1f
	buffer_load_dword v133, v136, s[0:3], 0 offen offset:8
	buffer_load_dword v134, v136, s[0:3], 0 offen offset:12
	buffer_load_dword v144, v136, s[0:3], 0 offen
	buffer_load_dword v145, v136, s[0:3], 0 offen offset:4
	buffer_load_dword v146, v136, s[0:3], 0 offen offset:24
	;; [unrolled: 1-line block ×29, first 2 shown]
	ds_read_b128 v[136:139], v182
	ds_read_b128 v[140:143], v182 offset:16
	s_addk_i32 s72, 0x80
	s_addk_i32 s73, 0x80
	s_or_b32 s71, vcc_lo, s71
	s_waitcnt vmcnt(30) lgkmcnt(1)
	v_mul_f64 v[174:175], v[138:139], v[133:134]
	v_mul_f64 v[133:134], v[136:137], v[133:134]
	s_waitcnt vmcnt(26) lgkmcnt(0)
	v_mul_f64 v[176:177], v[142:143], v[146:147]
	v_mul_f64 v[178:179], v[140:141], v[146:147]
	v_fma_f64 v[174:175], v[136:137], v[144:145], -v[174:175]
	v_fma_f64 v[133:134], v[138:139], v[144:145], v[133:134]
	ds_read_b128 v[136:139], v182 offset:32
	ds_read_b128 v[144:147], v182 offset:48
	s_waitcnt vmcnt(24)
	v_fma_f64 v[140:141], v[140:141], v[148:149], -v[176:177]
	v_fma_f64 v[142:143], v[142:143], v[148:149], v[178:179]
	s_waitcnt vmcnt(22) lgkmcnt(1)
	v_mul_f64 v[180:181], v[138:139], v[150:151]
	v_mul_f64 v[150:151], v[136:137], v[150:151]
	v_add_f64 v[1:2], v[1:2], v[174:175]
	v_add_f64 v[3:4], v[3:4], v[133:134]
	s_waitcnt vmcnt(18) lgkmcnt(0)
	v_mul_f64 v[133:134], v[146:147], v[154:155]
	v_mul_f64 v[148:149], v[144:145], v[154:155]
	v_fma_f64 v[154:155], v[136:137], v[152:153], -v[180:181]
	v_fma_f64 v[150:151], v[138:139], v[152:153], v[150:151]
	v_add_f64 v[140:141], v[1:2], v[140:141]
	v_add_f64 v[142:143], v[3:4], v[142:143]
	ds_read_b128 v[1:4], v182 offset:64
	ds_read_b128 v[136:139], v182 offset:80
	s_waitcnt vmcnt(16)
	v_fma_f64 v[133:134], v[144:145], v[156:157], -v[133:134]
	v_fma_f64 v[144:145], v[146:147], v[156:157], v[148:149]
	s_waitcnt vmcnt(12) lgkmcnt(1)
	v_mul_f64 v[152:153], v[3:4], v[158:159]
	v_mul_f64 v[158:159], v[1:2], v[158:159]
	v_add_f64 v[140:141], v[140:141], v[154:155]
	v_add_f64 v[142:143], v[142:143], v[150:151]
	s_waitcnt vmcnt(10) lgkmcnt(0)
	v_mul_f64 v[146:147], v[138:139], v[160:161]
	v_mul_f64 v[148:149], v[136:137], v[160:161]
	s_waitcnt vmcnt(8)
	v_fma_f64 v[150:151], v[1:2], v[164:165], -v[152:153]
	v_fma_f64 v[152:153], v[3:4], v[164:165], v[158:159]
	v_add_f64 v[133:134], v[140:141], v[133:134]
	v_add_f64 v[144:145], v[142:143], v[144:145]
	ds_read_b128 v[1:4], v182 offset:96
	ds_read_b128 v[140:143], v182 offset:112
	v_fma_f64 v[136:137], v[136:137], v[162:163], -v[146:147]
	v_fma_f64 v[138:139], v[138:139], v[162:163], v[148:149]
	s_waitcnt vmcnt(4) lgkmcnt(1)
	v_mul_f64 v[154:155], v[3:4], v[166:167]
	v_mul_f64 v[156:157], v[1:2], v[166:167]
	v_add_f64 v[133:134], v[133:134], v[150:151]
	v_add_f64 v[144:145], v[144:145], v[152:153]
	s_waitcnt vmcnt(2) lgkmcnt(0)
	v_mul_f64 v[146:147], v[142:143], v[168:169]
	v_mul_f64 v[148:149], v[140:141], v[168:169]
	s_waitcnt vmcnt(0)
	v_fma_f64 v[1:2], v[1:2], v[172:173], -v[154:155]
	v_fma_f64 v[3:4], v[3:4], v[172:173], v[156:157]
	v_add_f64 v[133:134], v[133:134], v[136:137]
	v_add_f64 v[136:137], v[144:145], v[138:139]
	v_fma_f64 v[138:139], v[140:141], v[170:171], -v[146:147]
	v_fma_f64 v[140:141], v[142:143], v[170:171], v[148:149]
	v_add_f64 v[1:2], v[133:134], v[1:2]
	v_add_f64 v[3:4], v[136:137], v[3:4]
	v_mov_b32_e32 v133, s74
	s_mov_b32 s74, s75
	v_add_f64 v[1:2], v[1:2], v[138:139]
	v_add_f64 v[3:4], v[3:4], v[140:141]
	s_andn2_b32 exec_lo, exec_lo, s71
	s_cbranch_execnz .LBB61_725
; %bb.726:
	s_or_b32 exec_lo, exec_lo, s71
.LBB61_727:
	s_or_b32 exec_lo, exec_lo, s5
	v_and_b32_e32 v131, 7, v131
	s_mov_b32 s71, 0
	s_mov_b32 s5, exec_lo
	v_cmpx_ne_u32_e32 0, v131
	s_cbranch_execz .LBB61_731
; %bb.728:
	v_lshlrev_b32_e32 v133, 4, v133
	v_add_nc_u32_e32 v132, 0x3e0, v133
	.p2align	6
.LBB61_729:                             ; =>This Inner Loop Header: Depth=1
	s_clause 0x3
	buffer_load_dword v140, v133, s[0:3], 0 offen offset:8
	buffer_load_dword v141, v133, s[0:3], 0 offen offset:12
	buffer_load_dword v142, v133, s[0:3], 0 offen
	buffer_load_dword v143, v133, s[0:3], 0 offen offset:4
	ds_read_b128 v[136:139], v132
	v_add_nc_u32_e32 v131, -1, v131
	v_add_nc_u32_e32 v132, 16, v132
	v_add_nc_u32_e32 v133, 16, v133
	v_cmp_eq_u32_e32 vcc_lo, 0, v131
	s_or_b32 s71, vcc_lo, s71
	s_waitcnt vmcnt(2) lgkmcnt(0)
	v_mul_f64 v[144:145], v[138:139], v[140:141]
	v_mul_f64 v[140:141], v[136:137], v[140:141]
	s_waitcnt vmcnt(0)
	v_fma_f64 v[136:137], v[136:137], v[142:143], -v[144:145]
	v_fma_f64 v[138:139], v[138:139], v[142:143], v[140:141]
	v_add_f64 v[1:2], v[1:2], v[136:137]
	v_add_f64 v[3:4], v[3:4], v[138:139]
	s_andn2_b32 exec_lo, exec_lo, s71
	s_cbranch_execnz .LBB61_729
; %bb.730:
	s_or_b32 exec_lo, exec_lo, s71
.LBB61_731:
	s_or_b32 exec_lo, exec_lo, s5
.LBB61_732:
	s_or_b32 exec_lo, exec_lo, s8
	v_mov_b32_e32 v131, 0
	ds_read_b128 v[131:134], v131 offset:128
	s_waitcnt lgkmcnt(0)
	v_mul_f64 v[136:137], v[3:4], v[133:134]
	v_mul_f64 v[133:134], v[1:2], v[133:134]
	v_fma_f64 v[1:2], v[1:2], v[131:132], -v[136:137]
	v_fma_f64 v[3:4], v[3:4], v[131:132], v[133:134]
	buffer_store_dword v2, off, s[0:3], 0 offset:132
	buffer_store_dword v1, off, s[0:3], 0 offset:128
	buffer_store_dword v4, off, s[0:3], 0 offset:140
	buffer_store_dword v3, off, s[0:3], 0 offset:136
.LBB61_733:
	s_or_b32 exec_lo, exec_lo, s6
	v_mov_b32_e32 v4, s64
	v_cmp_lt_u32_e64 s5, 7, v0
	s_clause 0x3
	buffer_load_dword v1, v4, s[0:3], 0 offen
	buffer_load_dword v2, v4, s[0:3], 0 offen offset:4
	buffer_load_dword v3, v4, s[0:3], 0 offen offset:8
	;; [unrolled: 1-line block ×3, first 2 shown]
	s_waitcnt vmcnt(0)
	ds_write_b128 v130, v[1:4]
	s_waitcnt lgkmcnt(0)
	s_waitcnt_vscnt null, 0x0
	s_barrier
	buffer_gl0_inv
	s_and_saveexec_b32 s6, s5
	s_cbranch_execz .LBB61_747
; %bb.734:
	ds_read_b128 v[1:4], v130
	s_andn2_b32 vcc_lo, exec_lo, s7
	s_cbranch_vccnz .LBB61_736
; %bb.735:
	s_clause 0x3
	buffer_load_dword v131, v129, s[0:3], 0 offen offset:8
	buffer_load_dword v132, v129, s[0:3], 0 offen offset:12
	buffer_load_dword v133, v129, s[0:3], 0 offen
	buffer_load_dword v134, v129, s[0:3], 0 offen offset:4
	s_waitcnt vmcnt(2) lgkmcnt(0)
	v_mul_f64 v[136:137], v[3:4], v[131:132]
	v_mul_f64 v[131:132], v[1:2], v[131:132]
	s_waitcnt vmcnt(0)
	v_fma_f64 v[1:2], v[1:2], v[133:134], -v[136:137]
	v_fma_f64 v[3:4], v[3:4], v[133:134], v[131:132]
.LBB61_736:
	s_and_saveexec_b32 s8, s4
	s_cbranch_execz .LBB61_746
; %bb.737:
	v_add_nc_u32_e32 v131, -9, v0
	v_cmp_lt_u32_e32 vcc_lo, 6, v131
	v_mov_b32_e32 v131, 8
	s_and_saveexec_b32 s4, vcc_lo
	s_cbranch_execz .LBB61_741
; %bb.738:
	v_and_b32_e32 v131, 56, v0
	s_mov_b32 s71, 8
	s_movk_i32 s73, 0x460
	s_mov_b32 s72, 0
	s_mov_b32 s74, s63
.LBB61_739:                             ; =>This Inner Loop Header: Depth=1
	v_mov_b32_e32 v134, s74
	s_add_i32 s71, s71, 8
	s_addk_i32 s74, 0x80
	v_cmp_eq_u32_e32 vcc_lo, s71, v131
	s_clause 0x1f
	buffer_load_dword v132, v134, s[0:3], 0 offen offset:8
	buffer_load_dword v133, v134, s[0:3], 0 offen offset:12
	buffer_load_dword v144, v134, s[0:3], 0 offen
	buffer_load_dword v145, v134, s[0:3], 0 offen offset:4
	buffer_load_dword v146, v134, s[0:3], 0 offen offset:24
	buffer_load_dword v147, v134, s[0:3], 0 offen offset:28
	buffer_load_dword v148, v134, s[0:3], 0 offen offset:16
	buffer_load_dword v149, v134, s[0:3], 0 offen offset:20
	buffer_load_dword v150, v134, s[0:3], 0 offen offset:40
	buffer_load_dword v151, v134, s[0:3], 0 offen offset:44
	buffer_load_dword v152, v134, s[0:3], 0 offen offset:32
	buffer_load_dword v153, v134, s[0:3], 0 offen offset:36
	buffer_load_dword v154, v134, s[0:3], 0 offen offset:56
	buffer_load_dword v155, v134, s[0:3], 0 offen offset:60
	buffer_load_dword v156, v134, s[0:3], 0 offen offset:48
	buffer_load_dword v157, v134, s[0:3], 0 offen offset:52
	buffer_load_dword v159, v134, s[0:3], 0 offen offset:76
	buffer_load_dword v160, v134, s[0:3], 0 offen offset:88
	buffer_load_dword v162, v134, s[0:3], 0 offen offset:80
	buffer_load_dword v158, v134, s[0:3], 0 offen offset:72
	buffer_load_dword v163, v134, s[0:3], 0 offen offset:84
	buffer_load_dword v161, v134, s[0:3], 0 offen offset:92
	buffer_load_dword v165, v134, s[0:3], 0 offen offset:68
	buffer_load_dword v164, v134, s[0:3], 0 offen offset:64
	buffer_load_dword v167, v134, s[0:3], 0 offen offset:108
	buffer_load_dword v168, v134, s[0:3], 0 offen offset:120
	buffer_load_dword v170, v134, s[0:3], 0 offen offset:112
	buffer_load_dword v166, v134, s[0:3], 0 offen offset:104
	buffer_load_dword v171, v134, s[0:3], 0 offen offset:116
	buffer_load_dword v169, v134, s[0:3], 0 offen offset:124
	buffer_load_dword v173, v134, s[0:3], 0 offen offset:100
	buffer_load_dword v172, v134, s[0:3], 0 offen offset:96
	v_mov_b32_e32 v134, s73
	s_addk_i32 s73, 0x80
	s_or_b32 s72, vcc_lo, s72
	ds_read_b128 v[136:139], v134
	ds_read_b128 v[140:143], v134 offset:16
	s_waitcnt vmcnt(30) lgkmcnt(1)
	v_mul_f64 v[174:175], v[138:139], v[132:133]
	v_mul_f64 v[132:133], v[136:137], v[132:133]
	s_waitcnt vmcnt(26) lgkmcnt(0)
	v_mul_f64 v[176:177], v[142:143], v[146:147]
	v_mul_f64 v[178:179], v[140:141], v[146:147]
	v_fma_f64 v[174:175], v[136:137], v[144:145], -v[174:175]
	v_fma_f64 v[132:133], v[138:139], v[144:145], v[132:133]
	ds_read_b128 v[136:139], v134 offset:32
	ds_read_b128 v[144:147], v134 offset:48
	s_waitcnt vmcnt(24)
	v_fma_f64 v[140:141], v[140:141], v[148:149], -v[176:177]
	v_fma_f64 v[142:143], v[142:143], v[148:149], v[178:179]
	s_waitcnt vmcnt(22) lgkmcnt(1)
	v_mul_f64 v[180:181], v[138:139], v[150:151]
	v_mul_f64 v[150:151], v[136:137], v[150:151]
	v_add_f64 v[1:2], v[1:2], v[174:175]
	v_add_f64 v[3:4], v[3:4], v[132:133]
	s_waitcnt vmcnt(18) lgkmcnt(0)
	v_mul_f64 v[132:133], v[146:147], v[154:155]
	v_mul_f64 v[148:149], v[144:145], v[154:155]
	v_fma_f64 v[154:155], v[136:137], v[152:153], -v[180:181]
	v_fma_f64 v[150:151], v[138:139], v[152:153], v[150:151]
	v_add_f64 v[140:141], v[1:2], v[140:141]
	v_add_f64 v[142:143], v[3:4], v[142:143]
	ds_read_b128 v[1:4], v134 offset:64
	ds_read_b128 v[136:139], v134 offset:80
	s_waitcnt vmcnt(16)
	v_fma_f64 v[132:133], v[144:145], v[156:157], -v[132:133]
	v_fma_f64 v[144:145], v[146:147], v[156:157], v[148:149]
	s_waitcnt vmcnt(12) lgkmcnt(1)
	v_mul_f64 v[152:153], v[3:4], v[158:159]
	v_mul_f64 v[158:159], v[1:2], v[158:159]
	v_add_f64 v[140:141], v[140:141], v[154:155]
	v_add_f64 v[142:143], v[142:143], v[150:151]
	s_waitcnt vmcnt(10) lgkmcnt(0)
	v_mul_f64 v[146:147], v[138:139], v[160:161]
	v_mul_f64 v[148:149], v[136:137], v[160:161]
	s_waitcnt vmcnt(8)
	v_fma_f64 v[150:151], v[1:2], v[164:165], -v[152:153]
	v_fma_f64 v[152:153], v[3:4], v[164:165], v[158:159]
	v_add_f64 v[132:133], v[140:141], v[132:133]
	v_add_f64 v[144:145], v[142:143], v[144:145]
	ds_read_b128 v[1:4], v134 offset:96
	ds_read_b128 v[140:143], v134 offset:112
	v_fma_f64 v[136:137], v[136:137], v[162:163], -v[146:147]
	v_fma_f64 v[138:139], v[138:139], v[162:163], v[148:149]
	s_waitcnt vmcnt(4) lgkmcnt(1)
	v_mul_f64 v[154:155], v[3:4], v[166:167]
	v_mul_f64 v[156:157], v[1:2], v[166:167]
	v_add_f64 v[132:133], v[132:133], v[150:151]
	v_add_f64 v[144:145], v[144:145], v[152:153]
	s_waitcnt vmcnt(2) lgkmcnt(0)
	v_mul_f64 v[146:147], v[142:143], v[168:169]
	v_mul_f64 v[148:149], v[140:141], v[168:169]
	s_waitcnt vmcnt(0)
	v_fma_f64 v[1:2], v[1:2], v[172:173], -v[154:155]
	v_fma_f64 v[3:4], v[3:4], v[172:173], v[156:157]
	v_add_f64 v[132:133], v[132:133], v[136:137]
	v_add_f64 v[136:137], v[144:145], v[138:139]
	v_fma_f64 v[138:139], v[140:141], v[170:171], -v[146:147]
	v_fma_f64 v[140:141], v[142:143], v[170:171], v[148:149]
	v_add_f64 v[1:2], v[132:133], v[1:2]
	v_add_f64 v[3:4], v[136:137], v[3:4]
	v_add_f64 v[1:2], v[1:2], v[138:139]
	v_add_f64 v[3:4], v[3:4], v[140:141]
	s_andn2_b32 exec_lo, exec_lo, s72
	s_cbranch_execnz .LBB61_739
; %bb.740:
	s_or_b32 exec_lo, exec_lo, s72
.LBB61_741:
	s_or_b32 exec_lo, exec_lo, s4
	v_and_b32_e32 v132, 7, v0
	s_mov_b32 s71, 0
	s_mov_b32 s4, exec_lo
	v_cmpx_ne_u32_e32 0, v132
	s_cbranch_execz .LBB61_745
; %bb.742:
	v_lshlrev_b32_e32 v133, 4, v131
	v_add_nc_u32_e32 v131, 0x3e0, v133
	.p2align	6
.LBB61_743:                             ; =>This Inner Loop Header: Depth=1
	s_clause 0x3
	buffer_load_dword v140, v133, s[0:3], 0 offen offset:8
	buffer_load_dword v141, v133, s[0:3], 0 offen offset:12
	buffer_load_dword v142, v133, s[0:3], 0 offen
	buffer_load_dword v143, v133, s[0:3], 0 offen offset:4
	ds_read_b128 v[136:139], v131
	v_add_nc_u32_e32 v132, -1, v132
	v_add_nc_u32_e32 v131, 16, v131
	v_add_nc_u32_e32 v133, 16, v133
	v_cmp_eq_u32_e32 vcc_lo, 0, v132
	s_or_b32 s71, vcc_lo, s71
	s_waitcnt vmcnt(2) lgkmcnt(0)
	v_mul_f64 v[144:145], v[138:139], v[140:141]
	v_mul_f64 v[140:141], v[136:137], v[140:141]
	s_waitcnt vmcnt(0)
	v_fma_f64 v[136:137], v[136:137], v[142:143], -v[144:145]
	v_fma_f64 v[138:139], v[138:139], v[142:143], v[140:141]
	v_add_f64 v[1:2], v[1:2], v[136:137]
	v_add_f64 v[3:4], v[3:4], v[138:139]
	s_andn2_b32 exec_lo, exec_lo, s71
	s_cbranch_execnz .LBB61_743
; %bb.744:
	s_or_b32 exec_lo, exec_lo, s71
.LBB61_745:
	s_or_b32 exec_lo, exec_lo, s4
.LBB61_746:
	s_or_b32 exec_lo, exec_lo, s8
	v_mov_b32_e32 v131, 0
	ds_read_b128 v[131:134], v131 offset:112
	s_waitcnt lgkmcnt(0)
	v_mul_f64 v[136:137], v[3:4], v[133:134]
	v_mul_f64 v[133:134], v[1:2], v[133:134]
	v_fma_f64 v[1:2], v[1:2], v[131:132], -v[136:137]
	v_fma_f64 v[3:4], v[3:4], v[131:132], v[133:134]
	buffer_store_dword v2, off, s[0:3], 0 offset:116
	buffer_store_dword v1, off, s[0:3], 0 offset:112
	;; [unrolled: 1-line block ×4, first 2 shown]
.LBB61_747:
	s_or_b32 exec_lo, exec_lo, s6
	v_mov_b32_e32 v4, s65
	v_cmp_lt_u32_e64 s4, 6, v0
	s_clause 0x3
	buffer_load_dword v1, v4, s[0:3], 0 offen
	buffer_load_dword v2, v4, s[0:3], 0 offen offset:4
	buffer_load_dword v3, v4, s[0:3], 0 offen offset:8
	;; [unrolled: 1-line block ×3, first 2 shown]
	s_waitcnt vmcnt(0)
	ds_write_b128 v130, v[1:4]
	s_waitcnt lgkmcnt(0)
	s_waitcnt_vscnt null, 0x0
	s_barrier
	buffer_gl0_inv
	s_and_saveexec_b32 s6, s4
	s_cbranch_execz .LBB61_761
; %bb.748:
	ds_read_b128 v[1:4], v130
	s_andn2_b32 vcc_lo, exec_lo, s7
	s_cbranch_vccnz .LBB61_750
; %bb.749:
	s_clause 0x3
	buffer_load_dword v131, v129, s[0:3], 0 offen offset:8
	buffer_load_dword v132, v129, s[0:3], 0 offen offset:12
	buffer_load_dword v133, v129, s[0:3], 0 offen
	buffer_load_dword v134, v129, s[0:3], 0 offen offset:4
	s_waitcnt vmcnt(2) lgkmcnt(0)
	v_mul_f64 v[136:137], v[3:4], v[131:132]
	v_mul_f64 v[131:132], v[1:2], v[131:132]
	s_waitcnt vmcnt(0)
	v_fma_f64 v[1:2], v[1:2], v[133:134], -v[136:137]
	v_fma_f64 v[3:4], v[3:4], v[133:134], v[131:132]
.LBB61_750:
	s_and_saveexec_b32 s8, s5
	s_cbranch_execz .LBB61_760
; %bb.751:
	v_add_nc_u32_e32 v132, -8, v0
	v_add_nc_u32_e32 v131, -7, v0
	v_mov_b32_e32 v133, 7
	s_mov_b32 s5, exec_lo
	v_cmpx_lt_u32_e32 6, v132
	s_cbranch_execz .LBB61_755
; %bb.752:
	v_and_b32_e32 v132, -8, v131
	s_movk_i32 s72, 0x450
	s_mov_b32 s71, 0
	s_mov_b32 s73, s64
	;; [unrolled: 1-line block ×3, first 2 shown]
.LBB61_753:                             ; =>This Inner Loop Header: Depth=1
	v_mov_b32_e32 v136, s73
	v_mov_b32_e32 v182, s72
	s_add_i32 s75, s74, 8
	s_add_i32 s74, s74, 15
	v_cmp_eq_u32_e32 vcc_lo, s75, v132
	s_clause 0x1f
	buffer_load_dword v133, v136, s[0:3], 0 offen offset:8
	buffer_load_dword v134, v136, s[0:3], 0 offen offset:12
	buffer_load_dword v144, v136, s[0:3], 0 offen
	buffer_load_dword v145, v136, s[0:3], 0 offen offset:4
	buffer_load_dword v146, v136, s[0:3], 0 offen offset:24
	buffer_load_dword v147, v136, s[0:3], 0 offen offset:28
	buffer_load_dword v148, v136, s[0:3], 0 offen offset:16
	buffer_load_dword v149, v136, s[0:3], 0 offen offset:20
	buffer_load_dword v150, v136, s[0:3], 0 offen offset:40
	buffer_load_dword v151, v136, s[0:3], 0 offen offset:44
	buffer_load_dword v152, v136, s[0:3], 0 offen offset:32
	buffer_load_dword v153, v136, s[0:3], 0 offen offset:36
	buffer_load_dword v154, v136, s[0:3], 0 offen offset:56
	buffer_load_dword v155, v136, s[0:3], 0 offen offset:60
	buffer_load_dword v156, v136, s[0:3], 0 offen offset:48
	buffer_load_dword v157, v136, s[0:3], 0 offen offset:52
	buffer_load_dword v159, v136, s[0:3], 0 offen offset:76
	buffer_load_dword v160, v136, s[0:3], 0 offen offset:88
	buffer_load_dword v162, v136, s[0:3], 0 offen offset:80
	buffer_load_dword v158, v136, s[0:3], 0 offen offset:72
	buffer_load_dword v163, v136, s[0:3], 0 offen offset:84
	buffer_load_dword v161, v136, s[0:3], 0 offen offset:92
	buffer_load_dword v165, v136, s[0:3], 0 offen offset:68
	buffer_load_dword v164, v136, s[0:3], 0 offen offset:64
	buffer_load_dword v167, v136, s[0:3], 0 offen offset:108
	buffer_load_dword v168, v136, s[0:3], 0 offen offset:120
	buffer_load_dword v170, v136, s[0:3], 0 offen offset:112
	buffer_load_dword v166, v136, s[0:3], 0 offen offset:104
	buffer_load_dword v171, v136, s[0:3], 0 offen offset:116
	buffer_load_dword v169, v136, s[0:3], 0 offen offset:124
	buffer_load_dword v173, v136, s[0:3], 0 offen offset:100
	buffer_load_dword v172, v136, s[0:3], 0 offen offset:96
	ds_read_b128 v[136:139], v182
	ds_read_b128 v[140:143], v182 offset:16
	s_addk_i32 s72, 0x80
	s_addk_i32 s73, 0x80
	s_or_b32 s71, vcc_lo, s71
	s_waitcnt vmcnt(30) lgkmcnt(1)
	v_mul_f64 v[174:175], v[138:139], v[133:134]
	v_mul_f64 v[133:134], v[136:137], v[133:134]
	s_waitcnt vmcnt(26) lgkmcnt(0)
	v_mul_f64 v[176:177], v[142:143], v[146:147]
	v_mul_f64 v[178:179], v[140:141], v[146:147]
	v_fma_f64 v[174:175], v[136:137], v[144:145], -v[174:175]
	v_fma_f64 v[133:134], v[138:139], v[144:145], v[133:134]
	ds_read_b128 v[136:139], v182 offset:32
	ds_read_b128 v[144:147], v182 offset:48
	s_waitcnt vmcnt(24)
	v_fma_f64 v[140:141], v[140:141], v[148:149], -v[176:177]
	v_fma_f64 v[142:143], v[142:143], v[148:149], v[178:179]
	s_waitcnt vmcnt(22) lgkmcnt(1)
	v_mul_f64 v[180:181], v[138:139], v[150:151]
	v_mul_f64 v[150:151], v[136:137], v[150:151]
	v_add_f64 v[1:2], v[1:2], v[174:175]
	v_add_f64 v[3:4], v[3:4], v[133:134]
	s_waitcnt vmcnt(18) lgkmcnt(0)
	v_mul_f64 v[133:134], v[146:147], v[154:155]
	v_mul_f64 v[148:149], v[144:145], v[154:155]
	v_fma_f64 v[154:155], v[136:137], v[152:153], -v[180:181]
	v_fma_f64 v[150:151], v[138:139], v[152:153], v[150:151]
	v_add_f64 v[140:141], v[1:2], v[140:141]
	v_add_f64 v[142:143], v[3:4], v[142:143]
	ds_read_b128 v[1:4], v182 offset:64
	ds_read_b128 v[136:139], v182 offset:80
	s_waitcnt vmcnt(16)
	v_fma_f64 v[133:134], v[144:145], v[156:157], -v[133:134]
	v_fma_f64 v[144:145], v[146:147], v[156:157], v[148:149]
	s_waitcnt vmcnt(12) lgkmcnt(1)
	v_mul_f64 v[152:153], v[3:4], v[158:159]
	v_mul_f64 v[158:159], v[1:2], v[158:159]
	v_add_f64 v[140:141], v[140:141], v[154:155]
	v_add_f64 v[142:143], v[142:143], v[150:151]
	s_waitcnt vmcnt(10) lgkmcnt(0)
	v_mul_f64 v[146:147], v[138:139], v[160:161]
	v_mul_f64 v[148:149], v[136:137], v[160:161]
	s_waitcnt vmcnt(8)
	v_fma_f64 v[150:151], v[1:2], v[164:165], -v[152:153]
	v_fma_f64 v[152:153], v[3:4], v[164:165], v[158:159]
	v_add_f64 v[133:134], v[140:141], v[133:134]
	v_add_f64 v[144:145], v[142:143], v[144:145]
	ds_read_b128 v[1:4], v182 offset:96
	ds_read_b128 v[140:143], v182 offset:112
	v_fma_f64 v[136:137], v[136:137], v[162:163], -v[146:147]
	v_fma_f64 v[138:139], v[138:139], v[162:163], v[148:149]
	s_waitcnt vmcnt(4) lgkmcnt(1)
	v_mul_f64 v[154:155], v[3:4], v[166:167]
	v_mul_f64 v[156:157], v[1:2], v[166:167]
	v_add_f64 v[133:134], v[133:134], v[150:151]
	v_add_f64 v[144:145], v[144:145], v[152:153]
	s_waitcnt vmcnt(2) lgkmcnt(0)
	v_mul_f64 v[146:147], v[142:143], v[168:169]
	v_mul_f64 v[148:149], v[140:141], v[168:169]
	s_waitcnt vmcnt(0)
	v_fma_f64 v[1:2], v[1:2], v[172:173], -v[154:155]
	v_fma_f64 v[3:4], v[3:4], v[172:173], v[156:157]
	v_add_f64 v[133:134], v[133:134], v[136:137]
	v_add_f64 v[136:137], v[144:145], v[138:139]
	v_fma_f64 v[138:139], v[140:141], v[170:171], -v[146:147]
	v_fma_f64 v[140:141], v[142:143], v[170:171], v[148:149]
	v_add_f64 v[1:2], v[133:134], v[1:2]
	v_add_f64 v[3:4], v[136:137], v[3:4]
	v_mov_b32_e32 v133, s74
	s_mov_b32 s74, s75
	v_add_f64 v[1:2], v[1:2], v[138:139]
	v_add_f64 v[3:4], v[3:4], v[140:141]
	s_andn2_b32 exec_lo, exec_lo, s71
	s_cbranch_execnz .LBB61_753
; %bb.754:
	s_or_b32 exec_lo, exec_lo, s71
.LBB61_755:
	s_or_b32 exec_lo, exec_lo, s5
	v_and_b32_e32 v131, 7, v131
	s_mov_b32 s71, 0
	s_mov_b32 s5, exec_lo
	v_cmpx_ne_u32_e32 0, v131
	s_cbranch_execz .LBB61_759
; %bb.756:
	v_lshlrev_b32_e32 v133, 4, v133
	v_add_nc_u32_e32 v132, 0x3e0, v133
	.p2align	6
.LBB61_757:                             ; =>This Inner Loop Header: Depth=1
	s_clause 0x3
	buffer_load_dword v140, v133, s[0:3], 0 offen offset:8
	buffer_load_dword v141, v133, s[0:3], 0 offen offset:12
	buffer_load_dword v142, v133, s[0:3], 0 offen
	buffer_load_dword v143, v133, s[0:3], 0 offen offset:4
	ds_read_b128 v[136:139], v132
	v_add_nc_u32_e32 v131, -1, v131
	v_add_nc_u32_e32 v132, 16, v132
	v_add_nc_u32_e32 v133, 16, v133
	v_cmp_eq_u32_e32 vcc_lo, 0, v131
	s_or_b32 s71, vcc_lo, s71
	s_waitcnt vmcnt(2) lgkmcnt(0)
	v_mul_f64 v[144:145], v[138:139], v[140:141]
	v_mul_f64 v[140:141], v[136:137], v[140:141]
	s_waitcnt vmcnt(0)
	v_fma_f64 v[136:137], v[136:137], v[142:143], -v[144:145]
	v_fma_f64 v[138:139], v[138:139], v[142:143], v[140:141]
	v_add_f64 v[1:2], v[1:2], v[136:137]
	v_add_f64 v[3:4], v[3:4], v[138:139]
	s_andn2_b32 exec_lo, exec_lo, s71
	s_cbranch_execnz .LBB61_757
; %bb.758:
	s_or_b32 exec_lo, exec_lo, s71
.LBB61_759:
	s_or_b32 exec_lo, exec_lo, s5
.LBB61_760:
	s_or_b32 exec_lo, exec_lo, s8
	v_mov_b32_e32 v131, 0
	ds_read_b128 v[131:134], v131 offset:96
	s_waitcnt lgkmcnt(0)
	v_mul_f64 v[136:137], v[3:4], v[133:134]
	v_mul_f64 v[133:134], v[1:2], v[133:134]
	v_fma_f64 v[1:2], v[1:2], v[131:132], -v[136:137]
	v_fma_f64 v[3:4], v[3:4], v[131:132], v[133:134]
	buffer_store_dword v2, off, s[0:3], 0 offset:100
	buffer_store_dword v1, off, s[0:3], 0 offset:96
	;; [unrolled: 1-line block ×4, first 2 shown]
.LBB61_761:
	s_or_b32 exec_lo, exec_lo, s6
	v_mov_b32_e32 v4, s66
	v_cmp_lt_u32_e64 s5, 5, v0
	s_clause 0x3
	buffer_load_dword v1, v4, s[0:3], 0 offen
	buffer_load_dword v2, v4, s[0:3], 0 offen offset:4
	buffer_load_dword v3, v4, s[0:3], 0 offen offset:8
	;; [unrolled: 1-line block ×3, first 2 shown]
	s_waitcnt vmcnt(0)
	ds_write_b128 v130, v[1:4]
	s_waitcnt lgkmcnt(0)
	s_waitcnt_vscnt null, 0x0
	s_barrier
	buffer_gl0_inv
	s_and_saveexec_b32 s6, s5
	s_cbranch_execz .LBB61_775
; %bb.762:
	ds_read_b128 v[1:4], v130
	s_andn2_b32 vcc_lo, exec_lo, s7
	s_cbranch_vccnz .LBB61_764
; %bb.763:
	s_clause 0x3
	buffer_load_dword v131, v129, s[0:3], 0 offen offset:8
	buffer_load_dword v132, v129, s[0:3], 0 offen offset:12
	buffer_load_dword v133, v129, s[0:3], 0 offen
	buffer_load_dword v134, v129, s[0:3], 0 offen offset:4
	s_waitcnt vmcnt(2) lgkmcnt(0)
	v_mul_f64 v[136:137], v[3:4], v[131:132]
	v_mul_f64 v[131:132], v[1:2], v[131:132]
	s_waitcnt vmcnt(0)
	v_fma_f64 v[1:2], v[1:2], v[133:134], -v[136:137]
	v_fma_f64 v[3:4], v[3:4], v[133:134], v[131:132]
.LBB61_764:
	s_and_saveexec_b32 s8, s4
	s_cbranch_execz .LBB61_774
; %bb.765:
	v_add_nc_u32_e32 v132, -7, v0
	v_add_nc_u32_e32 v131, -6, v0
	v_mov_b32_e32 v133, 6
	s_mov_b32 s4, exec_lo
	v_cmpx_lt_u32_e32 6, v132
	s_cbranch_execz .LBB61_769
; %bb.766:
	v_and_b32_e32 v132, -8, v131
	s_movk_i32 s72, 0x440
	s_mov_b32 s71, 0
	s_mov_b32 s73, s65
	;; [unrolled: 1-line block ×3, first 2 shown]
.LBB61_767:                             ; =>This Inner Loop Header: Depth=1
	v_mov_b32_e32 v136, s73
	v_mov_b32_e32 v182, s72
	s_add_i32 s75, s74, 8
	s_add_i32 s74, s74, 14
	v_cmp_eq_u32_e32 vcc_lo, s75, v132
	s_clause 0x1f
	buffer_load_dword v133, v136, s[0:3], 0 offen offset:8
	buffer_load_dword v134, v136, s[0:3], 0 offen offset:12
	buffer_load_dword v144, v136, s[0:3], 0 offen
	buffer_load_dword v145, v136, s[0:3], 0 offen offset:4
	buffer_load_dword v146, v136, s[0:3], 0 offen offset:24
	;; [unrolled: 1-line block ×29, first 2 shown]
	ds_read_b128 v[136:139], v182
	ds_read_b128 v[140:143], v182 offset:16
	s_addk_i32 s72, 0x80
	s_addk_i32 s73, 0x80
	s_or_b32 s71, vcc_lo, s71
	s_waitcnt vmcnt(30) lgkmcnt(1)
	v_mul_f64 v[174:175], v[138:139], v[133:134]
	v_mul_f64 v[133:134], v[136:137], v[133:134]
	s_waitcnt vmcnt(26) lgkmcnt(0)
	v_mul_f64 v[176:177], v[142:143], v[146:147]
	v_mul_f64 v[178:179], v[140:141], v[146:147]
	v_fma_f64 v[174:175], v[136:137], v[144:145], -v[174:175]
	v_fma_f64 v[133:134], v[138:139], v[144:145], v[133:134]
	ds_read_b128 v[136:139], v182 offset:32
	ds_read_b128 v[144:147], v182 offset:48
	s_waitcnt vmcnt(24)
	v_fma_f64 v[140:141], v[140:141], v[148:149], -v[176:177]
	v_fma_f64 v[142:143], v[142:143], v[148:149], v[178:179]
	s_waitcnt vmcnt(22) lgkmcnt(1)
	v_mul_f64 v[180:181], v[138:139], v[150:151]
	v_mul_f64 v[150:151], v[136:137], v[150:151]
	v_add_f64 v[1:2], v[1:2], v[174:175]
	v_add_f64 v[3:4], v[3:4], v[133:134]
	s_waitcnt vmcnt(18) lgkmcnt(0)
	v_mul_f64 v[133:134], v[146:147], v[154:155]
	v_mul_f64 v[148:149], v[144:145], v[154:155]
	v_fma_f64 v[154:155], v[136:137], v[152:153], -v[180:181]
	v_fma_f64 v[150:151], v[138:139], v[152:153], v[150:151]
	v_add_f64 v[140:141], v[1:2], v[140:141]
	v_add_f64 v[142:143], v[3:4], v[142:143]
	ds_read_b128 v[1:4], v182 offset:64
	ds_read_b128 v[136:139], v182 offset:80
	s_waitcnt vmcnt(16)
	v_fma_f64 v[133:134], v[144:145], v[156:157], -v[133:134]
	v_fma_f64 v[144:145], v[146:147], v[156:157], v[148:149]
	s_waitcnt vmcnt(12) lgkmcnt(1)
	v_mul_f64 v[152:153], v[3:4], v[158:159]
	v_mul_f64 v[158:159], v[1:2], v[158:159]
	v_add_f64 v[140:141], v[140:141], v[154:155]
	v_add_f64 v[142:143], v[142:143], v[150:151]
	s_waitcnt vmcnt(10) lgkmcnt(0)
	v_mul_f64 v[146:147], v[138:139], v[160:161]
	v_mul_f64 v[148:149], v[136:137], v[160:161]
	s_waitcnt vmcnt(8)
	v_fma_f64 v[150:151], v[1:2], v[164:165], -v[152:153]
	v_fma_f64 v[152:153], v[3:4], v[164:165], v[158:159]
	v_add_f64 v[133:134], v[140:141], v[133:134]
	v_add_f64 v[144:145], v[142:143], v[144:145]
	ds_read_b128 v[1:4], v182 offset:96
	ds_read_b128 v[140:143], v182 offset:112
	v_fma_f64 v[136:137], v[136:137], v[162:163], -v[146:147]
	v_fma_f64 v[138:139], v[138:139], v[162:163], v[148:149]
	s_waitcnt vmcnt(4) lgkmcnt(1)
	v_mul_f64 v[154:155], v[3:4], v[166:167]
	v_mul_f64 v[156:157], v[1:2], v[166:167]
	v_add_f64 v[133:134], v[133:134], v[150:151]
	v_add_f64 v[144:145], v[144:145], v[152:153]
	s_waitcnt vmcnt(2) lgkmcnt(0)
	v_mul_f64 v[146:147], v[142:143], v[168:169]
	v_mul_f64 v[148:149], v[140:141], v[168:169]
	s_waitcnt vmcnt(0)
	v_fma_f64 v[1:2], v[1:2], v[172:173], -v[154:155]
	v_fma_f64 v[3:4], v[3:4], v[172:173], v[156:157]
	v_add_f64 v[133:134], v[133:134], v[136:137]
	v_add_f64 v[136:137], v[144:145], v[138:139]
	v_fma_f64 v[138:139], v[140:141], v[170:171], -v[146:147]
	v_fma_f64 v[140:141], v[142:143], v[170:171], v[148:149]
	v_add_f64 v[1:2], v[133:134], v[1:2]
	v_add_f64 v[3:4], v[136:137], v[3:4]
	v_mov_b32_e32 v133, s74
	s_mov_b32 s74, s75
	v_add_f64 v[1:2], v[1:2], v[138:139]
	v_add_f64 v[3:4], v[3:4], v[140:141]
	s_andn2_b32 exec_lo, exec_lo, s71
	s_cbranch_execnz .LBB61_767
; %bb.768:
	s_or_b32 exec_lo, exec_lo, s71
.LBB61_769:
	s_or_b32 exec_lo, exec_lo, s4
	v_and_b32_e32 v131, 7, v131
	s_mov_b32 s71, 0
	s_mov_b32 s4, exec_lo
	v_cmpx_ne_u32_e32 0, v131
	s_cbranch_execz .LBB61_773
; %bb.770:
	v_lshlrev_b32_e32 v133, 4, v133
	v_add_nc_u32_e32 v132, 0x3e0, v133
	.p2align	6
.LBB61_771:                             ; =>This Inner Loop Header: Depth=1
	s_clause 0x3
	buffer_load_dword v140, v133, s[0:3], 0 offen offset:8
	buffer_load_dword v141, v133, s[0:3], 0 offen offset:12
	buffer_load_dword v142, v133, s[0:3], 0 offen
	buffer_load_dword v143, v133, s[0:3], 0 offen offset:4
	ds_read_b128 v[136:139], v132
	v_add_nc_u32_e32 v131, -1, v131
	v_add_nc_u32_e32 v132, 16, v132
	v_add_nc_u32_e32 v133, 16, v133
	v_cmp_eq_u32_e32 vcc_lo, 0, v131
	s_or_b32 s71, vcc_lo, s71
	s_waitcnt vmcnt(2) lgkmcnt(0)
	v_mul_f64 v[144:145], v[138:139], v[140:141]
	v_mul_f64 v[140:141], v[136:137], v[140:141]
	s_waitcnt vmcnt(0)
	v_fma_f64 v[136:137], v[136:137], v[142:143], -v[144:145]
	v_fma_f64 v[138:139], v[138:139], v[142:143], v[140:141]
	v_add_f64 v[1:2], v[1:2], v[136:137]
	v_add_f64 v[3:4], v[3:4], v[138:139]
	s_andn2_b32 exec_lo, exec_lo, s71
	s_cbranch_execnz .LBB61_771
; %bb.772:
	s_or_b32 exec_lo, exec_lo, s71
.LBB61_773:
	s_or_b32 exec_lo, exec_lo, s4
.LBB61_774:
	s_or_b32 exec_lo, exec_lo, s8
	v_mov_b32_e32 v131, 0
	ds_read_b128 v[131:134], v131 offset:80
	s_waitcnt lgkmcnt(0)
	v_mul_f64 v[136:137], v[3:4], v[133:134]
	v_mul_f64 v[133:134], v[1:2], v[133:134]
	v_fma_f64 v[1:2], v[1:2], v[131:132], -v[136:137]
	v_fma_f64 v[3:4], v[3:4], v[131:132], v[133:134]
	buffer_store_dword v2, off, s[0:3], 0 offset:84
	buffer_store_dword v1, off, s[0:3], 0 offset:80
	;; [unrolled: 1-line block ×4, first 2 shown]
.LBB61_775:
	s_or_b32 exec_lo, exec_lo, s6
	v_mov_b32_e32 v4, s67
	v_cmp_lt_u32_e64 s4, 4, v0
	s_clause 0x3
	buffer_load_dword v1, v4, s[0:3], 0 offen
	buffer_load_dword v2, v4, s[0:3], 0 offen offset:4
	buffer_load_dword v3, v4, s[0:3], 0 offen offset:8
	;; [unrolled: 1-line block ×3, first 2 shown]
	s_waitcnt vmcnt(0)
	ds_write_b128 v130, v[1:4]
	s_waitcnt lgkmcnt(0)
	s_waitcnt_vscnt null, 0x0
	s_barrier
	buffer_gl0_inv
	s_and_saveexec_b32 s6, s4
	s_cbranch_execz .LBB61_789
; %bb.776:
	ds_read_b128 v[1:4], v130
	s_andn2_b32 vcc_lo, exec_lo, s7
	s_cbranch_vccnz .LBB61_778
; %bb.777:
	s_clause 0x3
	buffer_load_dword v131, v129, s[0:3], 0 offen offset:8
	buffer_load_dword v132, v129, s[0:3], 0 offen offset:12
	buffer_load_dword v133, v129, s[0:3], 0 offen
	buffer_load_dword v134, v129, s[0:3], 0 offen offset:4
	s_waitcnt vmcnt(2) lgkmcnt(0)
	v_mul_f64 v[136:137], v[3:4], v[131:132]
	v_mul_f64 v[131:132], v[1:2], v[131:132]
	s_waitcnt vmcnt(0)
	v_fma_f64 v[1:2], v[1:2], v[133:134], -v[136:137]
	v_fma_f64 v[3:4], v[3:4], v[133:134], v[131:132]
.LBB61_778:
	s_and_saveexec_b32 s8, s5
	s_cbranch_execz .LBB61_788
; %bb.779:
	v_add_nc_u32_e32 v132, -6, v0
	v_add_nc_u32_e32 v131, -5, v0
	v_mov_b32_e32 v133, 5
	s_mov_b32 s5, exec_lo
	v_cmpx_lt_u32_e32 6, v132
	s_cbranch_execz .LBB61_783
; %bb.780:
	v_and_b32_e32 v132, -8, v131
	s_movk_i32 s72, 0x430
	s_mov_b32 s71, 0
	s_mov_b32 s73, s66
	;; [unrolled: 1-line block ×3, first 2 shown]
.LBB61_781:                             ; =>This Inner Loop Header: Depth=1
	v_mov_b32_e32 v136, s73
	v_mov_b32_e32 v182, s72
	s_add_i32 s75, s74, 8
	s_add_i32 s74, s74, 13
	v_cmp_eq_u32_e32 vcc_lo, s75, v132
	s_clause 0x1f
	buffer_load_dword v133, v136, s[0:3], 0 offen offset:8
	buffer_load_dword v134, v136, s[0:3], 0 offen offset:12
	buffer_load_dword v144, v136, s[0:3], 0 offen
	buffer_load_dword v145, v136, s[0:3], 0 offen offset:4
	buffer_load_dword v146, v136, s[0:3], 0 offen offset:24
	;; [unrolled: 1-line block ×29, first 2 shown]
	ds_read_b128 v[136:139], v182
	ds_read_b128 v[140:143], v182 offset:16
	s_addk_i32 s72, 0x80
	s_addk_i32 s73, 0x80
	s_or_b32 s71, vcc_lo, s71
	s_waitcnt vmcnt(30) lgkmcnt(1)
	v_mul_f64 v[174:175], v[138:139], v[133:134]
	v_mul_f64 v[133:134], v[136:137], v[133:134]
	s_waitcnt vmcnt(26) lgkmcnt(0)
	v_mul_f64 v[176:177], v[142:143], v[146:147]
	v_mul_f64 v[178:179], v[140:141], v[146:147]
	v_fma_f64 v[174:175], v[136:137], v[144:145], -v[174:175]
	v_fma_f64 v[133:134], v[138:139], v[144:145], v[133:134]
	ds_read_b128 v[136:139], v182 offset:32
	ds_read_b128 v[144:147], v182 offset:48
	s_waitcnt vmcnt(24)
	v_fma_f64 v[140:141], v[140:141], v[148:149], -v[176:177]
	v_fma_f64 v[142:143], v[142:143], v[148:149], v[178:179]
	s_waitcnt vmcnt(22) lgkmcnt(1)
	v_mul_f64 v[180:181], v[138:139], v[150:151]
	v_mul_f64 v[150:151], v[136:137], v[150:151]
	v_add_f64 v[1:2], v[1:2], v[174:175]
	v_add_f64 v[3:4], v[3:4], v[133:134]
	s_waitcnt vmcnt(18) lgkmcnt(0)
	v_mul_f64 v[133:134], v[146:147], v[154:155]
	v_mul_f64 v[148:149], v[144:145], v[154:155]
	v_fma_f64 v[154:155], v[136:137], v[152:153], -v[180:181]
	v_fma_f64 v[150:151], v[138:139], v[152:153], v[150:151]
	v_add_f64 v[140:141], v[1:2], v[140:141]
	v_add_f64 v[142:143], v[3:4], v[142:143]
	ds_read_b128 v[1:4], v182 offset:64
	ds_read_b128 v[136:139], v182 offset:80
	s_waitcnt vmcnt(16)
	v_fma_f64 v[133:134], v[144:145], v[156:157], -v[133:134]
	v_fma_f64 v[144:145], v[146:147], v[156:157], v[148:149]
	s_waitcnt vmcnt(12) lgkmcnt(1)
	v_mul_f64 v[152:153], v[3:4], v[158:159]
	v_mul_f64 v[158:159], v[1:2], v[158:159]
	v_add_f64 v[140:141], v[140:141], v[154:155]
	v_add_f64 v[142:143], v[142:143], v[150:151]
	s_waitcnt vmcnt(10) lgkmcnt(0)
	v_mul_f64 v[146:147], v[138:139], v[160:161]
	v_mul_f64 v[148:149], v[136:137], v[160:161]
	s_waitcnt vmcnt(8)
	v_fma_f64 v[150:151], v[1:2], v[164:165], -v[152:153]
	v_fma_f64 v[152:153], v[3:4], v[164:165], v[158:159]
	v_add_f64 v[133:134], v[140:141], v[133:134]
	v_add_f64 v[144:145], v[142:143], v[144:145]
	ds_read_b128 v[1:4], v182 offset:96
	ds_read_b128 v[140:143], v182 offset:112
	v_fma_f64 v[136:137], v[136:137], v[162:163], -v[146:147]
	v_fma_f64 v[138:139], v[138:139], v[162:163], v[148:149]
	s_waitcnt vmcnt(4) lgkmcnt(1)
	v_mul_f64 v[154:155], v[3:4], v[166:167]
	v_mul_f64 v[156:157], v[1:2], v[166:167]
	v_add_f64 v[133:134], v[133:134], v[150:151]
	v_add_f64 v[144:145], v[144:145], v[152:153]
	s_waitcnt vmcnt(2) lgkmcnt(0)
	v_mul_f64 v[146:147], v[142:143], v[168:169]
	v_mul_f64 v[148:149], v[140:141], v[168:169]
	s_waitcnt vmcnt(0)
	v_fma_f64 v[1:2], v[1:2], v[172:173], -v[154:155]
	v_fma_f64 v[3:4], v[3:4], v[172:173], v[156:157]
	v_add_f64 v[133:134], v[133:134], v[136:137]
	v_add_f64 v[136:137], v[144:145], v[138:139]
	v_fma_f64 v[138:139], v[140:141], v[170:171], -v[146:147]
	v_fma_f64 v[140:141], v[142:143], v[170:171], v[148:149]
	v_add_f64 v[1:2], v[133:134], v[1:2]
	v_add_f64 v[3:4], v[136:137], v[3:4]
	v_mov_b32_e32 v133, s74
	s_mov_b32 s74, s75
	v_add_f64 v[1:2], v[1:2], v[138:139]
	v_add_f64 v[3:4], v[3:4], v[140:141]
	s_andn2_b32 exec_lo, exec_lo, s71
	s_cbranch_execnz .LBB61_781
; %bb.782:
	s_or_b32 exec_lo, exec_lo, s71
.LBB61_783:
	s_or_b32 exec_lo, exec_lo, s5
	v_and_b32_e32 v131, 7, v131
	s_mov_b32 s71, 0
	s_mov_b32 s5, exec_lo
	v_cmpx_ne_u32_e32 0, v131
	s_cbranch_execz .LBB61_787
; %bb.784:
	v_lshlrev_b32_e32 v133, 4, v133
	v_add_nc_u32_e32 v132, 0x3e0, v133
	.p2align	6
.LBB61_785:                             ; =>This Inner Loop Header: Depth=1
	s_clause 0x3
	buffer_load_dword v140, v133, s[0:3], 0 offen offset:8
	buffer_load_dword v141, v133, s[0:3], 0 offen offset:12
	buffer_load_dword v142, v133, s[0:3], 0 offen
	buffer_load_dword v143, v133, s[0:3], 0 offen offset:4
	ds_read_b128 v[136:139], v132
	v_add_nc_u32_e32 v131, -1, v131
	v_add_nc_u32_e32 v132, 16, v132
	v_add_nc_u32_e32 v133, 16, v133
	v_cmp_eq_u32_e32 vcc_lo, 0, v131
	s_or_b32 s71, vcc_lo, s71
	s_waitcnt vmcnt(2) lgkmcnt(0)
	v_mul_f64 v[144:145], v[138:139], v[140:141]
	v_mul_f64 v[140:141], v[136:137], v[140:141]
	s_waitcnt vmcnt(0)
	v_fma_f64 v[136:137], v[136:137], v[142:143], -v[144:145]
	v_fma_f64 v[138:139], v[138:139], v[142:143], v[140:141]
	v_add_f64 v[1:2], v[1:2], v[136:137]
	v_add_f64 v[3:4], v[3:4], v[138:139]
	s_andn2_b32 exec_lo, exec_lo, s71
	s_cbranch_execnz .LBB61_785
; %bb.786:
	s_or_b32 exec_lo, exec_lo, s71
.LBB61_787:
	s_or_b32 exec_lo, exec_lo, s5
.LBB61_788:
	s_or_b32 exec_lo, exec_lo, s8
	v_mov_b32_e32 v131, 0
	ds_read_b128 v[131:134], v131 offset:64
	s_waitcnt lgkmcnt(0)
	v_mul_f64 v[136:137], v[3:4], v[133:134]
	v_mul_f64 v[133:134], v[1:2], v[133:134]
	v_fma_f64 v[1:2], v[1:2], v[131:132], -v[136:137]
	v_fma_f64 v[3:4], v[3:4], v[131:132], v[133:134]
	buffer_store_dword v2, off, s[0:3], 0 offset:68
	buffer_store_dword v1, off, s[0:3], 0 offset:64
	;; [unrolled: 1-line block ×4, first 2 shown]
.LBB61_789:
	s_or_b32 exec_lo, exec_lo, s6
	v_mov_b32_e32 v4, s68
	v_cmp_lt_u32_e64 s5, 3, v0
	s_clause 0x3
	buffer_load_dword v1, v4, s[0:3], 0 offen
	buffer_load_dword v2, v4, s[0:3], 0 offen offset:4
	buffer_load_dword v3, v4, s[0:3], 0 offen offset:8
	buffer_load_dword v4, v4, s[0:3], 0 offen offset:12
	s_waitcnt vmcnt(0)
	ds_write_b128 v130, v[1:4]
	s_waitcnt lgkmcnt(0)
	s_waitcnt_vscnt null, 0x0
	s_barrier
	buffer_gl0_inv
	s_and_saveexec_b32 s6, s5
	s_cbranch_execz .LBB61_803
; %bb.790:
	ds_read_b128 v[1:4], v130
	s_andn2_b32 vcc_lo, exec_lo, s7
	s_cbranch_vccnz .LBB61_792
; %bb.791:
	s_clause 0x3
	buffer_load_dword v131, v129, s[0:3], 0 offen offset:8
	buffer_load_dword v132, v129, s[0:3], 0 offen offset:12
	buffer_load_dword v133, v129, s[0:3], 0 offen
	buffer_load_dword v134, v129, s[0:3], 0 offen offset:4
	s_waitcnt vmcnt(2) lgkmcnt(0)
	v_mul_f64 v[136:137], v[3:4], v[131:132]
	v_mul_f64 v[131:132], v[1:2], v[131:132]
	s_waitcnt vmcnt(0)
	v_fma_f64 v[1:2], v[1:2], v[133:134], -v[136:137]
	v_fma_f64 v[3:4], v[3:4], v[133:134], v[131:132]
.LBB61_792:
	s_and_saveexec_b32 s8, s4
	s_cbranch_execz .LBB61_802
; %bb.793:
	v_add_nc_u32_e32 v132, -5, v0
	v_add_nc_u32_e32 v131, -4, v0
	v_mov_b32_e32 v133, 4
	s_mov_b32 s4, exec_lo
	v_cmpx_lt_u32_e32 6, v132
	s_cbranch_execz .LBB61_797
; %bb.794:
	v_and_b32_e32 v132, -8, v131
	s_movk_i32 s72, 0x420
	s_mov_b32 s71, 0
	s_mov_b32 s73, s67
	;; [unrolled: 1-line block ×3, first 2 shown]
.LBB61_795:                             ; =>This Inner Loop Header: Depth=1
	v_mov_b32_e32 v136, s73
	v_mov_b32_e32 v182, s72
	s_add_i32 s75, s74, 8
	s_add_i32 s74, s74, 12
	v_cmp_eq_u32_e32 vcc_lo, s75, v132
	s_clause 0x1f
	buffer_load_dword v133, v136, s[0:3], 0 offen offset:8
	buffer_load_dword v134, v136, s[0:3], 0 offen offset:12
	buffer_load_dword v144, v136, s[0:3], 0 offen
	buffer_load_dword v145, v136, s[0:3], 0 offen offset:4
	buffer_load_dword v146, v136, s[0:3], 0 offen offset:24
	;; [unrolled: 1-line block ×29, first 2 shown]
	ds_read_b128 v[136:139], v182
	ds_read_b128 v[140:143], v182 offset:16
	s_addk_i32 s72, 0x80
	s_addk_i32 s73, 0x80
	s_or_b32 s71, vcc_lo, s71
	s_waitcnt vmcnt(30) lgkmcnt(1)
	v_mul_f64 v[174:175], v[138:139], v[133:134]
	v_mul_f64 v[133:134], v[136:137], v[133:134]
	s_waitcnt vmcnt(26) lgkmcnt(0)
	v_mul_f64 v[176:177], v[142:143], v[146:147]
	v_mul_f64 v[178:179], v[140:141], v[146:147]
	v_fma_f64 v[174:175], v[136:137], v[144:145], -v[174:175]
	v_fma_f64 v[133:134], v[138:139], v[144:145], v[133:134]
	ds_read_b128 v[136:139], v182 offset:32
	ds_read_b128 v[144:147], v182 offset:48
	s_waitcnt vmcnt(24)
	v_fma_f64 v[140:141], v[140:141], v[148:149], -v[176:177]
	v_fma_f64 v[142:143], v[142:143], v[148:149], v[178:179]
	s_waitcnt vmcnt(22) lgkmcnt(1)
	v_mul_f64 v[180:181], v[138:139], v[150:151]
	v_mul_f64 v[150:151], v[136:137], v[150:151]
	v_add_f64 v[1:2], v[1:2], v[174:175]
	v_add_f64 v[3:4], v[3:4], v[133:134]
	s_waitcnt vmcnt(18) lgkmcnt(0)
	v_mul_f64 v[133:134], v[146:147], v[154:155]
	v_mul_f64 v[148:149], v[144:145], v[154:155]
	v_fma_f64 v[154:155], v[136:137], v[152:153], -v[180:181]
	v_fma_f64 v[150:151], v[138:139], v[152:153], v[150:151]
	v_add_f64 v[140:141], v[1:2], v[140:141]
	v_add_f64 v[142:143], v[3:4], v[142:143]
	ds_read_b128 v[1:4], v182 offset:64
	ds_read_b128 v[136:139], v182 offset:80
	s_waitcnt vmcnt(16)
	v_fma_f64 v[133:134], v[144:145], v[156:157], -v[133:134]
	v_fma_f64 v[144:145], v[146:147], v[156:157], v[148:149]
	s_waitcnt vmcnt(12) lgkmcnt(1)
	v_mul_f64 v[152:153], v[3:4], v[158:159]
	v_mul_f64 v[158:159], v[1:2], v[158:159]
	v_add_f64 v[140:141], v[140:141], v[154:155]
	v_add_f64 v[142:143], v[142:143], v[150:151]
	s_waitcnt vmcnt(10) lgkmcnt(0)
	v_mul_f64 v[146:147], v[138:139], v[160:161]
	v_mul_f64 v[148:149], v[136:137], v[160:161]
	s_waitcnt vmcnt(8)
	v_fma_f64 v[150:151], v[1:2], v[164:165], -v[152:153]
	v_fma_f64 v[152:153], v[3:4], v[164:165], v[158:159]
	v_add_f64 v[133:134], v[140:141], v[133:134]
	v_add_f64 v[144:145], v[142:143], v[144:145]
	ds_read_b128 v[1:4], v182 offset:96
	ds_read_b128 v[140:143], v182 offset:112
	v_fma_f64 v[136:137], v[136:137], v[162:163], -v[146:147]
	v_fma_f64 v[138:139], v[138:139], v[162:163], v[148:149]
	s_waitcnt vmcnt(4) lgkmcnt(1)
	v_mul_f64 v[154:155], v[3:4], v[166:167]
	v_mul_f64 v[156:157], v[1:2], v[166:167]
	v_add_f64 v[133:134], v[133:134], v[150:151]
	v_add_f64 v[144:145], v[144:145], v[152:153]
	s_waitcnt vmcnt(2) lgkmcnt(0)
	v_mul_f64 v[146:147], v[142:143], v[168:169]
	v_mul_f64 v[148:149], v[140:141], v[168:169]
	s_waitcnt vmcnt(0)
	v_fma_f64 v[1:2], v[1:2], v[172:173], -v[154:155]
	v_fma_f64 v[3:4], v[3:4], v[172:173], v[156:157]
	v_add_f64 v[133:134], v[133:134], v[136:137]
	v_add_f64 v[136:137], v[144:145], v[138:139]
	v_fma_f64 v[138:139], v[140:141], v[170:171], -v[146:147]
	v_fma_f64 v[140:141], v[142:143], v[170:171], v[148:149]
	v_add_f64 v[1:2], v[133:134], v[1:2]
	v_add_f64 v[3:4], v[136:137], v[3:4]
	v_mov_b32_e32 v133, s74
	s_mov_b32 s74, s75
	v_add_f64 v[1:2], v[1:2], v[138:139]
	v_add_f64 v[3:4], v[3:4], v[140:141]
	s_andn2_b32 exec_lo, exec_lo, s71
	s_cbranch_execnz .LBB61_795
; %bb.796:
	s_or_b32 exec_lo, exec_lo, s71
.LBB61_797:
	s_or_b32 exec_lo, exec_lo, s4
	v_and_b32_e32 v131, 7, v131
	s_mov_b32 s71, 0
	s_mov_b32 s4, exec_lo
	v_cmpx_ne_u32_e32 0, v131
	s_cbranch_execz .LBB61_801
; %bb.798:
	v_lshlrev_b32_e32 v133, 4, v133
	v_add_nc_u32_e32 v132, 0x3e0, v133
	.p2align	6
.LBB61_799:                             ; =>This Inner Loop Header: Depth=1
	s_clause 0x3
	buffer_load_dword v140, v133, s[0:3], 0 offen offset:8
	buffer_load_dword v141, v133, s[0:3], 0 offen offset:12
	buffer_load_dword v142, v133, s[0:3], 0 offen
	buffer_load_dword v143, v133, s[0:3], 0 offen offset:4
	ds_read_b128 v[136:139], v132
	v_add_nc_u32_e32 v131, -1, v131
	v_add_nc_u32_e32 v132, 16, v132
	v_add_nc_u32_e32 v133, 16, v133
	v_cmp_eq_u32_e32 vcc_lo, 0, v131
	s_or_b32 s71, vcc_lo, s71
	s_waitcnt vmcnt(2) lgkmcnt(0)
	v_mul_f64 v[144:145], v[138:139], v[140:141]
	v_mul_f64 v[140:141], v[136:137], v[140:141]
	s_waitcnt vmcnt(0)
	v_fma_f64 v[136:137], v[136:137], v[142:143], -v[144:145]
	v_fma_f64 v[138:139], v[138:139], v[142:143], v[140:141]
	v_add_f64 v[1:2], v[1:2], v[136:137]
	v_add_f64 v[3:4], v[3:4], v[138:139]
	s_andn2_b32 exec_lo, exec_lo, s71
	s_cbranch_execnz .LBB61_799
; %bb.800:
	s_or_b32 exec_lo, exec_lo, s71
.LBB61_801:
	s_or_b32 exec_lo, exec_lo, s4
.LBB61_802:
	s_or_b32 exec_lo, exec_lo, s8
	v_mov_b32_e32 v131, 0
	ds_read_b128 v[131:134], v131 offset:48
	s_waitcnt lgkmcnt(0)
	v_mul_f64 v[136:137], v[3:4], v[133:134]
	v_mul_f64 v[133:134], v[1:2], v[133:134]
	v_fma_f64 v[1:2], v[1:2], v[131:132], -v[136:137]
	v_fma_f64 v[3:4], v[3:4], v[131:132], v[133:134]
	buffer_store_dword v2, off, s[0:3], 0 offset:52
	buffer_store_dword v1, off, s[0:3], 0 offset:48
	;; [unrolled: 1-line block ×4, first 2 shown]
.LBB61_803:
	s_or_b32 exec_lo, exec_lo, s6
	v_mov_b32_e32 v4, s69
	v_cmp_lt_u32_e64 s6, 2, v0
	s_clause 0x3
	buffer_load_dword v1, v4, s[0:3], 0 offen
	buffer_load_dword v2, v4, s[0:3], 0 offen offset:4
	buffer_load_dword v3, v4, s[0:3], 0 offen offset:8
	;; [unrolled: 1-line block ×3, first 2 shown]
	s_waitcnt vmcnt(0)
	ds_write_b128 v130, v[1:4]
	s_waitcnt lgkmcnt(0)
	s_waitcnt_vscnt null, 0x0
	s_barrier
	buffer_gl0_inv
	s_and_saveexec_b32 s4, s6
	s_cbranch_execz .LBB61_817
; %bb.804:
	ds_read_b128 v[1:4], v130
	s_andn2_b32 vcc_lo, exec_lo, s7
	s_cbranch_vccnz .LBB61_806
; %bb.805:
	s_clause 0x3
	buffer_load_dword v131, v129, s[0:3], 0 offen offset:8
	buffer_load_dword v132, v129, s[0:3], 0 offen offset:12
	buffer_load_dword v133, v129, s[0:3], 0 offen
	buffer_load_dword v134, v129, s[0:3], 0 offen offset:4
	s_waitcnt vmcnt(2) lgkmcnt(0)
	v_mul_f64 v[136:137], v[3:4], v[131:132]
	v_mul_f64 v[131:132], v[1:2], v[131:132]
	s_waitcnt vmcnt(0)
	v_fma_f64 v[1:2], v[1:2], v[133:134], -v[136:137]
	v_fma_f64 v[3:4], v[3:4], v[133:134], v[131:132]
.LBB61_806:
	s_and_saveexec_b32 s8, s5
	s_cbranch_execz .LBB61_816
; %bb.807:
	v_add_nc_u32_e32 v132, -4, v0
	v_add_nc_u32_e32 v131, -3, v0
	v_mov_b32_e32 v133, 3
	s_mov_b32 s5, exec_lo
	v_cmpx_lt_u32_e32 6, v132
	s_cbranch_execz .LBB61_811
; %bb.808:
	v_and_b32_e32 v132, -8, v131
	s_movk_i32 s72, 0x410
	s_mov_b32 s71, 0
	s_mov_b32 s73, s68
	;; [unrolled: 1-line block ×3, first 2 shown]
.LBB61_809:                             ; =>This Inner Loop Header: Depth=1
	v_mov_b32_e32 v136, s73
	v_mov_b32_e32 v182, s72
	s_add_i32 s75, s74, 8
	s_add_i32 s74, s74, 11
	v_cmp_eq_u32_e32 vcc_lo, s75, v132
	s_clause 0x1f
	buffer_load_dword v133, v136, s[0:3], 0 offen offset:8
	buffer_load_dword v134, v136, s[0:3], 0 offen offset:12
	buffer_load_dword v144, v136, s[0:3], 0 offen
	buffer_load_dword v145, v136, s[0:3], 0 offen offset:4
	buffer_load_dword v146, v136, s[0:3], 0 offen offset:24
	;; [unrolled: 1-line block ×29, first 2 shown]
	ds_read_b128 v[136:139], v182
	ds_read_b128 v[140:143], v182 offset:16
	s_addk_i32 s72, 0x80
	s_addk_i32 s73, 0x80
	s_or_b32 s71, vcc_lo, s71
	s_waitcnt vmcnt(30) lgkmcnt(1)
	v_mul_f64 v[174:175], v[138:139], v[133:134]
	v_mul_f64 v[133:134], v[136:137], v[133:134]
	s_waitcnt vmcnt(26) lgkmcnt(0)
	v_mul_f64 v[176:177], v[142:143], v[146:147]
	v_mul_f64 v[178:179], v[140:141], v[146:147]
	v_fma_f64 v[174:175], v[136:137], v[144:145], -v[174:175]
	v_fma_f64 v[133:134], v[138:139], v[144:145], v[133:134]
	ds_read_b128 v[136:139], v182 offset:32
	ds_read_b128 v[144:147], v182 offset:48
	s_waitcnt vmcnt(24)
	v_fma_f64 v[140:141], v[140:141], v[148:149], -v[176:177]
	v_fma_f64 v[142:143], v[142:143], v[148:149], v[178:179]
	s_waitcnt vmcnt(22) lgkmcnt(1)
	v_mul_f64 v[180:181], v[138:139], v[150:151]
	v_mul_f64 v[150:151], v[136:137], v[150:151]
	v_add_f64 v[1:2], v[1:2], v[174:175]
	v_add_f64 v[3:4], v[3:4], v[133:134]
	s_waitcnt vmcnt(18) lgkmcnt(0)
	v_mul_f64 v[133:134], v[146:147], v[154:155]
	v_mul_f64 v[148:149], v[144:145], v[154:155]
	v_fma_f64 v[154:155], v[136:137], v[152:153], -v[180:181]
	v_fma_f64 v[150:151], v[138:139], v[152:153], v[150:151]
	v_add_f64 v[140:141], v[1:2], v[140:141]
	v_add_f64 v[142:143], v[3:4], v[142:143]
	ds_read_b128 v[1:4], v182 offset:64
	ds_read_b128 v[136:139], v182 offset:80
	s_waitcnt vmcnt(16)
	v_fma_f64 v[133:134], v[144:145], v[156:157], -v[133:134]
	v_fma_f64 v[144:145], v[146:147], v[156:157], v[148:149]
	s_waitcnt vmcnt(12) lgkmcnt(1)
	v_mul_f64 v[152:153], v[3:4], v[158:159]
	v_mul_f64 v[158:159], v[1:2], v[158:159]
	v_add_f64 v[140:141], v[140:141], v[154:155]
	v_add_f64 v[142:143], v[142:143], v[150:151]
	s_waitcnt vmcnt(10) lgkmcnt(0)
	v_mul_f64 v[146:147], v[138:139], v[160:161]
	v_mul_f64 v[148:149], v[136:137], v[160:161]
	s_waitcnt vmcnt(8)
	v_fma_f64 v[150:151], v[1:2], v[164:165], -v[152:153]
	v_fma_f64 v[152:153], v[3:4], v[164:165], v[158:159]
	v_add_f64 v[133:134], v[140:141], v[133:134]
	v_add_f64 v[144:145], v[142:143], v[144:145]
	ds_read_b128 v[1:4], v182 offset:96
	ds_read_b128 v[140:143], v182 offset:112
	v_fma_f64 v[136:137], v[136:137], v[162:163], -v[146:147]
	v_fma_f64 v[138:139], v[138:139], v[162:163], v[148:149]
	s_waitcnt vmcnt(4) lgkmcnt(1)
	v_mul_f64 v[154:155], v[3:4], v[166:167]
	v_mul_f64 v[156:157], v[1:2], v[166:167]
	v_add_f64 v[133:134], v[133:134], v[150:151]
	v_add_f64 v[144:145], v[144:145], v[152:153]
	s_waitcnt vmcnt(2) lgkmcnt(0)
	v_mul_f64 v[146:147], v[142:143], v[168:169]
	v_mul_f64 v[148:149], v[140:141], v[168:169]
	s_waitcnt vmcnt(0)
	v_fma_f64 v[1:2], v[1:2], v[172:173], -v[154:155]
	v_fma_f64 v[3:4], v[3:4], v[172:173], v[156:157]
	v_add_f64 v[133:134], v[133:134], v[136:137]
	v_add_f64 v[136:137], v[144:145], v[138:139]
	v_fma_f64 v[138:139], v[140:141], v[170:171], -v[146:147]
	v_fma_f64 v[140:141], v[142:143], v[170:171], v[148:149]
	v_add_f64 v[1:2], v[133:134], v[1:2]
	v_add_f64 v[3:4], v[136:137], v[3:4]
	v_mov_b32_e32 v133, s74
	s_mov_b32 s74, s75
	v_add_f64 v[1:2], v[1:2], v[138:139]
	v_add_f64 v[3:4], v[3:4], v[140:141]
	s_andn2_b32 exec_lo, exec_lo, s71
	s_cbranch_execnz .LBB61_809
; %bb.810:
	s_or_b32 exec_lo, exec_lo, s71
.LBB61_811:
	s_or_b32 exec_lo, exec_lo, s5
	v_and_b32_e32 v131, 7, v131
	s_mov_b32 s71, 0
	s_mov_b32 s5, exec_lo
	v_cmpx_ne_u32_e32 0, v131
	s_cbranch_execz .LBB61_815
; %bb.812:
	v_lshlrev_b32_e32 v133, 4, v133
	v_add_nc_u32_e32 v132, 0x3e0, v133
	.p2align	6
.LBB61_813:                             ; =>This Inner Loop Header: Depth=1
	s_clause 0x3
	buffer_load_dword v140, v133, s[0:3], 0 offen offset:8
	buffer_load_dword v141, v133, s[0:3], 0 offen offset:12
	buffer_load_dword v142, v133, s[0:3], 0 offen
	buffer_load_dword v143, v133, s[0:3], 0 offen offset:4
	ds_read_b128 v[136:139], v132
	v_add_nc_u32_e32 v131, -1, v131
	v_add_nc_u32_e32 v132, 16, v132
	v_add_nc_u32_e32 v133, 16, v133
	v_cmp_eq_u32_e32 vcc_lo, 0, v131
	s_or_b32 s71, vcc_lo, s71
	s_waitcnt vmcnt(2) lgkmcnt(0)
	v_mul_f64 v[144:145], v[138:139], v[140:141]
	v_mul_f64 v[140:141], v[136:137], v[140:141]
	s_waitcnt vmcnt(0)
	v_fma_f64 v[136:137], v[136:137], v[142:143], -v[144:145]
	v_fma_f64 v[138:139], v[138:139], v[142:143], v[140:141]
	v_add_f64 v[1:2], v[1:2], v[136:137]
	v_add_f64 v[3:4], v[3:4], v[138:139]
	s_andn2_b32 exec_lo, exec_lo, s71
	s_cbranch_execnz .LBB61_813
; %bb.814:
	s_or_b32 exec_lo, exec_lo, s71
.LBB61_815:
	s_or_b32 exec_lo, exec_lo, s5
.LBB61_816:
	s_or_b32 exec_lo, exec_lo, s8
	v_mov_b32_e32 v131, 0
	ds_read_b128 v[131:134], v131 offset:32
	s_waitcnt lgkmcnt(0)
	v_mul_f64 v[136:137], v[3:4], v[133:134]
	v_mul_f64 v[133:134], v[1:2], v[133:134]
	v_fma_f64 v[1:2], v[1:2], v[131:132], -v[136:137]
	v_fma_f64 v[3:4], v[3:4], v[131:132], v[133:134]
	buffer_store_dword v2, off, s[0:3], 0 offset:36
	buffer_store_dword v1, off, s[0:3], 0 offset:32
	buffer_store_dword v4, off, s[0:3], 0 offset:44
	buffer_store_dword v3, off, s[0:3], 0 offset:40
.LBB61_817:
	s_or_b32 exec_lo, exec_lo, s4
	v_mov_b32_e32 v4, s70
	v_cmp_lt_u32_e64 s4, 1, v0
	s_clause 0x3
	buffer_load_dword v1, v4, s[0:3], 0 offen
	buffer_load_dword v2, v4, s[0:3], 0 offen offset:4
	buffer_load_dword v3, v4, s[0:3], 0 offen offset:8
	;; [unrolled: 1-line block ×3, first 2 shown]
	s_waitcnt vmcnt(0)
	ds_write_b128 v130, v[1:4]
	s_waitcnt lgkmcnt(0)
	s_waitcnt_vscnt null, 0x0
	s_barrier
	buffer_gl0_inv
	s_and_saveexec_b32 s5, s4
	s_cbranch_execz .LBB61_831
; %bb.818:
	ds_read_b128 v[1:4], v130
	s_andn2_b32 vcc_lo, exec_lo, s7
	s_cbranch_vccnz .LBB61_820
; %bb.819:
	s_clause 0x3
	buffer_load_dword v131, v129, s[0:3], 0 offen offset:8
	buffer_load_dword v132, v129, s[0:3], 0 offen offset:12
	buffer_load_dword v133, v129, s[0:3], 0 offen
	buffer_load_dword v134, v129, s[0:3], 0 offen offset:4
	s_waitcnt vmcnt(2) lgkmcnt(0)
	v_mul_f64 v[136:137], v[3:4], v[131:132]
	v_mul_f64 v[131:132], v[1:2], v[131:132]
	s_waitcnt vmcnt(0)
	v_fma_f64 v[1:2], v[1:2], v[133:134], -v[136:137]
	v_fma_f64 v[3:4], v[3:4], v[133:134], v[131:132]
.LBB61_820:
	s_and_saveexec_b32 s8, s6
	s_cbranch_execz .LBB61_830
; %bb.821:
	v_add_nc_u32_e32 v132, -3, v0
	v_add_nc_u32_e32 v131, -2, v0
	v_mov_b32_e32 v133, 2
	s_mov_b32 s6, exec_lo
	v_cmpx_lt_u32_e32 6, v132
	s_cbranch_execz .LBB61_825
; %bb.822:
	v_and_b32_e32 v132, -8, v131
	s_movk_i32 s72, 0x400
	s_mov_b32 s71, 0
	s_mov_b32 s73, s69
	;; [unrolled: 1-line block ×3, first 2 shown]
.LBB61_823:                             ; =>This Inner Loop Header: Depth=1
	v_mov_b32_e32 v136, s73
	v_mov_b32_e32 v182, s72
	s_add_i32 s75, s74, 8
	s_add_i32 s74, s74, 10
	v_cmp_eq_u32_e32 vcc_lo, s75, v132
	s_clause 0x1f
	buffer_load_dword v133, v136, s[0:3], 0 offen offset:8
	buffer_load_dword v134, v136, s[0:3], 0 offen offset:12
	buffer_load_dword v144, v136, s[0:3], 0 offen
	buffer_load_dword v145, v136, s[0:3], 0 offen offset:4
	buffer_load_dword v146, v136, s[0:3], 0 offen offset:24
	;; [unrolled: 1-line block ×29, first 2 shown]
	ds_read_b128 v[136:139], v182
	ds_read_b128 v[140:143], v182 offset:16
	s_addk_i32 s72, 0x80
	s_addk_i32 s73, 0x80
	s_or_b32 s71, vcc_lo, s71
	s_waitcnt vmcnt(30) lgkmcnt(1)
	v_mul_f64 v[174:175], v[138:139], v[133:134]
	v_mul_f64 v[133:134], v[136:137], v[133:134]
	s_waitcnt vmcnt(26) lgkmcnt(0)
	v_mul_f64 v[176:177], v[142:143], v[146:147]
	v_mul_f64 v[178:179], v[140:141], v[146:147]
	v_fma_f64 v[174:175], v[136:137], v[144:145], -v[174:175]
	v_fma_f64 v[133:134], v[138:139], v[144:145], v[133:134]
	ds_read_b128 v[136:139], v182 offset:32
	ds_read_b128 v[144:147], v182 offset:48
	s_waitcnt vmcnt(24)
	v_fma_f64 v[140:141], v[140:141], v[148:149], -v[176:177]
	v_fma_f64 v[142:143], v[142:143], v[148:149], v[178:179]
	s_waitcnt vmcnt(22) lgkmcnt(1)
	v_mul_f64 v[180:181], v[138:139], v[150:151]
	v_mul_f64 v[150:151], v[136:137], v[150:151]
	v_add_f64 v[1:2], v[1:2], v[174:175]
	v_add_f64 v[3:4], v[3:4], v[133:134]
	s_waitcnt vmcnt(18) lgkmcnt(0)
	v_mul_f64 v[133:134], v[146:147], v[154:155]
	v_mul_f64 v[148:149], v[144:145], v[154:155]
	v_fma_f64 v[154:155], v[136:137], v[152:153], -v[180:181]
	v_fma_f64 v[150:151], v[138:139], v[152:153], v[150:151]
	v_add_f64 v[140:141], v[1:2], v[140:141]
	v_add_f64 v[142:143], v[3:4], v[142:143]
	ds_read_b128 v[1:4], v182 offset:64
	ds_read_b128 v[136:139], v182 offset:80
	s_waitcnt vmcnt(16)
	v_fma_f64 v[133:134], v[144:145], v[156:157], -v[133:134]
	v_fma_f64 v[144:145], v[146:147], v[156:157], v[148:149]
	s_waitcnt vmcnt(12) lgkmcnt(1)
	v_mul_f64 v[152:153], v[3:4], v[158:159]
	v_mul_f64 v[158:159], v[1:2], v[158:159]
	v_add_f64 v[140:141], v[140:141], v[154:155]
	v_add_f64 v[142:143], v[142:143], v[150:151]
	s_waitcnt vmcnt(10) lgkmcnt(0)
	v_mul_f64 v[146:147], v[138:139], v[160:161]
	v_mul_f64 v[148:149], v[136:137], v[160:161]
	s_waitcnt vmcnt(8)
	v_fma_f64 v[150:151], v[1:2], v[164:165], -v[152:153]
	v_fma_f64 v[152:153], v[3:4], v[164:165], v[158:159]
	v_add_f64 v[133:134], v[140:141], v[133:134]
	v_add_f64 v[144:145], v[142:143], v[144:145]
	ds_read_b128 v[1:4], v182 offset:96
	ds_read_b128 v[140:143], v182 offset:112
	v_fma_f64 v[136:137], v[136:137], v[162:163], -v[146:147]
	v_fma_f64 v[138:139], v[138:139], v[162:163], v[148:149]
	s_waitcnt vmcnt(4) lgkmcnt(1)
	v_mul_f64 v[154:155], v[3:4], v[166:167]
	v_mul_f64 v[156:157], v[1:2], v[166:167]
	v_add_f64 v[133:134], v[133:134], v[150:151]
	v_add_f64 v[144:145], v[144:145], v[152:153]
	s_waitcnt vmcnt(2) lgkmcnt(0)
	v_mul_f64 v[146:147], v[142:143], v[168:169]
	v_mul_f64 v[148:149], v[140:141], v[168:169]
	s_waitcnt vmcnt(0)
	v_fma_f64 v[1:2], v[1:2], v[172:173], -v[154:155]
	v_fma_f64 v[3:4], v[3:4], v[172:173], v[156:157]
	v_add_f64 v[133:134], v[133:134], v[136:137]
	v_add_f64 v[136:137], v[144:145], v[138:139]
	v_fma_f64 v[138:139], v[140:141], v[170:171], -v[146:147]
	v_fma_f64 v[140:141], v[142:143], v[170:171], v[148:149]
	v_add_f64 v[1:2], v[133:134], v[1:2]
	v_add_f64 v[3:4], v[136:137], v[3:4]
	v_mov_b32_e32 v133, s74
	s_mov_b32 s74, s75
	v_add_f64 v[1:2], v[1:2], v[138:139]
	v_add_f64 v[3:4], v[3:4], v[140:141]
	s_andn2_b32 exec_lo, exec_lo, s71
	s_cbranch_execnz .LBB61_823
; %bb.824:
	s_or_b32 exec_lo, exec_lo, s71
.LBB61_825:
	s_or_b32 exec_lo, exec_lo, s6
	v_and_b32_e32 v131, 7, v131
	s_mov_b32 s71, 0
	s_mov_b32 s6, exec_lo
	v_cmpx_ne_u32_e32 0, v131
	s_cbranch_execz .LBB61_829
; %bb.826:
	v_lshlrev_b32_e32 v133, 4, v133
	v_add_nc_u32_e32 v132, 0x3e0, v133
	.p2align	6
.LBB61_827:                             ; =>This Inner Loop Header: Depth=1
	s_clause 0x3
	buffer_load_dword v140, v133, s[0:3], 0 offen offset:8
	buffer_load_dword v141, v133, s[0:3], 0 offen offset:12
	buffer_load_dword v142, v133, s[0:3], 0 offen
	buffer_load_dword v143, v133, s[0:3], 0 offen offset:4
	ds_read_b128 v[136:139], v132
	v_add_nc_u32_e32 v131, -1, v131
	v_add_nc_u32_e32 v132, 16, v132
	v_add_nc_u32_e32 v133, 16, v133
	v_cmp_eq_u32_e32 vcc_lo, 0, v131
	s_or_b32 s71, vcc_lo, s71
	s_waitcnt vmcnt(2) lgkmcnt(0)
	v_mul_f64 v[144:145], v[138:139], v[140:141]
	v_mul_f64 v[140:141], v[136:137], v[140:141]
	s_waitcnt vmcnt(0)
	v_fma_f64 v[136:137], v[136:137], v[142:143], -v[144:145]
	v_fma_f64 v[138:139], v[138:139], v[142:143], v[140:141]
	v_add_f64 v[1:2], v[1:2], v[136:137]
	v_add_f64 v[3:4], v[3:4], v[138:139]
	s_andn2_b32 exec_lo, exec_lo, s71
	s_cbranch_execnz .LBB61_827
; %bb.828:
	s_or_b32 exec_lo, exec_lo, s71
.LBB61_829:
	s_or_b32 exec_lo, exec_lo, s6
.LBB61_830:
	s_or_b32 exec_lo, exec_lo, s8
	v_mov_b32_e32 v131, 0
	ds_read_b128 v[131:134], v131 offset:16
	s_waitcnt lgkmcnt(0)
	v_mul_f64 v[136:137], v[3:4], v[133:134]
	v_mul_f64 v[133:134], v[1:2], v[133:134]
	v_fma_f64 v[1:2], v[1:2], v[131:132], -v[136:137]
	v_fma_f64 v[3:4], v[3:4], v[131:132], v[133:134]
	buffer_store_dword v2, off, s[0:3], 0 offset:20
	buffer_store_dword v1, off, s[0:3], 0 offset:16
	;; [unrolled: 1-line block ×4, first 2 shown]
.LBB61_831:
	s_or_b32 exec_lo, exec_lo, s5
	s_clause 0x3
	buffer_load_dword v1, off, s[0:3], 0
	buffer_load_dword v2, off, s[0:3], 0 offset:4
	buffer_load_dword v3, off, s[0:3], 0 offset:8
	;; [unrolled: 1-line block ×3, first 2 shown]
	s_mov_b32 s5, 0
	s_mov_b32 s8, 0
	s_mov_b32 s6, exec_lo
                                        ; implicit-def: $sgpr71
	s_waitcnt vmcnt(0)
	ds_write_b128 v130, v[1:4]
	s_waitcnt lgkmcnt(0)
	s_waitcnt_vscnt null, 0x0
	s_barrier
	buffer_gl0_inv
                                        ; implicit-def: $vgpr1_vgpr2
	v_cmpx_ne_u32_e32 0, v0
	s_cbranch_execz .LBB61_845
; %bb.832:
	ds_read_b128 v[1:4], v130
	s_andn2_b32 vcc_lo, exec_lo, s7
	s_cbranch_vccnz .LBB61_834
; %bb.833:
	s_clause 0x3
	buffer_load_dword v131, v129, s[0:3], 0 offen offset:8
	buffer_load_dword v132, v129, s[0:3], 0 offen offset:12
	buffer_load_dword v133, v129, s[0:3], 0 offen
	buffer_load_dword v134, v129, s[0:3], 0 offen offset:4
	s_waitcnt vmcnt(2) lgkmcnt(0)
	v_mul_f64 v[136:137], v[3:4], v[131:132]
	v_mul_f64 v[131:132], v[1:2], v[131:132]
	s_waitcnt vmcnt(0)
	v_fma_f64 v[1:2], v[1:2], v[133:134], -v[136:137]
	v_fma_f64 v[3:4], v[3:4], v[133:134], v[131:132]
.LBB61_834:
	s_and_saveexec_b32 s8, s4
	s_cbranch_execz .LBB61_844
; %bb.835:
	v_add_nc_u32_e32 v132, -2, v0
	v_add_nc_u32_e32 v131, -1, v0
	v_mov_b32_e32 v133, 1
	s_mov_b32 s4, exec_lo
	v_cmpx_lt_u32_e32 6, v132
	s_cbranch_execz .LBB61_839
; %bb.836:
	v_and_b32_e32 v132, -8, v131
	s_movk_i32 s72, 0x3f0
	s_mov_b32 s71, 0
	s_mov_b32 s73, s70
	;; [unrolled: 1-line block ×3, first 2 shown]
.LBB61_837:                             ; =>This Inner Loop Header: Depth=1
	v_mov_b32_e32 v136, s73
	v_mov_b32_e32 v182, s72
	s_add_i32 s75, s74, 8
	s_add_i32 s74, s74, 9
	v_cmp_eq_u32_e32 vcc_lo, s75, v132
	s_clause 0x1f
	buffer_load_dword v133, v136, s[0:3], 0 offen offset:8
	buffer_load_dword v134, v136, s[0:3], 0 offen offset:12
	buffer_load_dword v144, v136, s[0:3], 0 offen
	buffer_load_dword v145, v136, s[0:3], 0 offen offset:4
	buffer_load_dword v146, v136, s[0:3], 0 offen offset:24
	;; [unrolled: 1-line block ×29, first 2 shown]
	ds_read_b128 v[136:139], v182
	ds_read_b128 v[140:143], v182 offset:16
	s_addk_i32 s72, 0x80
	s_addk_i32 s73, 0x80
	s_or_b32 s71, vcc_lo, s71
	s_waitcnt vmcnt(30) lgkmcnt(1)
	v_mul_f64 v[174:175], v[138:139], v[133:134]
	v_mul_f64 v[133:134], v[136:137], v[133:134]
	s_waitcnt vmcnt(26) lgkmcnt(0)
	v_mul_f64 v[176:177], v[142:143], v[146:147]
	v_mul_f64 v[178:179], v[140:141], v[146:147]
	v_fma_f64 v[174:175], v[136:137], v[144:145], -v[174:175]
	v_fma_f64 v[133:134], v[138:139], v[144:145], v[133:134]
	ds_read_b128 v[136:139], v182 offset:32
	ds_read_b128 v[144:147], v182 offset:48
	s_waitcnt vmcnt(24)
	v_fma_f64 v[140:141], v[140:141], v[148:149], -v[176:177]
	v_fma_f64 v[142:143], v[142:143], v[148:149], v[178:179]
	s_waitcnt vmcnt(22) lgkmcnt(1)
	v_mul_f64 v[180:181], v[138:139], v[150:151]
	v_mul_f64 v[150:151], v[136:137], v[150:151]
	v_add_f64 v[1:2], v[1:2], v[174:175]
	v_add_f64 v[3:4], v[3:4], v[133:134]
	s_waitcnt vmcnt(18) lgkmcnt(0)
	v_mul_f64 v[133:134], v[146:147], v[154:155]
	v_mul_f64 v[148:149], v[144:145], v[154:155]
	v_fma_f64 v[154:155], v[136:137], v[152:153], -v[180:181]
	v_fma_f64 v[150:151], v[138:139], v[152:153], v[150:151]
	v_add_f64 v[140:141], v[1:2], v[140:141]
	v_add_f64 v[142:143], v[3:4], v[142:143]
	ds_read_b128 v[1:4], v182 offset:64
	ds_read_b128 v[136:139], v182 offset:80
	s_waitcnt vmcnt(16)
	v_fma_f64 v[133:134], v[144:145], v[156:157], -v[133:134]
	v_fma_f64 v[144:145], v[146:147], v[156:157], v[148:149]
	s_waitcnt vmcnt(12) lgkmcnt(1)
	v_mul_f64 v[152:153], v[3:4], v[158:159]
	v_mul_f64 v[158:159], v[1:2], v[158:159]
	v_add_f64 v[140:141], v[140:141], v[154:155]
	v_add_f64 v[142:143], v[142:143], v[150:151]
	s_waitcnt vmcnt(10) lgkmcnt(0)
	v_mul_f64 v[146:147], v[138:139], v[160:161]
	v_mul_f64 v[148:149], v[136:137], v[160:161]
	s_waitcnt vmcnt(8)
	v_fma_f64 v[150:151], v[1:2], v[164:165], -v[152:153]
	v_fma_f64 v[152:153], v[3:4], v[164:165], v[158:159]
	v_add_f64 v[133:134], v[140:141], v[133:134]
	v_add_f64 v[144:145], v[142:143], v[144:145]
	ds_read_b128 v[1:4], v182 offset:96
	ds_read_b128 v[140:143], v182 offset:112
	v_fma_f64 v[136:137], v[136:137], v[162:163], -v[146:147]
	v_fma_f64 v[138:139], v[138:139], v[162:163], v[148:149]
	s_waitcnt vmcnt(4) lgkmcnt(1)
	v_mul_f64 v[154:155], v[3:4], v[166:167]
	v_mul_f64 v[156:157], v[1:2], v[166:167]
	v_add_f64 v[133:134], v[133:134], v[150:151]
	v_add_f64 v[144:145], v[144:145], v[152:153]
	s_waitcnt vmcnt(2) lgkmcnt(0)
	v_mul_f64 v[146:147], v[142:143], v[168:169]
	v_mul_f64 v[148:149], v[140:141], v[168:169]
	s_waitcnt vmcnt(0)
	v_fma_f64 v[1:2], v[1:2], v[172:173], -v[154:155]
	v_fma_f64 v[3:4], v[3:4], v[172:173], v[156:157]
	v_add_f64 v[133:134], v[133:134], v[136:137]
	v_add_f64 v[136:137], v[144:145], v[138:139]
	v_fma_f64 v[138:139], v[140:141], v[170:171], -v[146:147]
	v_fma_f64 v[140:141], v[142:143], v[170:171], v[148:149]
	v_add_f64 v[1:2], v[133:134], v[1:2]
	v_add_f64 v[3:4], v[136:137], v[3:4]
	v_mov_b32_e32 v133, s74
	s_mov_b32 s74, s75
	v_add_f64 v[1:2], v[1:2], v[138:139]
	v_add_f64 v[3:4], v[3:4], v[140:141]
	s_andn2_b32 exec_lo, exec_lo, s71
	s_cbranch_execnz .LBB61_837
; %bb.838:
	s_or_b32 exec_lo, exec_lo, s71
.LBB61_839:
	s_or_b32 exec_lo, exec_lo, s4
	v_and_b32_e32 v131, 7, v131
	s_mov_b32 s71, 0
	s_mov_b32 s4, exec_lo
	v_cmpx_ne_u32_e32 0, v131
	s_cbranch_execz .LBB61_843
; %bb.840:
	v_lshlrev_b32_e32 v133, 4, v133
	v_add_nc_u32_e32 v132, 0x3e0, v133
	.p2align	6
.LBB61_841:                             ; =>This Inner Loop Header: Depth=1
	s_clause 0x3
	buffer_load_dword v140, v133, s[0:3], 0 offen offset:8
	buffer_load_dword v141, v133, s[0:3], 0 offen offset:12
	buffer_load_dword v142, v133, s[0:3], 0 offen
	buffer_load_dword v143, v133, s[0:3], 0 offen offset:4
	ds_read_b128 v[136:139], v132
	v_add_nc_u32_e32 v131, -1, v131
	v_add_nc_u32_e32 v132, 16, v132
	v_add_nc_u32_e32 v133, 16, v133
	v_cmp_eq_u32_e32 vcc_lo, 0, v131
	s_or_b32 s71, vcc_lo, s71
	s_waitcnt vmcnt(2) lgkmcnt(0)
	v_mul_f64 v[144:145], v[138:139], v[140:141]
	v_mul_f64 v[140:141], v[136:137], v[140:141]
	s_waitcnt vmcnt(0)
	v_fma_f64 v[136:137], v[136:137], v[142:143], -v[144:145]
	v_fma_f64 v[138:139], v[138:139], v[142:143], v[140:141]
	v_add_f64 v[1:2], v[1:2], v[136:137]
	v_add_f64 v[3:4], v[3:4], v[138:139]
	s_andn2_b32 exec_lo, exec_lo, s71
	s_cbranch_execnz .LBB61_841
; %bb.842:
	s_or_b32 exec_lo, exec_lo, s71
.LBB61_843:
	s_or_b32 exec_lo, exec_lo, s4
.LBB61_844:
	s_or_b32 exec_lo, exec_lo, s8
	v_mov_b32_e32 v131, 0
	s_mov_b32 s8, exec_lo
	s_or_b32 s71, 0, 8
	ds_read_b128 v[131:134], v131
	s_waitcnt lgkmcnt(0)
	v_mul_f64 v[136:137], v[3:4], v[133:134]
	v_mul_f64 v[133:134], v[1:2], v[133:134]
	v_fma_f64 v[136:137], v[1:2], v[131:132], -v[136:137]
	v_fma_f64 v[1:2], v[3:4], v[131:132], v[133:134]
	buffer_store_dword v137, off, s[0:3], 0 offset:4
	buffer_store_dword v136, off, s[0:3], 0
.LBB61_845:
	s_or_b32 exec_lo, exec_lo, s6
	s_and_b32 vcc_lo, exec_lo, s5
	s_cbranch_vccnz .LBB61_847
	s_branch .LBB61_1342
.LBB61_846:
	s_mov_b32 s8, 0
                                        ; implicit-def: $vgpr1_vgpr2
                                        ; implicit-def: $sgpr71
	s_cbranch_execz .LBB61_1342
.LBB61_847:
	v_mov_b32_e32 v4, s70
	v_cmp_eq_u32_e64 s4, 0, v0
	v_cndmask_b32_e64 v131, 0, 1, s7
	s_clause 0x3
	buffer_load_dword v1, v4, s[0:3], 0 offen
	buffer_load_dword v2, v4, s[0:3], 0 offen offset:4
	buffer_load_dword v3, v4, s[0:3], 0 offen offset:8
	;; [unrolled: 1-line block ×3, first 2 shown]
	s_waitcnt vmcnt(0)
	ds_write_b128 v130, v[1:4]
	s_waitcnt lgkmcnt(0)
	s_waitcnt_vscnt null, 0x0
	s_barrier
	buffer_gl0_inv
	s_and_saveexec_b32 s5, s4
	s_cbranch_execz .LBB61_851
; %bb.848:
	ds_read_b128 v[1:4], v130
	s_andn2_b32 vcc_lo, exec_lo, s7
	s_cbranch_vccnz .LBB61_850
; %bb.849:
	s_clause 0x3
	buffer_load_dword v132, v129, s[0:3], 0 offen offset:8
	buffer_load_dword v133, v129, s[0:3], 0 offen offset:12
	buffer_load_dword v136, v129, s[0:3], 0 offen
	buffer_load_dword v137, v129, s[0:3], 0 offen offset:4
	s_waitcnt vmcnt(2) lgkmcnt(0)
	v_mul_f64 v[138:139], v[3:4], v[132:133]
	v_mul_f64 v[132:133], v[1:2], v[132:133]
	s_waitcnt vmcnt(0)
	v_fma_f64 v[1:2], v[1:2], v[136:137], -v[138:139]
	v_fma_f64 v[3:4], v[3:4], v[136:137], v[132:133]
.LBB61_850:
	v_mov_b32_e32 v132, 0
	ds_read_b128 v[136:139], v132 offset:16
	s_waitcnt lgkmcnt(0)
	v_mul_f64 v[132:133], v[3:4], v[138:139]
	v_mul_f64 v[138:139], v[1:2], v[138:139]
	v_fma_f64 v[1:2], v[1:2], v[136:137], -v[132:133]
	v_fma_f64 v[3:4], v[3:4], v[136:137], v[138:139]
	buffer_store_dword v2, off, s[0:3], 0 offset:20
	buffer_store_dword v1, off, s[0:3], 0 offset:16
	buffer_store_dword v4, off, s[0:3], 0 offset:28
	buffer_store_dword v3, off, s[0:3], 0 offset:24
.LBB61_851:
	s_or_b32 exec_lo, exec_lo, s5
	v_mov_b32_e32 v4, s69
	s_mov_b32 s5, exec_lo
	s_clause 0x3
	buffer_load_dword v1, v4, s[0:3], 0 offen
	buffer_load_dword v2, v4, s[0:3], 0 offen offset:4
	buffer_load_dword v3, v4, s[0:3], 0 offen offset:8
	;; [unrolled: 1-line block ×3, first 2 shown]
	s_waitcnt vmcnt(0)
	ds_write_b128 v130, v[1:4]
	s_waitcnt lgkmcnt(0)
	s_waitcnt_vscnt null, 0x0
	s_barrier
	buffer_gl0_inv
	v_cmpx_gt_u32_e32 2, v0
	s_cbranch_execz .LBB61_857
; %bb.852:
	ds_read_b128 v[1:4], v130
	v_cmp_ne_u32_e32 vcc_lo, 1, v131
	s_cbranch_vccnz .LBB61_854
; %bb.853:
	s_clause 0x3
	buffer_load_dword v132, v129, s[0:3], 0 offen offset:8
	buffer_load_dword v133, v129, s[0:3], 0 offen offset:12
	buffer_load_dword v136, v129, s[0:3], 0 offen
	buffer_load_dword v137, v129, s[0:3], 0 offen offset:4
	s_waitcnt vmcnt(2) lgkmcnt(0)
	v_mul_f64 v[138:139], v[3:4], v[132:133]
	v_mul_f64 v[132:133], v[1:2], v[132:133]
	s_waitcnt vmcnt(0)
	v_fma_f64 v[1:2], v[1:2], v[136:137], -v[138:139]
	v_fma_f64 v[3:4], v[3:4], v[136:137], v[132:133]
.LBB61_854:
	s_and_saveexec_b32 s6, s4
	s_cbranch_execz .LBB61_856
; %bb.855:
	s_clause 0x3
	buffer_load_dword v132, off, s[0:3], 0 offset:24
	buffer_load_dword v133, off, s[0:3], 0 offset:28
	;; [unrolled: 1-line block ×4, first 2 shown]
	v_mov_b32_e32 v134, 0
	ds_read_b128 v[136:139], v134 offset:1008
	s_waitcnt vmcnt(2) lgkmcnt(0)
	v_mul_f64 v[142:143], v[138:139], v[132:133]
	v_mul_f64 v[132:133], v[136:137], v[132:133]
	s_waitcnt vmcnt(0)
	v_fma_f64 v[136:137], v[136:137], v[140:141], -v[142:143]
	v_fma_f64 v[132:133], v[138:139], v[140:141], v[132:133]
	v_add_f64 v[1:2], v[1:2], v[136:137]
	v_add_f64 v[3:4], v[3:4], v[132:133]
.LBB61_856:
	s_or_b32 exec_lo, exec_lo, s6
	v_mov_b32_e32 v132, 0
	ds_read_b128 v[136:139], v132 offset:32
	s_waitcnt lgkmcnt(0)
	v_mul_f64 v[132:133], v[3:4], v[138:139]
	v_mul_f64 v[138:139], v[1:2], v[138:139]
	v_fma_f64 v[1:2], v[1:2], v[136:137], -v[132:133]
	v_fma_f64 v[3:4], v[3:4], v[136:137], v[138:139]
	buffer_store_dword v2, off, s[0:3], 0 offset:36
	buffer_store_dword v1, off, s[0:3], 0 offset:32
	;; [unrolled: 1-line block ×4, first 2 shown]
.LBB61_857:
	s_or_b32 exec_lo, exec_lo, s5
	v_mov_b32_e32 v4, s68
	v_cmp_gt_u32_e64 s5, 3, v0
	s_clause 0x3
	buffer_load_dword v1, v4, s[0:3], 0 offen
	buffer_load_dword v2, v4, s[0:3], 0 offen offset:4
	buffer_load_dword v3, v4, s[0:3], 0 offen offset:8
	;; [unrolled: 1-line block ×3, first 2 shown]
	s_waitcnt vmcnt(0)
	ds_write_b128 v130, v[1:4]
	s_waitcnt lgkmcnt(0)
	s_waitcnt_vscnt null, 0x0
	s_barrier
	buffer_gl0_inv
	s_and_saveexec_b32 s6, s5
	s_cbranch_execz .LBB61_865
; %bb.858:
	ds_read_b128 v[1:4], v130
	v_cmp_ne_u32_e32 vcc_lo, 1, v131
	s_cbranch_vccnz .LBB61_860
; %bb.859:
	s_clause 0x3
	buffer_load_dword v132, v129, s[0:3], 0 offen offset:8
	buffer_load_dword v133, v129, s[0:3], 0 offen offset:12
	buffer_load_dword v136, v129, s[0:3], 0 offen
	buffer_load_dword v137, v129, s[0:3], 0 offen offset:4
	s_waitcnt vmcnt(2) lgkmcnt(0)
	v_mul_f64 v[138:139], v[3:4], v[132:133]
	v_mul_f64 v[132:133], v[1:2], v[132:133]
	s_waitcnt vmcnt(0)
	v_fma_f64 v[1:2], v[1:2], v[136:137], -v[138:139]
	v_fma_f64 v[3:4], v[3:4], v[136:137], v[132:133]
.LBB61_860:
	s_mov_b32 s7, exec_lo
	v_cmpx_ne_u32_e32 2, v0
	s_cbranch_execz .LBB61_864
; %bb.861:
	s_clause 0x3
	buffer_load_dword v132, v129, s[0:3], 0 offen offset:24
	buffer_load_dword v133, v129, s[0:3], 0 offen offset:28
	;; [unrolled: 1-line block ×4, first 2 shown]
	ds_read_b128 v[136:139], v130 offset:16
	s_waitcnt vmcnt(2) lgkmcnt(0)
	v_mul_f64 v[142:143], v[138:139], v[132:133]
	v_mul_f64 v[132:133], v[136:137], v[132:133]
	s_waitcnt vmcnt(0)
	v_fma_f64 v[136:137], v[136:137], v[140:141], -v[142:143]
	v_fma_f64 v[132:133], v[138:139], v[140:141], v[132:133]
	v_add_f64 v[1:2], v[1:2], v[136:137]
	v_add_f64 v[3:4], v[3:4], v[132:133]
	s_and_saveexec_b32 s71, s4
	s_cbranch_execz .LBB61_863
; %bb.862:
	s_clause 0x3
	buffer_load_dword v132, off, s[0:3], 0 offset:40
	buffer_load_dword v133, off, s[0:3], 0 offset:44
	;; [unrolled: 1-line block ×4, first 2 shown]
	v_mov_b32_e32 v134, 0
	ds_read_b128 v[136:139], v134 offset:1024
	s_waitcnt vmcnt(2) lgkmcnt(0)
	v_mul_f64 v[142:143], v[136:137], v[132:133]
	v_mul_f64 v[132:133], v[138:139], v[132:133]
	s_waitcnt vmcnt(0)
	v_fma_f64 v[138:139], v[138:139], v[140:141], v[142:143]
	v_fma_f64 v[132:133], v[136:137], v[140:141], -v[132:133]
	v_add_f64 v[3:4], v[3:4], v[138:139]
	v_add_f64 v[1:2], v[1:2], v[132:133]
.LBB61_863:
	s_or_b32 exec_lo, exec_lo, s71
.LBB61_864:
	s_or_b32 exec_lo, exec_lo, s7
	v_mov_b32_e32 v132, 0
	ds_read_b128 v[136:139], v132 offset:48
	s_waitcnt lgkmcnt(0)
	v_mul_f64 v[132:133], v[3:4], v[138:139]
	v_mul_f64 v[138:139], v[1:2], v[138:139]
	v_fma_f64 v[1:2], v[1:2], v[136:137], -v[132:133]
	v_fma_f64 v[3:4], v[3:4], v[136:137], v[138:139]
	buffer_store_dword v2, off, s[0:3], 0 offset:52
	buffer_store_dword v1, off, s[0:3], 0 offset:48
	;; [unrolled: 1-line block ×4, first 2 shown]
.LBB61_865:
	s_or_b32 exec_lo, exec_lo, s6
	v_mov_b32_e32 v4, s67
	s_mov_b32 s6, exec_lo
	s_clause 0x3
	buffer_load_dword v1, v4, s[0:3], 0 offen
	buffer_load_dword v2, v4, s[0:3], 0 offen offset:4
	buffer_load_dword v3, v4, s[0:3], 0 offen offset:8
	;; [unrolled: 1-line block ×3, first 2 shown]
	s_waitcnt vmcnt(0)
	ds_write_b128 v130, v[1:4]
	s_waitcnt lgkmcnt(0)
	s_waitcnt_vscnt null, 0x0
	s_barrier
	buffer_gl0_inv
	v_cmpx_gt_u32_e32 4, v0
	s_cbranch_execz .LBB61_873
; %bb.866:
	ds_read_b128 v[1:4], v130
	v_cmp_ne_u32_e32 vcc_lo, 1, v131
	s_cbranch_vccnz .LBB61_868
; %bb.867:
	s_clause 0x3
	buffer_load_dword v132, v129, s[0:3], 0 offen offset:8
	buffer_load_dword v133, v129, s[0:3], 0 offen offset:12
	buffer_load_dword v136, v129, s[0:3], 0 offen
	buffer_load_dword v137, v129, s[0:3], 0 offen offset:4
	s_waitcnt vmcnt(2) lgkmcnt(0)
	v_mul_f64 v[138:139], v[3:4], v[132:133]
	v_mul_f64 v[132:133], v[1:2], v[132:133]
	s_waitcnt vmcnt(0)
	v_fma_f64 v[1:2], v[1:2], v[136:137], -v[138:139]
	v_fma_f64 v[3:4], v[3:4], v[136:137], v[132:133]
.LBB61_868:
	s_mov_b32 s7, exec_lo
	v_cmpx_ne_u32_e32 3, v0
	s_cbranch_execz .LBB61_872
; %bb.869:
	v_add_nc_u32_e32 v132, 0x3f0, v135
	v_add3_u32 v133, 0, v135, 16
	v_mov_b32_e32 v134, v0
	s_mov_b32 s71, 0
	.p2align	6
.LBB61_870:                             ; =>This Inner Loop Header: Depth=1
	s_clause 0x3
	buffer_load_dword v140, v133, s[0:3], 0 offen offset:8
	buffer_load_dword v141, v133, s[0:3], 0 offen offset:12
	buffer_load_dword v142, v133, s[0:3], 0 offen
	buffer_load_dword v143, v133, s[0:3], 0 offen offset:4
	ds_read_b128 v[136:139], v132
	v_add_nc_u32_e32 v134, 1, v134
	v_add_nc_u32_e32 v132, 16, v132
	v_add_nc_u32_e32 v133, 16, v133
	v_cmp_lt_u32_e32 vcc_lo, 2, v134
	s_or_b32 s71, vcc_lo, s71
	s_waitcnt vmcnt(2) lgkmcnt(0)
	v_mul_f64 v[144:145], v[138:139], v[140:141]
	v_mul_f64 v[140:141], v[136:137], v[140:141]
	s_waitcnt vmcnt(0)
	v_fma_f64 v[136:137], v[136:137], v[142:143], -v[144:145]
	v_fma_f64 v[138:139], v[138:139], v[142:143], v[140:141]
	v_add_f64 v[1:2], v[1:2], v[136:137]
	v_add_f64 v[3:4], v[3:4], v[138:139]
	s_andn2_b32 exec_lo, exec_lo, s71
	s_cbranch_execnz .LBB61_870
; %bb.871:
	s_or_b32 exec_lo, exec_lo, s71
.LBB61_872:
	s_or_b32 exec_lo, exec_lo, s7
	v_mov_b32_e32 v132, 0
	ds_read_b128 v[136:139], v132 offset:64
	s_waitcnt lgkmcnt(0)
	v_mul_f64 v[132:133], v[3:4], v[138:139]
	v_mul_f64 v[138:139], v[1:2], v[138:139]
	v_fma_f64 v[1:2], v[1:2], v[136:137], -v[132:133]
	v_fma_f64 v[3:4], v[3:4], v[136:137], v[138:139]
	buffer_store_dword v2, off, s[0:3], 0 offset:68
	buffer_store_dword v1, off, s[0:3], 0 offset:64
	;; [unrolled: 1-line block ×4, first 2 shown]
.LBB61_873:
	s_or_b32 exec_lo, exec_lo, s6
	v_mov_b32_e32 v4, s66
	v_cmp_gt_u32_e64 s6, 5, v0
	s_clause 0x3
	buffer_load_dword v1, v4, s[0:3], 0 offen
	buffer_load_dword v2, v4, s[0:3], 0 offen offset:4
	buffer_load_dword v3, v4, s[0:3], 0 offen offset:8
	;; [unrolled: 1-line block ×3, first 2 shown]
	s_waitcnt vmcnt(0)
	ds_write_b128 v130, v[1:4]
	s_waitcnt lgkmcnt(0)
	s_waitcnt_vscnt null, 0x0
	s_barrier
	buffer_gl0_inv
	s_and_saveexec_b32 s7, s6
	s_cbranch_execz .LBB61_881
; %bb.874:
	ds_read_b128 v[1:4], v130
	v_cmp_ne_u32_e32 vcc_lo, 1, v131
	s_cbranch_vccnz .LBB61_876
; %bb.875:
	s_clause 0x3
	buffer_load_dword v132, v129, s[0:3], 0 offen offset:8
	buffer_load_dword v133, v129, s[0:3], 0 offen offset:12
	buffer_load_dword v136, v129, s[0:3], 0 offen
	buffer_load_dword v137, v129, s[0:3], 0 offen offset:4
	s_waitcnt vmcnt(2) lgkmcnt(0)
	v_mul_f64 v[138:139], v[3:4], v[132:133]
	v_mul_f64 v[132:133], v[1:2], v[132:133]
	s_waitcnt vmcnt(0)
	v_fma_f64 v[1:2], v[1:2], v[136:137], -v[138:139]
	v_fma_f64 v[3:4], v[3:4], v[136:137], v[132:133]
.LBB61_876:
	s_mov_b32 s71, exec_lo
	v_cmpx_ne_u32_e32 4, v0
	s_cbranch_execz .LBB61_880
; %bb.877:
	v_add_nc_u32_e32 v132, 0x3f0, v135
	v_add3_u32 v133, 0, v135, 16
	v_mov_b32_e32 v134, v0
	s_mov_b32 s72, 0
	.p2align	6
.LBB61_878:                             ; =>This Inner Loop Header: Depth=1
	s_clause 0x3
	buffer_load_dword v140, v133, s[0:3], 0 offen offset:8
	buffer_load_dword v141, v133, s[0:3], 0 offen offset:12
	buffer_load_dword v142, v133, s[0:3], 0 offen
	buffer_load_dword v143, v133, s[0:3], 0 offen offset:4
	ds_read_b128 v[136:139], v132
	v_add_nc_u32_e32 v134, 1, v134
	v_add_nc_u32_e32 v132, 16, v132
	;; [unrolled: 1-line block ×3, first 2 shown]
	v_cmp_lt_u32_e32 vcc_lo, 3, v134
	s_or_b32 s72, vcc_lo, s72
	s_waitcnt vmcnt(2) lgkmcnt(0)
	v_mul_f64 v[144:145], v[138:139], v[140:141]
	v_mul_f64 v[140:141], v[136:137], v[140:141]
	s_waitcnt vmcnt(0)
	v_fma_f64 v[136:137], v[136:137], v[142:143], -v[144:145]
	v_fma_f64 v[138:139], v[138:139], v[142:143], v[140:141]
	v_add_f64 v[1:2], v[1:2], v[136:137]
	v_add_f64 v[3:4], v[3:4], v[138:139]
	s_andn2_b32 exec_lo, exec_lo, s72
	s_cbranch_execnz .LBB61_878
; %bb.879:
	s_or_b32 exec_lo, exec_lo, s72
.LBB61_880:
	s_or_b32 exec_lo, exec_lo, s71
	v_mov_b32_e32 v132, 0
	ds_read_b128 v[136:139], v132 offset:80
	s_waitcnt lgkmcnt(0)
	v_mul_f64 v[132:133], v[3:4], v[138:139]
	v_mul_f64 v[138:139], v[1:2], v[138:139]
	v_fma_f64 v[1:2], v[1:2], v[136:137], -v[132:133]
	v_fma_f64 v[3:4], v[3:4], v[136:137], v[138:139]
	buffer_store_dword v2, off, s[0:3], 0 offset:84
	buffer_store_dword v1, off, s[0:3], 0 offset:80
	;; [unrolled: 1-line block ×4, first 2 shown]
.LBB61_881:
	s_or_b32 exec_lo, exec_lo, s7
	v_mov_b32_e32 v4, s65
	s_mov_b32 s7, exec_lo
	s_clause 0x3
	buffer_load_dword v1, v4, s[0:3], 0 offen
	buffer_load_dword v2, v4, s[0:3], 0 offen offset:4
	buffer_load_dword v3, v4, s[0:3], 0 offen offset:8
	;; [unrolled: 1-line block ×3, first 2 shown]
	s_waitcnt vmcnt(0)
	ds_write_b128 v130, v[1:4]
	s_waitcnt lgkmcnt(0)
	s_waitcnt_vscnt null, 0x0
	s_barrier
	buffer_gl0_inv
	v_cmpx_gt_u32_e32 6, v0
	s_cbranch_execz .LBB61_889
; %bb.882:
	ds_read_b128 v[1:4], v130
	v_cmp_ne_u32_e32 vcc_lo, 1, v131
	s_cbranch_vccnz .LBB61_884
; %bb.883:
	s_clause 0x3
	buffer_load_dword v132, v129, s[0:3], 0 offen offset:8
	buffer_load_dword v133, v129, s[0:3], 0 offen offset:12
	buffer_load_dword v136, v129, s[0:3], 0 offen
	buffer_load_dword v137, v129, s[0:3], 0 offen offset:4
	s_waitcnt vmcnt(2) lgkmcnt(0)
	v_mul_f64 v[138:139], v[3:4], v[132:133]
	v_mul_f64 v[132:133], v[1:2], v[132:133]
	s_waitcnt vmcnt(0)
	v_fma_f64 v[1:2], v[1:2], v[136:137], -v[138:139]
	v_fma_f64 v[3:4], v[3:4], v[136:137], v[132:133]
.LBB61_884:
	s_mov_b32 s71, exec_lo
	v_cmpx_ne_u32_e32 5, v0
	s_cbranch_execz .LBB61_888
; %bb.885:
	v_add_nc_u32_e32 v132, 0x3f0, v135
	v_add3_u32 v133, 0, v135, 16
	v_mov_b32_e32 v134, v0
	s_mov_b32 s72, 0
	.p2align	6
.LBB61_886:                             ; =>This Inner Loop Header: Depth=1
	s_clause 0x3
	buffer_load_dword v140, v133, s[0:3], 0 offen offset:8
	buffer_load_dword v141, v133, s[0:3], 0 offen offset:12
	buffer_load_dword v142, v133, s[0:3], 0 offen
	buffer_load_dword v143, v133, s[0:3], 0 offen offset:4
	ds_read_b128 v[136:139], v132
	v_add_nc_u32_e32 v134, 1, v134
	v_add_nc_u32_e32 v132, 16, v132
	;; [unrolled: 1-line block ×3, first 2 shown]
	v_cmp_lt_u32_e32 vcc_lo, 4, v134
	s_or_b32 s72, vcc_lo, s72
	s_waitcnt vmcnt(2) lgkmcnt(0)
	v_mul_f64 v[144:145], v[138:139], v[140:141]
	v_mul_f64 v[140:141], v[136:137], v[140:141]
	s_waitcnt vmcnt(0)
	v_fma_f64 v[136:137], v[136:137], v[142:143], -v[144:145]
	v_fma_f64 v[138:139], v[138:139], v[142:143], v[140:141]
	v_add_f64 v[1:2], v[1:2], v[136:137]
	v_add_f64 v[3:4], v[3:4], v[138:139]
	s_andn2_b32 exec_lo, exec_lo, s72
	s_cbranch_execnz .LBB61_886
; %bb.887:
	s_or_b32 exec_lo, exec_lo, s72
.LBB61_888:
	s_or_b32 exec_lo, exec_lo, s71
	v_mov_b32_e32 v132, 0
	ds_read_b128 v[136:139], v132 offset:96
	s_waitcnt lgkmcnt(0)
	v_mul_f64 v[132:133], v[3:4], v[138:139]
	v_mul_f64 v[138:139], v[1:2], v[138:139]
	v_fma_f64 v[1:2], v[1:2], v[136:137], -v[132:133]
	v_fma_f64 v[3:4], v[3:4], v[136:137], v[138:139]
	buffer_store_dword v2, off, s[0:3], 0 offset:100
	buffer_store_dword v1, off, s[0:3], 0 offset:96
	;; [unrolled: 1-line block ×4, first 2 shown]
.LBB61_889:
	s_or_b32 exec_lo, exec_lo, s7
	v_mov_b32_e32 v4, s64
	v_cmp_gt_u32_e64 s7, 7, v0
	s_clause 0x3
	buffer_load_dword v1, v4, s[0:3], 0 offen
	buffer_load_dword v2, v4, s[0:3], 0 offen offset:4
	buffer_load_dword v3, v4, s[0:3], 0 offen offset:8
	;; [unrolled: 1-line block ×3, first 2 shown]
	s_waitcnt vmcnt(0)
	ds_write_b128 v130, v[1:4]
	s_waitcnt lgkmcnt(0)
	s_waitcnt_vscnt null, 0x0
	s_barrier
	buffer_gl0_inv
	s_and_saveexec_b32 s71, s7
	s_cbranch_execz .LBB61_897
; %bb.890:
	ds_read_b128 v[1:4], v130
	v_cmp_ne_u32_e32 vcc_lo, 1, v131
	s_cbranch_vccnz .LBB61_892
; %bb.891:
	s_clause 0x3
	buffer_load_dword v132, v129, s[0:3], 0 offen offset:8
	buffer_load_dword v133, v129, s[0:3], 0 offen offset:12
	buffer_load_dword v136, v129, s[0:3], 0 offen
	buffer_load_dword v137, v129, s[0:3], 0 offen offset:4
	s_waitcnt vmcnt(2) lgkmcnt(0)
	v_mul_f64 v[138:139], v[3:4], v[132:133]
	v_mul_f64 v[132:133], v[1:2], v[132:133]
	s_waitcnt vmcnt(0)
	v_fma_f64 v[1:2], v[1:2], v[136:137], -v[138:139]
	v_fma_f64 v[3:4], v[3:4], v[136:137], v[132:133]
.LBB61_892:
	s_mov_b32 s72, exec_lo
	v_cmpx_ne_u32_e32 6, v0
	s_cbranch_execz .LBB61_896
; %bb.893:
	v_add_nc_u32_e32 v132, 0x3f0, v135
	v_add3_u32 v133, 0, v135, 16
	v_mov_b32_e32 v134, v0
	s_mov_b32 s73, 0
	.p2align	6
.LBB61_894:                             ; =>This Inner Loop Header: Depth=1
	s_clause 0x3
	buffer_load_dword v140, v133, s[0:3], 0 offen offset:8
	buffer_load_dword v141, v133, s[0:3], 0 offen offset:12
	buffer_load_dword v142, v133, s[0:3], 0 offen
	buffer_load_dword v143, v133, s[0:3], 0 offen offset:4
	ds_read_b128 v[136:139], v132
	v_add_nc_u32_e32 v134, 1, v134
	v_add_nc_u32_e32 v132, 16, v132
	;; [unrolled: 1-line block ×3, first 2 shown]
	v_cmp_lt_u32_e32 vcc_lo, 5, v134
	s_or_b32 s73, vcc_lo, s73
	s_waitcnt vmcnt(2) lgkmcnt(0)
	v_mul_f64 v[144:145], v[138:139], v[140:141]
	v_mul_f64 v[140:141], v[136:137], v[140:141]
	s_waitcnt vmcnt(0)
	v_fma_f64 v[136:137], v[136:137], v[142:143], -v[144:145]
	v_fma_f64 v[138:139], v[138:139], v[142:143], v[140:141]
	v_add_f64 v[1:2], v[1:2], v[136:137]
	v_add_f64 v[3:4], v[3:4], v[138:139]
	s_andn2_b32 exec_lo, exec_lo, s73
	s_cbranch_execnz .LBB61_894
; %bb.895:
	s_or_b32 exec_lo, exec_lo, s73
.LBB61_896:
	s_or_b32 exec_lo, exec_lo, s72
	v_mov_b32_e32 v132, 0
	ds_read_b128 v[136:139], v132 offset:112
	s_waitcnt lgkmcnt(0)
	v_mul_f64 v[132:133], v[3:4], v[138:139]
	v_mul_f64 v[138:139], v[1:2], v[138:139]
	v_fma_f64 v[1:2], v[1:2], v[136:137], -v[132:133]
	v_fma_f64 v[3:4], v[3:4], v[136:137], v[138:139]
	buffer_store_dword v2, off, s[0:3], 0 offset:116
	buffer_store_dword v1, off, s[0:3], 0 offset:112
	;; [unrolled: 1-line block ×4, first 2 shown]
.LBB61_897:
	s_or_b32 exec_lo, exec_lo, s71
	v_mov_b32_e32 v4, s63
	s_mov_b32 s71, exec_lo
	s_clause 0x3
	buffer_load_dword v1, v4, s[0:3], 0 offen
	buffer_load_dword v2, v4, s[0:3], 0 offen offset:4
	buffer_load_dword v3, v4, s[0:3], 0 offen offset:8
	;; [unrolled: 1-line block ×3, first 2 shown]
	s_waitcnt vmcnt(0)
	ds_write_b128 v130, v[1:4]
	s_waitcnt lgkmcnt(0)
	s_waitcnt_vscnt null, 0x0
	s_barrier
	buffer_gl0_inv
	v_cmpx_gt_u32_e32 8, v0
	s_cbranch_execz .LBB61_905
; %bb.898:
	ds_read_b128 v[1:4], v130
	v_cmp_ne_u32_e32 vcc_lo, 1, v131
	s_cbranch_vccnz .LBB61_900
; %bb.899:
	s_clause 0x3
	buffer_load_dword v132, v129, s[0:3], 0 offen offset:8
	buffer_load_dword v133, v129, s[0:3], 0 offen offset:12
	buffer_load_dword v136, v129, s[0:3], 0 offen
	buffer_load_dword v137, v129, s[0:3], 0 offen offset:4
	s_waitcnt vmcnt(2) lgkmcnt(0)
	v_mul_f64 v[138:139], v[3:4], v[132:133]
	v_mul_f64 v[132:133], v[1:2], v[132:133]
	s_waitcnt vmcnt(0)
	v_fma_f64 v[1:2], v[1:2], v[136:137], -v[138:139]
	v_fma_f64 v[3:4], v[3:4], v[136:137], v[132:133]
.LBB61_900:
	s_mov_b32 s72, exec_lo
	v_cmpx_ne_u32_e32 7, v0
	s_cbranch_execz .LBB61_904
; %bb.901:
	v_add_nc_u32_e32 v132, 0x3f0, v135
	v_add3_u32 v133, 0, v135, 16
	v_mov_b32_e32 v134, v0
	s_mov_b32 s73, 0
	.p2align	6
.LBB61_902:                             ; =>This Inner Loop Header: Depth=1
	s_clause 0x3
	buffer_load_dword v140, v133, s[0:3], 0 offen offset:8
	buffer_load_dword v141, v133, s[0:3], 0 offen offset:12
	buffer_load_dword v142, v133, s[0:3], 0 offen
	buffer_load_dword v143, v133, s[0:3], 0 offen offset:4
	ds_read_b128 v[136:139], v132
	v_add_nc_u32_e32 v134, 1, v134
	v_add_nc_u32_e32 v132, 16, v132
	;; [unrolled: 1-line block ×3, first 2 shown]
	v_cmp_lt_u32_e32 vcc_lo, 6, v134
	s_or_b32 s73, vcc_lo, s73
	s_waitcnt vmcnt(2) lgkmcnt(0)
	v_mul_f64 v[144:145], v[138:139], v[140:141]
	v_mul_f64 v[140:141], v[136:137], v[140:141]
	s_waitcnt vmcnt(0)
	v_fma_f64 v[136:137], v[136:137], v[142:143], -v[144:145]
	v_fma_f64 v[138:139], v[138:139], v[142:143], v[140:141]
	v_add_f64 v[1:2], v[1:2], v[136:137]
	v_add_f64 v[3:4], v[3:4], v[138:139]
	s_andn2_b32 exec_lo, exec_lo, s73
	s_cbranch_execnz .LBB61_902
; %bb.903:
	s_or_b32 exec_lo, exec_lo, s73
.LBB61_904:
	s_or_b32 exec_lo, exec_lo, s72
	v_mov_b32_e32 v132, 0
	ds_read_b128 v[136:139], v132 offset:128
	s_waitcnt lgkmcnt(0)
	v_mul_f64 v[132:133], v[3:4], v[138:139]
	v_mul_f64 v[138:139], v[1:2], v[138:139]
	v_fma_f64 v[1:2], v[1:2], v[136:137], -v[132:133]
	v_fma_f64 v[3:4], v[3:4], v[136:137], v[138:139]
	buffer_store_dword v2, off, s[0:3], 0 offset:132
	buffer_store_dword v1, off, s[0:3], 0 offset:128
	;; [unrolled: 1-line block ×4, first 2 shown]
.LBB61_905:
	s_or_b32 exec_lo, exec_lo, s71
	v_mov_b32_e32 v4, s62
	s_mov_b32 s71, exec_lo
	s_clause 0x3
	buffer_load_dword v1, v4, s[0:3], 0 offen
	buffer_load_dword v2, v4, s[0:3], 0 offen offset:4
	buffer_load_dword v3, v4, s[0:3], 0 offen offset:8
	;; [unrolled: 1-line block ×3, first 2 shown]
	s_waitcnt vmcnt(0)
	ds_write_b128 v130, v[1:4]
	s_waitcnt lgkmcnt(0)
	s_waitcnt_vscnt null, 0x0
	s_barrier
	buffer_gl0_inv
	v_cmpx_gt_u32_e32 9, v0
	s_cbranch_execz .LBB61_925
; %bb.906:
	ds_read_b128 v[1:4], v130
	v_cmp_ne_u32_e32 vcc_lo, 1, v131
	s_cbranch_vccnz .LBB61_908
; %bb.907:
	s_clause 0x3
	buffer_load_dword v132, v129, s[0:3], 0 offen offset:8
	buffer_load_dword v133, v129, s[0:3], 0 offen offset:12
	buffer_load_dword v136, v129, s[0:3], 0 offen
	buffer_load_dword v137, v129, s[0:3], 0 offen offset:4
	s_waitcnt vmcnt(2) lgkmcnt(0)
	v_mul_f64 v[138:139], v[3:4], v[132:133]
	v_mul_f64 v[132:133], v[1:2], v[132:133]
	s_waitcnt vmcnt(0)
	v_fma_f64 v[1:2], v[1:2], v[136:137], -v[138:139]
	v_fma_f64 v[3:4], v[3:4], v[136:137], v[132:133]
.LBB61_908:
	s_mov_b32 s72, exec_lo
	v_cmpx_ne_u32_e32 8, v0
	s_cbranch_execz .LBB61_924
; %bb.909:
	s_clause 0x3
	buffer_load_dword v132, v129, s[0:3], 0 offen offset:24
	buffer_load_dword v133, v129, s[0:3], 0 offen offset:28
	buffer_load_dword v140, v129, s[0:3], 0 offen offset:16
	buffer_load_dword v141, v129, s[0:3], 0 offen offset:20
	ds_read_b128 v[136:139], v130 offset:16
	s_waitcnt vmcnt(2) lgkmcnt(0)
	v_mul_f64 v[142:143], v[138:139], v[132:133]
	v_mul_f64 v[132:133], v[136:137], v[132:133]
	s_waitcnt vmcnt(0)
	v_fma_f64 v[136:137], v[136:137], v[140:141], -v[142:143]
	v_fma_f64 v[132:133], v[138:139], v[140:141], v[132:133]
	v_add_f64 v[1:2], v[1:2], v[136:137]
	v_add_f64 v[3:4], v[3:4], v[132:133]
	s_and_saveexec_b32 s73, s7
	s_cbranch_execz .LBB61_923
; %bb.910:
	s_clause 0x3
	buffer_load_dword v132, v129, s[0:3], 0 offen offset:40
	buffer_load_dword v133, v129, s[0:3], 0 offen offset:44
	buffer_load_dword v140, v129, s[0:3], 0 offen offset:32
	buffer_load_dword v141, v129, s[0:3], 0 offen offset:36
	ds_read_b128 v[136:139], v130 offset:32
	s_mov_b32 s7, exec_lo
	s_waitcnt vmcnt(2) lgkmcnt(0)
	v_mul_f64 v[142:143], v[138:139], v[132:133]
	v_mul_f64 v[132:133], v[136:137], v[132:133]
	s_waitcnt vmcnt(0)
	v_fma_f64 v[136:137], v[136:137], v[140:141], -v[142:143]
	v_fma_f64 v[132:133], v[138:139], v[140:141], v[132:133]
	v_add_f64 v[1:2], v[1:2], v[136:137]
	v_add_f64 v[3:4], v[3:4], v[132:133]
	v_cmpx_ne_u32_e32 6, v0
	s_cbranch_execz .LBB61_922
; %bb.911:
	s_clause 0x3
	buffer_load_dword v132, v129, s[0:3], 0 offen offset:56
	buffer_load_dword v133, v129, s[0:3], 0 offen offset:60
	buffer_load_dword v140, v129, s[0:3], 0 offen offset:48
	buffer_load_dword v141, v129, s[0:3], 0 offen offset:52
	ds_read_b128 v[136:139], v130 offset:48
	s_waitcnt vmcnt(2) lgkmcnt(0)
	v_mul_f64 v[142:143], v[138:139], v[132:133]
	v_mul_f64 v[132:133], v[136:137], v[132:133]
	s_waitcnt vmcnt(0)
	v_fma_f64 v[136:137], v[136:137], v[140:141], -v[142:143]
	v_fma_f64 v[132:133], v[138:139], v[140:141], v[132:133]
	v_add_f64 v[1:2], v[1:2], v[136:137]
	v_add_f64 v[3:4], v[3:4], v[132:133]
	s_and_saveexec_b32 s74, s6
	s_cbranch_execz .LBB61_921
; %bb.912:
	s_clause 0x3
	buffer_load_dword v132, v129, s[0:3], 0 offen offset:72
	buffer_load_dword v133, v129, s[0:3], 0 offen offset:76
	buffer_load_dword v140, v129, s[0:3], 0 offen offset:64
	buffer_load_dword v141, v129, s[0:3], 0 offen offset:68
	ds_read_b128 v[136:139], v130 offset:64
	s_mov_b32 s6, exec_lo
	s_waitcnt vmcnt(2) lgkmcnt(0)
	v_mul_f64 v[142:143], v[138:139], v[132:133]
	v_mul_f64 v[132:133], v[136:137], v[132:133]
	s_waitcnt vmcnt(0)
	v_fma_f64 v[136:137], v[136:137], v[140:141], -v[142:143]
	v_fma_f64 v[132:133], v[138:139], v[140:141], v[132:133]
	v_add_f64 v[1:2], v[1:2], v[136:137]
	v_add_f64 v[3:4], v[3:4], v[132:133]
	;; [unrolled: 35-line block ×3, first 2 shown]
	v_cmpx_ne_u32_e32 2, v0
	s_cbranch_execz .LBB61_918
; %bb.915:
	s_clause 0x3
	buffer_load_dword v132, v129, s[0:3], 0 offen offset:120
	buffer_load_dword v133, v129, s[0:3], 0 offen offset:124
	;; [unrolled: 1-line block ×4, first 2 shown]
	ds_read_b128 v[136:139], v130 offset:112
	s_waitcnt vmcnt(2) lgkmcnt(0)
	v_mul_f64 v[142:143], v[138:139], v[132:133]
	v_mul_f64 v[132:133], v[136:137], v[132:133]
	s_waitcnt vmcnt(0)
	v_fma_f64 v[136:137], v[136:137], v[140:141], -v[142:143]
	v_fma_f64 v[132:133], v[138:139], v[140:141], v[132:133]
	v_add_f64 v[1:2], v[1:2], v[136:137]
	v_add_f64 v[3:4], v[3:4], v[132:133]
	s_and_saveexec_b32 s76, s4
	s_cbranch_execz .LBB61_917
; %bb.916:
	s_clause 0x3
	buffer_load_dword v132, v129, s[0:3], 0 offen offset:136
	buffer_load_dword v133, v129, s[0:3], 0 offen offset:140
	;; [unrolled: 1-line block ×4, first 2 shown]
	ds_read_b128 v[136:139], v130 offset:128
	s_waitcnt vmcnt(2) lgkmcnt(0)
	v_mul_f64 v[142:143], v[138:139], v[132:133]
	v_mul_f64 v[132:133], v[136:137], v[132:133]
	s_waitcnt vmcnt(0)
	v_fma_f64 v[136:137], v[136:137], v[140:141], -v[142:143]
	v_fma_f64 v[132:133], v[138:139], v[140:141], v[132:133]
	v_add_f64 v[1:2], v[1:2], v[136:137]
	v_add_f64 v[3:4], v[3:4], v[132:133]
.LBB61_917:
	s_or_b32 exec_lo, exec_lo, s76
.LBB61_918:
	s_or_b32 exec_lo, exec_lo, s5
.LBB61_919:
	s_or_b32 exec_lo, exec_lo, s75
.LBB61_920:
	s_or_b32 exec_lo, exec_lo, s6
.LBB61_921:
	s_or_b32 exec_lo, exec_lo, s74
.LBB61_922:
	s_or_b32 exec_lo, exec_lo, s7
.LBB61_923:
	s_or_b32 exec_lo, exec_lo, s73
.LBB61_924:
	s_or_b32 exec_lo, exec_lo, s72
	v_mov_b32_e32 v132, 0
	ds_read_b128 v[136:139], v132 offset:144
	s_waitcnt lgkmcnt(0)
	v_mul_f64 v[132:133], v[3:4], v[138:139]
	v_mul_f64 v[138:139], v[1:2], v[138:139]
	v_fma_f64 v[1:2], v[1:2], v[136:137], -v[132:133]
	v_fma_f64 v[3:4], v[3:4], v[136:137], v[138:139]
	buffer_store_dword v2, off, s[0:3], 0 offset:148
	buffer_store_dword v1, off, s[0:3], 0 offset:144
	;; [unrolled: 1-line block ×4, first 2 shown]
.LBB61_925:
	s_or_b32 exec_lo, exec_lo, s71
	v_mov_b32_e32 v4, s61
	s_mov_b32 s4, exec_lo
	s_clause 0x3
	buffer_load_dword v1, v4, s[0:3], 0 offen
	buffer_load_dword v2, v4, s[0:3], 0 offen offset:4
	buffer_load_dword v3, v4, s[0:3], 0 offen offset:8
	;; [unrolled: 1-line block ×3, first 2 shown]
	s_waitcnt vmcnt(0)
	ds_write_b128 v130, v[1:4]
	s_waitcnt lgkmcnt(0)
	s_waitcnt_vscnt null, 0x0
	s_barrier
	buffer_gl0_inv
	v_cmpx_gt_u32_e32 10, v0
	s_cbranch_execz .LBB61_933
; %bb.926:
	ds_read_b128 v[1:4], v130
	v_cmp_ne_u32_e32 vcc_lo, 1, v131
	s_cbranch_vccnz .LBB61_928
; %bb.927:
	s_clause 0x3
	buffer_load_dword v132, v129, s[0:3], 0 offen offset:8
	buffer_load_dword v133, v129, s[0:3], 0 offen offset:12
	buffer_load_dword v136, v129, s[0:3], 0 offen
	buffer_load_dword v137, v129, s[0:3], 0 offen offset:4
	s_waitcnt vmcnt(2) lgkmcnt(0)
	v_mul_f64 v[138:139], v[3:4], v[132:133]
	v_mul_f64 v[132:133], v[1:2], v[132:133]
	s_waitcnt vmcnt(0)
	v_fma_f64 v[1:2], v[1:2], v[136:137], -v[138:139]
	v_fma_f64 v[3:4], v[3:4], v[136:137], v[132:133]
.LBB61_928:
	s_mov_b32 s5, exec_lo
	v_cmpx_ne_u32_e32 9, v0
	s_cbranch_execz .LBB61_932
; %bb.929:
	v_add_nc_u32_e32 v132, 0x3f0, v135
	v_add3_u32 v133, 0, v135, 16
	v_mov_b32_e32 v134, v0
	s_mov_b32 s6, 0
	.p2align	6
.LBB61_930:                             ; =>This Inner Loop Header: Depth=1
	s_clause 0x3
	buffer_load_dword v140, v133, s[0:3], 0 offen offset:8
	buffer_load_dword v141, v133, s[0:3], 0 offen offset:12
	buffer_load_dword v142, v133, s[0:3], 0 offen
	buffer_load_dword v143, v133, s[0:3], 0 offen offset:4
	ds_read_b128 v[136:139], v132
	v_add_nc_u32_e32 v134, 1, v134
	v_add_nc_u32_e32 v132, 16, v132
	v_add_nc_u32_e32 v133, 16, v133
	v_cmp_lt_u32_e32 vcc_lo, 8, v134
	s_or_b32 s6, vcc_lo, s6
	s_waitcnt vmcnt(2) lgkmcnt(0)
	v_mul_f64 v[144:145], v[138:139], v[140:141]
	v_mul_f64 v[140:141], v[136:137], v[140:141]
	s_waitcnt vmcnt(0)
	v_fma_f64 v[136:137], v[136:137], v[142:143], -v[144:145]
	v_fma_f64 v[138:139], v[138:139], v[142:143], v[140:141]
	v_add_f64 v[1:2], v[1:2], v[136:137]
	v_add_f64 v[3:4], v[3:4], v[138:139]
	s_andn2_b32 exec_lo, exec_lo, s6
	s_cbranch_execnz .LBB61_930
; %bb.931:
	s_or_b32 exec_lo, exec_lo, s6
.LBB61_932:
	s_or_b32 exec_lo, exec_lo, s5
	v_mov_b32_e32 v132, 0
	ds_read_b128 v[136:139], v132 offset:160
	s_waitcnt lgkmcnt(0)
	v_mul_f64 v[132:133], v[3:4], v[138:139]
	v_mul_f64 v[138:139], v[1:2], v[138:139]
	v_fma_f64 v[1:2], v[1:2], v[136:137], -v[132:133]
	v_fma_f64 v[3:4], v[3:4], v[136:137], v[138:139]
	buffer_store_dword v2, off, s[0:3], 0 offset:164
	buffer_store_dword v1, off, s[0:3], 0 offset:160
	;; [unrolled: 1-line block ×4, first 2 shown]
.LBB61_933:
	s_or_b32 exec_lo, exec_lo, s4
	v_mov_b32_e32 v4, s60
	s_mov_b32 s4, exec_lo
	s_clause 0x3
	buffer_load_dword v1, v4, s[0:3], 0 offen
	buffer_load_dword v2, v4, s[0:3], 0 offen offset:4
	buffer_load_dword v3, v4, s[0:3], 0 offen offset:8
	;; [unrolled: 1-line block ×3, first 2 shown]
	s_waitcnt vmcnt(0)
	ds_write_b128 v130, v[1:4]
	s_waitcnt lgkmcnt(0)
	s_waitcnt_vscnt null, 0x0
	s_barrier
	buffer_gl0_inv
	v_cmpx_gt_u32_e32 11, v0
	s_cbranch_execz .LBB61_941
; %bb.934:
	ds_read_b128 v[1:4], v130
	v_cmp_ne_u32_e32 vcc_lo, 1, v131
	s_cbranch_vccnz .LBB61_936
; %bb.935:
	s_clause 0x3
	buffer_load_dword v132, v129, s[0:3], 0 offen offset:8
	buffer_load_dword v133, v129, s[0:3], 0 offen offset:12
	buffer_load_dword v136, v129, s[0:3], 0 offen
	buffer_load_dword v137, v129, s[0:3], 0 offen offset:4
	s_waitcnt vmcnt(2) lgkmcnt(0)
	v_mul_f64 v[138:139], v[3:4], v[132:133]
	v_mul_f64 v[132:133], v[1:2], v[132:133]
	s_waitcnt vmcnt(0)
	v_fma_f64 v[1:2], v[1:2], v[136:137], -v[138:139]
	v_fma_f64 v[3:4], v[3:4], v[136:137], v[132:133]
.LBB61_936:
	s_mov_b32 s5, exec_lo
	v_cmpx_ne_u32_e32 10, v0
	s_cbranch_execz .LBB61_940
; %bb.937:
	v_add_nc_u32_e32 v132, 0x3f0, v135
	v_add3_u32 v133, 0, v135, 16
	v_mov_b32_e32 v134, v0
	s_mov_b32 s6, 0
	.p2align	6
.LBB61_938:                             ; =>This Inner Loop Header: Depth=1
	s_clause 0x3
	buffer_load_dword v140, v133, s[0:3], 0 offen offset:8
	buffer_load_dword v141, v133, s[0:3], 0 offen offset:12
	buffer_load_dword v142, v133, s[0:3], 0 offen
	buffer_load_dword v143, v133, s[0:3], 0 offen offset:4
	ds_read_b128 v[136:139], v132
	v_add_nc_u32_e32 v134, 1, v134
	v_add_nc_u32_e32 v132, 16, v132
	;; [unrolled: 1-line block ×3, first 2 shown]
	v_cmp_lt_u32_e32 vcc_lo, 9, v134
	s_or_b32 s6, vcc_lo, s6
	s_waitcnt vmcnt(2) lgkmcnt(0)
	v_mul_f64 v[144:145], v[138:139], v[140:141]
	v_mul_f64 v[140:141], v[136:137], v[140:141]
	s_waitcnt vmcnt(0)
	v_fma_f64 v[136:137], v[136:137], v[142:143], -v[144:145]
	v_fma_f64 v[138:139], v[138:139], v[142:143], v[140:141]
	v_add_f64 v[1:2], v[1:2], v[136:137]
	v_add_f64 v[3:4], v[3:4], v[138:139]
	s_andn2_b32 exec_lo, exec_lo, s6
	s_cbranch_execnz .LBB61_938
; %bb.939:
	s_or_b32 exec_lo, exec_lo, s6
.LBB61_940:
	s_or_b32 exec_lo, exec_lo, s5
	v_mov_b32_e32 v132, 0
	ds_read_b128 v[136:139], v132 offset:176
	s_waitcnt lgkmcnt(0)
	v_mul_f64 v[132:133], v[3:4], v[138:139]
	v_mul_f64 v[138:139], v[1:2], v[138:139]
	v_fma_f64 v[1:2], v[1:2], v[136:137], -v[132:133]
	v_fma_f64 v[3:4], v[3:4], v[136:137], v[138:139]
	buffer_store_dword v2, off, s[0:3], 0 offset:180
	buffer_store_dword v1, off, s[0:3], 0 offset:176
	;; [unrolled: 1-line block ×4, first 2 shown]
.LBB61_941:
	s_or_b32 exec_lo, exec_lo, s4
	v_mov_b32_e32 v4, s59
	s_mov_b32 s4, exec_lo
	s_clause 0x3
	buffer_load_dword v1, v4, s[0:3], 0 offen
	buffer_load_dword v2, v4, s[0:3], 0 offen offset:4
	buffer_load_dword v3, v4, s[0:3], 0 offen offset:8
	;; [unrolled: 1-line block ×3, first 2 shown]
	s_waitcnt vmcnt(0)
	ds_write_b128 v130, v[1:4]
	s_waitcnt lgkmcnt(0)
	s_waitcnt_vscnt null, 0x0
	s_barrier
	buffer_gl0_inv
	v_cmpx_gt_u32_e32 12, v0
	s_cbranch_execz .LBB61_949
; %bb.942:
	ds_read_b128 v[1:4], v130
	v_cmp_ne_u32_e32 vcc_lo, 1, v131
	s_cbranch_vccnz .LBB61_944
; %bb.943:
	s_clause 0x3
	buffer_load_dword v132, v129, s[0:3], 0 offen offset:8
	buffer_load_dword v133, v129, s[0:3], 0 offen offset:12
	buffer_load_dword v136, v129, s[0:3], 0 offen
	buffer_load_dword v137, v129, s[0:3], 0 offen offset:4
	s_waitcnt vmcnt(2) lgkmcnt(0)
	v_mul_f64 v[138:139], v[3:4], v[132:133]
	v_mul_f64 v[132:133], v[1:2], v[132:133]
	s_waitcnt vmcnt(0)
	v_fma_f64 v[1:2], v[1:2], v[136:137], -v[138:139]
	v_fma_f64 v[3:4], v[3:4], v[136:137], v[132:133]
.LBB61_944:
	s_mov_b32 s5, exec_lo
	v_cmpx_ne_u32_e32 11, v0
	s_cbranch_execz .LBB61_948
; %bb.945:
	v_add_nc_u32_e32 v132, 0x3f0, v135
	v_add3_u32 v133, 0, v135, 16
	v_mov_b32_e32 v134, v0
	s_mov_b32 s6, 0
	.p2align	6
.LBB61_946:                             ; =>This Inner Loop Header: Depth=1
	s_clause 0x3
	buffer_load_dword v140, v133, s[0:3], 0 offen offset:8
	buffer_load_dword v141, v133, s[0:3], 0 offen offset:12
	buffer_load_dword v142, v133, s[0:3], 0 offen
	buffer_load_dword v143, v133, s[0:3], 0 offen offset:4
	ds_read_b128 v[136:139], v132
	v_add_nc_u32_e32 v134, 1, v134
	v_add_nc_u32_e32 v132, 16, v132
	;; [unrolled: 1-line block ×3, first 2 shown]
	v_cmp_lt_u32_e32 vcc_lo, 10, v134
	s_or_b32 s6, vcc_lo, s6
	s_waitcnt vmcnt(2) lgkmcnt(0)
	v_mul_f64 v[144:145], v[138:139], v[140:141]
	v_mul_f64 v[140:141], v[136:137], v[140:141]
	s_waitcnt vmcnt(0)
	v_fma_f64 v[136:137], v[136:137], v[142:143], -v[144:145]
	v_fma_f64 v[138:139], v[138:139], v[142:143], v[140:141]
	v_add_f64 v[1:2], v[1:2], v[136:137]
	v_add_f64 v[3:4], v[3:4], v[138:139]
	s_andn2_b32 exec_lo, exec_lo, s6
	s_cbranch_execnz .LBB61_946
; %bb.947:
	s_or_b32 exec_lo, exec_lo, s6
.LBB61_948:
	s_or_b32 exec_lo, exec_lo, s5
	v_mov_b32_e32 v132, 0
	ds_read_b128 v[136:139], v132 offset:192
	s_waitcnt lgkmcnt(0)
	v_mul_f64 v[132:133], v[3:4], v[138:139]
	v_mul_f64 v[138:139], v[1:2], v[138:139]
	v_fma_f64 v[1:2], v[1:2], v[136:137], -v[132:133]
	v_fma_f64 v[3:4], v[3:4], v[136:137], v[138:139]
	buffer_store_dword v2, off, s[0:3], 0 offset:196
	buffer_store_dword v1, off, s[0:3], 0 offset:192
	;; [unrolled: 1-line block ×4, first 2 shown]
.LBB61_949:
	s_or_b32 exec_lo, exec_lo, s4
	v_mov_b32_e32 v4, s58
	s_mov_b32 s4, exec_lo
	s_clause 0x3
	buffer_load_dword v1, v4, s[0:3], 0 offen
	buffer_load_dword v2, v4, s[0:3], 0 offen offset:4
	buffer_load_dword v3, v4, s[0:3], 0 offen offset:8
	;; [unrolled: 1-line block ×3, first 2 shown]
	s_waitcnt vmcnt(0)
	ds_write_b128 v130, v[1:4]
	s_waitcnt lgkmcnt(0)
	s_waitcnt_vscnt null, 0x0
	s_barrier
	buffer_gl0_inv
	v_cmpx_gt_u32_e32 13, v0
	s_cbranch_execz .LBB61_957
; %bb.950:
	ds_read_b128 v[1:4], v130
	v_cmp_ne_u32_e32 vcc_lo, 1, v131
	s_cbranch_vccnz .LBB61_952
; %bb.951:
	s_clause 0x3
	buffer_load_dword v132, v129, s[0:3], 0 offen offset:8
	buffer_load_dword v133, v129, s[0:3], 0 offen offset:12
	buffer_load_dword v136, v129, s[0:3], 0 offen
	buffer_load_dword v137, v129, s[0:3], 0 offen offset:4
	s_waitcnt vmcnt(2) lgkmcnt(0)
	v_mul_f64 v[138:139], v[3:4], v[132:133]
	v_mul_f64 v[132:133], v[1:2], v[132:133]
	s_waitcnt vmcnt(0)
	v_fma_f64 v[1:2], v[1:2], v[136:137], -v[138:139]
	v_fma_f64 v[3:4], v[3:4], v[136:137], v[132:133]
.LBB61_952:
	s_mov_b32 s5, exec_lo
	v_cmpx_ne_u32_e32 12, v0
	s_cbranch_execz .LBB61_956
; %bb.953:
	v_add_nc_u32_e32 v132, 0x3f0, v135
	v_add3_u32 v133, 0, v135, 16
	v_mov_b32_e32 v134, v0
	s_mov_b32 s6, 0
	.p2align	6
.LBB61_954:                             ; =>This Inner Loop Header: Depth=1
	s_clause 0x3
	buffer_load_dword v140, v133, s[0:3], 0 offen offset:8
	buffer_load_dword v141, v133, s[0:3], 0 offen offset:12
	buffer_load_dword v142, v133, s[0:3], 0 offen
	buffer_load_dword v143, v133, s[0:3], 0 offen offset:4
	ds_read_b128 v[136:139], v132
	v_add_nc_u32_e32 v134, 1, v134
	v_add_nc_u32_e32 v132, 16, v132
	v_add_nc_u32_e32 v133, 16, v133
	v_cmp_lt_u32_e32 vcc_lo, 11, v134
	s_or_b32 s6, vcc_lo, s6
	s_waitcnt vmcnt(2) lgkmcnt(0)
	v_mul_f64 v[144:145], v[138:139], v[140:141]
	v_mul_f64 v[140:141], v[136:137], v[140:141]
	s_waitcnt vmcnt(0)
	v_fma_f64 v[136:137], v[136:137], v[142:143], -v[144:145]
	v_fma_f64 v[138:139], v[138:139], v[142:143], v[140:141]
	v_add_f64 v[1:2], v[1:2], v[136:137]
	v_add_f64 v[3:4], v[3:4], v[138:139]
	s_andn2_b32 exec_lo, exec_lo, s6
	s_cbranch_execnz .LBB61_954
; %bb.955:
	s_or_b32 exec_lo, exec_lo, s6
.LBB61_956:
	s_or_b32 exec_lo, exec_lo, s5
	v_mov_b32_e32 v132, 0
	ds_read_b128 v[136:139], v132 offset:208
	s_waitcnt lgkmcnt(0)
	v_mul_f64 v[132:133], v[3:4], v[138:139]
	v_mul_f64 v[138:139], v[1:2], v[138:139]
	v_fma_f64 v[1:2], v[1:2], v[136:137], -v[132:133]
	v_fma_f64 v[3:4], v[3:4], v[136:137], v[138:139]
	buffer_store_dword v2, off, s[0:3], 0 offset:212
	buffer_store_dword v1, off, s[0:3], 0 offset:208
	;; [unrolled: 1-line block ×4, first 2 shown]
.LBB61_957:
	s_or_b32 exec_lo, exec_lo, s4
	v_mov_b32_e32 v4, s57
	s_mov_b32 s4, exec_lo
	s_clause 0x3
	buffer_load_dword v1, v4, s[0:3], 0 offen
	buffer_load_dword v2, v4, s[0:3], 0 offen offset:4
	buffer_load_dword v3, v4, s[0:3], 0 offen offset:8
	buffer_load_dword v4, v4, s[0:3], 0 offen offset:12
	s_waitcnt vmcnt(0)
	ds_write_b128 v130, v[1:4]
	s_waitcnt lgkmcnt(0)
	s_waitcnt_vscnt null, 0x0
	s_barrier
	buffer_gl0_inv
	v_cmpx_gt_u32_e32 14, v0
	s_cbranch_execz .LBB61_965
; %bb.958:
	ds_read_b128 v[1:4], v130
	v_cmp_ne_u32_e32 vcc_lo, 1, v131
	s_cbranch_vccnz .LBB61_960
; %bb.959:
	s_clause 0x3
	buffer_load_dword v132, v129, s[0:3], 0 offen offset:8
	buffer_load_dword v133, v129, s[0:3], 0 offen offset:12
	buffer_load_dword v136, v129, s[0:3], 0 offen
	buffer_load_dword v137, v129, s[0:3], 0 offen offset:4
	s_waitcnt vmcnt(2) lgkmcnt(0)
	v_mul_f64 v[138:139], v[3:4], v[132:133]
	v_mul_f64 v[132:133], v[1:2], v[132:133]
	s_waitcnt vmcnt(0)
	v_fma_f64 v[1:2], v[1:2], v[136:137], -v[138:139]
	v_fma_f64 v[3:4], v[3:4], v[136:137], v[132:133]
.LBB61_960:
	s_mov_b32 s5, exec_lo
	v_cmpx_ne_u32_e32 13, v0
	s_cbranch_execz .LBB61_964
; %bb.961:
	v_add_nc_u32_e32 v132, 0x3f0, v135
	v_add3_u32 v133, 0, v135, 16
	v_mov_b32_e32 v134, v0
	s_mov_b32 s6, 0
	.p2align	6
.LBB61_962:                             ; =>This Inner Loop Header: Depth=1
	s_clause 0x3
	buffer_load_dword v140, v133, s[0:3], 0 offen offset:8
	buffer_load_dword v141, v133, s[0:3], 0 offen offset:12
	buffer_load_dword v142, v133, s[0:3], 0 offen
	buffer_load_dword v143, v133, s[0:3], 0 offen offset:4
	ds_read_b128 v[136:139], v132
	v_add_nc_u32_e32 v134, 1, v134
	v_add_nc_u32_e32 v132, 16, v132
	;; [unrolled: 1-line block ×3, first 2 shown]
	v_cmp_lt_u32_e32 vcc_lo, 12, v134
	s_or_b32 s6, vcc_lo, s6
	s_waitcnt vmcnt(2) lgkmcnt(0)
	v_mul_f64 v[144:145], v[138:139], v[140:141]
	v_mul_f64 v[140:141], v[136:137], v[140:141]
	s_waitcnt vmcnt(0)
	v_fma_f64 v[136:137], v[136:137], v[142:143], -v[144:145]
	v_fma_f64 v[138:139], v[138:139], v[142:143], v[140:141]
	v_add_f64 v[1:2], v[1:2], v[136:137]
	v_add_f64 v[3:4], v[3:4], v[138:139]
	s_andn2_b32 exec_lo, exec_lo, s6
	s_cbranch_execnz .LBB61_962
; %bb.963:
	s_or_b32 exec_lo, exec_lo, s6
.LBB61_964:
	s_or_b32 exec_lo, exec_lo, s5
	v_mov_b32_e32 v132, 0
	ds_read_b128 v[136:139], v132 offset:224
	s_waitcnt lgkmcnt(0)
	v_mul_f64 v[132:133], v[3:4], v[138:139]
	v_mul_f64 v[138:139], v[1:2], v[138:139]
	v_fma_f64 v[1:2], v[1:2], v[136:137], -v[132:133]
	v_fma_f64 v[3:4], v[3:4], v[136:137], v[138:139]
	buffer_store_dword v2, off, s[0:3], 0 offset:228
	buffer_store_dword v1, off, s[0:3], 0 offset:224
	;; [unrolled: 1-line block ×4, first 2 shown]
.LBB61_965:
	s_or_b32 exec_lo, exec_lo, s4
	v_mov_b32_e32 v4, s56
	s_mov_b32 s4, exec_lo
	s_clause 0x3
	buffer_load_dword v1, v4, s[0:3], 0 offen
	buffer_load_dword v2, v4, s[0:3], 0 offen offset:4
	buffer_load_dword v3, v4, s[0:3], 0 offen offset:8
	;; [unrolled: 1-line block ×3, first 2 shown]
	s_waitcnt vmcnt(0)
	ds_write_b128 v130, v[1:4]
	s_waitcnt lgkmcnt(0)
	s_waitcnt_vscnt null, 0x0
	s_barrier
	buffer_gl0_inv
	v_cmpx_gt_u32_e32 15, v0
	s_cbranch_execz .LBB61_973
; %bb.966:
	ds_read_b128 v[1:4], v130
	v_cmp_ne_u32_e32 vcc_lo, 1, v131
	s_cbranch_vccnz .LBB61_968
; %bb.967:
	s_clause 0x3
	buffer_load_dword v132, v129, s[0:3], 0 offen offset:8
	buffer_load_dword v133, v129, s[0:3], 0 offen offset:12
	buffer_load_dword v136, v129, s[0:3], 0 offen
	buffer_load_dword v137, v129, s[0:3], 0 offen offset:4
	s_waitcnt vmcnt(2) lgkmcnt(0)
	v_mul_f64 v[138:139], v[3:4], v[132:133]
	v_mul_f64 v[132:133], v[1:2], v[132:133]
	s_waitcnt vmcnt(0)
	v_fma_f64 v[1:2], v[1:2], v[136:137], -v[138:139]
	v_fma_f64 v[3:4], v[3:4], v[136:137], v[132:133]
.LBB61_968:
	s_mov_b32 s5, exec_lo
	v_cmpx_ne_u32_e32 14, v0
	s_cbranch_execz .LBB61_972
; %bb.969:
	v_add_nc_u32_e32 v132, 0x3f0, v135
	v_add3_u32 v133, 0, v135, 16
	v_mov_b32_e32 v134, v0
	s_mov_b32 s6, 0
	.p2align	6
.LBB61_970:                             ; =>This Inner Loop Header: Depth=1
	s_clause 0x3
	buffer_load_dword v140, v133, s[0:3], 0 offen offset:8
	buffer_load_dword v141, v133, s[0:3], 0 offen offset:12
	buffer_load_dword v142, v133, s[0:3], 0 offen
	buffer_load_dword v143, v133, s[0:3], 0 offen offset:4
	ds_read_b128 v[136:139], v132
	v_add_nc_u32_e32 v134, 1, v134
	v_add_nc_u32_e32 v132, 16, v132
	;; [unrolled: 1-line block ×3, first 2 shown]
	v_cmp_lt_u32_e32 vcc_lo, 13, v134
	s_or_b32 s6, vcc_lo, s6
	s_waitcnt vmcnt(2) lgkmcnt(0)
	v_mul_f64 v[144:145], v[138:139], v[140:141]
	v_mul_f64 v[140:141], v[136:137], v[140:141]
	s_waitcnt vmcnt(0)
	v_fma_f64 v[136:137], v[136:137], v[142:143], -v[144:145]
	v_fma_f64 v[138:139], v[138:139], v[142:143], v[140:141]
	v_add_f64 v[1:2], v[1:2], v[136:137]
	v_add_f64 v[3:4], v[3:4], v[138:139]
	s_andn2_b32 exec_lo, exec_lo, s6
	s_cbranch_execnz .LBB61_970
; %bb.971:
	s_or_b32 exec_lo, exec_lo, s6
.LBB61_972:
	s_or_b32 exec_lo, exec_lo, s5
	v_mov_b32_e32 v132, 0
	ds_read_b128 v[136:139], v132 offset:240
	s_waitcnt lgkmcnt(0)
	v_mul_f64 v[132:133], v[3:4], v[138:139]
	v_mul_f64 v[138:139], v[1:2], v[138:139]
	v_fma_f64 v[1:2], v[1:2], v[136:137], -v[132:133]
	v_fma_f64 v[3:4], v[3:4], v[136:137], v[138:139]
	buffer_store_dword v2, off, s[0:3], 0 offset:244
	buffer_store_dword v1, off, s[0:3], 0 offset:240
	buffer_store_dword v4, off, s[0:3], 0 offset:252
	buffer_store_dword v3, off, s[0:3], 0 offset:248
.LBB61_973:
	s_or_b32 exec_lo, exec_lo, s4
	v_mov_b32_e32 v4, s55
	s_mov_b32 s4, exec_lo
	s_clause 0x3
	buffer_load_dword v1, v4, s[0:3], 0 offen
	buffer_load_dword v2, v4, s[0:3], 0 offen offset:4
	buffer_load_dword v3, v4, s[0:3], 0 offen offset:8
	;; [unrolled: 1-line block ×3, first 2 shown]
	s_waitcnt vmcnt(0)
	ds_write_b128 v130, v[1:4]
	s_waitcnt lgkmcnt(0)
	s_waitcnt_vscnt null, 0x0
	s_barrier
	buffer_gl0_inv
	v_cmpx_gt_u32_e32 16, v0
	s_cbranch_execz .LBB61_981
; %bb.974:
	ds_read_b128 v[1:4], v130
	v_cmp_ne_u32_e32 vcc_lo, 1, v131
	s_cbranch_vccnz .LBB61_976
; %bb.975:
	s_clause 0x3
	buffer_load_dword v132, v129, s[0:3], 0 offen offset:8
	buffer_load_dword v133, v129, s[0:3], 0 offen offset:12
	buffer_load_dword v136, v129, s[0:3], 0 offen
	buffer_load_dword v137, v129, s[0:3], 0 offen offset:4
	s_waitcnt vmcnt(2) lgkmcnt(0)
	v_mul_f64 v[138:139], v[3:4], v[132:133]
	v_mul_f64 v[132:133], v[1:2], v[132:133]
	s_waitcnt vmcnt(0)
	v_fma_f64 v[1:2], v[1:2], v[136:137], -v[138:139]
	v_fma_f64 v[3:4], v[3:4], v[136:137], v[132:133]
.LBB61_976:
	s_mov_b32 s5, exec_lo
	v_cmpx_ne_u32_e32 15, v0
	s_cbranch_execz .LBB61_980
; %bb.977:
	v_add_nc_u32_e32 v132, 0x3f0, v135
	v_add3_u32 v133, 0, v135, 16
	v_mov_b32_e32 v134, v0
	s_mov_b32 s6, 0
	.p2align	6
.LBB61_978:                             ; =>This Inner Loop Header: Depth=1
	s_clause 0x3
	buffer_load_dword v140, v133, s[0:3], 0 offen offset:8
	buffer_load_dword v141, v133, s[0:3], 0 offen offset:12
	buffer_load_dword v142, v133, s[0:3], 0 offen
	buffer_load_dword v143, v133, s[0:3], 0 offen offset:4
	ds_read_b128 v[136:139], v132
	v_add_nc_u32_e32 v134, 1, v134
	v_add_nc_u32_e32 v132, 16, v132
	;; [unrolled: 1-line block ×3, first 2 shown]
	v_cmp_lt_u32_e32 vcc_lo, 14, v134
	s_or_b32 s6, vcc_lo, s6
	s_waitcnt vmcnt(2) lgkmcnt(0)
	v_mul_f64 v[144:145], v[138:139], v[140:141]
	v_mul_f64 v[140:141], v[136:137], v[140:141]
	s_waitcnt vmcnt(0)
	v_fma_f64 v[136:137], v[136:137], v[142:143], -v[144:145]
	v_fma_f64 v[138:139], v[138:139], v[142:143], v[140:141]
	v_add_f64 v[1:2], v[1:2], v[136:137]
	v_add_f64 v[3:4], v[3:4], v[138:139]
	s_andn2_b32 exec_lo, exec_lo, s6
	s_cbranch_execnz .LBB61_978
; %bb.979:
	s_or_b32 exec_lo, exec_lo, s6
.LBB61_980:
	s_or_b32 exec_lo, exec_lo, s5
	v_mov_b32_e32 v132, 0
	ds_read_b128 v[136:139], v132 offset:256
	s_waitcnt lgkmcnt(0)
	v_mul_f64 v[132:133], v[3:4], v[138:139]
	v_mul_f64 v[138:139], v[1:2], v[138:139]
	v_fma_f64 v[1:2], v[1:2], v[136:137], -v[132:133]
	v_fma_f64 v[3:4], v[3:4], v[136:137], v[138:139]
	buffer_store_dword v2, off, s[0:3], 0 offset:260
	buffer_store_dword v1, off, s[0:3], 0 offset:256
	;; [unrolled: 1-line block ×4, first 2 shown]
.LBB61_981:
	s_or_b32 exec_lo, exec_lo, s4
	v_mov_b32_e32 v4, s54
	s_mov_b32 s4, exec_lo
	s_clause 0x3
	buffer_load_dword v1, v4, s[0:3], 0 offen
	buffer_load_dword v2, v4, s[0:3], 0 offen offset:4
	buffer_load_dword v3, v4, s[0:3], 0 offen offset:8
	;; [unrolled: 1-line block ×3, first 2 shown]
	s_waitcnt vmcnt(0)
	ds_write_b128 v130, v[1:4]
	s_waitcnt lgkmcnt(0)
	s_waitcnt_vscnt null, 0x0
	s_barrier
	buffer_gl0_inv
	v_cmpx_gt_u32_e32 17, v0
	s_cbranch_execz .LBB61_989
; %bb.982:
	ds_read_b128 v[1:4], v130
	v_cmp_ne_u32_e32 vcc_lo, 1, v131
	s_cbranch_vccnz .LBB61_984
; %bb.983:
	s_clause 0x3
	buffer_load_dword v132, v129, s[0:3], 0 offen offset:8
	buffer_load_dword v133, v129, s[0:3], 0 offen offset:12
	buffer_load_dword v136, v129, s[0:3], 0 offen
	buffer_load_dword v137, v129, s[0:3], 0 offen offset:4
	s_waitcnt vmcnt(2) lgkmcnt(0)
	v_mul_f64 v[138:139], v[3:4], v[132:133]
	v_mul_f64 v[132:133], v[1:2], v[132:133]
	s_waitcnt vmcnt(0)
	v_fma_f64 v[1:2], v[1:2], v[136:137], -v[138:139]
	v_fma_f64 v[3:4], v[3:4], v[136:137], v[132:133]
.LBB61_984:
	s_mov_b32 s5, exec_lo
	v_cmpx_ne_u32_e32 16, v0
	s_cbranch_execz .LBB61_988
; %bb.985:
	v_add_nc_u32_e32 v132, 0x3f0, v135
	v_add3_u32 v133, 0, v135, 16
	v_mov_b32_e32 v134, v0
	s_mov_b32 s6, 0
	.p2align	6
.LBB61_986:                             ; =>This Inner Loop Header: Depth=1
	s_clause 0x3
	buffer_load_dword v140, v133, s[0:3], 0 offen offset:8
	buffer_load_dword v141, v133, s[0:3], 0 offen offset:12
	buffer_load_dword v142, v133, s[0:3], 0 offen
	buffer_load_dword v143, v133, s[0:3], 0 offen offset:4
	ds_read_b128 v[136:139], v132
	v_add_nc_u32_e32 v134, 1, v134
	v_add_nc_u32_e32 v132, 16, v132
	v_add_nc_u32_e32 v133, 16, v133
	v_cmp_lt_u32_e32 vcc_lo, 15, v134
	s_or_b32 s6, vcc_lo, s6
	s_waitcnt vmcnt(2) lgkmcnt(0)
	v_mul_f64 v[144:145], v[138:139], v[140:141]
	v_mul_f64 v[140:141], v[136:137], v[140:141]
	s_waitcnt vmcnt(0)
	v_fma_f64 v[136:137], v[136:137], v[142:143], -v[144:145]
	v_fma_f64 v[138:139], v[138:139], v[142:143], v[140:141]
	v_add_f64 v[1:2], v[1:2], v[136:137]
	v_add_f64 v[3:4], v[3:4], v[138:139]
	s_andn2_b32 exec_lo, exec_lo, s6
	s_cbranch_execnz .LBB61_986
; %bb.987:
	s_or_b32 exec_lo, exec_lo, s6
.LBB61_988:
	s_or_b32 exec_lo, exec_lo, s5
	v_mov_b32_e32 v132, 0
	ds_read_b128 v[136:139], v132 offset:272
	s_waitcnt lgkmcnt(0)
	v_mul_f64 v[132:133], v[3:4], v[138:139]
	v_mul_f64 v[138:139], v[1:2], v[138:139]
	v_fma_f64 v[1:2], v[1:2], v[136:137], -v[132:133]
	v_fma_f64 v[3:4], v[3:4], v[136:137], v[138:139]
	buffer_store_dword v2, off, s[0:3], 0 offset:276
	buffer_store_dword v1, off, s[0:3], 0 offset:272
	;; [unrolled: 1-line block ×4, first 2 shown]
.LBB61_989:
	s_or_b32 exec_lo, exec_lo, s4
	v_mov_b32_e32 v4, s53
	s_mov_b32 s4, exec_lo
	s_clause 0x3
	buffer_load_dword v1, v4, s[0:3], 0 offen
	buffer_load_dword v2, v4, s[0:3], 0 offen offset:4
	buffer_load_dword v3, v4, s[0:3], 0 offen offset:8
	;; [unrolled: 1-line block ×3, first 2 shown]
	s_waitcnt vmcnt(0)
	ds_write_b128 v130, v[1:4]
	s_waitcnt lgkmcnt(0)
	s_waitcnt_vscnt null, 0x0
	s_barrier
	buffer_gl0_inv
	v_cmpx_gt_u32_e32 18, v0
	s_cbranch_execz .LBB61_997
; %bb.990:
	ds_read_b128 v[1:4], v130
	v_cmp_ne_u32_e32 vcc_lo, 1, v131
	s_cbranch_vccnz .LBB61_992
; %bb.991:
	s_clause 0x3
	buffer_load_dword v132, v129, s[0:3], 0 offen offset:8
	buffer_load_dword v133, v129, s[0:3], 0 offen offset:12
	buffer_load_dword v136, v129, s[0:3], 0 offen
	buffer_load_dword v137, v129, s[0:3], 0 offen offset:4
	s_waitcnt vmcnt(2) lgkmcnt(0)
	v_mul_f64 v[138:139], v[3:4], v[132:133]
	v_mul_f64 v[132:133], v[1:2], v[132:133]
	s_waitcnt vmcnt(0)
	v_fma_f64 v[1:2], v[1:2], v[136:137], -v[138:139]
	v_fma_f64 v[3:4], v[3:4], v[136:137], v[132:133]
.LBB61_992:
	s_mov_b32 s5, exec_lo
	v_cmpx_ne_u32_e32 17, v0
	s_cbranch_execz .LBB61_996
; %bb.993:
	v_add_nc_u32_e32 v132, 0x3f0, v135
	v_add3_u32 v133, 0, v135, 16
	v_mov_b32_e32 v134, v0
	s_mov_b32 s6, 0
	.p2align	6
.LBB61_994:                             ; =>This Inner Loop Header: Depth=1
	s_clause 0x3
	buffer_load_dword v140, v133, s[0:3], 0 offen offset:8
	buffer_load_dword v141, v133, s[0:3], 0 offen offset:12
	buffer_load_dword v142, v133, s[0:3], 0 offen
	buffer_load_dword v143, v133, s[0:3], 0 offen offset:4
	ds_read_b128 v[136:139], v132
	v_add_nc_u32_e32 v134, 1, v134
	v_add_nc_u32_e32 v132, 16, v132
	;; [unrolled: 1-line block ×3, first 2 shown]
	v_cmp_lt_u32_e32 vcc_lo, 16, v134
	s_or_b32 s6, vcc_lo, s6
	s_waitcnt vmcnt(2) lgkmcnt(0)
	v_mul_f64 v[144:145], v[138:139], v[140:141]
	v_mul_f64 v[140:141], v[136:137], v[140:141]
	s_waitcnt vmcnt(0)
	v_fma_f64 v[136:137], v[136:137], v[142:143], -v[144:145]
	v_fma_f64 v[138:139], v[138:139], v[142:143], v[140:141]
	v_add_f64 v[1:2], v[1:2], v[136:137]
	v_add_f64 v[3:4], v[3:4], v[138:139]
	s_andn2_b32 exec_lo, exec_lo, s6
	s_cbranch_execnz .LBB61_994
; %bb.995:
	s_or_b32 exec_lo, exec_lo, s6
.LBB61_996:
	s_or_b32 exec_lo, exec_lo, s5
	v_mov_b32_e32 v132, 0
	ds_read_b128 v[136:139], v132 offset:288
	s_waitcnt lgkmcnt(0)
	v_mul_f64 v[132:133], v[3:4], v[138:139]
	v_mul_f64 v[138:139], v[1:2], v[138:139]
	v_fma_f64 v[1:2], v[1:2], v[136:137], -v[132:133]
	v_fma_f64 v[3:4], v[3:4], v[136:137], v[138:139]
	buffer_store_dword v2, off, s[0:3], 0 offset:292
	buffer_store_dword v1, off, s[0:3], 0 offset:288
	;; [unrolled: 1-line block ×4, first 2 shown]
.LBB61_997:
	s_or_b32 exec_lo, exec_lo, s4
	v_mov_b32_e32 v4, s52
	s_mov_b32 s4, exec_lo
	s_clause 0x3
	buffer_load_dword v1, v4, s[0:3], 0 offen
	buffer_load_dword v2, v4, s[0:3], 0 offen offset:4
	buffer_load_dword v3, v4, s[0:3], 0 offen offset:8
	;; [unrolled: 1-line block ×3, first 2 shown]
	s_waitcnt vmcnt(0)
	ds_write_b128 v130, v[1:4]
	s_waitcnt lgkmcnt(0)
	s_waitcnt_vscnt null, 0x0
	s_barrier
	buffer_gl0_inv
	v_cmpx_gt_u32_e32 19, v0
	s_cbranch_execz .LBB61_1005
; %bb.998:
	ds_read_b128 v[1:4], v130
	v_cmp_ne_u32_e32 vcc_lo, 1, v131
	s_cbranch_vccnz .LBB61_1000
; %bb.999:
	s_clause 0x3
	buffer_load_dword v132, v129, s[0:3], 0 offen offset:8
	buffer_load_dword v133, v129, s[0:3], 0 offen offset:12
	buffer_load_dword v136, v129, s[0:3], 0 offen
	buffer_load_dword v137, v129, s[0:3], 0 offen offset:4
	s_waitcnt vmcnt(2) lgkmcnt(0)
	v_mul_f64 v[138:139], v[3:4], v[132:133]
	v_mul_f64 v[132:133], v[1:2], v[132:133]
	s_waitcnt vmcnt(0)
	v_fma_f64 v[1:2], v[1:2], v[136:137], -v[138:139]
	v_fma_f64 v[3:4], v[3:4], v[136:137], v[132:133]
.LBB61_1000:
	s_mov_b32 s5, exec_lo
	v_cmpx_ne_u32_e32 18, v0
	s_cbranch_execz .LBB61_1004
; %bb.1001:
	v_add_nc_u32_e32 v132, 0x3f0, v135
	v_add3_u32 v133, 0, v135, 16
	v_mov_b32_e32 v134, v0
	s_mov_b32 s6, 0
	.p2align	6
.LBB61_1002:                            ; =>This Inner Loop Header: Depth=1
	s_clause 0x3
	buffer_load_dword v140, v133, s[0:3], 0 offen offset:8
	buffer_load_dword v141, v133, s[0:3], 0 offen offset:12
	buffer_load_dword v142, v133, s[0:3], 0 offen
	buffer_load_dword v143, v133, s[0:3], 0 offen offset:4
	ds_read_b128 v[136:139], v132
	v_add_nc_u32_e32 v134, 1, v134
	v_add_nc_u32_e32 v132, 16, v132
	;; [unrolled: 1-line block ×3, first 2 shown]
	v_cmp_lt_u32_e32 vcc_lo, 17, v134
	s_or_b32 s6, vcc_lo, s6
	s_waitcnt vmcnt(2) lgkmcnt(0)
	v_mul_f64 v[144:145], v[138:139], v[140:141]
	v_mul_f64 v[140:141], v[136:137], v[140:141]
	s_waitcnt vmcnt(0)
	v_fma_f64 v[136:137], v[136:137], v[142:143], -v[144:145]
	v_fma_f64 v[138:139], v[138:139], v[142:143], v[140:141]
	v_add_f64 v[1:2], v[1:2], v[136:137]
	v_add_f64 v[3:4], v[3:4], v[138:139]
	s_andn2_b32 exec_lo, exec_lo, s6
	s_cbranch_execnz .LBB61_1002
; %bb.1003:
	s_or_b32 exec_lo, exec_lo, s6
.LBB61_1004:
	s_or_b32 exec_lo, exec_lo, s5
	v_mov_b32_e32 v132, 0
	ds_read_b128 v[136:139], v132 offset:304
	s_waitcnt lgkmcnt(0)
	v_mul_f64 v[132:133], v[3:4], v[138:139]
	v_mul_f64 v[138:139], v[1:2], v[138:139]
	v_fma_f64 v[1:2], v[1:2], v[136:137], -v[132:133]
	v_fma_f64 v[3:4], v[3:4], v[136:137], v[138:139]
	buffer_store_dword v2, off, s[0:3], 0 offset:308
	buffer_store_dword v1, off, s[0:3], 0 offset:304
	;; [unrolled: 1-line block ×4, first 2 shown]
.LBB61_1005:
	s_or_b32 exec_lo, exec_lo, s4
	v_mov_b32_e32 v4, s51
	s_mov_b32 s4, exec_lo
	s_clause 0x3
	buffer_load_dword v1, v4, s[0:3], 0 offen
	buffer_load_dword v2, v4, s[0:3], 0 offen offset:4
	buffer_load_dword v3, v4, s[0:3], 0 offen offset:8
	;; [unrolled: 1-line block ×3, first 2 shown]
	s_waitcnt vmcnt(0)
	ds_write_b128 v130, v[1:4]
	s_waitcnt lgkmcnt(0)
	s_waitcnt_vscnt null, 0x0
	s_barrier
	buffer_gl0_inv
	v_cmpx_gt_u32_e32 20, v0
	s_cbranch_execz .LBB61_1013
; %bb.1006:
	ds_read_b128 v[1:4], v130
	v_cmp_ne_u32_e32 vcc_lo, 1, v131
	s_cbranch_vccnz .LBB61_1008
; %bb.1007:
	s_clause 0x3
	buffer_load_dword v132, v129, s[0:3], 0 offen offset:8
	buffer_load_dword v133, v129, s[0:3], 0 offen offset:12
	buffer_load_dword v136, v129, s[0:3], 0 offen
	buffer_load_dword v137, v129, s[0:3], 0 offen offset:4
	s_waitcnt vmcnt(2) lgkmcnt(0)
	v_mul_f64 v[138:139], v[3:4], v[132:133]
	v_mul_f64 v[132:133], v[1:2], v[132:133]
	s_waitcnt vmcnt(0)
	v_fma_f64 v[1:2], v[1:2], v[136:137], -v[138:139]
	v_fma_f64 v[3:4], v[3:4], v[136:137], v[132:133]
.LBB61_1008:
	s_mov_b32 s5, exec_lo
	v_cmpx_ne_u32_e32 19, v0
	s_cbranch_execz .LBB61_1012
; %bb.1009:
	v_add_nc_u32_e32 v132, 0x3f0, v135
	v_add3_u32 v133, 0, v135, 16
	v_mov_b32_e32 v134, v0
	s_mov_b32 s6, 0
	.p2align	6
.LBB61_1010:                            ; =>This Inner Loop Header: Depth=1
	s_clause 0x3
	buffer_load_dword v140, v133, s[0:3], 0 offen offset:8
	buffer_load_dword v141, v133, s[0:3], 0 offen offset:12
	buffer_load_dword v142, v133, s[0:3], 0 offen
	buffer_load_dword v143, v133, s[0:3], 0 offen offset:4
	ds_read_b128 v[136:139], v132
	v_add_nc_u32_e32 v134, 1, v134
	v_add_nc_u32_e32 v132, 16, v132
	;; [unrolled: 1-line block ×3, first 2 shown]
	v_cmp_lt_u32_e32 vcc_lo, 18, v134
	s_or_b32 s6, vcc_lo, s6
	s_waitcnt vmcnt(2) lgkmcnt(0)
	v_mul_f64 v[144:145], v[138:139], v[140:141]
	v_mul_f64 v[140:141], v[136:137], v[140:141]
	s_waitcnt vmcnt(0)
	v_fma_f64 v[136:137], v[136:137], v[142:143], -v[144:145]
	v_fma_f64 v[138:139], v[138:139], v[142:143], v[140:141]
	v_add_f64 v[1:2], v[1:2], v[136:137]
	v_add_f64 v[3:4], v[3:4], v[138:139]
	s_andn2_b32 exec_lo, exec_lo, s6
	s_cbranch_execnz .LBB61_1010
; %bb.1011:
	s_or_b32 exec_lo, exec_lo, s6
.LBB61_1012:
	s_or_b32 exec_lo, exec_lo, s5
	v_mov_b32_e32 v132, 0
	ds_read_b128 v[136:139], v132 offset:320
	s_waitcnt lgkmcnt(0)
	v_mul_f64 v[132:133], v[3:4], v[138:139]
	v_mul_f64 v[138:139], v[1:2], v[138:139]
	v_fma_f64 v[1:2], v[1:2], v[136:137], -v[132:133]
	v_fma_f64 v[3:4], v[3:4], v[136:137], v[138:139]
	buffer_store_dword v2, off, s[0:3], 0 offset:324
	buffer_store_dword v1, off, s[0:3], 0 offset:320
	;; [unrolled: 1-line block ×4, first 2 shown]
.LBB61_1013:
	s_or_b32 exec_lo, exec_lo, s4
	v_mov_b32_e32 v4, s50
	s_mov_b32 s4, exec_lo
	s_clause 0x3
	buffer_load_dword v1, v4, s[0:3], 0 offen
	buffer_load_dword v2, v4, s[0:3], 0 offen offset:4
	buffer_load_dword v3, v4, s[0:3], 0 offen offset:8
	;; [unrolled: 1-line block ×3, first 2 shown]
	s_waitcnt vmcnt(0)
	ds_write_b128 v130, v[1:4]
	s_waitcnt lgkmcnt(0)
	s_waitcnt_vscnt null, 0x0
	s_barrier
	buffer_gl0_inv
	v_cmpx_gt_u32_e32 21, v0
	s_cbranch_execz .LBB61_1021
; %bb.1014:
	ds_read_b128 v[1:4], v130
	v_cmp_ne_u32_e32 vcc_lo, 1, v131
	s_cbranch_vccnz .LBB61_1016
; %bb.1015:
	s_clause 0x3
	buffer_load_dword v132, v129, s[0:3], 0 offen offset:8
	buffer_load_dword v133, v129, s[0:3], 0 offen offset:12
	buffer_load_dword v136, v129, s[0:3], 0 offen
	buffer_load_dword v137, v129, s[0:3], 0 offen offset:4
	s_waitcnt vmcnt(2) lgkmcnt(0)
	v_mul_f64 v[138:139], v[3:4], v[132:133]
	v_mul_f64 v[132:133], v[1:2], v[132:133]
	s_waitcnt vmcnt(0)
	v_fma_f64 v[1:2], v[1:2], v[136:137], -v[138:139]
	v_fma_f64 v[3:4], v[3:4], v[136:137], v[132:133]
.LBB61_1016:
	s_mov_b32 s5, exec_lo
	v_cmpx_ne_u32_e32 20, v0
	s_cbranch_execz .LBB61_1020
; %bb.1017:
	v_add_nc_u32_e32 v132, 0x3f0, v135
	v_add3_u32 v133, 0, v135, 16
	v_mov_b32_e32 v134, v0
	s_mov_b32 s6, 0
	.p2align	6
.LBB61_1018:                            ; =>This Inner Loop Header: Depth=1
	s_clause 0x3
	buffer_load_dword v140, v133, s[0:3], 0 offen offset:8
	buffer_load_dword v141, v133, s[0:3], 0 offen offset:12
	buffer_load_dword v142, v133, s[0:3], 0 offen
	buffer_load_dword v143, v133, s[0:3], 0 offen offset:4
	ds_read_b128 v[136:139], v132
	v_add_nc_u32_e32 v134, 1, v134
	v_add_nc_u32_e32 v132, 16, v132
	;; [unrolled: 1-line block ×3, first 2 shown]
	v_cmp_lt_u32_e32 vcc_lo, 19, v134
	s_or_b32 s6, vcc_lo, s6
	s_waitcnt vmcnt(2) lgkmcnt(0)
	v_mul_f64 v[144:145], v[138:139], v[140:141]
	v_mul_f64 v[140:141], v[136:137], v[140:141]
	s_waitcnt vmcnt(0)
	v_fma_f64 v[136:137], v[136:137], v[142:143], -v[144:145]
	v_fma_f64 v[138:139], v[138:139], v[142:143], v[140:141]
	v_add_f64 v[1:2], v[1:2], v[136:137]
	v_add_f64 v[3:4], v[3:4], v[138:139]
	s_andn2_b32 exec_lo, exec_lo, s6
	s_cbranch_execnz .LBB61_1018
; %bb.1019:
	s_or_b32 exec_lo, exec_lo, s6
.LBB61_1020:
	s_or_b32 exec_lo, exec_lo, s5
	v_mov_b32_e32 v132, 0
	ds_read_b128 v[136:139], v132 offset:336
	s_waitcnt lgkmcnt(0)
	v_mul_f64 v[132:133], v[3:4], v[138:139]
	v_mul_f64 v[138:139], v[1:2], v[138:139]
	v_fma_f64 v[1:2], v[1:2], v[136:137], -v[132:133]
	v_fma_f64 v[3:4], v[3:4], v[136:137], v[138:139]
	buffer_store_dword v2, off, s[0:3], 0 offset:340
	buffer_store_dword v1, off, s[0:3], 0 offset:336
	buffer_store_dword v4, off, s[0:3], 0 offset:348
	buffer_store_dword v3, off, s[0:3], 0 offset:344
.LBB61_1021:
	s_or_b32 exec_lo, exec_lo, s4
	v_mov_b32_e32 v4, s49
	s_mov_b32 s4, exec_lo
	s_clause 0x3
	buffer_load_dword v1, v4, s[0:3], 0 offen
	buffer_load_dword v2, v4, s[0:3], 0 offen offset:4
	buffer_load_dword v3, v4, s[0:3], 0 offen offset:8
	;; [unrolled: 1-line block ×3, first 2 shown]
	s_waitcnt vmcnt(0)
	ds_write_b128 v130, v[1:4]
	s_waitcnt lgkmcnt(0)
	s_waitcnt_vscnt null, 0x0
	s_barrier
	buffer_gl0_inv
	v_cmpx_gt_u32_e32 22, v0
	s_cbranch_execz .LBB61_1029
; %bb.1022:
	ds_read_b128 v[1:4], v130
	v_cmp_ne_u32_e32 vcc_lo, 1, v131
	s_cbranch_vccnz .LBB61_1024
; %bb.1023:
	s_clause 0x3
	buffer_load_dword v132, v129, s[0:3], 0 offen offset:8
	buffer_load_dword v133, v129, s[0:3], 0 offen offset:12
	buffer_load_dword v136, v129, s[0:3], 0 offen
	buffer_load_dword v137, v129, s[0:3], 0 offen offset:4
	s_waitcnt vmcnt(2) lgkmcnt(0)
	v_mul_f64 v[138:139], v[3:4], v[132:133]
	v_mul_f64 v[132:133], v[1:2], v[132:133]
	s_waitcnt vmcnt(0)
	v_fma_f64 v[1:2], v[1:2], v[136:137], -v[138:139]
	v_fma_f64 v[3:4], v[3:4], v[136:137], v[132:133]
.LBB61_1024:
	s_mov_b32 s5, exec_lo
	v_cmpx_ne_u32_e32 21, v0
	s_cbranch_execz .LBB61_1028
; %bb.1025:
	v_add_nc_u32_e32 v132, 0x3f0, v135
	v_add3_u32 v133, 0, v135, 16
	v_mov_b32_e32 v134, v0
	s_mov_b32 s6, 0
	.p2align	6
.LBB61_1026:                            ; =>This Inner Loop Header: Depth=1
	s_clause 0x3
	buffer_load_dword v140, v133, s[0:3], 0 offen offset:8
	buffer_load_dword v141, v133, s[0:3], 0 offen offset:12
	buffer_load_dword v142, v133, s[0:3], 0 offen
	buffer_load_dword v143, v133, s[0:3], 0 offen offset:4
	ds_read_b128 v[136:139], v132
	v_add_nc_u32_e32 v134, 1, v134
	v_add_nc_u32_e32 v132, 16, v132
	;; [unrolled: 1-line block ×3, first 2 shown]
	v_cmp_lt_u32_e32 vcc_lo, 20, v134
	s_or_b32 s6, vcc_lo, s6
	s_waitcnt vmcnt(2) lgkmcnt(0)
	v_mul_f64 v[144:145], v[138:139], v[140:141]
	v_mul_f64 v[140:141], v[136:137], v[140:141]
	s_waitcnt vmcnt(0)
	v_fma_f64 v[136:137], v[136:137], v[142:143], -v[144:145]
	v_fma_f64 v[138:139], v[138:139], v[142:143], v[140:141]
	v_add_f64 v[1:2], v[1:2], v[136:137]
	v_add_f64 v[3:4], v[3:4], v[138:139]
	s_andn2_b32 exec_lo, exec_lo, s6
	s_cbranch_execnz .LBB61_1026
; %bb.1027:
	s_or_b32 exec_lo, exec_lo, s6
.LBB61_1028:
	s_or_b32 exec_lo, exec_lo, s5
	v_mov_b32_e32 v132, 0
	ds_read_b128 v[136:139], v132 offset:352
	s_waitcnt lgkmcnt(0)
	v_mul_f64 v[132:133], v[3:4], v[138:139]
	v_mul_f64 v[138:139], v[1:2], v[138:139]
	v_fma_f64 v[1:2], v[1:2], v[136:137], -v[132:133]
	v_fma_f64 v[3:4], v[3:4], v[136:137], v[138:139]
	buffer_store_dword v2, off, s[0:3], 0 offset:356
	buffer_store_dword v1, off, s[0:3], 0 offset:352
	;; [unrolled: 1-line block ×4, first 2 shown]
.LBB61_1029:
	s_or_b32 exec_lo, exec_lo, s4
	v_mov_b32_e32 v4, s48
	s_mov_b32 s4, exec_lo
	s_clause 0x3
	buffer_load_dword v1, v4, s[0:3], 0 offen
	buffer_load_dword v2, v4, s[0:3], 0 offen offset:4
	buffer_load_dword v3, v4, s[0:3], 0 offen offset:8
	;; [unrolled: 1-line block ×3, first 2 shown]
	s_waitcnt vmcnt(0)
	ds_write_b128 v130, v[1:4]
	s_waitcnt lgkmcnt(0)
	s_waitcnt_vscnt null, 0x0
	s_barrier
	buffer_gl0_inv
	v_cmpx_gt_u32_e32 23, v0
	s_cbranch_execz .LBB61_1037
; %bb.1030:
	ds_read_b128 v[1:4], v130
	v_cmp_ne_u32_e32 vcc_lo, 1, v131
	s_cbranch_vccnz .LBB61_1032
; %bb.1031:
	s_clause 0x3
	buffer_load_dword v132, v129, s[0:3], 0 offen offset:8
	buffer_load_dword v133, v129, s[0:3], 0 offen offset:12
	buffer_load_dword v136, v129, s[0:3], 0 offen
	buffer_load_dword v137, v129, s[0:3], 0 offen offset:4
	s_waitcnt vmcnt(2) lgkmcnt(0)
	v_mul_f64 v[138:139], v[3:4], v[132:133]
	v_mul_f64 v[132:133], v[1:2], v[132:133]
	s_waitcnt vmcnt(0)
	v_fma_f64 v[1:2], v[1:2], v[136:137], -v[138:139]
	v_fma_f64 v[3:4], v[3:4], v[136:137], v[132:133]
.LBB61_1032:
	s_mov_b32 s5, exec_lo
	v_cmpx_ne_u32_e32 22, v0
	s_cbranch_execz .LBB61_1036
; %bb.1033:
	v_add_nc_u32_e32 v132, 0x3f0, v135
	v_add3_u32 v133, 0, v135, 16
	v_mov_b32_e32 v134, v0
	s_mov_b32 s6, 0
	.p2align	6
.LBB61_1034:                            ; =>This Inner Loop Header: Depth=1
	s_clause 0x3
	buffer_load_dword v140, v133, s[0:3], 0 offen offset:8
	buffer_load_dword v141, v133, s[0:3], 0 offen offset:12
	buffer_load_dword v142, v133, s[0:3], 0 offen
	buffer_load_dword v143, v133, s[0:3], 0 offen offset:4
	ds_read_b128 v[136:139], v132
	v_add_nc_u32_e32 v134, 1, v134
	v_add_nc_u32_e32 v132, 16, v132
	;; [unrolled: 1-line block ×3, first 2 shown]
	v_cmp_lt_u32_e32 vcc_lo, 21, v134
	s_or_b32 s6, vcc_lo, s6
	s_waitcnt vmcnt(2) lgkmcnt(0)
	v_mul_f64 v[144:145], v[138:139], v[140:141]
	v_mul_f64 v[140:141], v[136:137], v[140:141]
	s_waitcnt vmcnt(0)
	v_fma_f64 v[136:137], v[136:137], v[142:143], -v[144:145]
	v_fma_f64 v[138:139], v[138:139], v[142:143], v[140:141]
	v_add_f64 v[1:2], v[1:2], v[136:137]
	v_add_f64 v[3:4], v[3:4], v[138:139]
	s_andn2_b32 exec_lo, exec_lo, s6
	s_cbranch_execnz .LBB61_1034
; %bb.1035:
	s_or_b32 exec_lo, exec_lo, s6
.LBB61_1036:
	s_or_b32 exec_lo, exec_lo, s5
	v_mov_b32_e32 v132, 0
	ds_read_b128 v[136:139], v132 offset:368
	s_waitcnt lgkmcnt(0)
	v_mul_f64 v[132:133], v[3:4], v[138:139]
	v_mul_f64 v[138:139], v[1:2], v[138:139]
	v_fma_f64 v[1:2], v[1:2], v[136:137], -v[132:133]
	v_fma_f64 v[3:4], v[3:4], v[136:137], v[138:139]
	buffer_store_dword v2, off, s[0:3], 0 offset:372
	buffer_store_dword v1, off, s[0:3], 0 offset:368
	;; [unrolled: 1-line block ×4, first 2 shown]
.LBB61_1037:
	s_or_b32 exec_lo, exec_lo, s4
	v_mov_b32_e32 v4, s47
	s_mov_b32 s4, exec_lo
	s_clause 0x3
	buffer_load_dword v1, v4, s[0:3], 0 offen
	buffer_load_dword v2, v4, s[0:3], 0 offen offset:4
	buffer_load_dword v3, v4, s[0:3], 0 offen offset:8
	;; [unrolled: 1-line block ×3, first 2 shown]
	s_waitcnt vmcnt(0)
	ds_write_b128 v130, v[1:4]
	s_waitcnt lgkmcnt(0)
	s_waitcnt_vscnt null, 0x0
	s_barrier
	buffer_gl0_inv
	v_cmpx_gt_u32_e32 24, v0
	s_cbranch_execz .LBB61_1045
; %bb.1038:
	ds_read_b128 v[1:4], v130
	v_cmp_ne_u32_e32 vcc_lo, 1, v131
	s_cbranch_vccnz .LBB61_1040
; %bb.1039:
	s_clause 0x3
	buffer_load_dword v132, v129, s[0:3], 0 offen offset:8
	buffer_load_dword v133, v129, s[0:3], 0 offen offset:12
	buffer_load_dword v136, v129, s[0:3], 0 offen
	buffer_load_dword v137, v129, s[0:3], 0 offen offset:4
	s_waitcnt vmcnt(2) lgkmcnt(0)
	v_mul_f64 v[138:139], v[3:4], v[132:133]
	v_mul_f64 v[132:133], v[1:2], v[132:133]
	s_waitcnt vmcnt(0)
	v_fma_f64 v[1:2], v[1:2], v[136:137], -v[138:139]
	v_fma_f64 v[3:4], v[3:4], v[136:137], v[132:133]
.LBB61_1040:
	s_mov_b32 s5, exec_lo
	v_cmpx_ne_u32_e32 23, v0
	s_cbranch_execz .LBB61_1044
; %bb.1041:
	v_add_nc_u32_e32 v132, 0x3f0, v135
	v_add3_u32 v133, 0, v135, 16
	v_mov_b32_e32 v134, v0
	s_mov_b32 s6, 0
	.p2align	6
.LBB61_1042:                            ; =>This Inner Loop Header: Depth=1
	s_clause 0x3
	buffer_load_dword v140, v133, s[0:3], 0 offen offset:8
	buffer_load_dword v141, v133, s[0:3], 0 offen offset:12
	buffer_load_dword v142, v133, s[0:3], 0 offen
	buffer_load_dword v143, v133, s[0:3], 0 offen offset:4
	ds_read_b128 v[136:139], v132
	v_add_nc_u32_e32 v134, 1, v134
	v_add_nc_u32_e32 v132, 16, v132
	;; [unrolled: 1-line block ×3, first 2 shown]
	v_cmp_lt_u32_e32 vcc_lo, 22, v134
	s_or_b32 s6, vcc_lo, s6
	s_waitcnt vmcnt(2) lgkmcnt(0)
	v_mul_f64 v[144:145], v[138:139], v[140:141]
	v_mul_f64 v[140:141], v[136:137], v[140:141]
	s_waitcnt vmcnt(0)
	v_fma_f64 v[136:137], v[136:137], v[142:143], -v[144:145]
	v_fma_f64 v[138:139], v[138:139], v[142:143], v[140:141]
	v_add_f64 v[1:2], v[1:2], v[136:137]
	v_add_f64 v[3:4], v[3:4], v[138:139]
	s_andn2_b32 exec_lo, exec_lo, s6
	s_cbranch_execnz .LBB61_1042
; %bb.1043:
	s_or_b32 exec_lo, exec_lo, s6
.LBB61_1044:
	s_or_b32 exec_lo, exec_lo, s5
	v_mov_b32_e32 v132, 0
	ds_read_b128 v[136:139], v132 offset:384
	s_waitcnt lgkmcnt(0)
	v_mul_f64 v[132:133], v[3:4], v[138:139]
	v_mul_f64 v[138:139], v[1:2], v[138:139]
	v_fma_f64 v[1:2], v[1:2], v[136:137], -v[132:133]
	v_fma_f64 v[3:4], v[3:4], v[136:137], v[138:139]
	buffer_store_dword v2, off, s[0:3], 0 offset:388
	buffer_store_dword v1, off, s[0:3], 0 offset:384
	;; [unrolled: 1-line block ×4, first 2 shown]
.LBB61_1045:
	s_or_b32 exec_lo, exec_lo, s4
	v_mov_b32_e32 v4, s46
	s_mov_b32 s4, exec_lo
	s_clause 0x3
	buffer_load_dword v1, v4, s[0:3], 0 offen
	buffer_load_dword v2, v4, s[0:3], 0 offen offset:4
	buffer_load_dword v3, v4, s[0:3], 0 offen offset:8
	;; [unrolled: 1-line block ×3, first 2 shown]
	s_waitcnt vmcnt(0)
	ds_write_b128 v130, v[1:4]
	s_waitcnt lgkmcnt(0)
	s_waitcnt_vscnt null, 0x0
	s_barrier
	buffer_gl0_inv
	v_cmpx_gt_u32_e32 25, v0
	s_cbranch_execz .LBB61_1053
; %bb.1046:
	ds_read_b128 v[1:4], v130
	v_cmp_ne_u32_e32 vcc_lo, 1, v131
	s_cbranch_vccnz .LBB61_1048
; %bb.1047:
	s_clause 0x3
	buffer_load_dword v132, v129, s[0:3], 0 offen offset:8
	buffer_load_dword v133, v129, s[0:3], 0 offen offset:12
	buffer_load_dword v136, v129, s[0:3], 0 offen
	buffer_load_dword v137, v129, s[0:3], 0 offen offset:4
	s_waitcnt vmcnt(2) lgkmcnt(0)
	v_mul_f64 v[138:139], v[3:4], v[132:133]
	v_mul_f64 v[132:133], v[1:2], v[132:133]
	s_waitcnt vmcnt(0)
	v_fma_f64 v[1:2], v[1:2], v[136:137], -v[138:139]
	v_fma_f64 v[3:4], v[3:4], v[136:137], v[132:133]
.LBB61_1048:
	s_mov_b32 s5, exec_lo
	v_cmpx_ne_u32_e32 24, v0
	s_cbranch_execz .LBB61_1052
; %bb.1049:
	v_add_nc_u32_e32 v132, 0x3f0, v135
	v_add3_u32 v133, 0, v135, 16
	v_mov_b32_e32 v134, v0
	s_mov_b32 s6, 0
	.p2align	6
.LBB61_1050:                            ; =>This Inner Loop Header: Depth=1
	s_clause 0x3
	buffer_load_dword v140, v133, s[0:3], 0 offen offset:8
	buffer_load_dword v141, v133, s[0:3], 0 offen offset:12
	buffer_load_dword v142, v133, s[0:3], 0 offen
	buffer_load_dword v143, v133, s[0:3], 0 offen offset:4
	ds_read_b128 v[136:139], v132
	v_add_nc_u32_e32 v134, 1, v134
	v_add_nc_u32_e32 v132, 16, v132
	v_add_nc_u32_e32 v133, 16, v133
	v_cmp_lt_u32_e32 vcc_lo, 23, v134
	s_or_b32 s6, vcc_lo, s6
	s_waitcnt vmcnt(2) lgkmcnt(0)
	v_mul_f64 v[144:145], v[138:139], v[140:141]
	v_mul_f64 v[140:141], v[136:137], v[140:141]
	s_waitcnt vmcnt(0)
	v_fma_f64 v[136:137], v[136:137], v[142:143], -v[144:145]
	v_fma_f64 v[138:139], v[138:139], v[142:143], v[140:141]
	v_add_f64 v[1:2], v[1:2], v[136:137]
	v_add_f64 v[3:4], v[3:4], v[138:139]
	s_andn2_b32 exec_lo, exec_lo, s6
	s_cbranch_execnz .LBB61_1050
; %bb.1051:
	s_or_b32 exec_lo, exec_lo, s6
.LBB61_1052:
	s_or_b32 exec_lo, exec_lo, s5
	v_mov_b32_e32 v132, 0
	ds_read_b128 v[136:139], v132 offset:400
	s_waitcnt lgkmcnt(0)
	v_mul_f64 v[132:133], v[3:4], v[138:139]
	v_mul_f64 v[138:139], v[1:2], v[138:139]
	v_fma_f64 v[1:2], v[1:2], v[136:137], -v[132:133]
	v_fma_f64 v[3:4], v[3:4], v[136:137], v[138:139]
	buffer_store_dword v2, off, s[0:3], 0 offset:404
	buffer_store_dword v1, off, s[0:3], 0 offset:400
	;; [unrolled: 1-line block ×4, first 2 shown]
.LBB61_1053:
	s_or_b32 exec_lo, exec_lo, s4
	v_mov_b32_e32 v4, s45
	s_mov_b32 s4, exec_lo
	s_clause 0x3
	buffer_load_dword v1, v4, s[0:3], 0 offen
	buffer_load_dword v2, v4, s[0:3], 0 offen offset:4
	buffer_load_dword v3, v4, s[0:3], 0 offen offset:8
	;; [unrolled: 1-line block ×3, first 2 shown]
	s_waitcnt vmcnt(0)
	ds_write_b128 v130, v[1:4]
	s_waitcnt lgkmcnt(0)
	s_waitcnt_vscnt null, 0x0
	s_barrier
	buffer_gl0_inv
	v_cmpx_gt_u32_e32 26, v0
	s_cbranch_execz .LBB61_1061
; %bb.1054:
	ds_read_b128 v[1:4], v130
	v_cmp_ne_u32_e32 vcc_lo, 1, v131
	s_cbranch_vccnz .LBB61_1056
; %bb.1055:
	s_clause 0x3
	buffer_load_dword v132, v129, s[0:3], 0 offen offset:8
	buffer_load_dword v133, v129, s[0:3], 0 offen offset:12
	buffer_load_dword v136, v129, s[0:3], 0 offen
	buffer_load_dword v137, v129, s[0:3], 0 offen offset:4
	s_waitcnt vmcnt(2) lgkmcnt(0)
	v_mul_f64 v[138:139], v[3:4], v[132:133]
	v_mul_f64 v[132:133], v[1:2], v[132:133]
	s_waitcnt vmcnt(0)
	v_fma_f64 v[1:2], v[1:2], v[136:137], -v[138:139]
	v_fma_f64 v[3:4], v[3:4], v[136:137], v[132:133]
.LBB61_1056:
	s_mov_b32 s5, exec_lo
	v_cmpx_ne_u32_e32 25, v0
	s_cbranch_execz .LBB61_1060
; %bb.1057:
	v_add_nc_u32_e32 v132, 0x3f0, v135
	v_add3_u32 v133, 0, v135, 16
	v_mov_b32_e32 v134, v0
	s_mov_b32 s6, 0
	.p2align	6
.LBB61_1058:                            ; =>This Inner Loop Header: Depth=1
	s_clause 0x3
	buffer_load_dword v140, v133, s[0:3], 0 offen offset:8
	buffer_load_dword v141, v133, s[0:3], 0 offen offset:12
	buffer_load_dword v142, v133, s[0:3], 0 offen
	buffer_load_dword v143, v133, s[0:3], 0 offen offset:4
	ds_read_b128 v[136:139], v132
	v_add_nc_u32_e32 v134, 1, v134
	v_add_nc_u32_e32 v132, 16, v132
	;; [unrolled: 1-line block ×3, first 2 shown]
	v_cmp_lt_u32_e32 vcc_lo, 24, v134
	s_or_b32 s6, vcc_lo, s6
	s_waitcnt vmcnt(2) lgkmcnt(0)
	v_mul_f64 v[144:145], v[138:139], v[140:141]
	v_mul_f64 v[140:141], v[136:137], v[140:141]
	s_waitcnt vmcnt(0)
	v_fma_f64 v[136:137], v[136:137], v[142:143], -v[144:145]
	v_fma_f64 v[138:139], v[138:139], v[142:143], v[140:141]
	v_add_f64 v[1:2], v[1:2], v[136:137]
	v_add_f64 v[3:4], v[3:4], v[138:139]
	s_andn2_b32 exec_lo, exec_lo, s6
	s_cbranch_execnz .LBB61_1058
; %bb.1059:
	s_or_b32 exec_lo, exec_lo, s6
.LBB61_1060:
	s_or_b32 exec_lo, exec_lo, s5
	v_mov_b32_e32 v132, 0
	ds_read_b128 v[136:139], v132 offset:416
	s_waitcnt lgkmcnt(0)
	v_mul_f64 v[132:133], v[3:4], v[138:139]
	v_mul_f64 v[138:139], v[1:2], v[138:139]
	v_fma_f64 v[1:2], v[1:2], v[136:137], -v[132:133]
	v_fma_f64 v[3:4], v[3:4], v[136:137], v[138:139]
	buffer_store_dword v2, off, s[0:3], 0 offset:420
	buffer_store_dword v1, off, s[0:3], 0 offset:416
	buffer_store_dword v4, off, s[0:3], 0 offset:428
	buffer_store_dword v3, off, s[0:3], 0 offset:424
.LBB61_1061:
	s_or_b32 exec_lo, exec_lo, s4
	v_mov_b32_e32 v4, s44
	s_mov_b32 s4, exec_lo
	s_clause 0x3
	buffer_load_dword v1, v4, s[0:3], 0 offen
	buffer_load_dword v2, v4, s[0:3], 0 offen offset:4
	buffer_load_dword v3, v4, s[0:3], 0 offen offset:8
	;; [unrolled: 1-line block ×3, first 2 shown]
	s_waitcnt vmcnt(0)
	ds_write_b128 v130, v[1:4]
	s_waitcnt lgkmcnt(0)
	s_waitcnt_vscnt null, 0x0
	s_barrier
	buffer_gl0_inv
	v_cmpx_gt_u32_e32 27, v0
	s_cbranch_execz .LBB61_1069
; %bb.1062:
	ds_read_b128 v[1:4], v130
	v_cmp_ne_u32_e32 vcc_lo, 1, v131
	s_cbranch_vccnz .LBB61_1064
; %bb.1063:
	s_clause 0x3
	buffer_load_dword v132, v129, s[0:3], 0 offen offset:8
	buffer_load_dword v133, v129, s[0:3], 0 offen offset:12
	buffer_load_dword v136, v129, s[0:3], 0 offen
	buffer_load_dword v137, v129, s[0:3], 0 offen offset:4
	s_waitcnt vmcnt(2) lgkmcnt(0)
	v_mul_f64 v[138:139], v[3:4], v[132:133]
	v_mul_f64 v[132:133], v[1:2], v[132:133]
	s_waitcnt vmcnt(0)
	v_fma_f64 v[1:2], v[1:2], v[136:137], -v[138:139]
	v_fma_f64 v[3:4], v[3:4], v[136:137], v[132:133]
.LBB61_1064:
	s_mov_b32 s5, exec_lo
	v_cmpx_ne_u32_e32 26, v0
	s_cbranch_execz .LBB61_1068
; %bb.1065:
	v_add_nc_u32_e32 v132, 0x3f0, v135
	v_add3_u32 v133, 0, v135, 16
	v_mov_b32_e32 v134, v0
	s_mov_b32 s6, 0
	.p2align	6
.LBB61_1066:                            ; =>This Inner Loop Header: Depth=1
	s_clause 0x3
	buffer_load_dword v140, v133, s[0:3], 0 offen offset:8
	buffer_load_dword v141, v133, s[0:3], 0 offen offset:12
	buffer_load_dword v142, v133, s[0:3], 0 offen
	buffer_load_dword v143, v133, s[0:3], 0 offen offset:4
	ds_read_b128 v[136:139], v132
	v_add_nc_u32_e32 v134, 1, v134
	v_add_nc_u32_e32 v132, 16, v132
	;; [unrolled: 1-line block ×3, first 2 shown]
	v_cmp_lt_u32_e32 vcc_lo, 25, v134
	s_or_b32 s6, vcc_lo, s6
	s_waitcnt vmcnt(2) lgkmcnt(0)
	v_mul_f64 v[144:145], v[138:139], v[140:141]
	v_mul_f64 v[140:141], v[136:137], v[140:141]
	s_waitcnt vmcnt(0)
	v_fma_f64 v[136:137], v[136:137], v[142:143], -v[144:145]
	v_fma_f64 v[138:139], v[138:139], v[142:143], v[140:141]
	v_add_f64 v[1:2], v[1:2], v[136:137]
	v_add_f64 v[3:4], v[3:4], v[138:139]
	s_andn2_b32 exec_lo, exec_lo, s6
	s_cbranch_execnz .LBB61_1066
; %bb.1067:
	s_or_b32 exec_lo, exec_lo, s6
.LBB61_1068:
	s_or_b32 exec_lo, exec_lo, s5
	v_mov_b32_e32 v132, 0
	ds_read_b128 v[136:139], v132 offset:432
	s_waitcnt lgkmcnt(0)
	v_mul_f64 v[132:133], v[3:4], v[138:139]
	v_mul_f64 v[138:139], v[1:2], v[138:139]
	v_fma_f64 v[1:2], v[1:2], v[136:137], -v[132:133]
	v_fma_f64 v[3:4], v[3:4], v[136:137], v[138:139]
	buffer_store_dword v2, off, s[0:3], 0 offset:436
	buffer_store_dword v1, off, s[0:3], 0 offset:432
	;; [unrolled: 1-line block ×4, first 2 shown]
.LBB61_1069:
	s_or_b32 exec_lo, exec_lo, s4
	v_mov_b32_e32 v4, s43
	s_mov_b32 s4, exec_lo
	s_clause 0x3
	buffer_load_dword v1, v4, s[0:3], 0 offen
	buffer_load_dword v2, v4, s[0:3], 0 offen offset:4
	buffer_load_dword v3, v4, s[0:3], 0 offen offset:8
	;; [unrolled: 1-line block ×3, first 2 shown]
	s_waitcnt vmcnt(0)
	ds_write_b128 v130, v[1:4]
	s_waitcnt lgkmcnt(0)
	s_waitcnt_vscnt null, 0x0
	s_barrier
	buffer_gl0_inv
	v_cmpx_gt_u32_e32 28, v0
	s_cbranch_execz .LBB61_1077
; %bb.1070:
	ds_read_b128 v[1:4], v130
	v_cmp_ne_u32_e32 vcc_lo, 1, v131
	s_cbranch_vccnz .LBB61_1072
; %bb.1071:
	s_clause 0x3
	buffer_load_dword v132, v129, s[0:3], 0 offen offset:8
	buffer_load_dword v133, v129, s[0:3], 0 offen offset:12
	buffer_load_dword v136, v129, s[0:3], 0 offen
	buffer_load_dword v137, v129, s[0:3], 0 offen offset:4
	s_waitcnt vmcnt(2) lgkmcnt(0)
	v_mul_f64 v[138:139], v[3:4], v[132:133]
	v_mul_f64 v[132:133], v[1:2], v[132:133]
	s_waitcnt vmcnt(0)
	v_fma_f64 v[1:2], v[1:2], v[136:137], -v[138:139]
	v_fma_f64 v[3:4], v[3:4], v[136:137], v[132:133]
.LBB61_1072:
	s_mov_b32 s5, exec_lo
	v_cmpx_ne_u32_e32 27, v0
	s_cbranch_execz .LBB61_1076
; %bb.1073:
	v_add_nc_u32_e32 v132, 0x3f0, v135
	v_add3_u32 v133, 0, v135, 16
	v_mov_b32_e32 v134, v0
	s_mov_b32 s6, 0
	.p2align	6
.LBB61_1074:                            ; =>This Inner Loop Header: Depth=1
	s_clause 0x3
	buffer_load_dword v140, v133, s[0:3], 0 offen offset:8
	buffer_load_dword v141, v133, s[0:3], 0 offen offset:12
	buffer_load_dword v142, v133, s[0:3], 0 offen
	buffer_load_dword v143, v133, s[0:3], 0 offen offset:4
	ds_read_b128 v[136:139], v132
	v_add_nc_u32_e32 v134, 1, v134
	v_add_nc_u32_e32 v132, 16, v132
	;; [unrolled: 1-line block ×3, first 2 shown]
	v_cmp_lt_u32_e32 vcc_lo, 26, v134
	s_or_b32 s6, vcc_lo, s6
	s_waitcnt vmcnt(2) lgkmcnt(0)
	v_mul_f64 v[144:145], v[138:139], v[140:141]
	v_mul_f64 v[140:141], v[136:137], v[140:141]
	s_waitcnt vmcnt(0)
	v_fma_f64 v[136:137], v[136:137], v[142:143], -v[144:145]
	v_fma_f64 v[138:139], v[138:139], v[142:143], v[140:141]
	v_add_f64 v[1:2], v[1:2], v[136:137]
	v_add_f64 v[3:4], v[3:4], v[138:139]
	s_andn2_b32 exec_lo, exec_lo, s6
	s_cbranch_execnz .LBB61_1074
; %bb.1075:
	s_or_b32 exec_lo, exec_lo, s6
.LBB61_1076:
	s_or_b32 exec_lo, exec_lo, s5
	v_mov_b32_e32 v132, 0
	ds_read_b128 v[136:139], v132 offset:448
	s_waitcnt lgkmcnt(0)
	v_mul_f64 v[132:133], v[3:4], v[138:139]
	v_mul_f64 v[138:139], v[1:2], v[138:139]
	v_fma_f64 v[1:2], v[1:2], v[136:137], -v[132:133]
	v_fma_f64 v[3:4], v[3:4], v[136:137], v[138:139]
	buffer_store_dword v2, off, s[0:3], 0 offset:452
	buffer_store_dword v1, off, s[0:3], 0 offset:448
	;; [unrolled: 1-line block ×4, first 2 shown]
.LBB61_1077:
	s_or_b32 exec_lo, exec_lo, s4
	v_mov_b32_e32 v4, s42
	s_mov_b32 s4, exec_lo
	s_clause 0x3
	buffer_load_dword v1, v4, s[0:3], 0 offen
	buffer_load_dword v2, v4, s[0:3], 0 offen offset:4
	buffer_load_dword v3, v4, s[0:3], 0 offen offset:8
	;; [unrolled: 1-line block ×3, first 2 shown]
	s_waitcnt vmcnt(0)
	ds_write_b128 v130, v[1:4]
	s_waitcnt lgkmcnt(0)
	s_waitcnt_vscnt null, 0x0
	s_barrier
	buffer_gl0_inv
	v_cmpx_gt_u32_e32 29, v0
	s_cbranch_execz .LBB61_1085
; %bb.1078:
	ds_read_b128 v[1:4], v130
	v_cmp_ne_u32_e32 vcc_lo, 1, v131
	s_cbranch_vccnz .LBB61_1080
; %bb.1079:
	s_clause 0x3
	buffer_load_dword v132, v129, s[0:3], 0 offen offset:8
	buffer_load_dword v133, v129, s[0:3], 0 offen offset:12
	buffer_load_dword v136, v129, s[0:3], 0 offen
	buffer_load_dword v137, v129, s[0:3], 0 offen offset:4
	s_waitcnt vmcnt(2) lgkmcnt(0)
	v_mul_f64 v[138:139], v[3:4], v[132:133]
	v_mul_f64 v[132:133], v[1:2], v[132:133]
	s_waitcnt vmcnt(0)
	v_fma_f64 v[1:2], v[1:2], v[136:137], -v[138:139]
	v_fma_f64 v[3:4], v[3:4], v[136:137], v[132:133]
.LBB61_1080:
	s_mov_b32 s5, exec_lo
	v_cmpx_ne_u32_e32 28, v0
	s_cbranch_execz .LBB61_1084
; %bb.1081:
	v_add_nc_u32_e32 v132, 0x3f0, v135
	v_add3_u32 v133, 0, v135, 16
	v_mov_b32_e32 v134, v0
	s_mov_b32 s6, 0
	.p2align	6
.LBB61_1082:                            ; =>This Inner Loop Header: Depth=1
	s_clause 0x3
	buffer_load_dword v140, v133, s[0:3], 0 offen offset:8
	buffer_load_dword v141, v133, s[0:3], 0 offen offset:12
	buffer_load_dword v142, v133, s[0:3], 0 offen
	buffer_load_dword v143, v133, s[0:3], 0 offen offset:4
	ds_read_b128 v[136:139], v132
	v_add_nc_u32_e32 v134, 1, v134
	v_add_nc_u32_e32 v132, 16, v132
	;; [unrolled: 1-line block ×3, first 2 shown]
	v_cmp_lt_u32_e32 vcc_lo, 27, v134
	s_or_b32 s6, vcc_lo, s6
	s_waitcnt vmcnt(2) lgkmcnt(0)
	v_mul_f64 v[144:145], v[138:139], v[140:141]
	v_mul_f64 v[140:141], v[136:137], v[140:141]
	s_waitcnt vmcnt(0)
	v_fma_f64 v[136:137], v[136:137], v[142:143], -v[144:145]
	v_fma_f64 v[138:139], v[138:139], v[142:143], v[140:141]
	v_add_f64 v[1:2], v[1:2], v[136:137]
	v_add_f64 v[3:4], v[3:4], v[138:139]
	s_andn2_b32 exec_lo, exec_lo, s6
	s_cbranch_execnz .LBB61_1082
; %bb.1083:
	s_or_b32 exec_lo, exec_lo, s6
.LBB61_1084:
	s_or_b32 exec_lo, exec_lo, s5
	v_mov_b32_e32 v132, 0
	ds_read_b128 v[136:139], v132 offset:464
	s_waitcnt lgkmcnt(0)
	v_mul_f64 v[132:133], v[3:4], v[138:139]
	v_mul_f64 v[138:139], v[1:2], v[138:139]
	v_fma_f64 v[1:2], v[1:2], v[136:137], -v[132:133]
	v_fma_f64 v[3:4], v[3:4], v[136:137], v[138:139]
	buffer_store_dword v2, off, s[0:3], 0 offset:468
	buffer_store_dword v1, off, s[0:3], 0 offset:464
	;; [unrolled: 1-line block ×4, first 2 shown]
.LBB61_1085:
	s_or_b32 exec_lo, exec_lo, s4
	v_mov_b32_e32 v4, s41
	s_mov_b32 s4, exec_lo
	s_clause 0x3
	buffer_load_dword v1, v4, s[0:3], 0 offen
	buffer_load_dword v2, v4, s[0:3], 0 offen offset:4
	buffer_load_dword v3, v4, s[0:3], 0 offen offset:8
	;; [unrolled: 1-line block ×3, first 2 shown]
	s_waitcnt vmcnt(0)
	ds_write_b128 v130, v[1:4]
	s_waitcnt lgkmcnt(0)
	s_waitcnt_vscnt null, 0x0
	s_barrier
	buffer_gl0_inv
	v_cmpx_gt_u32_e32 30, v0
	s_cbranch_execz .LBB61_1093
; %bb.1086:
	ds_read_b128 v[1:4], v130
	v_cmp_ne_u32_e32 vcc_lo, 1, v131
	s_cbranch_vccnz .LBB61_1088
; %bb.1087:
	s_clause 0x3
	buffer_load_dword v132, v129, s[0:3], 0 offen offset:8
	buffer_load_dword v133, v129, s[0:3], 0 offen offset:12
	buffer_load_dword v136, v129, s[0:3], 0 offen
	buffer_load_dword v137, v129, s[0:3], 0 offen offset:4
	s_waitcnt vmcnt(2) lgkmcnt(0)
	v_mul_f64 v[138:139], v[3:4], v[132:133]
	v_mul_f64 v[132:133], v[1:2], v[132:133]
	s_waitcnt vmcnt(0)
	v_fma_f64 v[1:2], v[1:2], v[136:137], -v[138:139]
	v_fma_f64 v[3:4], v[3:4], v[136:137], v[132:133]
.LBB61_1088:
	s_mov_b32 s5, exec_lo
	v_cmpx_ne_u32_e32 29, v0
	s_cbranch_execz .LBB61_1092
; %bb.1089:
	v_add_nc_u32_e32 v132, 0x3f0, v135
	v_add3_u32 v133, 0, v135, 16
	v_mov_b32_e32 v134, v0
	s_mov_b32 s6, 0
	.p2align	6
.LBB61_1090:                            ; =>This Inner Loop Header: Depth=1
	s_clause 0x3
	buffer_load_dword v140, v133, s[0:3], 0 offen offset:8
	buffer_load_dword v141, v133, s[0:3], 0 offen offset:12
	buffer_load_dword v142, v133, s[0:3], 0 offen
	buffer_load_dword v143, v133, s[0:3], 0 offen offset:4
	ds_read_b128 v[136:139], v132
	v_add_nc_u32_e32 v134, 1, v134
	v_add_nc_u32_e32 v132, 16, v132
	;; [unrolled: 1-line block ×3, first 2 shown]
	v_cmp_lt_u32_e32 vcc_lo, 28, v134
	s_or_b32 s6, vcc_lo, s6
	s_waitcnt vmcnt(2) lgkmcnt(0)
	v_mul_f64 v[144:145], v[138:139], v[140:141]
	v_mul_f64 v[140:141], v[136:137], v[140:141]
	s_waitcnt vmcnt(0)
	v_fma_f64 v[136:137], v[136:137], v[142:143], -v[144:145]
	v_fma_f64 v[138:139], v[138:139], v[142:143], v[140:141]
	v_add_f64 v[1:2], v[1:2], v[136:137]
	v_add_f64 v[3:4], v[3:4], v[138:139]
	s_andn2_b32 exec_lo, exec_lo, s6
	s_cbranch_execnz .LBB61_1090
; %bb.1091:
	s_or_b32 exec_lo, exec_lo, s6
.LBB61_1092:
	s_or_b32 exec_lo, exec_lo, s5
	v_mov_b32_e32 v132, 0
	ds_read_b128 v[136:139], v132 offset:480
	s_waitcnt lgkmcnt(0)
	v_mul_f64 v[132:133], v[3:4], v[138:139]
	v_mul_f64 v[138:139], v[1:2], v[138:139]
	v_fma_f64 v[1:2], v[1:2], v[136:137], -v[132:133]
	v_fma_f64 v[3:4], v[3:4], v[136:137], v[138:139]
	buffer_store_dword v2, off, s[0:3], 0 offset:484
	buffer_store_dword v1, off, s[0:3], 0 offset:480
	;; [unrolled: 1-line block ×4, first 2 shown]
.LBB61_1093:
	s_or_b32 exec_lo, exec_lo, s4
	v_mov_b32_e32 v4, s40
	s_mov_b32 s4, exec_lo
	s_clause 0x3
	buffer_load_dword v1, v4, s[0:3], 0 offen
	buffer_load_dword v2, v4, s[0:3], 0 offen offset:4
	buffer_load_dword v3, v4, s[0:3], 0 offen offset:8
	;; [unrolled: 1-line block ×3, first 2 shown]
	s_waitcnt vmcnt(0)
	ds_write_b128 v130, v[1:4]
	s_waitcnt lgkmcnt(0)
	s_waitcnt_vscnt null, 0x0
	s_barrier
	buffer_gl0_inv
	v_cmpx_gt_u32_e32 31, v0
	s_cbranch_execz .LBB61_1101
; %bb.1094:
	ds_read_b128 v[1:4], v130
	v_cmp_ne_u32_e32 vcc_lo, 1, v131
	s_cbranch_vccnz .LBB61_1096
; %bb.1095:
	s_clause 0x3
	buffer_load_dword v132, v129, s[0:3], 0 offen offset:8
	buffer_load_dword v133, v129, s[0:3], 0 offen offset:12
	buffer_load_dword v136, v129, s[0:3], 0 offen
	buffer_load_dword v137, v129, s[0:3], 0 offen offset:4
	s_waitcnt vmcnt(2) lgkmcnt(0)
	v_mul_f64 v[138:139], v[3:4], v[132:133]
	v_mul_f64 v[132:133], v[1:2], v[132:133]
	s_waitcnt vmcnt(0)
	v_fma_f64 v[1:2], v[1:2], v[136:137], -v[138:139]
	v_fma_f64 v[3:4], v[3:4], v[136:137], v[132:133]
.LBB61_1096:
	s_mov_b32 s5, exec_lo
	v_cmpx_ne_u32_e32 30, v0
	s_cbranch_execz .LBB61_1100
; %bb.1097:
	v_add_nc_u32_e32 v132, 0x3f0, v135
	v_add3_u32 v133, 0, v135, 16
	v_mov_b32_e32 v134, v0
	s_mov_b32 s6, 0
	.p2align	6
.LBB61_1098:                            ; =>This Inner Loop Header: Depth=1
	s_clause 0x3
	buffer_load_dword v140, v133, s[0:3], 0 offen offset:8
	buffer_load_dword v141, v133, s[0:3], 0 offen offset:12
	buffer_load_dword v142, v133, s[0:3], 0 offen
	buffer_load_dword v143, v133, s[0:3], 0 offen offset:4
	ds_read_b128 v[136:139], v132
	v_add_nc_u32_e32 v134, 1, v134
	v_add_nc_u32_e32 v132, 16, v132
	v_add_nc_u32_e32 v133, 16, v133
	v_cmp_lt_u32_e32 vcc_lo, 29, v134
	s_or_b32 s6, vcc_lo, s6
	s_waitcnt vmcnt(2) lgkmcnt(0)
	v_mul_f64 v[144:145], v[138:139], v[140:141]
	v_mul_f64 v[140:141], v[136:137], v[140:141]
	s_waitcnt vmcnt(0)
	v_fma_f64 v[136:137], v[136:137], v[142:143], -v[144:145]
	v_fma_f64 v[138:139], v[138:139], v[142:143], v[140:141]
	v_add_f64 v[1:2], v[1:2], v[136:137]
	v_add_f64 v[3:4], v[3:4], v[138:139]
	s_andn2_b32 exec_lo, exec_lo, s6
	s_cbranch_execnz .LBB61_1098
; %bb.1099:
	s_or_b32 exec_lo, exec_lo, s6
.LBB61_1100:
	s_or_b32 exec_lo, exec_lo, s5
	v_mov_b32_e32 v132, 0
	ds_read_b128 v[136:139], v132 offset:496
	s_waitcnt lgkmcnt(0)
	v_mul_f64 v[132:133], v[3:4], v[138:139]
	v_mul_f64 v[138:139], v[1:2], v[138:139]
	v_fma_f64 v[1:2], v[1:2], v[136:137], -v[132:133]
	v_fma_f64 v[3:4], v[3:4], v[136:137], v[138:139]
	buffer_store_dword v2, off, s[0:3], 0 offset:500
	buffer_store_dword v1, off, s[0:3], 0 offset:496
	buffer_store_dword v4, off, s[0:3], 0 offset:508
	buffer_store_dword v3, off, s[0:3], 0 offset:504
.LBB61_1101:
	s_or_b32 exec_lo, exec_lo, s4
	v_mov_b32_e32 v4, s39
	s_mov_b32 s4, exec_lo
	s_clause 0x3
	buffer_load_dword v1, v4, s[0:3], 0 offen
	buffer_load_dword v2, v4, s[0:3], 0 offen offset:4
	buffer_load_dword v3, v4, s[0:3], 0 offen offset:8
	;; [unrolled: 1-line block ×3, first 2 shown]
	s_waitcnt vmcnt(0)
	ds_write_b128 v130, v[1:4]
	s_waitcnt lgkmcnt(0)
	s_waitcnt_vscnt null, 0x0
	s_barrier
	buffer_gl0_inv
	v_cmpx_gt_u32_e32 32, v0
	s_cbranch_execz .LBB61_1109
; %bb.1102:
	ds_read_b128 v[1:4], v130
	v_cmp_ne_u32_e32 vcc_lo, 1, v131
	s_cbranch_vccnz .LBB61_1104
; %bb.1103:
	s_clause 0x3
	buffer_load_dword v132, v129, s[0:3], 0 offen offset:8
	buffer_load_dword v133, v129, s[0:3], 0 offen offset:12
	buffer_load_dword v136, v129, s[0:3], 0 offen
	buffer_load_dword v137, v129, s[0:3], 0 offen offset:4
	s_waitcnt vmcnt(2) lgkmcnt(0)
	v_mul_f64 v[138:139], v[3:4], v[132:133]
	v_mul_f64 v[132:133], v[1:2], v[132:133]
	s_waitcnt vmcnt(0)
	v_fma_f64 v[1:2], v[1:2], v[136:137], -v[138:139]
	v_fma_f64 v[3:4], v[3:4], v[136:137], v[132:133]
.LBB61_1104:
	s_mov_b32 s5, exec_lo
	v_cmpx_ne_u32_e32 31, v0
	s_cbranch_execz .LBB61_1108
; %bb.1105:
	v_add_nc_u32_e32 v132, 0x3f0, v135
	v_add3_u32 v133, 0, v135, 16
	v_mov_b32_e32 v134, v0
	s_mov_b32 s6, 0
	.p2align	6
.LBB61_1106:                            ; =>This Inner Loop Header: Depth=1
	s_clause 0x3
	buffer_load_dword v140, v133, s[0:3], 0 offen offset:8
	buffer_load_dword v141, v133, s[0:3], 0 offen offset:12
	buffer_load_dword v142, v133, s[0:3], 0 offen
	buffer_load_dword v143, v133, s[0:3], 0 offen offset:4
	ds_read_b128 v[136:139], v132
	v_add_nc_u32_e32 v134, 1, v134
	v_add_nc_u32_e32 v132, 16, v132
	;; [unrolled: 1-line block ×3, first 2 shown]
	v_cmp_lt_u32_e32 vcc_lo, 30, v134
	s_or_b32 s6, vcc_lo, s6
	s_waitcnt vmcnt(2) lgkmcnt(0)
	v_mul_f64 v[144:145], v[138:139], v[140:141]
	v_mul_f64 v[140:141], v[136:137], v[140:141]
	s_waitcnt vmcnt(0)
	v_fma_f64 v[136:137], v[136:137], v[142:143], -v[144:145]
	v_fma_f64 v[138:139], v[138:139], v[142:143], v[140:141]
	v_add_f64 v[1:2], v[1:2], v[136:137]
	v_add_f64 v[3:4], v[3:4], v[138:139]
	s_andn2_b32 exec_lo, exec_lo, s6
	s_cbranch_execnz .LBB61_1106
; %bb.1107:
	s_or_b32 exec_lo, exec_lo, s6
.LBB61_1108:
	s_or_b32 exec_lo, exec_lo, s5
	v_mov_b32_e32 v132, 0
	ds_read_b128 v[136:139], v132 offset:512
	s_waitcnt lgkmcnt(0)
	v_mul_f64 v[132:133], v[3:4], v[138:139]
	v_mul_f64 v[138:139], v[1:2], v[138:139]
	v_fma_f64 v[1:2], v[1:2], v[136:137], -v[132:133]
	v_fma_f64 v[3:4], v[3:4], v[136:137], v[138:139]
	buffer_store_dword v2, off, s[0:3], 0 offset:516
	buffer_store_dword v1, off, s[0:3], 0 offset:512
	;; [unrolled: 1-line block ×4, first 2 shown]
.LBB61_1109:
	s_or_b32 exec_lo, exec_lo, s4
	v_mov_b32_e32 v4, s38
	s_mov_b32 s4, exec_lo
	s_clause 0x3
	buffer_load_dword v1, v4, s[0:3], 0 offen
	buffer_load_dword v2, v4, s[0:3], 0 offen offset:4
	buffer_load_dword v3, v4, s[0:3], 0 offen offset:8
	;; [unrolled: 1-line block ×3, first 2 shown]
	s_waitcnt vmcnt(0)
	ds_write_b128 v130, v[1:4]
	s_waitcnt lgkmcnt(0)
	s_waitcnt_vscnt null, 0x0
	s_barrier
	buffer_gl0_inv
	v_cmpx_gt_u32_e32 33, v0
	s_cbranch_execz .LBB61_1117
; %bb.1110:
	ds_read_b128 v[1:4], v130
	v_cmp_ne_u32_e32 vcc_lo, 1, v131
	s_cbranch_vccnz .LBB61_1112
; %bb.1111:
	s_clause 0x3
	buffer_load_dword v132, v129, s[0:3], 0 offen offset:8
	buffer_load_dword v133, v129, s[0:3], 0 offen offset:12
	buffer_load_dword v136, v129, s[0:3], 0 offen
	buffer_load_dword v137, v129, s[0:3], 0 offen offset:4
	s_waitcnt vmcnt(2) lgkmcnt(0)
	v_mul_f64 v[138:139], v[3:4], v[132:133]
	v_mul_f64 v[132:133], v[1:2], v[132:133]
	s_waitcnt vmcnt(0)
	v_fma_f64 v[1:2], v[1:2], v[136:137], -v[138:139]
	v_fma_f64 v[3:4], v[3:4], v[136:137], v[132:133]
.LBB61_1112:
	s_mov_b32 s5, exec_lo
	v_cmpx_ne_u32_e32 32, v0
	s_cbranch_execz .LBB61_1116
; %bb.1113:
	v_add_nc_u32_e32 v132, 0x3f0, v135
	v_add3_u32 v133, 0, v135, 16
	v_mov_b32_e32 v134, v0
	s_mov_b32 s6, 0
	.p2align	6
.LBB61_1114:                            ; =>This Inner Loop Header: Depth=1
	s_clause 0x3
	buffer_load_dword v140, v133, s[0:3], 0 offen offset:8
	buffer_load_dword v141, v133, s[0:3], 0 offen offset:12
	buffer_load_dword v142, v133, s[0:3], 0 offen
	buffer_load_dword v143, v133, s[0:3], 0 offen offset:4
	ds_read_b128 v[136:139], v132
	v_add_nc_u32_e32 v134, 1, v134
	v_add_nc_u32_e32 v132, 16, v132
	;; [unrolled: 1-line block ×3, first 2 shown]
	v_cmp_lt_u32_e32 vcc_lo, 31, v134
	s_or_b32 s6, vcc_lo, s6
	s_waitcnt vmcnt(2) lgkmcnt(0)
	v_mul_f64 v[144:145], v[138:139], v[140:141]
	v_mul_f64 v[140:141], v[136:137], v[140:141]
	s_waitcnt vmcnt(0)
	v_fma_f64 v[136:137], v[136:137], v[142:143], -v[144:145]
	v_fma_f64 v[138:139], v[138:139], v[142:143], v[140:141]
	v_add_f64 v[1:2], v[1:2], v[136:137]
	v_add_f64 v[3:4], v[3:4], v[138:139]
	s_andn2_b32 exec_lo, exec_lo, s6
	s_cbranch_execnz .LBB61_1114
; %bb.1115:
	s_or_b32 exec_lo, exec_lo, s6
.LBB61_1116:
	s_or_b32 exec_lo, exec_lo, s5
	v_mov_b32_e32 v132, 0
	ds_read_b128 v[136:139], v132 offset:528
	s_waitcnt lgkmcnt(0)
	v_mul_f64 v[132:133], v[3:4], v[138:139]
	v_mul_f64 v[138:139], v[1:2], v[138:139]
	v_fma_f64 v[1:2], v[1:2], v[136:137], -v[132:133]
	v_fma_f64 v[3:4], v[3:4], v[136:137], v[138:139]
	buffer_store_dword v2, off, s[0:3], 0 offset:532
	buffer_store_dword v1, off, s[0:3], 0 offset:528
	;; [unrolled: 1-line block ×4, first 2 shown]
.LBB61_1117:
	s_or_b32 exec_lo, exec_lo, s4
	v_mov_b32_e32 v4, s37
	s_mov_b32 s4, exec_lo
	s_clause 0x3
	buffer_load_dword v1, v4, s[0:3], 0 offen
	buffer_load_dword v2, v4, s[0:3], 0 offen offset:4
	buffer_load_dword v3, v4, s[0:3], 0 offen offset:8
	buffer_load_dword v4, v4, s[0:3], 0 offen offset:12
	s_waitcnt vmcnt(0)
	ds_write_b128 v130, v[1:4]
	s_waitcnt lgkmcnt(0)
	s_waitcnt_vscnt null, 0x0
	s_barrier
	buffer_gl0_inv
	v_cmpx_gt_u32_e32 34, v0
	s_cbranch_execz .LBB61_1125
; %bb.1118:
	ds_read_b128 v[1:4], v130
	v_cmp_ne_u32_e32 vcc_lo, 1, v131
	s_cbranch_vccnz .LBB61_1120
; %bb.1119:
	s_clause 0x3
	buffer_load_dword v132, v129, s[0:3], 0 offen offset:8
	buffer_load_dword v133, v129, s[0:3], 0 offen offset:12
	buffer_load_dword v136, v129, s[0:3], 0 offen
	buffer_load_dword v137, v129, s[0:3], 0 offen offset:4
	s_waitcnt vmcnt(2) lgkmcnt(0)
	v_mul_f64 v[138:139], v[3:4], v[132:133]
	v_mul_f64 v[132:133], v[1:2], v[132:133]
	s_waitcnt vmcnt(0)
	v_fma_f64 v[1:2], v[1:2], v[136:137], -v[138:139]
	v_fma_f64 v[3:4], v[3:4], v[136:137], v[132:133]
.LBB61_1120:
	s_mov_b32 s5, exec_lo
	v_cmpx_ne_u32_e32 33, v0
	s_cbranch_execz .LBB61_1124
; %bb.1121:
	v_add_nc_u32_e32 v132, 0x3f0, v135
	v_add3_u32 v133, 0, v135, 16
	v_mov_b32_e32 v134, v0
	s_mov_b32 s6, 0
	.p2align	6
.LBB61_1122:                            ; =>This Inner Loop Header: Depth=1
	s_clause 0x3
	buffer_load_dword v140, v133, s[0:3], 0 offen offset:8
	buffer_load_dword v141, v133, s[0:3], 0 offen offset:12
	buffer_load_dword v142, v133, s[0:3], 0 offen
	buffer_load_dword v143, v133, s[0:3], 0 offen offset:4
	ds_read_b128 v[136:139], v132
	v_add_nc_u32_e32 v134, 1, v134
	v_add_nc_u32_e32 v132, 16, v132
	;; [unrolled: 1-line block ×3, first 2 shown]
	v_cmp_lt_u32_e32 vcc_lo, 32, v134
	s_or_b32 s6, vcc_lo, s6
	s_waitcnt vmcnt(2) lgkmcnt(0)
	v_mul_f64 v[144:145], v[138:139], v[140:141]
	v_mul_f64 v[140:141], v[136:137], v[140:141]
	s_waitcnt vmcnt(0)
	v_fma_f64 v[136:137], v[136:137], v[142:143], -v[144:145]
	v_fma_f64 v[138:139], v[138:139], v[142:143], v[140:141]
	v_add_f64 v[1:2], v[1:2], v[136:137]
	v_add_f64 v[3:4], v[3:4], v[138:139]
	s_andn2_b32 exec_lo, exec_lo, s6
	s_cbranch_execnz .LBB61_1122
; %bb.1123:
	s_or_b32 exec_lo, exec_lo, s6
.LBB61_1124:
	s_or_b32 exec_lo, exec_lo, s5
	v_mov_b32_e32 v132, 0
	ds_read_b128 v[136:139], v132 offset:544
	s_waitcnt lgkmcnt(0)
	v_mul_f64 v[132:133], v[3:4], v[138:139]
	v_mul_f64 v[138:139], v[1:2], v[138:139]
	v_fma_f64 v[1:2], v[1:2], v[136:137], -v[132:133]
	v_fma_f64 v[3:4], v[3:4], v[136:137], v[138:139]
	buffer_store_dword v2, off, s[0:3], 0 offset:548
	buffer_store_dword v1, off, s[0:3], 0 offset:544
	buffer_store_dword v4, off, s[0:3], 0 offset:556
	buffer_store_dword v3, off, s[0:3], 0 offset:552
.LBB61_1125:
	s_or_b32 exec_lo, exec_lo, s4
	v_mov_b32_e32 v4, s36
	s_mov_b32 s4, exec_lo
	s_clause 0x3
	buffer_load_dword v1, v4, s[0:3], 0 offen
	buffer_load_dword v2, v4, s[0:3], 0 offen offset:4
	buffer_load_dword v3, v4, s[0:3], 0 offen offset:8
	;; [unrolled: 1-line block ×3, first 2 shown]
	s_waitcnt vmcnt(0)
	ds_write_b128 v130, v[1:4]
	s_waitcnt lgkmcnt(0)
	s_waitcnt_vscnt null, 0x0
	s_barrier
	buffer_gl0_inv
	v_cmpx_gt_u32_e32 35, v0
	s_cbranch_execz .LBB61_1133
; %bb.1126:
	ds_read_b128 v[1:4], v130
	v_cmp_ne_u32_e32 vcc_lo, 1, v131
	s_cbranch_vccnz .LBB61_1128
; %bb.1127:
	s_clause 0x3
	buffer_load_dword v132, v129, s[0:3], 0 offen offset:8
	buffer_load_dword v133, v129, s[0:3], 0 offen offset:12
	buffer_load_dword v136, v129, s[0:3], 0 offen
	buffer_load_dword v137, v129, s[0:3], 0 offen offset:4
	s_waitcnt vmcnt(2) lgkmcnt(0)
	v_mul_f64 v[138:139], v[3:4], v[132:133]
	v_mul_f64 v[132:133], v[1:2], v[132:133]
	s_waitcnt vmcnt(0)
	v_fma_f64 v[1:2], v[1:2], v[136:137], -v[138:139]
	v_fma_f64 v[3:4], v[3:4], v[136:137], v[132:133]
.LBB61_1128:
	s_mov_b32 s5, exec_lo
	v_cmpx_ne_u32_e32 34, v0
	s_cbranch_execz .LBB61_1132
; %bb.1129:
	v_add_nc_u32_e32 v132, 0x3f0, v135
	v_add3_u32 v133, 0, v135, 16
	v_mov_b32_e32 v134, v0
	s_mov_b32 s6, 0
	.p2align	6
.LBB61_1130:                            ; =>This Inner Loop Header: Depth=1
	s_clause 0x3
	buffer_load_dword v140, v133, s[0:3], 0 offen offset:8
	buffer_load_dword v141, v133, s[0:3], 0 offen offset:12
	buffer_load_dword v142, v133, s[0:3], 0 offen
	buffer_load_dword v143, v133, s[0:3], 0 offen offset:4
	ds_read_b128 v[136:139], v132
	v_add_nc_u32_e32 v134, 1, v134
	v_add_nc_u32_e32 v132, 16, v132
	;; [unrolled: 1-line block ×3, first 2 shown]
	v_cmp_lt_u32_e32 vcc_lo, 33, v134
	s_or_b32 s6, vcc_lo, s6
	s_waitcnt vmcnt(2) lgkmcnt(0)
	v_mul_f64 v[144:145], v[138:139], v[140:141]
	v_mul_f64 v[140:141], v[136:137], v[140:141]
	s_waitcnt vmcnt(0)
	v_fma_f64 v[136:137], v[136:137], v[142:143], -v[144:145]
	v_fma_f64 v[138:139], v[138:139], v[142:143], v[140:141]
	v_add_f64 v[1:2], v[1:2], v[136:137]
	v_add_f64 v[3:4], v[3:4], v[138:139]
	s_andn2_b32 exec_lo, exec_lo, s6
	s_cbranch_execnz .LBB61_1130
; %bb.1131:
	s_or_b32 exec_lo, exec_lo, s6
.LBB61_1132:
	s_or_b32 exec_lo, exec_lo, s5
	v_mov_b32_e32 v132, 0
	ds_read_b128 v[136:139], v132 offset:560
	s_waitcnt lgkmcnt(0)
	v_mul_f64 v[132:133], v[3:4], v[138:139]
	v_mul_f64 v[138:139], v[1:2], v[138:139]
	v_fma_f64 v[1:2], v[1:2], v[136:137], -v[132:133]
	v_fma_f64 v[3:4], v[3:4], v[136:137], v[138:139]
	buffer_store_dword v2, off, s[0:3], 0 offset:564
	buffer_store_dword v1, off, s[0:3], 0 offset:560
	;; [unrolled: 1-line block ×4, first 2 shown]
.LBB61_1133:
	s_or_b32 exec_lo, exec_lo, s4
	v_mov_b32_e32 v4, s35
	s_mov_b32 s4, exec_lo
	s_clause 0x3
	buffer_load_dword v1, v4, s[0:3], 0 offen
	buffer_load_dword v2, v4, s[0:3], 0 offen offset:4
	buffer_load_dword v3, v4, s[0:3], 0 offen offset:8
	;; [unrolled: 1-line block ×3, first 2 shown]
	s_waitcnt vmcnt(0)
	ds_write_b128 v130, v[1:4]
	s_waitcnt lgkmcnt(0)
	s_waitcnt_vscnt null, 0x0
	s_barrier
	buffer_gl0_inv
	v_cmpx_gt_u32_e32 36, v0
	s_cbranch_execz .LBB61_1141
; %bb.1134:
	ds_read_b128 v[1:4], v130
	v_cmp_ne_u32_e32 vcc_lo, 1, v131
	s_cbranch_vccnz .LBB61_1136
; %bb.1135:
	s_clause 0x3
	buffer_load_dword v132, v129, s[0:3], 0 offen offset:8
	buffer_load_dword v133, v129, s[0:3], 0 offen offset:12
	buffer_load_dword v136, v129, s[0:3], 0 offen
	buffer_load_dword v137, v129, s[0:3], 0 offen offset:4
	s_waitcnt vmcnt(2) lgkmcnt(0)
	v_mul_f64 v[138:139], v[3:4], v[132:133]
	v_mul_f64 v[132:133], v[1:2], v[132:133]
	s_waitcnt vmcnt(0)
	v_fma_f64 v[1:2], v[1:2], v[136:137], -v[138:139]
	v_fma_f64 v[3:4], v[3:4], v[136:137], v[132:133]
.LBB61_1136:
	s_mov_b32 s5, exec_lo
	v_cmpx_ne_u32_e32 35, v0
	s_cbranch_execz .LBB61_1140
; %bb.1137:
	v_add_nc_u32_e32 v132, 0x3f0, v135
	v_add3_u32 v133, 0, v135, 16
	v_mov_b32_e32 v134, v0
	s_mov_b32 s6, 0
	.p2align	6
.LBB61_1138:                            ; =>This Inner Loop Header: Depth=1
	s_clause 0x3
	buffer_load_dword v140, v133, s[0:3], 0 offen offset:8
	buffer_load_dword v141, v133, s[0:3], 0 offen offset:12
	buffer_load_dword v142, v133, s[0:3], 0 offen
	buffer_load_dword v143, v133, s[0:3], 0 offen offset:4
	ds_read_b128 v[136:139], v132
	v_add_nc_u32_e32 v134, 1, v134
	v_add_nc_u32_e32 v132, 16, v132
	;; [unrolled: 1-line block ×3, first 2 shown]
	v_cmp_lt_u32_e32 vcc_lo, 34, v134
	s_or_b32 s6, vcc_lo, s6
	s_waitcnt vmcnt(2) lgkmcnt(0)
	v_mul_f64 v[144:145], v[138:139], v[140:141]
	v_mul_f64 v[140:141], v[136:137], v[140:141]
	s_waitcnt vmcnt(0)
	v_fma_f64 v[136:137], v[136:137], v[142:143], -v[144:145]
	v_fma_f64 v[138:139], v[138:139], v[142:143], v[140:141]
	v_add_f64 v[1:2], v[1:2], v[136:137]
	v_add_f64 v[3:4], v[3:4], v[138:139]
	s_andn2_b32 exec_lo, exec_lo, s6
	s_cbranch_execnz .LBB61_1138
; %bb.1139:
	s_or_b32 exec_lo, exec_lo, s6
.LBB61_1140:
	s_or_b32 exec_lo, exec_lo, s5
	v_mov_b32_e32 v132, 0
	ds_read_b128 v[136:139], v132 offset:576
	s_waitcnt lgkmcnt(0)
	v_mul_f64 v[132:133], v[3:4], v[138:139]
	v_mul_f64 v[138:139], v[1:2], v[138:139]
	v_fma_f64 v[1:2], v[1:2], v[136:137], -v[132:133]
	v_fma_f64 v[3:4], v[3:4], v[136:137], v[138:139]
	buffer_store_dword v2, off, s[0:3], 0 offset:580
	buffer_store_dword v1, off, s[0:3], 0 offset:576
	;; [unrolled: 1-line block ×4, first 2 shown]
.LBB61_1141:
	s_or_b32 exec_lo, exec_lo, s4
	v_mov_b32_e32 v4, s34
	s_mov_b32 s4, exec_lo
	s_clause 0x3
	buffer_load_dword v1, v4, s[0:3], 0 offen
	buffer_load_dword v2, v4, s[0:3], 0 offen offset:4
	buffer_load_dword v3, v4, s[0:3], 0 offen offset:8
	;; [unrolled: 1-line block ×3, first 2 shown]
	s_waitcnt vmcnt(0)
	ds_write_b128 v130, v[1:4]
	s_waitcnt lgkmcnt(0)
	s_waitcnt_vscnt null, 0x0
	s_barrier
	buffer_gl0_inv
	v_cmpx_gt_u32_e32 37, v0
	s_cbranch_execz .LBB61_1149
; %bb.1142:
	ds_read_b128 v[1:4], v130
	v_cmp_ne_u32_e32 vcc_lo, 1, v131
	s_cbranch_vccnz .LBB61_1144
; %bb.1143:
	s_clause 0x3
	buffer_load_dword v132, v129, s[0:3], 0 offen offset:8
	buffer_load_dword v133, v129, s[0:3], 0 offen offset:12
	buffer_load_dword v136, v129, s[0:3], 0 offen
	buffer_load_dword v137, v129, s[0:3], 0 offen offset:4
	s_waitcnt vmcnt(2) lgkmcnt(0)
	v_mul_f64 v[138:139], v[3:4], v[132:133]
	v_mul_f64 v[132:133], v[1:2], v[132:133]
	s_waitcnt vmcnt(0)
	v_fma_f64 v[1:2], v[1:2], v[136:137], -v[138:139]
	v_fma_f64 v[3:4], v[3:4], v[136:137], v[132:133]
.LBB61_1144:
	s_mov_b32 s5, exec_lo
	v_cmpx_ne_u32_e32 36, v0
	s_cbranch_execz .LBB61_1148
; %bb.1145:
	v_add_nc_u32_e32 v132, 0x3f0, v135
	v_add3_u32 v133, 0, v135, 16
	v_mov_b32_e32 v134, v0
	s_mov_b32 s6, 0
	.p2align	6
.LBB61_1146:                            ; =>This Inner Loop Header: Depth=1
	s_clause 0x3
	buffer_load_dword v140, v133, s[0:3], 0 offen offset:8
	buffer_load_dword v141, v133, s[0:3], 0 offen offset:12
	buffer_load_dword v142, v133, s[0:3], 0 offen
	buffer_load_dword v143, v133, s[0:3], 0 offen offset:4
	ds_read_b128 v[136:139], v132
	v_add_nc_u32_e32 v134, 1, v134
	v_add_nc_u32_e32 v132, 16, v132
	;; [unrolled: 1-line block ×3, first 2 shown]
	v_cmp_lt_u32_e32 vcc_lo, 35, v134
	s_or_b32 s6, vcc_lo, s6
	s_waitcnt vmcnt(2) lgkmcnt(0)
	v_mul_f64 v[144:145], v[138:139], v[140:141]
	v_mul_f64 v[140:141], v[136:137], v[140:141]
	s_waitcnt vmcnt(0)
	v_fma_f64 v[136:137], v[136:137], v[142:143], -v[144:145]
	v_fma_f64 v[138:139], v[138:139], v[142:143], v[140:141]
	v_add_f64 v[1:2], v[1:2], v[136:137]
	v_add_f64 v[3:4], v[3:4], v[138:139]
	s_andn2_b32 exec_lo, exec_lo, s6
	s_cbranch_execnz .LBB61_1146
; %bb.1147:
	s_or_b32 exec_lo, exec_lo, s6
.LBB61_1148:
	s_or_b32 exec_lo, exec_lo, s5
	v_mov_b32_e32 v132, 0
	ds_read_b128 v[136:139], v132 offset:592
	s_waitcnt lgkmcnt(0)
	v_mul_f64 v[132:133], v[3:4], v[138:139]
	v_mul_f64 v[138:139], v[1:2], v[138:139]
	v_fma_f64 v[1:2], v[1:2], v[136:137], -v[132:133]
	v_fma_f64 v[3:4], v[3:4], v[136:137], v[138:139]
	buffer_store_dword v2, off, s[0:3], 0 offset:596
	buffer_store_dword v1, off, s[0:3], 0 offset:592
	;; [unrolled: 1-line block ×4, first 2 shown]
.LBB61_1149:
	s_or_b32 exec_lo, exec_lo, s4
	v_mov_b32_e32 v4, s33
	s_mov_b32 s4, exec_lo
	s_clause 0x3
	buffer_load_dword v1, v4, s[0:3], 0 offen
	buffer_load_dword v2, v4, s[0:3], 0 offen offset:4
	buffer_load_dword v3, v4, s[0:3], 0 offen offset:8
	buffer_load_dword v4, v4, s[0:3], 0 offen offset:12
	s_waitcnt vmcnt(0)
	ds_write_b128 v130, v[1:4]
	s_waitcnt lgkmcnt(0)
	s_waitcnt_vscnt null, 0x0
	s_barrier
	buffer_gl0_inv
	v_cmpx_gt_u32_e32 38, v0
	s_cbranch_execz .LBB61_1157
; %bb.1150:
	ds_read_b128 v[1:4], v130
	v_cmp_ne_u32_e32 vcc_lo, 1, v131
	s_cbranch_vccnz .LBB61_1152
; %bb.1151:
	s_clause 0x3
	buffer_load_dword v132, v129, s[0:3], 0 offen offset:8
	buffer_load_dword v133, v129, s[0:3], 0 offen offset:12
	buffer_load_dword v136, v129, s[0:3], 0 offen
	buffer_load_dword v137, v129, s[0:3], 0 offen offset:4
	s_waitcnt vmcnt(2) lgkmcnt(0)
	v_mul_f64 v[138:139], v[3:4], v[132:133]
	v_mul_f64 v[132:133], v[1:2], v[132:133]
	s_waitcnt vmcnt(0)
	v_fma_f64 v[1:2], v[1:2], v[136:137], -v[138:139]
	v_fma_f64 v[3:4], v[3:4], v[136:137], v[132:133]
.LBB61_1152:
	s_mov_b32 s5, exec_lo
	v_cmpx_ne_u32_e32 37, v0
	s_cbranch_execz .LBB61_1156
; %bb.1153:
	v_add_nc_u32_e32 v132, 0x3f0, v135
	v_add3_u32 v133, 0, v135, 16
	v_mov_b32_e32 v134, v0
	s_mov_b32 s6, 0
	.p2align	6
.LBB61_1154:                            ; =>This Inner Loop Header: Depth=1
	s_clause 0x3
	buffer_load_dword v140, v133, s[0:3], 0 offen offset:8
	buffer_load_dword v141, v133, s[0:3], 0 offen offset:12
	buffer_load_dword v142, v133, s[0:3], 0 offen
	buffer_load_dword v143, v133, s[0:3], 0 offen offset:4
	ds_read_b128 v[136:139], v132
	v_add_nc_u32_e32 v134, 1, v134
	v_add_nc_u32_e32 v132, 16, v132
	;; [unrolled: 1-line block ×3, first 2 shown]
	v_cmp_lt_u32_e32 vcc_lo, 36, v134
	s_or_b32 s6, vcc_lo, s6
	s_waitcnt vmcnt(2) lgkmcnt(0)
	v_mul_f64 v[144:145], v[138:139], v[140:141]
	v_mul_f64 v[140:141], v[136:137], v[140:141]
	s_waitcnt vmcnt(0)
	v_fma_f64 v[136:137], v[136:137], v[142:143], -v[144:145]
	v_fma_f64 v[138:139], v[138:139], v[142:143], v[140:141]
	v_add_f64 v[1:2], v[1:2], v[136:137]
	v_add_f64 v[3:4], v[3:4], v[138:139]
	s_andn2_b32 exec_lo, exec_lo, s6
	s_cbranch_execnz .LBB61_1154
; %bb.1155:
	s_or_b32 exec_lo, exec_lo, s6
.LBB61_1156:
	s_or_b32 exec_lo, exec_lo, s5
	v_mov_b32_e32 v132, 0
	ds_read_b128 v[136:139], v132 offset:608
	s_waitcnt lgkmcnt(0)
	v_mul_f64 v[132:133], v[3:4], v[138:139]
	v_mul_f64 v[138:139], v[1:2], v[138:139]
	v_fma_f64 v[1:2], v[1:2], v[136:137], -v[132:133]
	v_fma_f64 v[3:4], v[3:4], v[136:137], v[138:139]
	buffer_store_dword v2, off, s[0:3], 0 offset:612
	buffer_store_dword v1, off, s[0:3], 0 offset:608
	buffer_store_dword v4, off, s[0:3], 0 offset:620
	buffer_store_dword v3, off, s[0:3], 0 offset:616
.LBB61_1157:
	s_or_b32 exec_lo, exec_lo, s4
	v_mov_b32_e32 v4, s31
	s_mov_b32 s4, exec_lo
	s_clause 0x3
	buffer_load_dword v1, v4, s[0:3], 0 offen
	buffer_load_dword v2, v4, s[0:3], 0 offen offset:4
	buffer_load_dword v3, v4, s[0:3], 0 offen offset:8
	;; [unrolled: 1-line block ×3, first 2 shown]
	s_waitcnt vmcnt(0)
	ds_write_b128 v130, v[1:4]
	s_waitcnt lgkmcnt(0)
	s_waitcnt_vscnt null, 0x0
	s_barrier
	buffer_gl0_inv
	v_cmpx_gt_u32_e32 39, v0
	s_cbranch_execz .LBB61_1165
; %bb.1158:
	ds_read_b128 v[1:4], v130
	v_cmp_ne_u32_e32 vcc_lo, 1, v131
	s_cbranch_vccnz .LBB61_1160
; %bb.1159:
	s_clause 0x3
	buffer_load_dword v132, v129, s[0:3], 0 offen offset:8
	buffer_load_dword v133, v129, s[0:3], 0 offen offset:12
	buffer_load_dword v136, v129, s[0:3], 0 offen
	buffer_load_dword v137, v129, s[0:3], 0 offen offset:4
	s_waitcnt vmcnt(2) lgkmcnt(0)
	v_mul_f64 v[138:139], v[3:4], v[132:133]
	v_mul_f64 v[132:133], v[1:2], v[132:133]
	s_waitcnt vmcnt(0)
	v_fma_f64 v[1:2], v[1:2], v[136:137], -v[138:139]
	v_fma_f64 v[3:4], v[3:4], v[136:137], v[132:133]
.LBB61_1160:
	s_mov_b32 s5, exec_lo
	v_cmpx_ne_u32_e32 38, v0
	s_cbranch_execz .LBB61_1164
; %bb.1161:
	v_add_nc_u32_e32 v132, 0x3f0, v135
	v_add3_u32 v133, 0, v135, 16
	v_mov_b32_e32 v134, v0
	s_mov_b32 s6, 0
	.p2align	6
.LBB61_1162:                            ; =>This Inner Loop Header: Depth=1
	s_clause 0x3
	buffer_load_dword v140, v133, s[0:3], 0 offen offset:8
	buffer_load_dword v141, v133, s[0:3], 0 offen offset:12
	buffer_load_dword v142, v133, s[0:3], 0 offen
	buffer_load_dword v143, v133, s[0:3], 0 offen offset:4
	ds_read_b128 v[136:139], v132
	v_add_nc_u32_e32 v134, 1, v134
	v_add_nc_u32_e32 v132, 16, v132
	;; [unrolled: 1-line block ×3, first 2 shown]
	v_cmp_lt_u32_e32 vcc_lo, 37, v134
	s_or_b32 s6, vcc_lo, s6
	s_waitcnt vmcnt(2) lgkmcnt(0)
	v_mul_f64 v[144:145], v[138:139], v[140:141]
	v_mul_f64 v[140:141], v[136:137], v[140:141]
	s_waitcnt vmcnt(0)
	v_fma_f64 v[136:137], v[136:137], v[142:143], -v[144:145]
	v_fma_f64 v[138:139], v[138:139], v[142:143], v[140:141]
	v_add_f64 v[1:2], v[1:2], v[136:137]
	v_add_f64 v[3:4], v[3:4], v[138:139]
	s_andn2_b32 exec_lo, exec_lo, s6
	s_cbranch_execnz .LBB61_1162
; %bb.1163:
	s_or_b32 exec_lo, exec_lo, s6
.LBB61_1164:
	s_or_b32 exec_lo, exec_lo, s5
	v_mov_b32_e32 v132, 0
	ds_read_b128 v[136:139], v132 offset:624
	s_waitcnt lgkmcnt(0)
	v_mul_f64 v[132:133], v[3:4], v[138:139]
	v_mul_f64 v[138:139], v[1:2], v[138:139]
	v_fma_f64 v[1:2], v[1:2], v[136:137], -v[132:133]
	v_fma_f64 v[3:4], v[3:4], v[136:137], v[138:139]
	buffer_store_dword v2, off, s[0:3], 0 offset:628
	buffer_store_dword v1, off, s[0:3], 0 offset:624
	buffer_store_dword v4, off, s[0:3], 0 offset:636
	buffer_store_dword v3, off, s[0:3], 0 offset:632
.LBB61_1165:
	s_or_b32 exec_lo, exec_lo, s4
	v_mov_b32_e32 v4, s30
	s_mov_b32 s4, exec_lo
	s_clause 0x3
	buffer_load_dword v1, v4, s[0:3], 0 offen
	buffer_load_dword v2, v4, s[0:3], 0 offen offset:4
	buffer_load_dword v3, v4, s[0:3], 0 offen offset:8
	;; [unrolled: 1-line block ×3, first 2 shown]
	s_waitcnt vmcnt(0)
	ds_write_b128 v130, v[1:4]
	s_waitcnt lgkmcnt(0)
	s_waitcnt_vscnt null, 0x0
	s_barrier
	buffer_gl0_inv
	v_cmpx_gt_u32_e32 40, v0
	s_cbranch_execz .LBB61_1173
; %bb.1166:
	ds_read_b128 v[1:4], v130
	v_cmp_ne_u32_e32 vcc_lo, 1, v131
	s_cbranch_vccnz .LBB61_1168
; %bb.1167:
	s_clause 0x3
	buffer_load_dword v132, v129, s[0:3], 0 offen offset:8
	buffer_load_dword v133, v129, s[0:3], 0 offen offset:12
	buffer_load_dword v136, v129, s[0:3], 0 offen
	buffer_load_dword v137, v129, s[0:3], 0 offen offset:4
	s_waitcnt vmcnt(2) lgkmcnt(0)
	v_mul_f64 v[138:139], v[3:4], v[132:133]
	v_mul_f64 v[132:133], v[1:2], v[132:133]
	s_waitcnt vmcnt(0)
	v_fma_f64 v[1:2], v[1:2], v[136:137], -v[138:139]
	v_fma_f64 v[3:4], v[3:4], v[136:137], v[132:133]
.LBB61_1168:
	s_mov_b32 s5, exec_lo
	v_cmpx_ne_u32_e32 39, v0
	s_cbranch_execz .LBB61_1172
; %bb.1169:
	v_add_nc_u32_e32 v132, 0x3f0, v135
	v_add3_u32 v133, 0, v135, 16
	v_mov_b32_e32 v134, v0
	s_mov_b32 s6, 0
	.p2align	6
.LBB61_1170:                            ; =>This Inner Loop Header: Depth=1
	s_clause 0x3
	buffer_load_dword v140, v133, s[0:3], 0 offen offset:8
	buffer_load_dword v141, v133, s[0:3], 0 offen offset:12
	buffer_load_dword v142, v133, s[0:3], 0 offen
	buffer_load_dword v143, v133, s[0:3], 0 offen offset:4
	ds_read_b128 v[136:139], v132
	v_add_nc_u32_e32 v134, 1, v134
	v_add_nc_u32_e32 v132, 16, v132
	;; [unrolled: 1-line block ×3, first 2 shown]
	v_cmp_lt_u32_e32 vcc_lo, 38, v134
	s_or_b32 s6, vcc_lo, s6
	s_waitcnt vmcnt(2) lgkmcnt(0)
	v_mul_f64 v[144:145], v[138:139], v[140:141]
	v_mul_f64 v[140:141], v[136:137], v[140:141]
	s_waitcnt vmcnt(0)
	v_fma_f64 v[136:137], v[136:137], v[142:143], -v[144:145]
	v_fma_f64 v[138:139], v[138:139], v[142:143], v[140:141]
	v_add_f64 v[1:2], v[1:2], v[136:137]
	v_add_f64 v[3:4], v[3:4], v[138:139]
	s_andn2_b32 exec_lo, exec_lo, s6
	s_cbranch_execnz .LBB61_1170
; %bb.1171:
	s_or_b32 exec_lo, exec_lo, s6
.LBB61_1172:
	s_or_b32 exec_lo, exec_lo, s5
	v_mov_b32_e32 v132, 0
	ds_read_b128 v[136:139], v132 offset:640
	s_waitcnt lgkmcnt(0)
	v_mul_f64 v[132:133], v[3:4], v[138:139]
	v_mul_f64 v[138:139], v[1:2], v[138:139]
	v_fma_f64 v[1:2], v[1:2], v[136:137], -v[132:133]
	v_fma_f64 v[3:4], v[3:4], v[136:137], v[138:139]
	buffer_store_dword v2, off, s[0:3], 0 offset:644
	buffer_store_dword v1, off, s[0:3], 0 offset:640
	;; [unrolled: 1-line block ×4, first 2 shown]
.LBB61_1173:
	s_or_b32 exec_lo, exec_lo, s4
	v_mov_b32_e32 v4, s29
	s_mov_b32 s4, exec_lo
	s_clause 0x3
	buffer_load_dword v1, v4, s[0:3], 0 offen
	buffer_load_dword v2, v4, s[0:3], 0 offen offset:4
	buffer_load_dword v3, v4, s[0:3], 0 offen offset:8
	;; [unrolled: 1-line block ×3, first 2 shown]
	s_waitcnt vmcnt(0)
	ds_write_b128 v130, v[1:4]
	s_waitcnt lgkmcnt(0)
	s_waitcnt_vscnt null, 0x0
	s_barrier
	buffer_gl0_inv
	v_cmpx_gt_u32_e32 41, v0
	s_cbranch_execz .LBB61_1181
; %bb.1174:
	ds_read_b128 v[1:4], v130
	v_cmp_ne_u32_e32 vcc_lo, 1, v131
	s_cbranch_vccnz .LBB61_1176
; %bb.1175:
	s_clause 0x3
	buffer_load_dword v132, v129, s[0:3], 0 offen offset:8
	buffer_load_dword v133, v129, s[0:3], 0 offen offset:12
	buffer_load_dword v136, v129, s[0:3], 0 offen
	buffer_load_dword v137, v129, s[0:3], 0 offen offset:4
	s_waitcnt vmcnt(2) lgkmcnt(0)
	v_mul_f64 v[138:139], v[3:4], v[132:133]
	v_mul_f64 v[132:133], v[1:2], v[132:133]
	s_waitcnt vmcnt(0)
	v_fma_f64 v[1:2], v[1:2], v[136:137], -v[138:139]
	v_fma_f64 v[3:4], v[3:4], v[136:137], v[132:133]
.LBB61_1176:
	s_mov_b32 s5, exec_lo
	v_cmpx_ne_u32_e32 40, v0
	s_cbranch_execz .LBB61_1180
; %bb.1177:
	v_add_nc_u32_e32 v132, 0x3f0, v135
	v_add3_u32 v133, 0, v135, 16
	v_mov_b32_e32 v134, v0
	s_mov_b32 s6, 0
	.p2align	6
.LBB61_1178:                            ; =>This Inner Loop Header: Depth=1
	s_clause 0x3
	buffer_load_dword v140, v133, s[0:3], 0 offen offset:8
	buffer_load_dword v141, v133, s[0:3], 0 offen offset:12
	buffer_load_dword v142, v133, s[0:3], 0 offen
	buffer_load_dword v143, v133, s[0:3], 0 offen offset:4
	ds_read_b128 v[136:139], v132
	v_add_nc_u32_e32 v134, 1, v134
	v_add_nc_u32_e32 v132, 16, v132
	;; [unrolled: 1-line block ×3, first 2 shown]
	v_cmp_lt_u32_e32 vcc_lo, 39, v134
	s_or_b32 s6, vcc_lo, s6
	s_waitcnt vmcnt(2) lgkmcnt(0)
	v_mul_f64 v[144:145], v[138:139], v[140:141]
	v_mul_f64 v[140:141], v[136:137], v[140:141]
	s_waitcnt vmcnt(0)
	v_fma_f64 v[136:137], v[136:137], v[142:143], -v[144:145]
	v_fma_f64 v[138:139], v[138:139], v[142:143], v[140:141]
	v_add_f64 v[1:2], v[1:2], v[136:137]
	v_add_f64 v[3:4], v[3:4], v[138:139]
	s_andn2_b32 exec_lo, exec_lo, s6
	s_cbranch_execnz .LBB61_1178
; %bb.1179:
	s_or_b32 exec_lo, exec_lo, s6
.LBB61_1180:
	s_or_b32 exec_lo, exec_lo, s5
	v_mov_b32_e32 v132, 0
	ds_read_b128 v[136:139], v132 offset:656
	s_waitcnt lgkmcnt(0)
	v_mul_f64 v[132:133], v[3:4], v[138:139]
	v_mul_f64 v[138:139], v[1:2], v[138:139]
	v_fma_f64 v[1:2], v[1:2], v[136:137], -v[132:133]
	v_fma_f64 v[3:4], v[3:4], v[136:137], v[138:139]
	buffer_store_dword v2, off, s[0:3], 0 offset:660
	buffer_store_dword v1, off, s[0:3], 0 offset:656
	;; [unrolled: 1-line block ×4, first 2 shown]
.LBB61_1181:
	s_or_b32 exec_lo, exec_lo, s4
	v_mov_b32_e32 v4, s28
	s_mov_b32 s4, exec_lo
	s_clause 0x3
	buffer_load_dword v1, v4, s[0:3], 0 offen
	buffer_load_dword v2, v4, s[0:3], 0 offen offset:4
	buffer_load_dword v3, v4, s[0:3], 0 offen offset:8
	;; [unrolled: 1-line block ×3, first 2 shown]
	s_waitcnt vmcnt(0)
	ds_write_b128 v130, v[1:4]
	s_waitcnt lgkmcnt(0)
	s_waitcnt_vscnt null, 0x0
	s_barrier
	buffer_gl0_inv
	v_cmpx_gt_u32_e32 42, v0
	s_cbranch_execz .LBB61_1189
; %bb.1182:
	ds_read_b128 v[1:4], v130
	v_cmp_ne_u32_e32 vcc_lo, 1, v131
	s_cbranch_vccnz .LBB61_1184
; %bb.1183:
	s_clause 0x3
	buffer_load_dword v132, v129, s[0:3], 0 offen offset:8
	buffer_load_dword v133, v129, s[0:3], 0 offen offset:12
	buffer_load_dword v136, v129, s[0:3], 0 offen
	buffer_load_dword v137, v129, s[0:3], 0 offen offset:4
	s_waitcnt vmcnt(2) lgkmcnt(0)
	v_mul_f64 v[138:139], v[3:4], v[132:133]
	v_mul_f64 v[132:133], v[1:2], v[132:133]
	s_waitcnt vmcnt(0)
	v_fma_f64 v[1:2], v[1:2], v[136:137], -v[138:139]
	v_fma_f64 v[3:4], v[3:4], v[136:137], v[132:133]
.LBB61_1184:
	s_mov_b32 s5, exec_lo
	v_cmpx_ne_u32_e32 41, v0
	s_cbranch_execz .LBB61_1188
; %bb.1185:
	v_add_nc_u32_e32 v132, 0x3f0, v135
	v_add3_u32 v133, 0, v135, 16
	v_mov_b32_e32 v134, v0
	s_mov_b32 s6, 0
	.p2align	6
.LBB61_1186:                            ; =>This Inner Loop Header: Depth=1
	s_clause 0x3
	buffer_load_dword v140, v133, s[0:3], 0 offen offset:8
	buffer_load_dword v141, v133, s[0:3], 0 offen offset:12
	buffer_load_dword v142, v133, s[0:3], 0 offen
	buffer_load_dword v143, v133, s[0:3], 0 offen offset:4
	ds_read_b128 v[136:139], v132
	v_add_nc_u32_e32 v134, 1, v134
	v_add_nc_u32_e32 v132, 16, v132
	;; [unrolled: 1-line block ×3, first 2 shown]
	v_cmp_lt_u32_e32 vcc_lo, 40, v134
	s_or_b32 s6, vcc_lo, s6
	s_waitcnt vmcnt(2) lgkmcnt(0)
	v_mul_f64 v[144:145], v[138:139], v[140:141]
	v_mul_f64 v[140:141], v[136:137], v[140:141]
	s_waitcnt vmcnt(0)
	v_fma_f64 v[136:137], v[136:137], v[142:143], -v[144:145]
	v_fma_f64 v[138:139], v[138:139], v[142:143], v[140:141]
	v_add_f64 v[1:2], v[1:2], v[136:137]
	v_add_f64 v[3:4], v[3:4], v[138:139]
	s_andn2_b32 exec_lo, exec_lo, s6
	s_cbranch_execnz .LBB61_1186
; %bb.1187:
	s_or_b32 exec_lo, exec_lo, s6
.LBB61_1188:
	s_or_b32 exec_lo, exec_lo, s5
	v_mov_b32_e32 v132, 0
	ds_read_b128 v[136:139], v132 offset:672
	s_waitcnt lgkmcnt(0)
	v_mul_f64 v[132:133], v[3:4], v[138:139]
	v_mul_f64 v[138:139], v[1:2], v[138:139]
	v_fma_f64 v[1:2], v[1:2], v[136:137], -v[132:133]
	v_fma_f64 v[3:4], v[3:4], v[136:137], v[138:139]
	buffer_store_dword v2, off, s[0:3], 0 offset:676
	buffer_store_dword v1, off, s[0:3], 0 offset:672
	;; [unrolled: 1-line block ×4, first 2 shown]
.LBB61_1189:
	s_or_b32 exec_lo, exec_lo, s4
	v_mov_b32_e32 v4, s27
	s_mov_b32 s4, exec_lo
	s_clause 0x3
	buffer_load_dword v1, v4, s[0:3], 0 offen
	buffer_load_dword v2, v4, s[0:3], 0 offen offset:4
	buffer_load_dword v3, v4, s[0:3], 0 offen offset:8
	;; [unrolled: 1-line block ×3, first 2 shown]
	s_waitcnt vmcnt(0)
	ds_write_b128 v130, v[1:4]
	s_waitcnt lgkmcnt(0)
	s_waitcnt_vscnt null, 0x0
	s_barrier
	buffer_gl0_inv
	v_cmpx_gt_u32_e32 43, v0
	s_cbranch_execz .LBB61_1197
; %bb.1190:
	ds_read_b128 v[1:4], v130
	v_cmp_ne_u32_e32 vcc_lo, 1, v131
	s_cbranch_vccnz .LBB61_1192
; %bb.1191:
	s_clause 0x3
	buffer_load_dword v132, v129, s[0:3], 0 offen offset:8
	buffer_load_dword v133, v129, s[0:3], 0 offen offset:12
	buffer_load_dword v136, v129, s[0:3], 0 offen
	buffer_load_dword v137, v129, s[0:3], 0 offen offset:4
	s_waitcnt vmcnt(2) lgkmcnt(0)
	v_mul_f64 v[138:139], v[3:4], v[132:133]
	v_mul_f64 v[132:133], v[1:2], v[132:133]
	s_waitcnt vmcnt(0)
	v_fma_f64 v[1:2], v[1:2], v[136:137], -v[138:139]
	v_fma_f64 v[3:4], v[3:4], v[136:137], v[132:133]
.LBB61_1192:
	s_mov_b32 s5, exec_lo
	v_cmpx_ne_u32_e32 42, v0
	s_cbranch_execz .LBB61_1196
; %bb.1193:
	v_add_nc_u32_e32 v132, 0x3f0, v135
	v_add3_u32 v133, 0, v135, 16
	v_mov_b32_e32 v134, v0
	s_mov_b32 s6, 0
	.p2align	6
.LBB61_1194:                            ; =>This Inner Loop Header: Depth=1
	s_clause 0x3
	buffer_load_dword v140, v133, s[0:3], 0 offen offset:8
	buffer_load_dword v141, v133, s[0:3], 0 offen offset:12
	buffer_load_dword v142, v133, s[0:3], 0 offen
	buffer_load_dword v143, v133, s[0:3], 0 offen offset:4
	ds_read_b128 v[136:139], v132
	v_add_nc_u32_e32 v134, 1, v134
	v_add_nc_u32_e32 v132, 16, v132
	;; [unrolled: 1-line block ×3, first 2 shown]
	v_cmp_lt_u32_e32 vcc_lo, 41, v134
	s_or_b32 s6, vcc_lo, s6
	s_waitcnt vmcnt(2) lgkmcnt(0)
	v_mul_f64 v[144:145], v[138:139], v[140:141]
	v_mul_f64 v[140:141], v[136:137], v[140:141]
	s_waitcnt vmcnt(0)
	v_fma_f64 v[136:137], v[136:137], v[142:143], -v[144:145]
	v_fma_f64 v[138:139], v[138:139], v[142:143], v[140:141]
	v_add_f64 v[1:2], v[1:2], v[136:137]
	v_add_f64 v[3:4], v[3:4], v[138:139]
	s_andn2_b32 exec_lo, exec_lo, s6
	s_cbranch_execnz .LBB61_1194
; %bb.1195:
	s_or_b32 exec_lo, exec_lo, s6
.LBB61_1196:
	s_or_b32 exec_lo, exec_lo, s5
	v_mov_b32_e32 v132, 0
	ds_read_b128 v[136:139], v132 offset:688
	s_waitcnt lgkmcnt(0)
	v_mul_f64 v[132:133], v[3:4], v[138:139]
	v_mul_f64 v[138:139], v[1:2], v[138:139]
	v_fma_f64 v[1:2], v[1:2], v[136:137], -v[132:133]
	v_fma_f64 v[3:4], v[3:4], v[136:137], v[138:139]
	buffer_store_dword v2, off, s[0:3], 0 offset:692
	buffer_store_dword v1, off, s[0:3], 0 offset:688
	;; [unrolled: 1-line block ×4, first 2 shown]
.LBB61_1197:
	s_or_b32 exec_lo, exec_lo, s4
	v_mov_b32_e32 v4, s26
	s_mov_b32 s4, exec_lo
	s_clause 0x3
	buffer_load_dword v1, v4, s[0:3], 0 offen
	buffer_load_dword v2, v4, s[0:3], 0 offen offset:4
	buffer_load_dword v3, v4, s[0:3], 0 offen offset:8
	;; [unrolled: 1-line block ×3, first 2 shown]
	s_waitcnt vmcnt(0)
	ds_write_b128 v130, v[1:4]
	s_waitcnt lgkmcnt(0)
	s_waitcnt_vscnt null, 0x0
	s_barrier
	buffer_gl0_inv
	v_cmpx_gt_u32_e32 44, v0
	s_cbranch_execz .LBB61_1205
; %bb.1198:
	ds_read_b128 v[1:4], v130
	v_cmp_ne_u32_e32 vcc_lo, 1, v131
	s_cbranch_vccnz .LBB61_1200
; %bb.1199:
	s_clause 0x3
	buffer_load_dword v132, v129, s[0:3], 0 offen offset:8
	buffer_load_dword v133, v129, s[0:3], 0 offen offset:12
	buffer_load_dword v136, v129, s[0:3], 0 offen
	buffer_load_dword v137, v129, s[0:3], 0 offen offset:4
	s_waitcnt vmcnt(2) lgkmcnt(0)
	v_mul_f64 v[138:139], v[3:4], v[132:133]
	v_mul_f64 v[132:133], v[1:2], v[132:133]
	s_waitcnt vmcnt(0)
	v_fma_f64 v[1:2], v[1:2], v[136:137], -v[138:139]
	v_fma_f64 v[3:4], v[3:4], v[136:137], v[132:133]
.LBB61_1200:
	s_mov_b32 s5, exec_lo
	v_cmpx_ne_u32_e32 43, v0
	s_cbranch_execz .LBB61_1204
; %bb.1201:
	v_add_nc_u32_e32 v132, 0x3f0, v135
	v_add3_u32 v133, 0, v135, 16
	v_mov_b32_e32 v134, v0
	s_mov_b32 s6, 0
	.p2align	6
.LBB61_1202:                            ; =>This Inner Loop Header: Depth=1
	s_clause 0x3
	buffer_load_dword v140, v133, s[0:3], 0 offen offset:8
	buffer_load_dword v141, v133, s[0:3], 0 offen offset:12
	buffer_load_dword v142, v133, s[0:3], 0 offen
	buffer_load_dword v143, v133, s[0:3], 0 offen offset:4
	ds_read_b128 v[136:139], v132
	v_add_nc_u32_e32 v134, 1, v134
	v_add_nc_u32_e32 v132, 16, v132
	;; [unrolled: 1-line block ×3, first 2 shown]
	v_cmp_lt_u32_e32 vcc_lo, 42, v134
	s_or_b32 s6, vcc_lo, s6
	s_waitcnt vmcnt(2) lgkmcnt(0)
	v_mul_f64 v[144:145], v[138:139], v[140:141]
	v_mul_f64 v[140:141], v[136:137], v[140:141]
	s_waitcnt vmcnt(0)
	v_fma_f64 v[136:137], v[136:137], v[142:143], -v[144:145]
	v_fma_f64 v[138:139], v[138:139], v[142:143], v[140:141]
	v_add_f64 v[1:2], v[1:2], v[136:137]
	v_add_f64 v[3:4], v[3:4], v[138:139]
	s_andn2_b32 exec_lo, exec_lo, s6
	s_cbranch_execnz .LBB61_1202
; %bb.1203:
	s_or_b32 exec_lo, exec_lo, s6
.LBB61_1204:
	s_or_b32 exec_lo, exec_lo, s5
	v_mov_b32_e32 v132, 0
	ds_read_b128 v[136:139], v132 offset:704
	s_waitcnt lgkmcnt(0)
	v_mul_f64 v[132:133], v[3:4], v[138:139]
	v_mul_f64 v[138:139], v[1:2], v[138:139]
	v_fma_f64 v[1:2], v[1:2], v[136:137], -v[132:133]
	v_fma_f64 v[3:4], v[3:4], v[136:137], v[138:139]
	buffer_store_dword v2, off, s[0:3], 0 offset:708
	buffer_store_dword v1, off, s[0:3], 0 offset:704
	;; [unrolled: 1-line block ×4, first 2 shown]
.LBB61_1205:
	s_or_b32 exec_lo, exec_lo, s4
	v_mov_b32_e32 v4, s25
	s_mov_b32 s4, exec_lo
	s_clause 0x3
	buffer_load_dword v1, v4, s[0:3], 0 offen
	buffer_load_dword v2, v4, s[0:3], 0 offen offset:4
	buffer_load_dword v3, v4, s[0:3], 0 offen offset:8
	;; [unrolled: 1-line block ×3, first 2 shown]
	s_waitcnt vmcnt(0)
	ds_write_b128 v130, v[1:4]
	s_waitcnt lgkmcnt(0)
	s_waitcnt_vscnt null, 0x0
	s_barrier
	buffer_gl0_inv
	v_cmpx_gt_u32_e32 45, v0
	s_cbranch_execz .LBB61_1213
; %bb.1206:
	ds_read_b128 v[1:4], v130
	v_cmp_ne_u32_e32 vcc_lo, 1, v131
	s_cbranch_vccnz .LBB61_1208
; %bb.1207:
	s_clause 0x3
	buffer_load_dword v132, v129, s[0:3], 0 offen offset:8
	buffer_load_dword v133, v129, s[0:3], 0 offen offset:12
	buffer_load_dword v136, v129, s[0:3], 0 offen
	buffer_load_dword v137, v129, s[0:3], 0 offen offset:4
	s_waitcnt vmcnt(2) lgkmcnt(0)
	v_mul_f64 v[138:139], v[3:4], v[132:133]
	v_mul_f64 v[132:133], v[1:2], v[132:133]
	s_waitcnt vmcnt(0)
	v_fma_f64 v[1:2], v[1:2], v[136:137], -v[138:139]
	v_fma_f64 v[3:4], v[3:4], v[136:137], v[132:133]
.LBB61_1208:
	s_mov_b32 s5, exec_lo
	v_cmpx_ne_u32_e32 44, v0
	s_cbranch_execz .LBB61_1212
; %bb.1209:
	v_add_nc_u32_e32 v132, 0x3f0, v135
	v_add3_u32 v133, 0, v135, 16
	v_mov_b32_e32 v134, v0
	s_mov_b32 s6, 0
	.p2align	6
.LBB61_1210:                            ; =>This Inner Loop Header: Depth=1
	s_clause 0x3
	buffer_load_dword v140, v133, s[0:3], 0 offen offset:8
	buffer_load_dword v141, v133, s[0:3], 0 offen offset:12
	buffer_load_dword v142, v133, s[0:3], 0 offen
	buffer_load_dword v143, v133, s[0:3], 0 offen offset:4
	ds_read_b128 v[136:139], v132
	v_add_nc_u32_e32 v134, 1, v134
	v_add_nc_u32_e32 v132, 16, v132
	;; [unrolled: 1-line block ×3, first 2 shown]
	v_cmp_lt_u32_e32 vcc_lo, 43, v134
	s_or_b32 s6, vcc_lo, s6
	s_waitcnt vmcnt(2) lgkmcnt(0)
	v_mul_f64 v[144:145], v[138:139], v[140:141]
	v_mul_f64 v[140:141], v[136:137], v[140:141]
	s_waitcnt vmcnt(0)
	v_fma_f64 v[136:137], v[136:137], v[142:143], -v[144:145]
	v_fma_f64 v[138:139], v[138:139], v[142:143], v[140:141]
	v_add_f64 v[1:2], v[1:2], v[136:137]
	v_add_f64 v[3:4], v[3:4], v[138:139]
	s_andn2_b32 exec_lo, exec_lo, s6
	s_cbranch_execnz .LBB61_1210
; %bb.1211:
	s_or_b32 exec_lo, exec_lo, s6
.LBB61_1212:
	s_or_b32 exec_lo, exec_lo, s5
	v_mov_b32_e32 v132, 0
	ds_read_b128 v[136:139], v132 offset:720
	s_waitcnt lgkmcnt(0)
	v_mul_f64 v[132:133], v[3:4], v[138:139]
	v_mul_f64 v[138:139], v[1:2], v[138:139]
	v_fma_f64 v[1:2], v[1:2], v[136:137], -v[132:133]
	v_fma_f64 v[3:4], v[3:4], v[136:137], v[138:139]
	buffer_store_dword v2, off, s[0:3], 0 offset:724
	buffer_store_dword v1, off, s[0:3], 0 offset:720
	;; [unrolled: 1-line block ×4, first 2 shown]
.LBB61_1213:
	s_or_b32 exec_lo, exec_lo, s4
	v_mov_b32_e32 v4, s24
	s_mov_b32 s4, exec_lo
	s_clause 0x3
	buffer_load_dword v1, v4, s[0:3], 0 offen
	buffer_load_dword v2, v4, s[0:3], 0 offen offset:4
	buffer_load_dword v3, v4, s[0:3], 0 offen offset:8
	;; [unrolled: 1-line block ×3, first 2 shown]
	s_waitcnt vmcnt(0)
	ds_write_b128 v130, v[1:4]
	s_waitcnt lgkmcnt(0)
	s_waitcnt_vscnt null, 0x0
	s_barrier
	buffer_gl0_inv
	v_cmpx_gt_u32_e32 46, v0
	s_cbranch_execz .LBB61_1221
; %bb.1214:
	ds_read_b128 v[1:4], v130
	v_cmp_ne_u32_e32 vcc_lo, 1, v131
	s_cbranch_vccnz .LBB61_1216
; %bb.1215:
	s_clause 0x3
	buffer_load_dword v132, v129, s[0:3], 0 offen offset:8
	buffer_load_dword v133, v129, s[0:3], 0 offen offset:12
	buffer_load_dword v136, v129, s[0:3], 0 offen
	buffer_load_dword v137, v129, s[0:3], 0 offen offset:4
	s_waitcnt vmcnt(2) lgkmcnt(0)
	v_mul_f64 v[138:139], v[3:4], v[132:133]
	v_mul_f64 v[132:133], v[1:2], v[132:133]
	s_waitcnt vmcnt(0)
	v_fma_f64 v[1:2], v[1:2], v[136:137], -v[138:139]
	v_fma_f64 v[3:4], v[3:4], v[136:137], v[132:133]
.LBB61_1216:
	s_mov_b32 s5, exec_lo
	v_cmpx_ne_u32_e32 45, v0
	s_cbranch_execz .LBB61_1220
; %bb.1217:
	v_add_nc_u32_e32 v132, 0x3f0, v135
	v_add3_u32 v133, 0, v135, 16
	v_mov_b32_e32 v134, v0
	s_mov_b32 s6, 0
	.p2align	6
.LBB61_1218:                            ; =>This Inner Loop Header: Depth=1
	s_clause 0x3
	buffer_load_dword v140, v133, s[0:3], 0 offen offset:8
	buffer_load_dword v141, v133, s[0:3], 0 offen offset:12
	buffer_load_dword v142, v133, s[0:3], 0 offen
	buffer_load_dword v143, v133, s[0:3], 0 offen offset:4
	ds_read_b128 v[136:139], v132
	v_add_nc_u32_e32 v134, 1, v134
	v_add_nc_u32_e32 v132, 16, v132
	;; [unrolled: 1-line block ×3, first 2 shown]
	v_cmp_lt_u32_e32 vcc_lo, 44, v134
	s_or_b32 s6, vcc_lo, s6
	s_waitcnt vmcnt(2) lgkmcnt(0)
	v_mul_f64 v[144:145], v[138:139], v[140:141]
	v_mul_f64 v[140:141], v[136:137], v[140:141]
	s_waitcnt vmcnt(0)
	v_fma_f64 v[136:137], v[136:137], v[142:143], -v[144:145]
	v_fma_f64 v[138:139], v[138:139], v[142:143], v[140:141]
	v_add_f64 v[1:2], v[1:2], v[136:137]
	v_add_f64 v[3:4], v[3:4], v[138:139]
	s_andn2_b32 exec_lo, exec_lo, s6
	s_cbranch_execnz .LBB61_1218
; %bb.1219:
	s_or_b32 exec_lo, exec_lo, s6
.LBB61_1220:
	s_or_b32 exec_lo, exec_lo, s5
	v_mov_b32_e32 v132, 0
	ds_read_b128 v[136:139], v132 offset:736
	s_waitcnt lgkmcnt(0)
	v_mul_f64 v[132:133], v[3:4], v[138:139]
	v_mul_f64 v[138:139], v[1:2], v[138:139]
	v_fma_f64 v[1:2], v[1:2], v[136:137], -v[132:133]
	v_fma_f64 v[3:4], v[3:4], v[136:137], v[138:139]
	buffer_store_dword v2, off, s[0:3], 0 offset:740
	buffer_store_dword v1, off, s[0:3], 0 offset:736
	buffer_store_dword v4, off, s[0:3], 0 offset:748
	buffer_store_dword v3, off, s[0:3], 0 offset:744
.LBB61_1221:
	s_or_b32 exec_lo, exec_lo, s4
	v_mov_b32_e32 v4, s23
	s_mov_b32 s4, exec_lo
	s_clause 0x3
	buffer_load_dword v1, v4, s[0:3], 0 offen
	buffer_load_dword v2, v4, s[0:3], 0 offen offset:4
	buffer_load_dword v3, v4, s[0:3], 0 offen offset:8
	;; [unrolled: 1-line block ×3, first 2 shown]
	s_waitcnt vmcnt(0)
	ds_write_b128 v130, v[1:4]
	s_waitcnt lgkmcnt(0)
	s_waitcnt_vscnt null, 0x0
	s_barrier
	buffer_gl0_inv
	v_cmpx_gt_u32_e32 47, v0
	s_cbranch_execz .LBB61_1229
; %bb.1222:
	ds_read_b128 v[1:4], v130
	v_cmp_ne_u32_e32 vcc_lo, 1, v131
	s_cbranch_vccnz .LBB61_1224
; %bb.1223:
	s_clause 0x3
	buffer_load_dword v132, v129, s[0:3], 0 offen offset:8
	buffer_load_dword v133, v129, s[0:3], 0 offen offset:12
	buffer_load_dword v136, v129, s[0:3], 0 offen
	buffer_load_dword v137, v129, s[0:3], 0 offen offset:4
	s_waitcnt vmcnt(2) lgkmcnt(0)
	v_mul_f64 v[138:139], v[3:4], v[132:133]
	v_mul_f64 v[132:133], v[1:2], v[132:133]
	s_waitcnt vmcnt(0)
	v_fma_f64 v[1:2], v[1:2], v[136:137], -v[138:139]
	v_fma_f64 v[3:4], v[3:4], v[136:137], v[132:133]
.LBB61_1224:
	s_mov_b32 s5, exec_lo
	v_cmpx_ne_u32_e32 46, v0
	s_cbranch_execz .LBB61_1228
; %bb.1225:
	v_add_nc_u32_e32 v132, 0x3f0, v135
	v_add3_u32 v133, 0, v135, 16
	v_mov_b32_e32 v134, v0
	s_mov_b32 s6, 0
	.p2align	6
.LBB61_1226:                            ; =>This Inner Loop Header: Depth=1
	s_clause 0x3
	buffer_load_dword v140, v133, s[0:3], 0 offen offset:8
	buffer_load_dword v141, v133, s[0:3], 0 offen offset:12
	buffer_load_dword v142, v133, s[0:3], 0 offen
	buffer_load_dword v143, v133, s[0:3], 0 offen offset:4
	ds_read_b128 v[136:139], v132
	v_add_nc_u32_e32 v134, 1, v134
	v_add_nc_u32_e32 v132, 16, v132
	;; [unrolled: 1-line block ×3, first 2 shown]
	v_cmp_lt_u32_e32 vcc_lo, 45, v134
	s_or_b32 s6, vcc_lo, s6
	s_waitcnt vmcnt(2) lgkmcnt(0)
	v_mul_f64 v[144:145], v[138:139], v[140:141]
	v_mul_f64 v[140:141], v[136:137], v[140:141]
	s_waitcnt vmcnt(0)
	v_fma_f64 v[136:137], v[136:137], v[142:143], -v[144:145]
	v_fma_f64 v[138:139], v[138:139], v[142:143], v[140:141]
	v_add_f64 v[1:2], v[1:2], v[136:137]
	v_add_f64 v[3:4], v[3:4], v[138:139]
	s_andn2_b32 exec_lo, exec_lo, s6
	s_cbranch_execnz .LBB61_1226
; %bb.1227:
	s_or_b32 exec_lo, exec_lo, s6
.LBB61_1228:
	s_or_b32 exec_lo, exec_lo, s5
	v_mov_b32_e32 v132, 0
	ds_read_b128 v[136:139], v132 offset:752
	s_waitcnt lgkmcnt(0)
	v_mul_f64 v[132:133], v[3:4], v[138:139]
	v_mul_f64 v[138:139], v[1:2], v[138:139]
	v_fma_f64 v[1:2], v[1:2], v[136:137], -v[132:133]
	v_fma_f64 v[3:4], v[3:4], v[136:137], v[138:139]
	buffer_store_dword v2, off, s[0:3], 0 offset:756
	buffer_store_dword v1, off, s[0:3], 0 offset:752
	;; [unrolled: 1-line block ×4, first 2 shown]
.LBB61_1229:
	s_or_b32 exec_lo, exec_lo, s4
	v_mov_b32_e32 v4, s22
	s_mov_b32 s4, exec_lo
	s_clause 0x3
	buffer_load_dword v1, v4, s[0:3], 0 offen
	buffer_load_dword v2, v4, s[0:3], 0 offen offset:4
	buffer_load_dword v3, v4, s[0:3], 0 offen offset:8
	buffer_load_dword v4, v4, s[0:3], 0 offen offset:12
	s_waitcnt vmcnt(0)
	ds_write_b128 v130, v[1:4]
	s_waitcnt lgkmcnt(0)
	s_waitcnt_vscnt null, 0x0
	s_barrier
	buffer_gl0_inv
	v_cmpx_gt_u32_e32 48, v0
	s_cbranch_execz .LBB61_1237
; %bb.1230:
	ds_read_b128 v[1:4], v130
	v_cmp_ne_u32_e32 vcc_lo, 1, v131
	s_cbranch_vccnz .LBB61_1232
; %bb.1231:
	s_clause 0x3
	buffer_load_dword v132, v129, s[0:3], 0 offen offset:8
	buffer_load_dword v133, v129, s[0:3], 0 offen offset:12
	buffer_load_dword v136, v129, s[0:3], 0 offen
	buffer_load_dword v137, v129, s[0:3], 0 offen offset:4
	s_waitcnt vmcnt(2) lgkmcnt(0)
	v_mul_f64 v[138:139], v[3:4], v[132:133]
	v_mul_f64 v[132:133], v[1:2], v[132:133]
	s_waitcnt vmcnt(0)
	v_fma_f64 v[1:2], v[1:2], v[136:137], -v[138:139]
	v_fma_f64 v[3:4], v[3:4], v[136:137], v[132:133]
.LBB61_1232:
	s_mov_b32 s5, exec_lo
	v_cmpx_ne_u32_e32 47, v0
	s_cbranch_execz .LBB61_1236
; %bb.1233:
	v_add_nc_u32_e32 v132, 0x3f0, v135
	v_add3_u32 v133, 0, v135, 16
	v_mov_b32_e32 v134, v0
	s_mov_b32 s6, 0
	.p2align	6
.LBB61_1234:                            ; =>This Inner Loop Header: Depth=1
	s_clause 0x3
	buffer_load_dword v140, v133, s[0:3], 0 offen offset:8
	buffer_load_dword v141, v133, s[0:3], 0 offen offset:12
	buffer_load_dword v142, v133, s[0:3], 0 offen
	buffer_load_dword v143, v133, s[0:3], 0 offen offset:4
	ds_read_b128 v[136:139], v132
	v_add_nc_u32_e32 v134, 1, v134
	v_add_nc_u32_e32 v132, 16, v132
	;; [unrolled: 1-line block ×3, first 2 shown]
	v_cmp_lt_u32_e32 vcc_lo, 46, v134
	s_or_b32 s6, vcc_lo, s6
	s_waitcnt vmcnt(2) lgkmcnt(0)
	v_mul_f64 v[144:145], v[138:139], v[140:141]
	v_mul_f64 v[140:141], v[136:137], v[140:141]
	s_waitcnt vmcnt(0)
	v_fma_f64 v[136:137], v[136:137], v[142:143], -v[144:145]
	v_fma_f64 v[138:139], v[138:139], v[142:143], v[140:141]
	v_add_f64 v[1:2], v[1:2], v[136:137]
	v_add_f64 v[3:4], v[3:4], v[138:139]
	s_andn2_b32 exec_lo, exec_lo, s6
	s_cbranch_execnz .LBB61_1234
; %bb.1235:
	s_or_b32 exec_lo, exec_lo, s6
.LBB61_1236:
	s_or_b32 exec_lo, exec_lo, s5
	v_mov_b32_e32 v132, 0
	ds_read_b128 v[136:139], v132 offset:768
	s_waitcnt lgkmcnt(0)
	v_mul_f64 v[132:133], v[3:4], v[138:139]
	v_mul_f64 v[138:139], v[1:2], v[138:139]
	v_fma_f64 v[1:2], v[1:2], v[136:137], -v[132:133]
	v_fma_f64 v[3:4], v[3:4], v[136:137], v[138:139]
	buffer_store_dword v2, off, s[0:3], 0 offset:772
	buffer_store_dword v1, off, s[0:3], 0 offset:768
	;; [unrolled: 1-line block ×4, first 2 shown]
.LBB61_1237:
	s_or_b32 exec_lo, exec_lo, s4
	v_mov_b32_e32 v4, s21
	s_mov_b32 s4, exec_lo
	s_clause 0x3
	buffer_load_dword v1, v4, s[0:3], 0 offen
	buffer_load_dword v2, v4, s[0:3], 0 offen offset:4
	buffer_load_dword v3, v4, s[0:3], 0 offen offset:8
	;; [unrolled: 1-line block ×3, first 2 shown]
	s_waitcnt vmcnt(0)
	ds_write_b128 v130, v[1:4]
	s_waitcnt lgkmcnt(0)
	s_waitcnt_vscnt null, 0x0
	s_barrier
	buffer_gl0_inv
	v_cmpx_gt_u32_e32 49, v0
	s_cbranch_execz .LBB61_1245
; %bb.1238:
	ds_read_b128 v[1:4], v130
	v_cmp_ne_u32_e32 vcc_lo, 1, v131
	s_cbranch_vccnz .LBB61_1240
; %bb.1239:
	s_clause 0x3
	buffer_load_dword v132, v129, s[0:3], 0 offen offset:8
	buffer_load_dword v133, v129, s[0:3], 0 offen offset:12
	buffer_load_dword v136, v129, s[0:3], 0 offen
	buffer_load_dword v137, v129, s[0:3], 0 offen offset:4
	s_waitcnt vmcnt(2) lgkmcnt(0)
	v_mul_f64 v[138:139], v[3:4], v[132:133]
	v_mul_f64 v[132:133], v[1:2], v[132:133]
	s_waitcnt vmcnt(0)
	v_fma_f64 v[1:2], v[1:2], v[136:137], -v[138:139]
	v_fma_f64 v[3:4], v[3:4], v[136:137], v[132:133]
.LBB61_1240:
	s_mov_b32 s5, exec_lo
	v_cmpx_ne_u32_e32 48, v0
	s_cbranch_execz .LBB61_1244
; %bb.1241:
	v_add_nc_u32_e32 v132, 0x3f0, v135
	v_add3_u32 v133, 0, v135, 16
	v_mov_b32_e32 v134, v0
	s_mov_b32 s6, 0
	.p2align	6
.LBB61_1242:                            ; =>This Inner Loop Header: Depth=1
	s_clause 0x3
	buffer_load_dword v140, v133, s[0:3], 0 offen offset:8
	buffer_load_dword v141, v133, s[0:3], 0 offen offset:12
	buffer_load_dword v142, v133, s[0:3], 0 offen
	buffer_load_dword v143, v133, s[0:3], 0 offen offset:4
	ds_read_b128 v[136:139], v132
	v_add_nc_u32_e32 v134, 1, v134
	v_add_nc_u32_e32 v132, 16, v132
	;; [unrolled: 1-line block ×3, first 2 shown]
	v_cmp_lt_u32_e32 vcc_lo, 47, v134
	s_or_b32 s6, vcc_lo, s6
	s_waitcnt vmcnt(2) lgkmcnt(0)
	v_mul_f64 v[144:145], v[138:139], v[140:141]
	v_mul_f64 v[140:141], v[136:137], v[140:141]
	s_waitcnt vmcnt(0)
	v_fma_f64 v[136:137], v[136:137], v[142:143], -v[144:145]
	v_fma_f64 v[138:139], v[138:139], v[142:143], v[140:141]
	v_add_f64 v[1:2], v[1:2], v[136:137]
	v_add_f64 v[3:4], v[3:4], v[138:139]
	s_andn2_b32 exec_lo, exec_lo, s6
	s_cbranch_execnz .LBB61_1242
; %bb.1243:
	s_or_b32 exec_lo, exec_lo, s6
.LBB61_1244:
	s_or_b32 exec_lo, exec_lo, s5
	v_mov_b32_e32 v132, 0
	ds_read_b128 v[136:139], v132 offset:784
	s_waitcnt lgkmcnt(0)
	v_mul_f64 v[132:133], v[3:4], v[138:139]
	v_mul_f64 v[138:139], v[1:2], v[138:139]
	v_fma_f64 v[1:2], v[1:2], v[136:137], -v[132:133]
	v_fma_f64 v[3:4], v[3:4], v[136:137], v[138:139]
	buffer_store_dword v2, off, s[0:3], 0 offset:788
	buffer_store_dword v1, off, s[0:3], 0 offset:784
	buffer_store_dword v4, off, s[0:3], 0 offset:796
	buffer_store_dword v3, off, s[0:3], 0 offset:792
.LBB61_1245:
	s_or_b32 exec_lo, exec_lo, s4
	v_mov_b32_e32 v4, s20
	s_mov_b32 s4, exec_lo
	s_clause 0x3
	buffer_load_dword v1, v4, s[0:3], 0 offen
	buffer_load_dword v2, v4, s[0:3], 0 offen offset:4
	buffer_load_dword v3, v4, s[0:3], 0 offen offset:8
	;; [unrolled: 1-line block ×3, first 2 shown]
	s_waitcnt vmcnt(0)
	ds_write_b128 v130, v[1:4]
	s_waitcnt lgkmcnt(0)
	s_waitcnt_vscnt null, 0x0
	s_barrier
	buffer_gl0_inv
	v_cmpx_gt_u32_e32 50, v0
	s_cbranch_execz .LBB61_1253
; %bb.1246:
	ds_read_b128 v[1:4], v130
	v_cmp_ne_u32_e32 vcc_lo, 1, v131
	s_cbranch_vccnz .LBB61_1248
; %bb.1247:
	s_clause 0x3
	buffer_load_dword v132, v129, s[0:3], 0 offen offset:8
	buffer_load_dword v133, v129, s[0:3], 0 offen offset:12
	buffer_load_dword v136, v129, s[0:3], 0 offen
	buffer_load_dword v137, v129, s[0:3], 0 offen offset:4
	s_waitcnt vmcnt(2) lgkmcnt(0)
	v_mul_f64 v[138:139], v[3:4], v[132:133]
	v_mul_f64 v[132:133], v[1:2], v[132:133]
	s_waitcnt vmcnt(0)
	v_fma_f64 v[1:2], v[1:2], v[136:137], -v[138:139]
	v_fma_f64 v[3:4], v[3:4], v[136:137], v[132:133]
.LBB61_1248:
	s_mov_b32 s5, exec_lo
	v_cmpx_ne_u32_e32 49, v0
	s_cbranch_execz .LBB61_1252
; %bb.1249:
	v_add_nc_u32_e32 v132, 0x3f0, v135
	v_add3_u32 v133, 0, v135, 16
	v_mov_b32_e32 v134, v0
	s_mov_b32 s6, 0
	.p2align	6
.LBB61_1250:                            ; =>This Inner Loop Header: Depth=1
	s_clause 0x3
	buffer_load_dword v140, v133, s[0:3], 0 offen offset:8
	buffer_load_dword v141, v133, s[0:3], 0 offen offset:12
	buffer_load_dword v142, v133, s[0:3], 0 offen
	buffer_load_dword v143, v133, s[0:3], 0 offen offset:4
	ds_read_b128 v[136:139], v132
	v_add_nc_u32_e32 v134, 1, v134
	v_add_nc_u32_e32 v132, 16, v132
	;; [unrolled: 1-line block ×3, first 2 shown]
	v_cmp_lt_u32_e32 vcc_lo, 48, v134
	s_or_b32 s6, vcc_lo, s6
	s_waitcnt vmcnt(2) lgkmcnt(0)
	v_mul_f64 v[144:145], v[138:139], v[140:141]
	v_mul_f64 v[140:141], v[136:137], v[140:141]
	s_waitcnt vmcnt(0)
	v_fma_f64 v[136:137], v[136:137], v[142:143], -v[144:145]
	v_fma_f64 v[138:139], v[138:139], v[142:143], v[140:141]
	v_add_f64 v[1:2], v[1:2], v[136:137]
	v_add_f64 v[3:4], v[3:4], v[138:139]
	s_andn2_b32 exec_lo, exec_lo, s6
	s_cbranch_execnz .LBB61_1250
; %bb.1251:
	s_or_b32 exec_lo, exec_lo, s6
.LBB61_1252:
	s_or_b32 exec_lo, exec_lo, s5
	v_mov_b32_e32 v132, 0
	ds_read_b128 v[136:139], v132 offset:800
	s_waitcnt lgkmcnt(0)
	v_mul_f64 v[132:133], v[3:4], v[138:139]
	v_mul_f64 v[138:139], v[1:2], v[138:139]
	v_fma_f64 v[1:2], v[1:2], v[136:137], -v[132:133]
	v_fma_f64 v[3:4], v[3:4], v[136:137], v[138:139]
	buffer_store_dword v2, off, s[0:3], 0 offset:804
	buffer_store_dword v1, off, s[0:3], 0 offset:800
	;; [unrolled: 1-line block ×4, first 2 shown]
.LBB61_1253:
	s_or_b32 exec_lo, exec_lo, s4
	v_mov_b32_e32 v4, s19
	s_mov_b32 s4, exec_lo
	s_clause 0x3
	buffer_load_dword v1, v4, s[0:3], 0 offen
	buffer_load_dword v2, v4, s[0:3], 0 offen offset:4
	buffer_load_dword v3, v4, s[0:3], 0 offen offset:8
	;; [unrolled: 1-line block ×3, first 2 shown]
	s_waitcnt vmcnt(0)
	ds_write_b128 v130, v[1:4]
	s_waitcnt lgkmcnt(0)
	s_waitcnt_vscnt null, 0x0
	s_barrier
	buffer_gl0_inv
	v_cmpx_gt_u32_e32 51, v0
	s_cbranch_execz .LBB61_1261
; %bb.1254:
	ds_read_b128 v[1:4], v130
	v_cmp_ne_u32_e32 vcc_lo, 1, v131
	s_cbranch_vccnz .LBB61_1256
; %bb.1255:
	s_clause 0x3
	buffer_load_dword v132, v129, s[0:3], 0 offen offset:8
	buffer_load_dword v133, v129, s[0:3], 0 offen offset:12
	buffer_load_dword v136, v129, s[0:3], 0 offen
	buffer_load_dword v137, v129, s[0:3], 0 offen offset:4
	s_waitcnt vmcnt(2) lgkmcnt(0)
	v_mul_f64 v[138:139], v[3:4], v[132:133]
	v_mul_f64 v[132:133], v[1:2], v[132:133]
	s_waitcnt vmcnt(0)
	v_fma_f64 v[1:2], v[1:2], v[136:137], -v[138:139]
	v_fma_f64 v[3:4], v[3:4], v[136:137], v[132:133]
.LBB61_1256:
	s_mov_b32 s5, exec_lo
	v_cmpx_ne_u32_e32 50, v0
	s_cbranch_execz .LBB61_1260
; %bb.1257:
	v_add_nc_u32_e32 v132, 0x3f0, v135
	v_add3_u32 v133, 0, v135, 16
	v_mov_b32_e32 v134, v0
	s_mov_b32 s6, 0
	.p2align	6
.LBB61_1258:                            ; =>This Inner Loop Header: Depth=1
	s_clause 0x3
	buffer_load_dword v140, v133, s[0:3], 0 offen offset:8
	buffer_load_dword v141, v133, s[0:3], 0 offen offset:12
	buffer_load_dword v142, v133, s[0:3], 0 offen
	buffer_load_dword v143, v133, s[0:3], 0 offen offset:4
	ds_read_b128 v[136:139], v132
	v_add_nc_u32_e32 v134, 1, v134
	v_add_nc_u32_e32 v132, 16, v132
	;; [unrolled: 1-line block ×3, first 2 shown]
	v_cmp_lt_u32_e32 vcc_lo, 49, v134
	s_or_b32 s6, vcc_lo, s6
	s_waitcnt vmcnt(2) lgkmcnt(0)
	v_mul_f64 v[144:145], v[138:139], v[140:141]
	v_mul_f64 v[140:141], v[136:137], v[140:141]
	s_waitcnt vmcnt(0)
	v_fma_f64 v[136:137], v[136:137], v[142:143], -v[144:145]
	v_fma_f64 v[138:139], v[138:139], v[142:143], v[140:141]
	v_add_f64 v[1:2], v[1:2], v[136:137]
	v_add_f64 v[3:4], v[3:4], v[138:139]
	s_andn2_b32 exec_lo, exec_lo, s6
	s_cbranch_execnz .LBB61_1258
; %bb.1259:
	s_or_b32 exec_lo, exec_lo, s6
.LBB61_1260:
	s_or_b32 exec_lo, exec_lo, s5
	v_mov_b32_e32 v132, 0
	ds_read_b128 v[136:139], v132 offset:816
	s_waitcnt lgkmcnt(0)
	v_mul_f64 v[132:133], v[3:4], v[138:139]
	v_mul_f64 v[138:139], v[1:2], v[138:139]
	v_fma_f64 v[1:2], v[1:2], v[136:137], -v[132:133]
	v_fma_f64 v[3:4], v[3:4], v[136:137], v[138:139]
	buffer_store_dword v2, off, s[0:3], 0 offset:820
	buffer_store_dword v1, off, s[0:3], 0 offset:816
	;; [unrolled: 1-line block ×4, first 2 shown]
.LBB61_1261:
	s_or_b32 exec_lo, exec_lo, s4
	v_mov_b32_e32 v4, s18
	s_mov_b32 s4, exec_lo
	s_clause 0x3
	buffer_load_dword v1, v4, s[0:3], 0 offen
	buffer_load_dword v2, v4, s[0:3], 0 offen offset:4
	buffer_load_dword v3, v4, s[0:3], 0 offen offset:8
	;; [unrolled: 1-line block ×3, first 2 shown]
	s_waitcnt vmcnt(0)
	ds_write_b128 v130, v[1:4]
	s_waitcnt lgkmcnt(0)
	s_waitcnt_vscnt null, 0x0
	s_barrier
	buffer_gl0_inv
	v_cmpx_gt_u32_e32 52, v0
	s_cbranch_execz .LBB61_1269
; %bb.1262:
	ds_read_b128 v[1:4], v130
	v_cmp_ne_u32_e32 vcc_lo, 1, v131
	s_cbranch_vccnz .LBB61_1264
; %bb.1263:
	s_clause 0x3
	buffer_load_dword v132, v129, s[0:3], 0 offen offset:8
	buffer_load_dword v133, v129, s[0:3], 0 offen offset:12
	buffer_load_dword v136, v129, s[0:3], 0 offen
	buffer_load_dword v137, v129, s[0:3], 0 offen offset:4
	s_waitcnt vmcnt(2) lgkmcnt(0)
	v_mul_f64 v[138:139], v[3:4], v[132:133]
	v_mul_f64 v[132:133], v[1:2], v[132:133]
	s_waitcnt vmcnt(0)
	v_fma_f64 v[1:2], v[1:2], v[136:137], -v[138:139]
	v_fma_f64 v[3:4], v[3:4], v[136:137], v[132:133]
.LBB61_1264:
	s_mov_b32 s5, exec_lo
	v_cmpx_ne_u32_e32 51, v0
	s_cbranch_execz .LBB61_1268
; %bb.1265:
	v_add_nc_u32_e32 v132, 0x3f0, v135
	v_add3_u32 v133, 0, v135, 16
	v_mov_b32_e32 v134, v0
	s_mov_b32 s6, 0
	.p2align	6
.LBB61_1266:                            ; =>This Inner Loop Header: Depth=1
	s_clause 0x3
	buffer_load_dword v140, v133, s[0:3], 0 offen offset:8
	buffer_load_dword v141, v133, s[0:3], 0 offen offset:12
	buffer_load_dword v142, v133, s[0:3], 0 offen
	buffer_load_dword v143, v133, s[0:3], 0 offen offset:4
	ds_read_b128 v[136:139], v132
	v_add_nc_u32_e32 v134, 1, v134
	v_add_nc_u32_e32 v132, 16, v132
	;; [unrolled: 1-line block ×3, first 2 shown]
	v_cmp_lt_u32_e32 vcc_lo, 50, v134
	s_or_b32 s6, vcc_lo, s6
	s_waitcnt vmcnt(2) lgkmcnt(0)
	v_mul_f64 v[144:145], v[138:139], v[140:141]
	v_mul_f64 v[140:141], v[136:137], v[140:141]
	s_waitcnt vmcnt(0)
	v_fma_f64 v[136:137], v[136:137], v[142:143], -v[144:145]
	v_fma_f64 v[138:139], v[138:139], v[142:143], v[140:141]
	v_add_f64 v[1:2], v[1:2], v[136:137]
	v_add_f64 v[3:4], v[3:4], v[138:139]
	s_andn2_b32 exec_lo, exec_lo, s6
	s_cbranch_execnz .LBB61_1266
; %bb.1267:
	s_or_b32 exec_lo, exec_lo, s6
.LBB61_1268:
	s_or_b32 exec_lo, exec_lo, s5
	v_mov_b32_e32 v132, 0
	ds_read_b128 v[136:139], v132 offset:832
	s_waitcnt lgkmcnt(0)
	v_mul_f64 v[132:133], v[3:4], v[138:139]
	v_mul_f64 v[138:139], v[1:2], v[138:139]
	v_fma_f64 v[1:2], v[1:2], v[136:137], -v[132:133]
	v_fma_f64 v[3:4], v[3:4], v[136:137], v[138:139]
	buffer_store_dword v2, off, s[0:3], 0 offset:836
	buffer_store_dword v1, off, s[0:3], 0 offset:832
	;; [unrolled: 1-line block ×4, first 2 shown]
.LBB61_1269:
	s_or_b32 exec_lo, exec_lo, s4
	v_mov_b32_e32 v4, s17
	s_mov_b32 s4, exec_lo
	s_clause 0x3
	buffer_load_dword v1, v4, s[0:3], 0 offen
	buffer_load_dword v2, v4, s[0:3], 0 offen offset:4
	buffer_load_dword v3, v4, s[0:3], 0 offen offset:8
	;; [unrolled: 1-line block ×3, first 2 shown]
	s_waitcnt vmcnt(0)
	ds_write_b128 v130, v[1:4]
	s_waitcnt lgkmcnt(0)
	s_waitcnt_vscnt null, 0x0
	s_barrier
	buffer_gl0_inv
	v_cmpx_gt_u32_e32 53, v0
	s_cbranch_execz .LBB61_1277
; %bb.1270:
	ds_read_b128 v[1:4], v130
	v_cmp_ne_u32_e32 vcc_lo, 1, v131
	s_cbranch_vccnz .LBB61_1272
; %bb.1271:
	s_clause 0x3
	buffer_load_dword v132, v129, s[0:3], 0 offen offset:8
	buffer_load_dword v133, v129, s[0:3], 0 offen offset:12
	buffer_load_dword v136, v129, s[0:3], 0 offen
	buffer_load_dword v137, v129, s[0:3], 0 offen offset:4
	s_waitcnt vmcnt(2) lgkmcnt(0)
	v_mul_f64 v[138:139], v[3:4], v[132:133]
	v_mul_f64 v[132:133], v[1:2], v[132:133]
	s_waitcnt vmcnt(0)
	v_fma_f64 v[1:2], v[1:2], v[136:137], -v[138:139]
	v_fma_f64 v[3:4], v[3:4], v[136:137], v[132:133]
.LBB61_1272:
	s_mov_b32 s5, exec_lo
	v_cmpx_ne_u32_e32 52, v0
	s_cbranch_execz .LBB61_1276
; %bb.1273:
	v_add_nc_u32_e32 v132, 0x3f0, v135
	v_add3_u32 v133, 0, v135, 16
	v_mov_b32_e32 v134, v0
	s_mov_b32 s6, 0
	.p2align	6
.LBB61_1274:                            ; =>This Inner Loop Header: Depth=1
	s_clause 0x3
	buffer_load_dword v140, v133, s[0:3], 0 offen offset:8
	buffer_load_dword v141, v133, s[0:3], 0 offen offset:12
	buffer_load_dword v142, v133, s[0:3], 0 offen
	buffer_load_dword v143, v133, s[0:3], 0 offen offset:4
	ds_read_b128 v[136:139], v132
	v_add_nc_u32_e32 v134, 1, v134
	v_add_nc_u32_e32 v132, 16, v132
	;; [unrolled: 1-line block ×3, first 2 shown]
	v_cmp_lt_u32_e32 vcc_lo, 51, v134
	s_or_b32 s6, vcc_lo, s6
	s_waitcnt vmcnt(2) lgkmcnt(0)
	v_mul_f64 v[144:145], v[138:139], v[140:141]
	v_mul_f64 v[140:141], v[136:137], v[140:141]
	s_waitcnt vmcnt(0)
	v_fma_f64 v[136:137], v[136:137], v[142:143], -v[144:145]
	v_fma_f64 v[138:139], v[138:139], v[142:143], v[140:141]
	v_add_f64 v[1:2], v[1:2], v[136:137]
	v_add_f64 v[3:4], v[3:4], v[138:139]
	s_andn2_b32 exec_lo, exec_lo, s6
	s_cbranch_execnz .LBB61_1274
; %bb.1275:
	s_or_b32 exec_lo, exec_lo, s6
.LBB61_1276:
	s_or_b32 exec_lo, exec_lo, s5
	v_mov_b32_e32 v132, 0
	ds_read_b128 v[136:139], v132 offset:848
	s_waitcnt lgkmcnt(0)
	v_mul_f64 v[132:133], v[3:4], v[138:139]
	v_mul_f64 v[138:139], v[1:2], v[138:139]
	v_fma_f64 v[1:2], v[1:2], v[136:137], -v[132:133]
	v_fma_f64 v[3:4], v[3:4], v[136:137], v[138:139]
	buffer_store_dword v2, off, s[0:3], 0 offset:852
	buffer_store_dword v1, off, s[0:3], 0 offset:848
	;; [unrolled: 1-line block ×4, first 2 shown]
.LBB61_1277:
	s_or_b32 exec_lo, exec_lo, s4
	v_mov_b32_e32 v4, s16
	s_mov_b32 s4, exec_lo
	s_clause 0x3
	buffer_load_dword v1, v4, s[0:3], 0 offen
	buffer_load_dword v2, v4, s[0:3], 0 offen offset:4
	buffer_load_dword v3, v4, s[0:3], 0 offen offset:8
	;; [unrolled: 1-line block ×3, first 2 shown]
	s_waitcnt vmcnt(0)
	ds_write_b128 v130, v[1:4]
	s_waitcnt lgkmcnt(0)
	s_waitcnt_vscnt null, 0x0
	s_barrier
	buffer_gl0_inv
	v_cmpx_gt_u32_e32 54, v0
	s_cbranch_execz .LBB61_1285
; %bb.1278:
	ds_read_b128 v[1:4], v130
	v_cmp_ne_u32_e32 vcc_lo, 1, v131
	s_cbranch_vccnz .LBB61_1280
; %bb.1279:
	s_clause 0x3
	buffer_load_dword v132, v129, s[0:3], 0 offen offset:8
	buffer_load_dword v133, v129, s[0:3], 0 offen offset:12
	buffer_load_dword v136, v129, s[0:3], 0 offen
	buffer_load_dword v137, v129, s[0:3], 0 offen offset:4
	s_waitcnt vmcnt(2) lgkmcnt(0)
	v_mul_f64 v[138:139], v[3:4], v[132:133]
	v_mul_f64 v[132:133], v[1:2], v[132:133]
	s_waitcnt vmcnt(0)
	v_fma_f64 v[1:2], v[1:2], v[136:137], -v[138:139]
	v_fma_f64 v[3:4], v[3:4], v[136:137], v[132:133]
.LBB61_1280:
	s_mov_b32 s5, exec_lo
	v_cmpx_ne_u32_e32 53, v0
	s_cbranch_execz .LBB61_1284
; %bb.1281:
	v_add_nc_u32_e32 v132, 0x3f0, v135
	v_add3_u32 v133, 0, v135, 16
	v_mov_b32_e32 v134, v0
	s_mov_b32 s6, 0
	.p2align	6
.LBB61_1282:                            ; =>This Inner Loop Header: Depth=1
	s_clause 0x3
	buffer_load_dword v140, v133, s[0:3], 0 offen offset:8
	buffer_load_dword v141, v133, s[0:3], 0 offen offset:12
	buffer_load_dword v142, v133, s[0:3], 0 offen
	buffer_load_dword v143, v133, s[0:3], 0 offen offset:4
	ds_read_b128 v[136:139], v132
	v_add_nc_u32_e32 v134, 1, v134
	v_add_nc_u32_e32 v132, 16, v132
	;; [unrolled: 1-line block ×3, first 2 shown]
	v_cmp_lt_u32_e32 vcc_lo, 52, v134
	s_or_b32 s6, vcc_lo, s6
	s_waitcnt vmcnt(2) lgkmcnt(0)
	v_mul_f64 v[144:145], v[138:139], v[140:141]
	v_mul_f64 v[140:141], v[136:137], v[140:141]
	s_waitcnt vmcnt(0)
	v_fma_f64 v[136:137], v[136:137], v[142:143], -v[144:145]
	v_fma_f64 v[138:139], v[138:139], v[142:143], v[140:141]
	v_add_f64 v[1:2], v[1:2], v[136:137]
	v_add_f64 v[3:4], v[3:4], v[138:139]
	s_andn2_b32 exec_lo, exec_lo, s6
	s_cbranch_execnz .LBB61_1282
; %bb.1283:
	s_or_b32 exec_lo, exec_lo, s6
.LBB61_1284:
	s_or_b32 exec_lo, exec_lo, s5
	v_mov_b32_e32 v132, 0
	ds_read_b128 v[136:139], v132 offset:864
	s_waitcnt lgkmcnt(0)
	v_mul_f64 v[132:133], v[3:4], v[138:139]
	v_mul_f64 v[138:139], v[1:2], v[138:139]
	v_fma_f64 v[1:2], v[1:2], v[136:137], -v[132:133]
	v_fma_f64 v[3:4], v[3:4], v[136:137], v[138:139]
	buffer_store_dword v2, off, s[0:3], 0 offset:868
	buffer_store_dword v1, off, s[0:3], 0 offset:864
	;; [unrolled: 1-line block ×4, first 2 shown]
.LBB61_1285:
	s_or_b32 exec_lo, exec_lo, s4
	v_mov_b32_e32 v4, s15
	s_mov_b32 s4, exec_lo
	s_clause 0x3
	buffer_load_dword v1, v4, s[0:3], 0 offen
	buffer_load_dword v2, v4, s[0:3], 0 offen offset:4
	buffer_load_dword v3, v4, s[0:3], 0 offen offset:8
	;; [unrolled: 1-line block ×3, first 2 shown]
	s_waitcnt vmcnt(0)
	ds_write_b128 v130, v[1:4]
	s_waitcnt lgkmcnt(0)
	s_waitcnt_vscnt null, 0x0
	s_barrier
	buffer_gl0_inv
	v_cmpx_gt_u32_e32 55, v0
	s_cbranch_execz .LBB61_1293
; %bb.1286:
	ds_read_b128 v[1:4], v130
	v_cmp_ne_u32_e32 vcc_lo, 1, v131
	s_cbranch_vccnz .LBB61_1288
; %bb.1287:
	s_clause 0x3
	buffer_load_dword v132, v129, s[0:3], 0 offen offset:8
	buffer_load_dword v133, v129, s[0:3], 0 offen offset:12
	buffer_load_dword v136, v129, s[0:3], 0 offen
	buffer_load_dword v137, v129, s[0:3], 0 offen offset:4
	s_waitcnt vmcnt(2) lgkmcnt(0)
	v_mul_f64 v[138:139], v[3:4], v[132:133]
	v_mul_f64 v[132:133], v[1:2], v[132:133]
	s_waitcnt vmcnt(0)
	v_fma_f64 v[1:2], v[1:2], v[136:137], -v[138:139]
	v_fma_f64 v[3:4], v[3:4], v[136:137], v[132:133]
.LBB61_1288:
	s_mov_b32 s5, exec_lo
	v_cmpx_ne_u32_e32 54, v0
	s_cbranch_execz .LBB61_1292
; %bb.1289:
	v_add_nc_u32_e32 v132, 0x3f0, v135
	v_add3_u32 v133, 0, v135, 16
	v_mov_b32_e32 v134, v0
	s_mov_b32 s6, 0
	.p2align	6
.LBB61_1290:                            ; =>This Inner Loop Header: Depth=1
	s_clause 0x3
	buffer_load_dword v140, v133, s[0:3], 0 offen offset:8
	buffer_load_dword v141, v133, s[0:3], 0 offen offset:12
	buffer_load_dword v142, v133, s[0:3], 0 offen
	buffer_load_dword v143, v133, s[0:3], 0 offen offset:4
	ds_read_b128 v[136:139], v132
	v_add_nc_u32_e32 v134, 1, v134
	v_add_nc_u32_e32 v132, 16, v132
	;; [unrolled: 1-line block ×3, first 2 shown]
	v_cmp_lt_u32_e32 vcc_lo, 53, v134
	s_or_b32 s6, vcc_lo, s6
	s_waitcnt vmcnt(2) lgkmcnt(0)
	v_mul_f64 v[144:145], v[138:139], v[140:141]
	v_mul_f64 v[140:141], v[136:137], v[140:141]
	s_waitcnt vmcnt(0)
	v_fma_f64 v[136:137], v[136:137], v[142:143], -v[144:145]
	v_fma_f64 v[138:139], v[138:139], v[142:143], v[140:141]
	v_add_f64 v[1:2], v[1:2], v[136:137]
	v_add_f64 v[3:4], v[3:4], v[138:139]
	s_andn2_b32 exec_lo, exec_lo, s6
	s_cbranch_execnz .LBB61_1290
; %bb.1291:
	s_or_b32 exec_lo, exec_lo, s6
.LBB61_1292:
	s_or_b32 exec_lo, exec_lo, s5
	v_mov_b32_e32 v132, 0
	ds_read_b128 v[136:139], v132 offset:880
	s_waitcnt lgkmcnt(0)
	v_mul_f64 v[132:133], v[3:4], v[138:139]
	v_mul_f64 v[138:139], v[1:2], v[138:139]
	v_fma_f64 v[1:2], v[1:2], v[136:137], -v[132:133]
	v_fma_f64 v[3:4], v[3:4], v[136:137], v[138:139]
	buffer_store_dword v2, off, s[0:3], 0 offset:884
	buffer_store_dword v1, off, s[0:3], 0 offset:880
	;; [unrolled: 1-line block ×4, first 2 shown]
.LBB61_1293:
	s_or_b32 exec_lo, exec_lo, s4
	v_mov_b32_e32 v4, s14
	s_mov_b32 s4, exec_lo
	s_clause 0x3
	buffer_load_dword v1, v4, s[0:3], 0 offen
	buffer_load_dword v2, v4, s[0:3], 0 offen offset:4
	buffer_load_dword v3, v4, s[0:3], 0 offen offset:8
	;; [unrolled: 1-line block ×3, first 2 shown]
	s_waitcnt vmcnt(0)
	ds_write_b128 v130, v[1:4]
	s_waitcnt lgkmcnt(0)
	s_waitcnt_vscnt null, 0x0
	s_barrier
	buffer_gl0_inv
	v_cmpx_gt_u32_e32 56, v0
	s_cbranch_execz .LBB61_1301
; %bb.1294:
	ds_read_b128 v[1:4], v130
	v_cmp_ne_u32_e32 vcc_lo, 1, v131
	s_cbranch_vccnz .LBB61_1296
; %bb.1295:
	s_clause 0x3
	buffer_load_dword v132, v129, s[0:3], 0 offen offset:8
	buffer_load_dword v133, v129, s[0:3], 0 offen offset:12
	buffer_load_dword v136, v129, s[0:3], 0 offen
	buffer_load_dword v137, v129, s[0:3], 0 offen offset:4
	s_waitcnt vmcnt(2) lgkmcnt(0)
	v_mul_f64 v[138:139], v[3:4], v[132:133]
	v_mul_f64 v[132:133], v[1:2], v[132:133]
	s_waitcnt vmcnt(0)
	v_fma_f64 v[1:2], v[1:2], v[136:137], -v[138:139]
	v_fma_f64 v[3:4], v[3:4], v[136:137], v[132:133]
.LBB61_1296:
	s_mov_b32 s5, exec_lo
	v_cmpx_ne_u32_e32 55, v0
	s_cbranch_execz .LBB61_1300
; %bb.1297:
	v_add_nc_u32_e32 v132, 0x3f0, v135
	v_add3_u32 v133, 0, v135, 16
	v_mov_b32_e32 v134, v0
	s_mov_b32 s6, 0
	.p2align	6
.LBB61_1298:                            ; =>This Inner Loop Header: Depth=1
	s_clause 0x3
	buffer_load_dword v140, v133, s[0:3], 0 offen offset:8
	buffer_load_dword v141, v133, s[0:3], 0 offen offset:12
	buffer_load_dword v142, v133, s[0:3], 0 offen
	buffer_load_dword v143, v133, s[0:3], 0 offen offset:4
	ds_read_b128 v[136:139], v132
	v_add_nc_u32_e32 v134, 1, v134
	v_add_nc_u32_e32 v132, 16, v132
	;; [unrolled: 1-line block ×3, first 2 shown]
	v_cmp_lt_u32_e32 vcc_lo, 54, v134
	s_or_b32 s6, vcc_lo, s6
	s_waitcnt vmcnt(2) lgkmcnt(0)
	v_mul_f64 v[144:145], v[138:139], v[140:141]
	v_mul_f64 v[140:141], v[136:137], v[140:141]
	s_waitcnt vmcnt(0)
	v_fma_f64 v[136:137], v[136:137], v[142:143], -v[144:145]
	v_fma_f64 v[138:139], v[138:139], v[142:143], v[140:141]
	v_add_f64 v[1:2], v[1:2], v[136:137]
	v_add_f64 v[3:4], v[3:4], v[138:139]
	s_andn2_b32 exec_lo, exec_lo, s6
	s_cbranch_execnz .LBB61_1298
; %bb.1299:
	s_or_b32 exec_lo, exec_lo, s6
.LBB61_1300:
	s_or_b32 exec_lo, exec_lo, s5
	v_mov_b32_e32 v132, 0
	ds_read_b128 v[136:139], v132 offset:896
	s_waitcnt lgkmcnt(0)
	v_mul_f64 v[132:133], v[3:4], v[138:139]
	v_mul_f64 v[138:139], v[1:2], v[138:139]
	v_fma_f64 v[1:2], v[1:2], v[136:137], -v[132:133]
	v_fma_f64 v[3:4], v[3:4], v[136:137], v[138:139]
	buffer_store_dword v2, off, s[0:3], 0 offset:900
	buffer_store_dword v1, off, s[0:3], 0 offset:896
	;; [unrolled: 1-line block ×4, first 2 shown]
.LBB61_1301:
	s_or_b32 exec_lo, exec_lo, s4
	v_mov_b32_e32 v4, s13
	s_mov_b32 s4, exec_lo
	s_clause 0x3
	buffer_load_dword v1, v4, s[0:3], 0 offen
	buffer_load_dword v2, v4, s[0:3], 0 offen offset:4
	buffer_load_dword v3, v4, s[0:3], 0 offen offset:8
	;; [unrolled: 1-line block ×3, first 2 shown]
	s_waitcnt vmcnt(0)
	ds_write_b128 v130, v[1:4]
	s_waitcnt lgkmcnt(0)
	s_waitcnt_vscnt null, 0x0
	s_barrier
	buffer_gl0_inv
	v_cmpx_gt_u32_e32 57, v0
	s_cbranch_execz .LBB61_1309
; %bb.1302:
	ds_read_b128 v[1:4], v130
	v_cmp_ne_u32_e32 vcc_lo, 1, v131
	s_cbranch_vccnz .LBB61_1304
; %bb.1303:
	s_clause 0x3
	buffer_load_dword v132, v129, s[0:3], 0 offen offset:8
	buffer_load_dword v133, v129, s[0:3], 0 offen offset:12
	buffer_load_dword v136, v129, s[0:3], 0 offen
	buffer_load_dword v137, v129, s[0:3], 0 offen offset:4
	s_waitcnt vmcnt(2) lgkmcnt(0)
	v_mul_f64 v[138:139], v[3:4], v[132:133]
	v_mul_f64 v[132:133], v[1:2], v[132:133]
	s_waitcnt vmcnt(0)
	v_fma_f64 v[1:2], v[1:2], v[136:137], -v[138:139]
	v_fma_f64 v[3:4], v[3:4], v[136:137], v[132:133]
.LBB61_1304:
	s_mov_b32 s5, exec_lo
	v_cmpx_ne_u32_e32 56, v0
	s_cbranch_execz .LBB61_1308
; %bb.1305:
	v_add_nc_u32_e32 v132, 0x3f0, v135
	v_add3_u32 v133, 0, v135, 16
	v_mov_b32_e32 v134, v0
	s_mov_b32 s6, 0
	.p2align	6
.LBB61_1306:                            ; =>This Inner Loop Header: Depth=1
	s_clause 0x3
	buffer_load_dword v140, v133, s[0:3], 0 offen offset:8
	buffer_load_dword v141, v133, s[0:3], 0 offen offset:12
	buffer_load_dword v142, v133, s[0:3], 0 offen
	buffer_load_dword v143, v133, s[0:3], 0 offen offset:4
	ds_read_b128 v[136:139], v132
	v_add_nc_u32_e32 v134, 1, v134
	v_add_nc_u32_e32 v132, 16, v132
	;; [unrolled: 1-line block ×3, first 2 shown]
	v_cmp_lt_u32_e32 vcc_lo, 55, v134
	s_or_b32 s6, vcc_lo, s6
	s_waitcnt vmcnt(2) lgkmcnt(0)
	v_mul_f64 v[144:145], v[138:139], v[140:141]
	v_mul_f64 v[140:141], v[136:137], v[140:141]
	s_waitcnt vmcnt(0)
	v_fma_f64 v[136:137], v[136:137], v[142:143], -v[144:145]
	v_fma_f64 v[138:139], v[138:139], v[142:143], v[140:141]
	v_add_f64 v[1:2], v[1:2], v[136:137]
	v_add_f64 v[3:4], v[3:4], v[138:139]
	s_andn2_b32 exec_lo, exec_lo, s6
	s_cbranch_execnz .LBB61_1306
; %bb.1307:
	s_or_b32 exec_lo, exec_lo, s6
.LBB61_1308:
	s_or_b32 exec_lo, exec_lo, s5
	v_mov_b32_e32 v132, 0
	ds_read_b128 v[136:139], v132 offset:912
	s_waitcnt lgkmcnt(0)
	v_mul_f64 v[132:133], v[3:4], v[138:139]
	v_mul_f64 v[138:139], v[1:2], v[138:139]
	v_fma_f64 v[1:2], v[1:2], v[136:137], -v[132:133]
	v_fma_f64 v[3:4], v[3:4], v[136:137], v[138:139]
	buffer_store_dword v2, off, s[0:3], 0 offset:916
	buffer_store_dword v1, off, s[0:3], 0 offset:912
	;; [unrolled: 1-line block ×4, first 2 shown]
.LBB61_1309:
	s_or_b32 exec_lo, exec_lo, s4
	v_mov_b32_e32 v4, s12
	s_mov_b32 s4, exec_lo
	s_clause 0x3
	buffer_load_dword v1, v4, s[0:3], 0 offen
	buffer_load_dword v2, v4, s[0:3], 0 offen offset:4
	buffer_load_dword v3, v4, s[0:3], 0 offen offset:8
	buffer_load_dword v4, v4, s[0:3], 0 offen offset:12
	s_waitcnt vmcnt(0)
	ds_write_b128 v130, v[1:4]
	s_waitcnt lgkmcnt(0)
	s_waitcnt_vscnt null, 0x0
	s_barrier
	buffer_gl0_inv
	v_cmpx_gt_u32_e32 58, v0
	s_cbranch_execz .LBB61_1317
; %bb.1310:
	ds_read_b128 v[1:4], v130
	v_cmp_ne_u32_e32 vcc_lo, 1, v131
	s_cbranch_vccnz .LBB61_1312
; %bb.1311:
	s_clause 0x3
	buffer_load_dword v132, v129, s[0:3], 0 offen offset:8
	buffer_load_dword v133, v129, s[0:3], 0 offen offset:12
	buffer_load_dword v136, v129, s[0:3], 0 offen
	buffer_load_dword v137, v129, s[0:3], 0 offen offset:4
	s_waitcnt vmcnt(2) lgkmcnt(0)
	v_mul_f64 v[138:139], v[3:4], v[132:133]
	v_mul_f64 v[132:133], v[1:2], v[132:133]
	s_waitcnt vmcnt(0)
	v_fma_f64 v[1:2], v[1:2], v[136:137], -v[138:139]
	v_fma_f64 v[3:4], v[3:4], v[136:137], v[132:133]
.LBB61_1312:
	s_mov_b32 s5, exec_lo
	v_cmpx_ne_u32_e32 57, v0
	s_cbranch_execz .LBB61_1316
; %bb.1313:
	v_add_nc_u32_e32 v132, 0x3f0, v135
	v_add3_u32 v133, 0, v135, 16
	v_mov_b32_e32 v134, v0
	s_mov_b32 s6, 0
	.p2align	6
.LBB61_1314:                            ; =>This Inner Loop Header: Depth=1
	s_clause 0x3
	buffer_load_dword v140, v133, s[0:3], 0 offen offset:8
	buffer_load_dword v141, v133, s[0:3], 0 offen offset:12
	buffer_load_dword v142, v133, s[0:3], 0 offen
	buffer_load_dword v143, v133, s[0:3], 0 offen offset:4
	ds_read_b128 v[136:139], v132
	v_add_nc_u32_e32 v134, 1, v134
	v_add_nc_u32_e32 v132, 16, v132
	;; [unrolled: 1-line block ×3, first 2 shown]
	v_cmp_lt_u32_e32 vcc_lo, 56, v134
	s_or_b32 s6, vcc_lo, s6
	s_waitcnt vmcnt(2) lgkmcnt(0)
	v_mul_f64 v[144:145], v[138:139], v[140:141]
	v_mul_f64 v[140:141], v[136:137], v[140:141]
	s_waitcnt vmcnt(0)
	v_fma_f64 v[136:137], v[136:137], v[142:143], -v[144:145]
	v_fma_f64 v[138:139], v[138:139], v[142:143], v[140:141]
	v_add_f64 v[1:2], v[1:2], v[136:137]
	v_add_f64 v[3:4], v[3:4], v[138:139]
	s_andn2_b32 exec_lo, exec_lo, s6
	s_cbranch_execnz .LBB61_1314
; %bb.1315:
	s_or_b32 exec_lo, exec_lo, s6
.LBB61_1316:
	s_or_b32 exec_lo, exec_lo, s5
	v_mov_b32_e32 v132, 0
	ds_read_b128 v[136:139], v132 offset:928
	s_waitcnt lgkmcnt(0)
	v_mul_f64 v[132:133], v[3:4], v[138:139]
	v_mul_f64 v[138:139], v[1:2], v[138:139]
	v_fma_f64 v[1:2], v[1:2], v[136:137], -v[132:133]
	v_fma_f64 v[3:4], v[3:4], v[136:137], v[138:139]
	buffer_store_dword v2, off, s[0:3], 0 offset:932
	buffer_store_dword v1, off, s[0:3], 0 offset:928
	;; [unrolled: 1-line block ×4, first 2 shown]
.LBB61_1317:
	s_or_b32 exec_lo, exec_lo, s4
	v_mov_b32_e32 v4, s11
	s_mov_b32 s4, exec_lo
	s_clause 0x3
	buffer_load_dword v1, v4, s[0:3], 0 offen
	buffer_load_dword v2, v4, s[0:3], 0 offen offset:4
	buffer_load_dword v3, v4, s[0:3], 0 offen offset:8
	;; [unrolled: 1-line block ×3, first 2 shown]
	s_waitcnt vmcnt(0)
	ds_write_b128 v130, v[1:4]
	s_waitcnt lgkmcnt(0)
	s_waitcnt_vscnt null, 0x0
	s_barrier
	buffer_gl0_inv
	v_cmpx_gt_u32_e32 59, v0
	s_cbranch_execz .LBB61_1325
; %bb.1318:
	ds_read_b128 v[1:4], v130
	v_cmp_ne_u32_e32 vcc_lo, 1, v131
	s_cbranch_vccnz .LBB61_1320
; %bb.1319:
	s_clause 0x3
	buffer_load_dword v132, v129, s[0:3], 0 offen offset:8
	buffer_load_dword v133, v129, s[0:3], 0 offen offset:12
	buffer_load_dword v136, v129, s[0:3], 0 offen
	buffer_load_dword v137, v129, s[0:3], 0 offen offset:4
	s_waitcnt vmcnt(2) lgkmcnt(0)
	v_mul_f64 v[138:139], v[3:4], v[132:133]
	v_mul_f64 v[132:133], v[1:2], v[132:133]
	s_waitcnt vmcnt(0)
	v_fma_f64 v[1:2], v[1:2], v[136:137], -v[138:139]
	v_fma_f64 v[3:4], v[3:4], v[136:137], v[132:133]
.LBB61_1320:
	s_mov_b32 s5, exec_lo
	v_cmpx_ne_u32_e32 58, v0
	s_cbranch_execz .LBB61_1324
; %bb.1321:
	v_add_nc_u32_e32 v132, 0x3f0, v135
	v_add3_u32 v133, 0, v135, 16
	v_mov_b32_e32 v134, v0
	s_mov_b32 s6, 0
	.p2align	6
.LBB61_1322:                            ; =>This Inner Loop Header: Depth=1
	s_clause 0x3
	buffer_load_dword v140, v133, s[0:3], 0 offen offset:8
	buffer_load_dword v141, v133, s[0:3], 0 offen offset:12
	buffer_load_dword v142, v133, s[0:3], 0 offen
	buffer_load_dword v143, v133, s[0:3], 0 offen offset:4
	ds_read_b128 v[136:139], v132
	v_add_nc_u32_e32 v134, 1, v134
	v_add_nc_u32_e32 v132, 16, v132
	;; [unrolled: 1-line block ×3, first 2 shown]
	v_cmp_lt_u32_e32 vcc_lo, 57, v134
	s_or_b32 s6, vcc_lo, s6
	s_waitcnt vmcnt(2) lgkmcnt(0)
	v_mul_f64 v[144:145], v[138:139], v[140:141]
	v_mul_f64 v[140:141], v[136:137], v[140:141]
	s_waitcnt vmcnt(0)
	v_fma_f64 v[136:137], v[136:137], v[142:143], -v[144:145]
	v_fma_f64 v[138:139], v[138:139], v[142:143], v[140:141]
	v_add_f64 v[1:2], v[1:2], v[136:137]
	v_add_f64 v[3:4], v[3:4], v[138:139]
	s_andn2_b32 exec_lo, exec_lo, s6
	s_cbranch_execnz .LBB61_1322
; %bb.1323:
	s_or_b32 exec_lo, exec_lo, s6
.LBB61_1324:
	s_or_b32 exec_lo, exec_lo, s5
	v_mov_b32_e32 v132, 0
	ds_read_b128 v[136:139], v132 offset:944
	s_waitcnt lgkmcnt(0)
	v_mul_f64 v[132:133], v[3:4], v[138:139]
	v_mul_f64 v[138:139], v[1:2], v[138:139]
	v_fma_f64 v[1:2], v[1:2], v[136:137], -v[132:133]
	v_fma_f64 v[3:4], v[3:4], v[136:137], v[138:139]
	buffer_store_dword v2, off, s[0:3], 0 offset:948
	buffer_store_dword v1, off, s[0:3], 0 offset:944
	;; [unrolled: 1-line block ×4, first 2 shown]
.LBB61_1325:
	s_or_b32 exec_lo, exec_lo, s4
	v_mov_b32_e32 v4, s10
	v_cmp_gt_u32_e64 s4, 60, v0
	s_clause 0x3
	buffer_load_dword v1, v4, s[0:3], 0 offen
	buffer_load_dword v2, v4, s[0:3], 0 offen offset:4
	buffer_load_dword v3, v4, s[0:3], 0 offen offset:8
	;; [unrolled: 1-line block ×3, first 2 shown]
	s_waitcnt vmcnt(0)
	ds_write_b128 v130, v[1:4]
	s_waitcnt lgkmcnt(0)
	s_waitcnt_vscnt null, 0x0
	s_barrier
	buffer_gl0_inv
	s_and_saveexec_b32 s5, s4
	s_cbranch_execz .LBB61_1333
; %bb.1326:
	ds_read_b128 v[1:4], v130
	v_cmp_ne_u32_e32 vcc_lo, 1, v131
	s_cbranch_vccnz .LBB61_1328
; %bb.1327:
	s_clause 0x3
	buffer_load_dword v132, v129, s[0:3], 0 offen offset:8
	buffer_load_dword v133, v129, s[0:3], 0 offen offset:12
	buffer_load_dword v136, v129, s[0:3], 0 offen
	buffer_load_dword v137, v129, s[0:3], 0 offen offset:4
	s_waitcnt vmcnt(2) lgkmcnt(0)
	v_mul_f64 v[138:139], v[3:4], v[132:133]
	v_mul_f64 v[132:133], v[1:2], v[132:133]
	s_waitcnt vmcnt(0)
	v_fma_f64 v[1:2], v[1:2], v[136:137], -v[138:139]
	v_fma_f64 v[3:4], v[3:4], v[136:137], v[132:133]
.LBB61_1328:
	s_mov_b32 s6, exec_lo
	v_cmpx_ne_u32_e32 59, v0
	s_cbranch_execz .LBB61_1332
; %bb.1329:
	v_add_nc_u32_e32 v132, 0x3f0, v135
	v_add3_u32 v133, 0, v135, 16
	v_mov_b32_e32 v134, v0
	s_mov_b32 s7, 0
	.p2align	6
.LBB61_1330:                            ; =>This Inner Loop Header: Depth=1
	s_clause 0x3
	buffer_load_dword v140, v133, s[0:3], 0 offen offset:8
	buffer_load_dword v141, v133, s[0:3], 0 offen offset:12
	buffer_load_dword v142, v133, s[0:3], 0 offen
	buffer_load_dword v143, v133, s[0:3], 0 offen offset:4
	ds_read_b128 v[136:139], v132
	v_add_nc_u32_e32 v134, 1, v134
	v_add_nc_u32_e32 v132, 16, v132
	v_add_nc_u32_e32 v133, 16, v133
	v_cmp_lt_u32_e32 vcc_lo, 58, v134
	s_or_b32 s7, vcc_lo, s7
	s_waitcnt vmcnt(2) lgkmcnt(0)
	v_mul_f64 v[144:145], v[138:139], v[140:141]
	v_mul_f64 v[140:141], v[136:137], v[140:141]
	s_waitcnt vmcnt(0)
	v_fma_f64 v[136:137], v[136:137], v[142:143], -v[144:145]
	v_fma_f64 v[138:139], v[138:139], v[142:143], v[140:141]
	v_add_f64 v[1:2], v[1:2], v[136:137]
	v_add_f64 v[3:4], v[3:4], v[138:139]
	s_andn2_b32 exec_lo, exec_lo, s7
	s_cbranch_execnz .LBB61_1330
; %bb.1331:
	s_or_b32 exec_lo, exec_lo, s7
.LBB61_1332:
	s_or_b32 exec_lo, exec_lo, s6
	v_mov_b32_e32 v132, 0
	ds_read_b128 v[136:139], v132 offset:960
	s_waitcnt lgkmcnt(0)
	v_mul_f64 v[132:133], v[3:4], v[138:139]
	v_mul_f64 v[138:139], v[1:2], v[138:139]
	v_fma_f64 v[1:2], v[1:2], v[136:137], -v[132:133]
	v_fma_f64 v[3:4], v[3:4], v[136:137], v[138:139]
	buffer_store_dword v2, off, s[0:3], 0 offset:964
	buffer_store_dword v1, off, s[0:3], 0 offset:960
	;; [unrolled: 1-line block ×4, first 2 shown]
.LBB61_1333:
	s_or_b32 exec_lo, exec_lo, s5
	v_mov_b32_e32 v4, s9
	s_mov_b32 s5, exec_lo
                                        ; implicit-def: $sgpr71
	s_clause 0x3
	buffer_load_dword v1, v4, s[0:3], 0 offen
	buffer_load_dword v2, v4, s[0:3], 0 offen offset:4
	buffer_load_dword v3, v4, s[0:3], 0 offen offset:8
	;; [unrolled: 1-line block ×3, first 2 shown]
	s_waitcnt vmcnt(0)
	ds_write_b128 v130, v[1:4]
	s_waitcnt lgkmcnt(0)
	s_waitcnt_vscnt null, 0x0
	s_barrier
	buffer_gl0_inv
                                        ; implicit-def: $vgpr1_vgpr2
	v_cmpx_ne_u32_e32 61, v0
	s_cbranch_execz .LBB61_1341
; %bb.1334:
	ds_read_b128 v[1:4], v130
	v_cmp_ne_u32_e32 vcc_lo, 1, v131
	s_cbranch_vccnz .LBB61_1336
; %bb.1335:
	s_clause 0x3
	buffer_load_dword v130, v129, s[0:3], 0 offen offset:8
	buffer_load_dword v131, v129, s[0:3], 0 offen offset:12
	buffer_load_dword v132, v129, s[0:3], 0 offen
	buffer_load_dword v133, v129, s[0:3], 0 offen offset:4
	s_waitcnt vmcnt(2) lgkmcnt(0)
	v_mul_f64 v[136:137], v[3:4], v[130:131]
	v_mul_f64 v[129:130], v[1:2], v[130:131]
	s_waitcnt vmcnt(0)
	v_fma_f64 v[1:2], v[1:2], v[132:133], -v[136:137]
	v_fma_f64 v[3:4], v[3:4], v[132:133], v[129:130]
.LBB61_1336:
	s_and_saveexec_b32 s6, s4
	s_cbranch_execz .LBB61_1340
; %bb.1337:
	v_add_nc_u32_e32 v129, 0x3f0, v135
	v_add3_u32 v130, 0, v135, 16
	s_mov_b32 s4, 0
	.p2align	6
.LBB61_1338:                            ; =>This Inner Loop Header: Depth=1
	s_clause 0x3
	buffer_load_dword v135, v130, s[0:3], 0 offen offset:8
	buffer_load_dword v136, v130, s[0:3], 0 offen offset:12
	buffer_load_dword v137, v130, s[0:3], 0 offen
	buffer_load_dword v138, v130, s[0:3], 0 offen offset:4
	ds_read_b128 v[131:134], v129
	v_add_nc_u32_e32 v0, 1, v0
	v_add_nc_u32_e32 v129, 16, v129
	;; [unrolled: 1-line block ×3, first 2 shown]
	v_cmp_lt_u32_e32 vcc_lo, 59, v0
	s_or_b32 s4, vcc_lo, s4
	s_waitcnt vmcnt(2) lgkmcnt(0)
	v_mul_f64 v[139:140], v[133:134], v[135:136]
	v_mul_f64 v[135:136], v[131:132], v[135:136]
	s_waitcnt vmcnt(0)
	v_fma_f64 v[131:132], v[131:132], v[137:138], -v[139:140]
	v_fma_f64 v[133:134], v[133:134], v[137:138], v[135:136]
	v_add_f64 v[1:2], v[1:2], v[131:132]
	v_add_f64 v[3:4], v[3:4], v[133:134]
	s_andn2_b32 exec_lo, exec_lo, s4
	s_cbranch_execnz .LBB61_1338
; %bb.1339:
	s_or_b32 exec_lo, exec_lo, s4
.LBB61_1340:
	s_or_b32 exec_lo, exec_lo, s6
	v_mov_b32_e32 v0, 0
	s_movk_i32 s71, 0x3d8
	s_or_b32 s8, s8, exec_lo
	ds_read_b128 v[129:132], v0 offset:976
	s_waitcnt lgkmcnt(0)
	v_mul_f64 v[133:134], v[3:4], v[131:132]
	v_mul_f64 v[131:132], v[1:2], v[131:132]
	v_fma_f64 v[133:134], v[1:2], v[129:130], -v[133:134]
	v_fma_f64 v[1:2], v[3:4], v[129:130], v[131:132]
	buffer_store_dword v134, off, s[0:3], 0 offset:980
	buffer_store_dword v133, off, s[0:3], 0 offset:976
.LBB61_1341:
	s_or_b32 exec_lo, exec_lo, s5
.LBB61_1342:
	s_and_saveexec_b32 s4, s8
	s_cbranch_execz .LBB61_1344
; %bb.1343:
	v_mov_b32_e32 v0, s71
	buffer_store_dword v2, v0, s[0:3], 0 offen offset:4
	buffer_store_dword v1, v0, s[0:3], 0 offen
.LBB61_1344:
	s_or_b32 exec_lo, exec_lo, s4
	v_mov_b32_e32 v4, s70
	s_clause 0x3
	buffer_load_dword v0, off, s[0:3], 0
	buffer_load_dword v1, off, s[0:3], 0 offset:4
	buffer_load_dword v2, off, s[0:3], 0 offset:8
	;; [unrolled: 1-line block ×3, first 2 shown]
	v_mov_b32_e32 v172, s60
	v_mov_b32_e32 v180, s58
	;; [unrolled: 1-line block ×3, first 2 shown]
	s_clause 0x3
	buffer_load_dword v129, v4, s[0:3], 0 offen
	buffer_load_dword v130, v4, s[0:3], 0 offen offset:4
	buffer_load_dword v131, v4, s[0:3], 0 offen offset:8
	;; [unrolled: 1-line block ×3, first 2 shown]
	v_mov_b32_e32 v4, s69
	v_mov_b32_e32 v197, s30
	;; [unrolled: 1-line block ×4, first 2 shown]
	s_clause 0x3
	buffer_load_dword v133, v4, s[0:3], 0 offen
	buffer_load_dword v134, v4, s[0:3], 0 offen offset:4
	buffer_load_dword v135, v4, s[0:3], 0 offen offset:8
	;; [unrolled: 1-line block ×3, first 2 shown]
	v_mov_b32_e32 v4, s68
	v_mov_b32_e32 v198, s29
	;; [unrolled: 1-line block ×3, first 2 shown]
	s_clause 0x3
	buffer_load_dword v137, v4, s[0:3], 0 offen
	buffer_load_dword v138, v4, s[0:3], 0 offen offset:4
	buffer_load_dword v139, v4, s[0:3], 0 offen offset:8
	;; [unrolled: 1-line block ×3, first 2 shown]
	v_mov_b32_e32 v4, s67
	v_mov_b32_e32 v200, s25
	s_clause 0x3
	buffer_load_dword v141, v4, s[0:3], 0 offen
	buffer_load_dword v142, v4, s[0:3], 0 offen offset:4
	buffer_load_dword v143, v4, s[0:3], 0 offen offset:8
	buffer_load_dword v144, v4, s[0:3], 0 offen offset:12
	v_mov_b32_e32 v4, s66
	s_clause 0x3
	buffer_load_dword v145, v4, s[0:3], 0 offen
	buffer_load_dword v146, v4, s[0:3], 0 offen offset:4
	buffer_load_dword v147, v4, s[0:3], 0 offen offset:8
	buffer_load_dword v148, v4, s[0:3], 0 offen offset:12
	;; [unrolled: 6-line block ×8, first 2 shown]
	buffer_load_dword v173, v4, s[0:3], 0 offen
	buffer_load_dword v174, v4, s[0:3], 0 offen offset:4
	buffer_load_dword v175, v4, s[0:3], 0 offen offset:8
	buffer_load_dword v176, v4, s[0:3], 0 offen offset:12
	v_mov_b32_e32 v4, s57
	s_clause 0x7
	buffer_load_dword v177, v180, s[0:3], 0 offen
	buffer_load_dword v178, v180, s[0:3], 0 offen offset:4
	buffer_load_dword v179, v180, s[0:3], 0 offen offset:8
	;; [unrolled: 1-line block ×3, first 2 shown]
	buffer_load_dword v181, v4, s[0:3], 0 offen
	buffer_load_dword v182, v4, s[0:3], 0 offen offset:4
	buffer_load_dword v183, v4, s[0:3], 0 offen offset:8
	;; [unrolled: 1-line block ×3, first 2 shown]
	v_mov_b32_e32 v4, s55
	v_mov_b32_e32 v205, s18
	;; [unrolled: 1-line block ×12, first 2 shown]
	s_waitcnt vmcnt(56)
	global_store_dwordx4 v[91:92], v[0:3], off
	s_clause 0x7
	buffer_load_dword v0, v185, s[0:3], 0 offen
	buffer_load_dword v1, v185, s[0:3], 0 offen offset:4
	buffer_load_dword v2, v185, s[0:3], 0 offen offset:8
	;; [unrolled: 1-line block ×3, first 2 shown]
	buffer_load_dword v185, v4, s[0:3], 0 offen
	buffer_load_dword v186, v4, s[0:3], 0 offen offset:4
	buffer_load_dword v187, v4, s[0:3], 0 offen offset:8
	buffer_load_dword v188, v4, s[0:3], 0 offen offset:12
	v_mov_b32_e32 v4, s54
	v_mov_b32_e32 v91, s53
	s_waitcnt vmcnt(60)
	global_store_dwordx4 v[83:84], v[129:132], off
	s_clause 0x7
	buffer_load_dword v129, v4, s[0:3], 0 offen
	buffer_load_dword v130, v4, s[0:3], 0 offen offset:4
	buffer_load_dword v131, v4, s[0:3], 0 offen offset:8
	;; [unrolled: 1-line block ×3, first 2 shown]
	buffer_load_dword v189, v91, s[0:3], 0 offen
	buffer_load_dword v190, v91, s[0:3], 0 offen offset:4
	buffer_load_dword v191, v91, s[0:3], 0 offen offset:8
	;; [unrolled: 1-line block ×3, first 2 shown]
	v_mov_b32_e32 v4, s52
	v_mov_b32_e32 v91, s42
	s_waitcnt vmcnt(62)
	global_store_dwordx4 v[71:72], v[133:136], off
	s_clause 0x3
	buffer_load_dword v133, v4, s[0:3], 0 offen
	buffer_load_dword v134, v4, s[0:3], 0 offen offset:4
	buffer_load_dword v135, v4, s[0:3], 0 offen offset:8
	buffer_load_dword v136, v4, s[0:3], 0 offen offset:12
	v_mov_b32_e32 v4, s51
	v_mov_b32_e32 v71, s50
	s_waitcnt vmcnt(62)
	global_store_dwordx4 v[63:64], v[137:140], off
	s_clause 0x7
	buffer_load_dword v137, v4, s[0:3], 0 offen
	buffer_load_dword v138, v4, s[0:3], 0 offen offset:4
	buffer_load_dword v139, v4, s[0:3], 0 offen offset:8
	;; [unrolled: 1-line block ×3, first 2 shown]
	buffer_load_dword v193, v71, s[0:3], 0 offen
	buffer_load_dword v194, v71, s[0:3], 0 offen offset:4
	buffer_load_dword v195, v71, s[0:3], 0 offen offset:8
	;; [unrolled: 1-line block ×3, first 2 shown]
	v_mov_b32_e32 v4, s49
	v_mov_b32_e32 v71, s47
	s_waitcnt vmcnt(62)
	global_store_dwordx4 v[65:66], v[141:144], off
	s_clause 0x3
	buffer_load_dword v63, v4, s[0:3], 0 offen
	buffer_load_dword v64, v4, s[0:3], 0 offen offset:4
	buffer_load_dword v65, v4, s[0:3], 0 offen offset:8
	;; [unrolled: 1-line block ×3, first 2 shown]
	v_mov_b32_e32 v4, s48
	v_mov_b32_e32 v92, s31
	global_store_dwordx4 v[85:86], v[145:148], off
	s_clause 0x7
	buffer_load_dword v83, v4, s[0:3], 0 offen
	buffer_load_dword v84, v4, s[0:3], 0 offen offset:4
	buffer_load_dword v85, v4, s[0:3], 0 offen offset:8
	;; [unrolled: 1-line block ×3, first 2 shown]
	buffer_load_dword v141, v71, s[0:3], 0 offen
	buffer_load_dword v142, v71, s[0:3], 0 offen offset:4
	buffer_load_dword v143, v71, s[0:3], 0 offen offset:8
	;; [unrolled: 1-line block ×3, first 2 shown]
	v_mov_b32_e32 v4, s46
	v_mov_b32_e32 v71, s44
	s_waitcnt vmcnt(62)
	global_store_dwordx4 v[79:80], v[149:152], off
	s_clause 0x3
	buffer_load_dword v145, v4, s[0:3], 0 offen
	buffer_load_dword v146, v4, s[0:3], 0 offen offset:4
	buffer_load_dword v147, v4, s[0:3], 0 offen offset:8
	;; [unrolled: 1-line block ×3, first 2 shown]
	v_mov_b32_e32 v4, s45
	global_store_dwordx4 v[77:78], v[153:156], off
	s_clause 0x7
	buffer_load_dword v77, v4, s[0:3], 0 offen
	buffer_load_dword v78, v4, s[0:3], 0 offen offset:4
	buffer_load_dword v79, v4, s[0:3], 0 offen offset:8
	;; [unrolled: 1-line block ×3, first 2 shown]
	buffer_load_dword v149, v71, s[0:3], 0 offen
	buffer_load_dword v150, v71, s[0:3], 0 offen offset:4
	buffer_load_dword v151, v71, s[0:3], 0 offen offset:8
	;; [unrolled: 1-line block ×3, first 2 shown]
	v_mov_b32_e32 v4, s43
	global_store_dwordx4 v[69:70], v[157:160], off
	s_clause 0x3
	buffer_load_dword v69, v4, s[0:3], 0 offen
	buffer_load_dword v70, v4, s[0:3], 0 offen offset:4
	buffer_load_dword v71, v4, s[0:3], 0 offen offset:8
	;; [unrolled: 1-line block ×3, first 2 shown]
	v_mov_b32_e32 v4, s41
	s_waitcnt vmcnt(62)
	global_store_dwordx4 v[73:74], v[161:164], off
	s_clause 0x7
	buffer_load_dword v153, v91, s[0:3], 0 offen
	buffer_load_dword v154, v91, s[0:3], 0 offen offset:4
	buffer_load_dword v155, v91, s[0:3], 0 offen offset:8
	;; [unrolled: 1-line block ×3, first 2 shown]
	buffer_load_dword v157, v4, s[0:3], 0 offen
	buffer_load_dword v158, v4, s[0:3], 0 offen offset:4
	buffer_load_dword v159, v4, s[0:3], 0 offen offset:8
	;; [unrolled: 1-line block ×3, first 2 shown]
	v_mov_b32_e32 v4, s40
	v_mov_b32_e32 v73, s37
	;; [unrolled: 1-line block ×4, first 2 shown]
	global_store_dwordx4 v[67:68], v[165:168], off
	v_mov_b32_e32 v67, s39
	global_store_dwordx4 v[57:58], v[169:172], off
	v_mov_b32_e32 v58, s33
	v_mov_b32_e32 v68, s38
	;; [unrolled: 1-line block ×3, first 2 shown]
	global_store_dwordx4 v[47:48], v[173:176], off
	v_mov_b32_e32 v48, s26
	s_waitcnt vmcnt(62)
	global_store_dwordx4 v[39:40], v[177:180], off
	v_mov_b32_e32 v47, s27
	v_mov_b32_e32 v40, s20
	;; [unrolled: 1-line block ×3, first 2 shown]
	global_store_dwordx4 v[19:20], v[181:184], off
	s_waitcnt vmcnt(60)
	global_store_dwordx4 v[9:10], v[0:3], off
	s_clause 0x3
	buffer_load_dword v0, v4, s[0:3], 0 offen
	buffer_load_dword v1, v4, s[0:3], 0 offen offset:4
	buffer_load_dword v2, v4, s[0:3], 0 offen offset:8
	;; [unrolled: 1-line block ×3, first 2 shown]
	v_mov_b32_e32 v4, s9
	s_waitcnt vmcnt(60)
	global_store_dwordx4 v[7:8], v[185:188], off
	s_clause 0x7
	buffer_load_dword v7, v67, s[0:3], 0 offen
	buffer_load_dword v8, v67, s[0:3], 0 offen offset:4
	buffer_load_dword v9, v67, s[0:3], 0 offen offset:8
	buffer_load_dword v10, v67, s[0:3], 0 offen offset:12
	buffer_load_dword v161, v68, s[0:3], 0 offen
	buffer_load_dword v162, v68, s[0:3], 0 offen offset:4
	buffer_load_dword v163, v68, s[0:3], 0 offen offset:8
	buffer_load_dword v164, v68, s[0:3], 0 offen offset:12
	s_waitcnt vmcnt(62)
	global_store_dwordx4 v[11:12], v[129:132], off
	s_clause 0x7
	buffer_load_dword v129, v73, s[0:3], 0 offen
	buffer_load_dword v130, v73, s[0:3], 0 offen offset:4
	buffer_load_dword v131, v73, s[0:3], 0 offen offset:8
	buffer_load_dword v132, v73, s[0:3], 0 offen offset:12
	buffer_load_dword v165, v74, s[0:3], 0 offen
	buffer_load_dword v166, v74, s[0:3], 0 offen offset:4
	buffer_load_dword v167, v74, s[0:3], 0 offen offset:8
	buffer_load_dword v168, v74, s[0:3], 0 offen offset:12
	;; [unrolled: 11-line block ×3, first 2 shown]
	global_store_dwordx4 v[17:18], v[133:136], off
	s_clause 0x7
	buffer_load_dword v17, v58, s[0:3], 0 offen
	buffer_load_dword v18, v58, s[0:3], 0 offen offset:4
	buffer_load_dword v19, v58, s[0:3], 0 offen offset:8
	buffer_load_dword v20, v58, s[0:3], 0 offen offset:12
	buffer_load_dword v133, v92, s[0:3], 0 offen
	buffer_load_dword v134, v92, s[0:3], 0 offen offset:4
	buffer_load_dword v135, v92, s[0:3], 0 offen offset:8
	;; [unrolled: 1-line block ×3, first 2 shown]
	s_waitcnt vmcnt(62)
	global_store_dwordx4 v[15:16], v[137:140], off
	s_clause 0x7
	buffer_load_dword v137, v197, s[0:3], 0 offen
	buffer_load_dword v138, v197, s[0:3], 0 offen offset:4
	buffer_load_dword v139, v197, s[0:3], 0 offen offset:8
	buffer_load_dword v140, v197, s[0:3], 0 offen offset:12
	buffer_load_dword v173, v198, s[0:3], 0 offen
	buffer_load_dword v174, v198, s[0:3], 0 offen offset:4
	buffer_load_dword v175, v198, s[0:3], 0 offen offset:8
	buffer_load_dword v176, v198, s[0:3], 0 offen offset:12
	global_store_dwordx4 v[23:24], v[193:196], off
	s_clause 0x7
	buffer_load_dword v177, v199, s[0:3], 0 offen
	buffer_load_dword v178, v199, s[0:3], 0 offen offset:4
	buffer_load_dword v179, v199, s[0:3], 0 offen offset:8
	buffer_load_dword v180, v199, s[0:3], 0 offen offset:12
	buffer_load_dword v181, v47, s[0:3], 0 offen
	buffer_load_dword v182, v47, s[0:3], 0 offen offset:4
	buffer_load_dword v183, v47, s[0:3], 0 offen offset:8
	buffer_load_dword v184, v47, s[0:3], 0 offen offset:12
	global_store_dwordx4 v[21:22], v[63:66], off
	s_clause 0x7
	buffer_load_dword v21, v48, s[0:3], 0 offen
	buffer_load_dword v22, v48, s[0:3], 0 offen offset:4
	buffer_load_dword v23, v48, s[0:3], 0 offen offset:8
	buffer_load_dword v24, v48, s[0:3], 0 offen offset:12
	buffer_load_dword v63, v200, s[0:3], 0 offen
	buffer_load_dword v64, v200, s[0:3], 0 offen offset:4
	buffer_load_dword v65, v200, s[0:3], 0 offen offset:8
	buffer_load_dword v66, v200, s[0:3], 0 offen offset:12
	global_store_dwordx4 v[27:28], v[83:86], off
	s_clause 0x7
	buffer_load_dword v83, v201, s[0:3], 0 offen
	buffer_load_dword v84, v201, s[0:3], 0 offen offset:4
	buffer_load_dword v85, v201, s[0:3], 0 offen offset:8
	buffer_load_dword v86, v201, s[0:3], 0 offen offset:12
	buffer_load_dword v185, v202, s[0:3], 0 offen
	buffer_load_dword v186, v202, s[0:3], 0 offen offset:4
	buffer_load_dword v187, v202, s[0:3], 0 offen offset:8
	buffer_load_dword v188, v202, s[0:3], 0 offen offset:12
	s_waitcnt vmcnt(62)
	global_store_dwordx4 v[25:26], v[141:144], off
	s_clause 0x7
	buffer_load_dword v25, v203, s[0:3], 0 offen
	buffer_load_dword v26, v203, s[0:3], 0 offen offset:4
	buffer_load_dword v27, v203, s[0:3], 0 offen offset:8
	buffer_load_dword v28, v203, s[0:3], 0 offen offset:12
	buffer_load_dword v141, v39, s[0:3], 0 offen
	buffer_load_dword v142, v39, s[0:3], 0 offen offset:4
	buffer_load_dword v143, v39, s[0:3], 0 offen offset:8
	buffer_load_dword v144, v39, s[0:3], 0 offen offset:12
	global_store_dwordx4 v[31:32], v[145:148], off
	s_clause 0x7
	buffer_load_dword v145, v40, s[0:3], 0 offen
	buffer_load_dword v146, v40, s[0:3], 0 offen offset:4
	buffer_load_dword v147, v40, s[0:3], 0 offen offset:8
	buffer_load_dword v148, v40, s[0:3], 0 offen offset:12
	buffer_load_dword v189, v204, s[0:3], 0 offen
	buffer_load_dword v190, v204, s[0:3], 0 offen offset:4
	buffer_load_dword v191, v204, s[0:3], 0 offen offset:8
	buffer_load_dword v192, v204, s[0:3], 0 offen offset:12
	;; [unrolled: 10-line block ×5, first 2 shown]
	global_store_dwordx4 v[43:44], v[153:156], off
	global_store_dwordx4 v[45:46], v[157:160], off
	s_clause 0xf
	buffer_load_dword v43, v211, s[0:3], 0 offen
	buffer_load_dword v44, v211, s[0:3], 0 offen offset:4
	buffer_load_dword v45, v211, s[0:3], 0 offen offset:8
	buffer_load_dword v46, v211, s[0:3], 0 offen offset:12
	buffer_load_dword v71, v212, s[0:3], 0 offen
	buffer_load_dword v72, v212, s[0:3], 0 offen offset:4
	buffer_load_dword v73, v212, s[0:3], 0 offen offset:8
	buffer_load_dword v74, v212, s[0:3], 0 offen offset:12
	;; [unrolled: 4-line block ×4, first 2 shown]
	global_store_dwordx4 v[37:38], v[0:3], off
	s_waitcnt vmcnt(62)
	global_store_dwordx4 v[41:42], v[7:10], off
	global_store_dwordx4 v[49:50], v[161:164], off
	;; [unrolled: 1-line block ×14, first 2 shown]
	s_waitcnt vmcnt(60)
	global_store_dwordx4 v[99:100], v[83:86], off
	s_waitcnt vmcnt(56)
	global_store_dwordx4 v[101:102], v[185:188], off
	;; [unrolled: 2-line block ×16, first 2 shown]
.LBB61_1345:
	s_endpgm
	.section	.rodata,"a",@progbits
	.p2align	6, 0x0
	.amdhsa_kernel _ZN9rocsolver6v33100L18trti2_kernel_smallILi62E19rocblas_complex_numIdEPS3_EEv13rocblas_fill_17rocblas_diagonal_T1_iil
		.amdhsa_group_segment_fixed_size 1984
		.amdhsa_private_segment_fixed_size 1008
		.amdhsa_kernarg_size 32
		.amdhsa_user_sgpr_count 6
		.amdhsa_user_sgpr_private_segment_buffer 1
		.amdhsa_user_sgpr_dispatch_ptr 0
		.amdhsa_user_sgpr_queue_ptr 0
		.amdhsa_user_sgpr_kernarg_segment_ptr 1
		.amdhsa_user_sgpr_dispatch_id 0
		.amdhsa_user_sgpr_flat_scratch_init 0
		.amdhsa_user_sgpr_private_segment_size 0
		.amdhsa_wavefront_size32 1
		.amdhsa_uses_dynamic_stack 0
		.amdhsa_system_sgpr_private_segment_wavefront_offset 1
		.amdhsa_system_sgpr_workgroup_id_x 1
		.amdhsa_system_sgpr_workgroup_id_y 0
		.amdhsa_system_sgpr_workgroup_id_z 0
		.amdhsa_system_sgpr_workgroup_info 0
		.amdhsa_system_vgpr_workitem_id 0
		.amdhsa_next_free_vgpr 214
		.amdhsa_next_free_sgpr 96
		.amdhsa_reserve_vcc 1
		.amdhsa_reserve_flat_scratch 0
		.amdhsa_float_round_mode_32 0
		.amdhsa_float_round_mode_16_64 0
		.amdhsa_float_denorm_mode_32 3
		.amdhsa_float_denorm_mode_16_64 3
		.amdhsa_dx10_clamp 1
		.amdhsa_ieee_mode 1
		.amdhsa_fp16_overflow 0
		.amdhsa_workgroup_processor_mode 1
		.amdhsa_memory_ordered 1
		.amdhsa_forward_progress 1
		.amdhsa_shared_vgpr_count 0
		.amdhsa_exception_fp_ieee_invalid_op 0
		.amdhsa_exception_fp_denorm_src 0
		.amdhsa_exception_fp_ieee_div_zero 0
		.amdhsa_exception_fp_ieee_overflow 0
		.amdhsa_exception_fp_ieee_underflow 0
		.amdhsa_exception_fp_ieee_inexact 0
		.amdhsa_exception_int_div_zero 0
	.end_amdhsa_kernel
	.section	.text._ZN9rocsolver6v33100L18trti2_kernel_smallILi62E19rocblas_complex_numIdEPS3_EEv13rocblas_fill_17rocblas_diagonal_T1_iil,"axG",@progbits,_ZN9rocsolver6v33100L18trti2_kernel_smallILi62E19rocblas_complex_numIdEPS3_EEv13rocblas_fill_17rocblas_diagonal_T1_iil,comdat
.Lfunc_end61:
	.size	_ZN9rocsolver6v33100L18trti2_kernel_smallILi62E19rocblas_complex_numIdEPS3_EEv13rocblas_fill_17rocblas_diagonal_T1_iil, .Lfunc_end61-_ZN9rocsolver6v33100L18trti2_kernel_smallILi62E19rocblas_complex_numIdEPS3_EEv13rocblas_fill_17rocblas_diagonal_T1_iil
                                        ; -- End function
	.set _ZN9rocsolver6v33100L18trti2_kernel_smallILi62E19rocblas_complex_numIdEPS3_EEv13rocblas_fill_17rocblas_diagonal_T1_iil.num_vgpr, 214
	.set _ZN9rocsolver6v33100L18trti2_kernel_smallILi62E19rocblas_complex_numIdEPS3_EEv13rocblas_fill_17rocblas_diagonal_T1_iil.num_agpr, 0
	.set _ZN9rocsolver6v33100L18trti2_kernel_smallILi62E19rocblas_complex_numIdEPS3_EEv13rocblas_fill_17rocblas_diagonal_T1_iil.numbered_sgpr, 96
	.set _ZN9rocsolver6v33100L18trti2_kernel_smallILi62E19rocblas_complex_numIdEPS3_EEv13rocblas_fill_17rocblas_diagonal_T1_iil.num_named_barrier, 0
	.set _ZN9rocsolver6v33100L18trti2_kernel_smallILi62E19rocblas_complex_numIdEPS3_EEv13rocblas_fill_17rocblas_diagonal_T1_iil.private_seg_size, 1008
	.set _ZN9rocsolver6v33100L18trti2_kernel_smallILi62E19rocblas_complex_numIdEPS3_EEv13rocblas_fill_17rocblas_diagonal_T1_iil.uses_vcc, 1
	.set _ZN9rocsolver6v33100L18trti2_kernel_smallILi62E19rocblas_complex_numIdEPS3_EEv13rocblas_fill_17rocblas_diagonal_T1_iil.uses_flat_scratch, 0
	.set _ZN9rocsolver6v33100L18trti2_kernel_smallILi62E19rocblas_complex_numIdEPS3_EEv13rocblas_fill_17rocblas_diagonal_T1_iil.has_dyn_sized_stack, 0
	.set _ZN9rocsolver6v33100L18trti2_kernel_smallILi62E19rocblas_complex_numIdEPS3_EEv13rocblas_fill_17rocblas_diagonal_T1_iil.has_recursion, 0
	.set _ZN9rocsolver6v33100L18trti2_kernel_smallILi62E19rocblas_complex_numIdEPS3_EEv13rocblas_fill_17rocblas_diagonal_T1_iil.has_indirect_call, 0
	.section	.AMDGPU.csdata,"",@progbits
; Kernel info:
; codeLenInByte = 116784
; TotalNumSgprs: 98
; NumVgprs: 214
; ScratchSize: 1008
; MemoryBound: 0
; FloatMode: 240
; IeeeMode: 1
; LDSByteSize: 1984 bytes/workgroup (compile time only)
; SGPRBlocks: 0
; VGPRBlocks: 26
; NumSGPRsForWavesPerEU: 98
; NumVGPRsForWavesPerEU: 214
; Occupancy: 4
; WaveLimiterHint : 0
; COMPUTE_PGM_RSRC2:SCRATCH_EN: 1
; COMPUTE_PGM_RSRC2:USER_SGPR: 6
; COMPUTE_PGM_RSRC2:TRAP_HANDLER: 0
; COMPUTE_PGM_RSRC2:TGID_X_EN: 1
; COMPUTE_PGM_RSRC2:TGID_Y_EN: 0
; COMPUTE_PGM_RSRC2:TGID_Z_EN: 0
; COMPUTE_PGM_RSRC2:TIDIG_COMP_CNT: 0
	.section	.text._ZN9rocsolver6v33100L18trti2_kernel_smallILi63E19rocblas_complex_numIdEPS3_EEv13rocblas_fill_17rocblas_diagonal_T1_iil,"axG",@progbits,_ZN9rocsolver6v33100L18trti2_kernel_smallILi63E19rocblas_complex_numIdEPS3_EEv13rocblas_fill_17rocblas_diagonal_T1_iil,comdat
	.globl	_ZN9rocsolver6v33100L18trti2_kernel_smallILi63E19rocblas_complex_numIdEPS3_EEv13rocblas_fill_17rocblas_diagonal_T1_iil ; -- Begin function _ZN9rocsolver6v33100L18trti2_kernel_smallILi63E19rocblas_complex_numIdEPS3_EEv13rocblas_fill_17rocblas_diagonal_T1_iil
	.p2align	8
	.type	_ZN9rocsolver6v33100L18trti2_kernel_smallILi63E19rocblas_complex_numIdEPS3_EEv13rocblas_fill_17rocblas_diagonal_T1_iil,@function
_ZN9rocsolver6v33100L18trti2_kernel_smallILi63E19rocblas_complex_numIdEPS3_EEv13rocblas_fill_17rocblas_diagonal_T1_iil: ; @_ZN9rocsolver6v33100L18trti2_kernel_smallILi63E19rocblas_complex_numIdEPS3_EEv13rocblas_fill_17rocblas_diagonal_T1_iil
; %bb.0:
	s_add_u32 s0, s0, s7
	s_addc_u32 s1, s1, 0
	s_mov_b32 s7, exec_lo
	v_cmpx_gt_u32_e32 63, v0
	s_cbranch_execz .LBB62_1367
; %bb.1:
	s_load_dwordx8 s[8:15], s[4:5], 0x0
	s_ashr_i32 s4, s6, 31
	v_lshlrev_b32_e32 v153, 4, v0
	s_movk_i32 s17, 0xd0
	s_movk_i32 s18, 0xe0
	;; [unrolled: 1-line block ×17, first 2 shown]
	s_waitcnt lgkmcnt(0)
	s_mul_hi_u32 s5, s14, s6
	s_mul_i32 s16, s14, s4
	s_mul_i32 s15, s15, s6
	s_add_i32 s5, s5, s16
	s_mul_i32 s4, s14, s6
	v_add3_u32 v1, s13, s13, v0
	s_add_i32 s5, s5, s15
	s_ashr_i32 s7, s12, 31
	s_lshl_b64 s[4:5], s[4:5], 4
	s_mov_b32 s6, s12
	s_add_u32 s10, s10, s4
	v_ashrrev_i32_e32 v2, 31, v1
	s_addc_u32 s11, s11, s5
	s_lshl_b64 s[4:5], s[6:7], 4
	v_add_nc_u32_e32 v5, s13, v1
	s_add_u32 s4, s10, s4
	s_addc_u32 s5, s11, s5
	v_add_co_u32 v77, s6, s4, v153
	s_mov_b32 s14, s13
	s_ashr_i32 s15, s13, 31
	v_lshlrev_b64 v[6:7], 4, v[1:2]
	v_add_co_ci_u32_e64 v78, null, s5, 0, s6
	s_lshl_b64 s[6:7], s[14:15], 4
	v_add_nc_u32_e32 v8, s13, v5
	v_add_co_u32 v81, vcc_lo, v77, s6
	v_add_co_ci_u32_e64 v82, null, s7, v78, vcc_lo
	v_add_co_u32 v149, vcc_lo, s4, v6
	v_ashrrev_i32_e32 v6, 31, v5
	v_add_co_ci_u32_e64 v150, null, s5, v7, vcc_lo
	v_ashrrev_i32_e32 v9, 31, v8
	v_add_nc_u32_e32 v7, s13, v8
	v_lshlrev_b64 v[5:6], 4, v[5:6]
	s_clause 0x1
	global_load_dwordx4 v[1:4], v153, s[4:5]
	global_load_dwordx4 v[119:122], v[81:82], off
	v_lshlrev_b64 v[9:10], 4, v[8:9]
	v_ashrrev_i32_e32 v8, 31, v7
	v_add_nc_u32_e32 v11, s13, v7
	v_add_co_u32 v151, vcc_lo, s4, v5
	v_add_co_ci_u32_e64 v152, null, s5, v6, vcc_lo
	v_lshlrev_b64 v[5:6], 4, v[7:8]
	v_add_nc_u32_e32 v7, s13, v11
	v_add_co_u32 v145, vcc_lo, s4, v9
	v_ashrrev_i32_e32 v12, 31, v11
	v_add_co_ci_u32_e64 v146, null, s5, v10, vcc_lo
	v_add_co_u32 v147, vcc_lo, s4, v5
	v_ashrrev_i32_e32 v8, 31, v7
	v_add_nc_u32_e32 v5, s13, v7
	v_lshlrev_b64 v[9:10], 4, v[11:12]
	v_add_co_ci_u32_e64 v148, null, s5, v6, vcc_lo
	v_lshlrev_b64 v[7:8], 4, v[7:8]
	v_ashrrev_i32_e32 v6, 31, v5
	v_add_nc_u32_e32 v11, s13, v5
	v_add_co_u32 v143, vcc_lo, s4, v9
	v_add_co_ci_u32_e64 v144, null, s5, v10, vcc_lo
	v_lshlrev_b64 v[5:6], 4, v[5:6]
	v_add_co_u32 v137, vcc_lo, s4, v7
	v_add_nc_u32_e32 v7, s13, v11
	v_add_co_ci_u32_e64 v138, null, s5, v8, vcc_lo
	v_ashrrev_i32_e32 v12, 31, v11
	v_add_co_u32 v135, vcc_lo, s4, v5
	v_add_nc_u32_e32 v5, s13, v7
	v_ashrrev_i32_e32 v8, 31, v7
	v_add_co_ci_u32_e64 v136, null, s5, v6, vcc_lo
	v_lshlrev_b64 v[9:10], 4, v[11:12]
	v_ashrrev_i32_e32 v6, 31, v5
	v_add_nc_u32_e32 v11, s13, v5
	v_lshlrev_b64 v[7:8], 4, v[7:8]
	s_clause 0x1
	global_load_dwordx4 v[125:128], v[149:150], off
	global_load_dwordx4 v[158:161], v[147:148], off
	v_lshlrev_b64 v[5:6], 4, v[5:6]
	v_add_co_u32 v133, vcc_lo, s4, v9
	v_add_nc_u32_e32 v9, s13, v11
	v_ashrrev_i32_e32 v12, 31, v11
	v_add_co_ci_u32_e64 v134, null, s5, v10, vcc_lo
	v_add_co_u32 v129, vcc_lo, s4, v7
	v_add_co_ci_u32_e64 v130, null, s5, v8, vcc_lo
	v_add_nc_u32_e32 v7, s13, v9
	v_add_co_u32 v131, vcc_lo, s4, v5
	v_add_co_ci_u32_e64 v132, null, s5, v6, vcc_lo
	v_lshlrev_b64 v[5:6], 4, v[11:12]
	v_ashrrev_i32_e32 v10, 31, v9
	v_ashrrev_i32_e32 v8, 31, v7
	v_add_nc_u32_e32 v11, s13, v7
	s_clause 0x2
	global_load_dwordx4 v[139:142], v[151:152], off
	global_load_dwordx4 v[154:157], v[145:146], off
	;; [unrolled: 1-line block ×3, first 2 shown]
	v_lshlrev_b64 v[9:10], 4, v[9:10]
	v_add_co_u32 v123, vcc_lo, s4, v5
	v_add_co_ci_u32_e64 v124, null, s5, v6, vcc_lo
	v_lshlrev_b64 v[5:6], 4, v[7:8]
	v_add_nc_u32_e32 v7, s13, v11
	v_ashrrev_i32_e32 v12, 31, v11
	v_add_co_u32 v113, vcc_lo, s4, v9
	v_add_co_ci_u32_e64 v114, null, s5, v10, vcc_lo
	v_add_nc_u32_e32 v9, s13, v7
	v_add_co_u32 v103, vcc_lo, s4, v5
	s_clause 0x1
	global_load_dwordx4 v[166:169], v[137:138], off
	global_load_dwordx4 v[170:173], v[135:136], off
	v_ashrrev_i32_e32 v8, 31, v7
	v_add_co_ci_u32_e64 v104, null, s5, v6, vcc_lo
	v_lshlrev_b64 v[5:6], 4, v[11:12]
	v_ashrrev_i32_e32 v10, 31, v9
	v_add_nc_u32_e32 v11, s13, v9
	v_lshlrev_b64 v[7:8], 4, v[7:8]
	s_clause 0x1
	global_load_dwordx4 v[61:64], v[133:134], off
	global_load_dwordx4 v[69:72], v[131:132], off
	v_add_co_u32 v99, vcc_lo, s4, v5
	v_add_co_ci_u32_e64 v100, null, s5, v6, vcc_lo
	v_lshlrev_b64 v[5:6], 4, v[9:10]
	v_ashrrev_i32_e32 v12, 31, v11
	v_add_nc_u32_e32 v9, s13, v11
	v_add_co_u32 v83, vcc_lo, s4, v7
	s_clause 0x1
	global_load_dwordx4 v[65:68], v[129:130], off
	global_load_dwordx4 v[49:52], v[123:124], off
	v_add_co_ci_u32_e64 v84, null, s5, v8, vcc_lo
	v_lshlrev_b64 v[7:8], 4, v[11:12]
	v_ashrrev_i32_e32 v10, 31, v9
	v_add_nc_u32_e32 v11, s13, v9
	v_add_co_u32 v79, vcc_lo, s4, v5
	v_add_co_ci_u32_e64 v80, null, s5, v6, vcc_lo
	v_lshlrev_b64 v[5:6], 4, v[9:10]
	v_add_nc_u32_e32 v9, s13, v11
	v_ashrrev_i32_e32 v12, 31, v11
	s_clause 0x1
	global_load_dwordx4 v[53:56], v[113:114], off
	global_load_dwordx4 v[57:60], v[103:104], off
	v_add_co_u32 v85, vcc_lo, s4, v7
	v_add_nc_u32_e32 v13, s13, v9
	v_lshlrev_b64 v[11:12], 4, v[11:12]
	v_add_co_ci_u32_e64 v86, null, s5, v8, vcc_lo
	v_ashrrev_i32_e32 v10, 31, v9
	v_add_co_u32 v87, vcc_lo, s4, v5
	v_add_nc_u32_e32 v21, s13, v13
	s_clause 0x1
	global_load_dwordx4 v[17:20], v[99:100], off
	global_load_dwordx4 v[25:28], v[83:84], off
	v_add_co_ci_u32_e64 v88, null, s5, v6, vcc_lo
	v_ashrrev_i32_e32 v14, 31, v13
	v_add_co_u32 v89, vcc_lo, s4, v11
	v_add_co_ci_u32_e64 v90, null, s5, v12, vcc_lo
	v_lshlrev_b64 v[9:10], 4, v[9:10]
	v_add_nc_u32_e32 v37, s13, v21
	s_clause 0x1
	global_load_dwordx4 v[29:32], v[79:80], off
	global_load_dwordx4 v[5:8], v[85:86], off
	v_lshlrev_b64 v[11:12], 4, v[13:14]
	v_ashrrev_i32_e32 v22, 31, v21
	s_clause 0x1
	global_load_dwordx4 v[33:36], v[87:88], off
	global_load_dwordx4 v[13:16], v[89:90], off
	v_ashrrev_i32_e32 v38, 31, v37
	v_add_co_u32 v95, vcc_lo, s4, v9
	v_add_co_ci_u32_e64 v96, null, s5, v10, vcc_lo
	v_lshlrev_b64 v[9:10], 4, v[21:22]
	v_add_co_u32 v91, vcc_lo, s4, v11
	v_add_co_ci_u32_e64 v92, null, s5, v12, vcc_lo
	v_lshlrev_b64 v[11:12], 4, v[37:38]
	v_add_co_u32 v97, vcc_lo, s4, v9
	v_add_co_ci_u32_e64 v98, null, s5, v10, vcc_lo
	s_clause 0x1
	global_load_dwordx4 v[21:24], v[95:96], off
	global_load_dwordx4 v[45:48], v[91:92], off
	v_add_co_u32 v93, vcc_lo, s4, v11
	v_add_co_ci_u32_e64 v94, null, s5, v12, vcc_lo
	s_clause 0x1
	global_load_dwordx4 v[41:44], v[97:98], off
	global_load_dwordx4 v[9:12], v[93:94], off
	v_add_nc_u32_e32 v73, s13, v37
	s_cmpk_lg_i32 s9, 0x84
	s_movk_i32 s6, 0x60
	s_movk_i32 s10, 0x70
	;; [unrolled: 1-line block ×3, first 2 shown]
	v_ashrrev_i32_e32 v74, 31, v73
	s_movk_i32 s14, 0xa0
	s_movk_i32 s15, 0xb0
	;; [unrolled: 1-line block ×4, first 2 shown]
	v_lshlrev_b64 v[37:38], 4, v[73:74]
	v_add_nc_u32_e32 v73, s13, v73
	s_movk_i32 s36, 0x1f0
	s_movk_i32 s37, 0x200
	;; [unrolled: 1-line block ×4, first 2 shown]
	v_add_co_u32 v101, vcc_lo, s4, v37
	v_add_co_ci_u32_e64 v102, null, s5, v38, vcc_lo
	v_add_nc_u32_e32 v75, s13, v73
	v_ashrrev_i32_e32 v74, 31, v73
	s_movk_i32 s74, 0x230
	global_load_dwordx4 v[37:40], v[101:102], off
	s_movk_i32 s75, 0x240
	v_add_nc_u32_e32 v107, s13, v75
	v_ashrrev_i32_e32 v76, 31, v75
	v_lshlrev_b64 v[73:74], 4, v[73:74]
	s_movk_i32 s76, 0x250
	s_movk_i32 s77, 0x260
	v_add_nc_u32_e32 v109, s13, v107
	v_ashrrev_i32_e32 v108, 31, v107
	v_lshlrev_b64 v[111:112], 4, v[75:76]
	v_add_co_u32 v105, vcc_lo, s4, v73
	v_add_nc_u32_e32 v117, s13, v109
	v_lshlrev_b64 v[115:116], 4, v[107:108]
	v_ashrrev_i32_e32 v110, 31, v109
	v_add_co_ci_u32_e64 v106, null, s5, v74, vcc_lo
	v_ashrrev_i32_e32 v118, 31, v117
	v_add_nc_u32_e32 v182, s13, v117
	v_add_co_u32 v107, vcc_lo, s4, v111
	v_add_co_ci_u32_e64 v108, null, s5, v112, vcc_lo
	v_lshlrev_b64 v[111:112], 4, v[109:110]
	v_add_co_u32 v109, vcc_lo, s4, v115
	v_add_co_ci_u32_e64 v110, null, s5, v116, vcc_lo
	v_lshlrev_b64 v[115:116], 4, v[117:118]
	v_add_nc_u32_e32 v117, s13, v182
	v_ashrrev_i32_e32 v183, 31, v182
	v_add_co_u32 v111, vcc_lo, s4, v111
	v_add_co_ci_u32_e64 v112, null, s5, v112, vcc_lo
	v_add_nc_u32_e32 v186, s13, v117
	v_lshlrev_b64 v[182:183], 4, v[182:183]
	v_ashrrev_i32_e32 v118, 31, v117
	v_add_co_u32 v115, vcc_lo, s4, v115
	v_add_nc_u32_e32 v190, s13, v186
	v_add_co_ci_u32_e64 v116, null, s5, v116, vcc_lo
	v_lshlrev_b64 v[188:189], 4, v[117:118]
	v_add_co_u32 v117, vcc_lo, s4, v182
	s_clause 0x2
	global_load_dwordx4 v[73:76], v[105:106], off
	global_load_dwordx4 v[174:177], v[107:108], off
	;; [unrolled: 1-line block ×3, first 2 shown]
	v_add_co_ci_u32_e64 v118, null, s5, v183, vcc_lo
	v_ashrrev_i32_e32 v191, 31, v190
	v_ashrrev_i32_e32 v187, 31, v186
	s_movk_i32 s78, 0x270
	s_movk_i32 s79, 0x280
	;; [unrolled: 1-line block ×22, first 2 shown]
	s_cselect_b32 s7, -1, 0
	s_cmpk_eq_i32 s9, 0x84
	s_movk_i32 s9, 0x3e0
	s_waitcnt vmcnt(28)
	buffer_store_dword v4, off, s[0:3], 0 offset:12
	buffer_store_dword v3, off, s[0:3], 0 offset:8
	;; [unrolled: 1-line block ×3, first 2 shown]
	buffer_store_dword v1, off, s[0:3], 0
	s_waitcnt vmcnt(27)
	buffer_store_dword v122, off, s[0:3], 0 offset:28
	buffer_store_dword v121, off, s[0:3], 0 offset:24
	;; [unrolled: 1-line block ×4, first 2 shown]
	s_clause 0x1
	global_load_dwordx4 v[1:4], v[111:112], off
	global_load_dwordx4 v[182:185], v[115:116], off
	s_waitcnt vmcnt(28)
	buffer_store_dword v128, off, s[0:3], 0 offset:44
	buffer_store_dword v127, off, s[0:3], 0 offset:40
	;; [unrolled: 1-line block ×4, first 2 shown]
	v_add_nc_u32_e32 v125, s13, v190
	v_lshlrev_b64 v[127:128], 4, v[190:191]
	v_lshlrev_b64 v[121:122], 4, v[186:187]
	v_add_co_u32 v119, vcc_lo, s4, v188
	v_add_nc_u32_e32 v190, s13, v125
	v_ashrrev_i32_e32 v126, 31, v125
	s_waitcnt vmcnt(26)
	buffer_store_dword v142, off, s[0:3], 0 offset:60
	buffer_store_dword v141, off, s[0:3], 0 offset:56
	;; [unrolled: 1-line block ×4, first 2 shown]
	s_waitcnt vmcnt(25)
	buffer_store_dword v157, off, s[0:3], 0 offset:76
	buffer_store_dword v156, off, s[0:3], 0 offset:72
	;; [unrolled: 1-line block ×4, first 2 shown]
	v_add_nc_u32_e32 v141, s13, v190
	v_add_co_ci_u32_e64 v120, null, s5, v189, vcc_lo
	v_add_co_u32 v121, vcc_lo, s4, v121
	v_add_co_ci_u32_e64 v122, null, s5, v122, vcc_lo
	v_lshlrev_b64 v[139:140], 4, v[125:126]
	v_ashrrev_i32_e32 v191, 31, v190
	v_add_co_u32 v125, vcc_lo, s4, v127
	v_add_nc_u32_e32 v192, s13, v141
	v_add_co_ci_u32_e64 v126, null, s5, v128, vcc_lo
	s_clause 0x1
	global_load_dwordx4 v[154:157], v[117:118], off
	global_load_dwordx4 v[186:189], v[119:120], off
	buffer_store_dword v161, off, s[0:3], 0 offset:92
	buffer_store_dword v160, off, s[0:3], 0 offset:88
	buffer_store_dword v159, off, s[0:3], 0 offset:84
	buffer_store_dword v158, off, s[0:3], 0 offset:80
	v_lshlrev_b64 v[190:191], 4, v[190:191]
	s_waitcnt vmcnt(26)
	buffer_store_dword v165, off, s[0:3], 0 offset:108
	buffer_store_dword v164, off, s[0:3], 0 offset:104
	;; [unrolled: 1-line block ×4, first 2 shown]
	s_waitcnt vmcnt(25)
	buffer_store_dword v169, off, s[0:3], 0 offset:124
	buffer_store_dword v168, off, s[0:3], 0 offset:120
	;; [unrolled: 1-line block ×4, first 2 shown]
	v_ashrrev_i32_e32 v142, 31, v141
	s_clause 0x1
	global_load_dwordx4 v[158:161], v[121:122], off
	global_load_dwordx4 v[162:165], v[125:126], off
	s_waitcnt vmcnt(26)
	buffer_store_dword v173, off, s[0:3], 0 offset:140
	buffer_store_dword v172, off, s[0:3], 0 offset:136
	;; [unrolled: 1-line block ×4, first 2 shown]
	v_add_nc_u32_e32 v170, s13, v192
	v_ashrrev_i32_e32 v193, 31, v192
	v_add_co_u32 v127, vcc_lo, s4, v139
	v_add_co_ci_u32_e64 v128, null, s5, v140, vcc_lo
	v_lshlrev_b64 v[141:142], 4, v[141:142]
	v_add_co_u32 v139, vcc_lo, s4, v190
	v_ashrrev_i32_e32 v171, 31, v170
	v_add_nc_u32_e32 v190, s13, v170
	v_lshlrev_b64 v[172:173], 4, v[192:193]
	v_add_co_ci_u32_e64 v140, null, s5, v191, vcc_lo
	s_waitcnt vmcnt(25)
	buffer_store_dword v61, off, s[0:3], 0 offset:144
	buffer_store_dword v62, off, s[0:3], 0 offset:148
	;; [unrolled: 1-line block ×4, first 2 shown]
	s_waitcnt vmcnt(23)
	buffer_store_dword v65, off, s[0:3], 0 offset:160
	buffer_store_dword v66, off, s[0:3], 0 offset:164
	buffer_store_dword v67, off, s[0:3], 0 offset:168
	buffer_store_dword v68, off, s[0:3], 0 offset:172
	v_lshlrev_b64 v[63:64], 4, v[170:171]
	v_ashrrev_i32_e32 v191, 31, v190
	v_add_nc_u32_e32 v170, s13, v190
	v_add_co_u32 v141, vcc_lo, s4, v141
	v_add_co_ci_u32_e64 v142, null, s5, v142, vcc_lo
	v_add_co_u32 v61, vcc_lo, s4, v172
	v_add_co_ci_u32_e64 v62, null, s5, v173, vcc_lo
	v_lshlrev_b64 v[172:173], 4, v[190:191]
	v_add_nc_u32_e32 v190, s13, v170
	v_ashrrev_i32_e32 v171, 31, v170
	v_add_co_u32 v63, vcc_lo, s4, v63
	s_clause 0x1
	global_load_dwordx4 v[65:68], v[127:128], off
	global_load_dwordx4 v[166:169], v[139:140], off
	v_ashrrev_i32_e32 v191, 31, v190
	buffer_store_dword v69, off, s[0:3], 0 offset:176
	buffer_store_dword v70, off, s[0:3], 0 offset:180
	;; [unrolled: 1-line block ×4, first 2 shown]
	v_add_co_ci_u32_e64 v64, null, s5, v64, vcc_lo
	s_waitcnt vmcnt(24)
	buffer_store_dword v52, off, s[0:3], 0 offset:204
	buffer_store_dword v51, off, s[0:3], 0 offset:200
	;; [unrolled: 1-line block ×4, first 2 shown]
	s_waitcnt vmcnt(23)
	buffer_store_dword v56, off, s[0:3], 0 offset:220
	buffer_store_dword v55, off, s[0:3], 0 offset:216
	;; [unrolled: 1-line block ×4, first 2 shown]
	v_lshlrev_b64 v[51:52], 4, v[170:171]
	v_add_co_u32 v49, vcc_lo, s4, v172
	v_add_co_ci_u32_e64 v50, null, s5, v173, vcc_lo
	v_lshlrev_b64 v[172:173], 4, v[190:191]
	v_add_nc_u32_e32 v170, s13, v190
	v_add_co_u32 v51, vcc_lo, s4, v51
	s_clause 0x1
	global_load_dwordx4 v[53:56], v[141:142], off
	global_load_dwordx4 v[69:72], v[61:62], off
	s_waitcnt vmcnt(24)
	buffer_store_dword v60, off, s[0:3], 0 offset:236
	buffer_store_dword v59, off, s[0:3], 0 offset:232
	;; [unrolled: 1-line block ×4, first 2 shown]
	v_add_co_ci_u32_e64 v52, null, s5, v52, vcc_lo
	s_waitcnt vmcnt(23)
	buffer_store_dword v20, off, s[0:3], 0 offset:252
	buffer_store_dword v19, off, s[0:3], 0 offset:248
	;; [unrolled: 1-line block ×4, first 2 shown]
	s_waitcnt vmcnt(22)
	buffer_store_dword v28, off, s[0:3], 0 offset:268
	buffer_store_dword v27, off, s[0:3], 0 offset:264
	;; [unrolled: 1-line block ×4, first 2 shown]
	v_add_co_u32 v17, vcc_lo, s4, v172
	v_ashrrev_i32_e32 v171, 31, v170
	v_add_nc_u32_e32 v190, s13, v170
	v_add_co_ci_u32_e64 v18, null, s5, v173, vcc_lo
	s_clause 0x1
	global_load_dwordx4 v[25:28], v[63:64], off
	global_load_dwordx4 v[57:60], v[49:50], off
	s_waitcnt vmcnt(23)
	buffer_store_dword v32, off, s[0:3], 0 offset:284
	buffer_store_dword v31, off, s[0:3], 0 offset:280
	buffer_store_dword v30, off, s[0:3], 0 offset:276
	buffer_store_dword v29, off, s[0:3], 0 offset:272
	s_waitcnt vmcnt(22)
	buffer_store_dword v8, off, s[0:3], 0 offset:300
	buffer_store_dword v7, off, s[0:3], 0 offset:296
	buffer_store_dword v6, off, s[0:3], 0 offset:292
	buffer_store_dword v5, off, s[0:3], 0 offset:288
	;; [unrolled: 5-line block ×3, first 2 shown]
	v_lshlrev_b64 v[19:20], 4, v[170:171]
	v_add_nc_u32_e32 v170, s13, v190
	s_clause 0x1
	global_load_dwordx4 v[29:32], v[51:52], off
	global_load_dwordx4 v[33:36], v[17:18], off
	v_ashrrev_i32_e32 v191, 31, v190
	s_waitcnt vmcnt(22)
	buffer_store_dword v16, off, s[0:3], 0 offset:332
	buffer_store_dword v15, off, s[0:3], 0 offset:328
	buffer_store_dword v14, off, s[0:3], 0 offset:324
	buffer_store_dword v13, off, s[0:3], 0 offset:320
	s_waitcnt vmcnt(21)
	buffer_store_dword v24, off, s[0:3], 0 offset:348
	buffer_store_dword v23, off, s[0:3], 0 offset:344
	buffer_store_dword v22, off, s[0:3], 0 offset:340
	buffer_store_dword v21, off, s[0:3], 0 offset:336
	;; [unrolled: 5-line block ×4, first 2 shown]
	s_waitcnt vmcnt(18)
	buffer_store_dword v12, off, s[0:3], 0 offset:396
	buffer_store_dword v11, off, s[0:3], 0 offset:392
	;; [unrolled: 1-line block ×3, first 2 shown]
	v_ashrrev_i32_e32 v171, 31, v170
	v_lshlrev_b64 v[172:173], 4, v[190:191]
	v_add_co_u32 v19, vcc_lo, s4, v19
	v_add_co_ci_u32_e64 v20, null, s5, v20, vcc_lo
	v_lshlrev_b64 v[7:8], 4, v[170:171]
	v_add_co_u32 v5, vcc_lo, s4, v172
	v_add_co_ci_u32_e64 v6, null, s5, v173, vcc_lo
	v_add_nc_u32_e32 v190, s13, v170
	v_add_co_u32 v7, vcc_lo, s4, v7
	v_add_co_ci_u32_e64 v8, null, s5, v8, vcc_lo
	global_load_dwordx4 v[21:24], v[5:6], off
	v_ashrrev_i32_e32 v191, 31, v190
	v_add_nc_u32_e32 v192, s13, v190
	s_clause 0x1
	global_load_dwordx4 v[41:44], v[7:8], off
	global_load_dwordx4 v[13:16], v[19:20], off
	buffer_store_dword v9, off, s[0:3], 0 offset:384
	v_lshlrev_b64 v[10:11], 4, v[190:191]
	v_ashrrev_i32_e32 v193, 31, v192
	v_lshlrev_b64 v[45:46], 4, v[192:193]
	v_add_co_u32 v9, vcc_lo, s4, v10
	v_add_co_ci_u32_e64 v10, null, s5, v11, vcc_lo
	v_add_co_u32 v11, vcc_lo, s4, v45
	v_add_co_ci_u32_e64 v12, null, s5, v46, vcc_lo
	global_load_dwordx4 v[45:48], v[9:10], off
	s_waitcnt vmcnt(21)
	buffer_store_dword v40, off, s[0:3], 0 offset:412
	buffer_store_dword v39, off, s[0:3], 0 offset:408
	;; [unrolled: 1-line block ×4, first 2 shown]
	global_load_dwordx4 v[170:173], v[11:12], off
	s_waitcnt vmcnt(21)
	buffer_store_dword v76, off, s[0:3], 0 offset:428
	buffer_store_dword v75, off, s[0:3], 0 offset:424
	buffer_store_dword v74, off, s[0:3], 0 offset:420
	buffer_store_dword v73, off, s[0:3], 0 offset:416
	s_waitcnt vmcnt(20)
	buffer_store_dword v177, off, s[0:3], 0 offset:444
	buffer_store_dword v176, off, s[0:3], 0 offset:440
	buffer_store_dword v175, off, s[0:3], 0 offset:436
	buffer_store_dword v174, off, s[0:3], 0 offset:432
	;; [unrolled: 5-line block ×18, first 2 shown]
	buffer_store_dword v24, off, s[0:3], 0 offset:716
	v_add_nc_u32_e32 v1, s13, v192
	buffer_store_dword v23, off, s[0:3], 0 offset:712
	buffer_store_dword v22, off, s[0:3], 0 offset:708
	;; [unrolled: 1-line block ×4, first 2 shown]
	v_add_nc_u32_e32 v3, s13, v1
	v_ashrrev_i32_e32 v2, 31, v1
	buffer_store_dword v43, off, s[0:3], 0 offset:728
	buffer_store_dword v42, off, s[0:3], 0 offset:724
	buffer_store_dword v41, off, s[0:3], 0 offset:720
	s_waitcnt vmcnt(1)
	buffer_store_dword v48, off, s[0:3], 0 offset:748
	buffer_store_dword v47, off, s[0:3], 0 offset:744
	v_add_nc_u32_e32 v15, s13, v3
	v_ashrrev_i32_e32 v4, 31, v3
	v_lshlrev_b64 v[1:2], 4, v[1:2]
	buffer_store_dword v46, off, s[0:3], 0 offset:740
	buffer_store_dword v45, off, s[0:3], 0 offset:736
	v_add_nc_u32_e32 v25, s13, v15
	v_ashrrev_i32_e32 v16, 31, v15
	v_lshlrev_b64 v[21:22], 4, v[3:4]
	v_add_co_u32 v13, vcc_lo, s4, v1
	v_add_nc_u32_e32 v27, s13, v25
	v_lshlrev_b64 v[23:24], 4, v[15:16]
	v_ashrrev_i32_e32 v26, 31, v25
	v_add_co_ci_u32_e64 v14, null, s5, v2, vcc_lo
	v_ashrrev_i32_e32 v28, 31, v27
	v_add_nc_u32_e32 v29, s13, v27
	v_add_co_u32 v15, vcc_lo, s4, v21
	v_add_co_ci_u32_e64 v16, null, s5, v22, vcc_lo
	v_add_co_u32 v21, vcc_lo, s4, v23
	v_add_co_ci_u32_e64 v22, null, s5, v24, vcc_lo
	v_lshlrev_b64 v[23:24], 4, v[25:26]
	v_lshlrev_b64 v[25:26], 4, v[27:28]
	v_add_nc_u32_e32 v27, s13, v29
	v_ashrrev_i32_e32 v30, 31, v29
	s_waitcnt vmcnt(0)
	buffer_store_dword v173, off, s[0:3], 0 offset:764
	global_load_dwordx4 v[1:4], v[13:14], off
	v_add_co_u32 v23, vcc_lo, s4, v23
	v_add_nc_u32_e32 v33, s13, v27
	v_ashrrev_i32_e32 v28, 31, v27
	v_lshlrev_b64 v[29:30], 4, v[29:30]
	v_add_co_ci_u32_e64 v24, null, s5, v24, vcc_lo
	v_add_nc_u32_e32 v35, s13, v33
	v_lshlrev_b64 v[31:32], 4, v[27:28]
	v_add_co_u32 v25, vcc_lo, s4, v25
	v_ashrrev_i32_e32 v34, 31, v33
	v_ashrrev_i32_e32 v36, 31, v35
	v_add_co_ci_u32_e64 v26, null, s5, v26, vcc_lo
	v_add_co_u32 v27, vcc_lo, s4, v29
	v_add_co_ci_u32_e64 v28, null, s5, v30, vcc_lo
	v_add_co_u32 v29, vcc_lo, s4, v31
	v_add_co_ci_u32_e64 v30, null, s5, v32, vcc_lo
	v_lshlrev_b64 v[31:32], 4, v[33:34]
	v_lshlrev_b64 v[33:34], 4, v[35:36]
	v_add_nc_u32_e32 v35, s13, v35
	s_clause 0x5
	global_load_dwordx4 v[53:56], v[15:16], off
	global_load_dwordx4 v[57:60], v[21:22], off
	;; [unrolled: 1-line block ×6, first 2 shown]
	v_add_co_u32 v31, vcc_lo, s4, v31
	v_add_nc_u32_e32 v37, s13, v35
	v_ashrrev_i32_e32 v36, 31, v35
	v_add_co_ci_u32_e64 v32, null, s5, v32, vcc_lo
	v_add_co_u32 v33, vcc_lo, s4, v33
	v_add_nc_u32_e32 v39, s13, v37
	v_ashrrev_i32_e32 v38, 31, v37
	v_lshlrev_b64 v[35:36], 4, v[35:36]
	v_add_co_ci_u32_e64 v34, null, s5, v34, vcc_lo
	v_add_nc_u32_e32 v41, s13, v39
	v_ashrrev_i32_e32 v40, 31, v39
	v_lshlrev_b64 v[37:38], 4, v[37:38]
	v_add_co_u32 v35, vcc_lo, s4, v35
	v_ashrrev_i32_e32 v42, 31, v41
	v_add_nc_u32_e32 v44, s13, v41
	v_lshlrev_b64 v[39:40], 4, v[39:40]
	v_add_co_ci_u32_e64 v36, null, s5, v36, vcc_lo
	v_lshlrev_b64 v[42:43], 4, v[41:42]
	v_add_nc_u32_e32 v46, s13, v44
	v_add_co_u32 v37, vcc_lo, s4, v37
	v_ashrrev_i32_e32 v45, 31, v44
	v_add_co_ci_u32_e64 v38, null, s5, v38, vcc_lo
	v_add_co_u32 v39, vcc_lo, s4, v39
	v_ashrrev_i32_e32 v47, 31, v46
	v_add_co_ci_u32_e64 v40, null, s5, v40, vcc_lo
	v_add_co_u32 v41, vcc_lo, s4, v42
	v_add_co_ci_u32_e64 v42, null, s5, v43, vcc_lo
	v_lshlrev_b64 v[43:44], 4, v[44:45]
	v_lshlrev_b64 v[47:48], 4, v[46:47]
	s_clause 0x5
	global_load_dwordx4 v[158:161], v[31:32], off
	global_load_dwordx4 v[162:165], v[33:34], off
	;; [unrolled: 1-line block ×6, first 2 shown]
	s_movk_i32 s13, 0x90
	v_add_co_u32 v45, vcc_lo, s4, v43
	v_add_co_ci_u32_e64 v46, null, s5, v44, vcc_lo
	v_add_co_u32 v43, vcc_lo, s4, v47
	v_add_co_ci_u32_e64 v44, null, s5, v48, vcc_lo
	global_load_dwordx4 v[185:188], v[45:46], off
	buffer_store_dword v172, off, s[0:3], 0 offset:760
	buffer_store_dword v171, off, s[0:3], 0 offset:756
	;; [unrolled: 1-line block ×3, first 2 shown]
	s_movk_i32 s5, 0x50
	global_load_dwordx4 v[189:192], v[43:44], off
	s_movk_i32 s4, 0x3a0
	s_waitcnt vmcnt(14)
	buffer_store_dword v4, off, s[0:3], 0 offset:780
	buffer_store_dword v3, off, s[0:3], 0 offset:776
	buffer_store_dword v2, off, s[0:3], 0 offset:772
	buffer_store_dword v1, off, s[0:3], 0 offset:768
	s_waitcnt vmcnt(13)
	buffer_store_dword v56, off, s[0:3], 0 offset:796
	buffer_store_dword v55, off, s[0:3], 0 offset:792
	buffer_store_dword v54, off, s[0:3], 0 offset:788
	buffer_store_dword v53, off, s[0:3], 0 offset:784
	;; [unrolled: 5-line block ×15, first 2 shown]
	s_cbranch_scc1 .LBB62_7
; %bb.2:
	v_lshl_add_u32 v57, v0, 4, 0
                                        ; implicit-def: $vgpr53_vgpr54
                                        ; implicit-def: $vgpr3_vgpr4
	s_clause 0x3
	buffer_load_dword v47, v57, s[0:3], 0 offen
	buffer_load_dword v48, v57, s[0:3], 0 offen offset:4
	buffer_load_dword v55, v57, s[0:3], 0 offen offset:8
	;; [unrolled: 1-line block ×3, first 2 shown]
	s_waitcnt vmcnt(0)
	v_cmp_ngt_f64_e64 s39, |v[47:48]|, |v[55:56]|
	s_and_saveexec_b32 s40, s39
	s_xor_b32 s39, exec_lo, s40
	s_cbranch_execz .LBB62_4
; %bb.3:
	v_div_scale_f64 v[1:2], null, v[55:56], v[55:56], v[47:48]
	v_div_scale_f64 v[58:59], vcc_lo, v[47:48], v[55:56], v[47:48]
	v_rcp_f64_e32 v[3:4], v[1:2]
	v_fma_f64 v[53:54], -v[1:2], v[3:4], 1.0
	v_fma_f64 v[3:4], v[3:4], v[53:54], v[3:4]
	v_fma_f64 v[53:54], -v[1:2], v[3:4], 1.0
	v_fma_f64 v[3:4], v[3:4], v[53:54], v[3:4]
	v_mul_f64 v[53:54], v[58:59], v[3:4]
	v_fma_f64 v[1:2], -v[1:2], v[53:54], v[58:59]
	v_div_fmas_f64 v[1:2], v[1:2], v[3:4], v[53:54]
	v_div_fixup_f64 v[1:2], v[1:2], v[55:56], v[47:48]
	v_fma_f64 v[3:4], v[47:48], v[1:2], v[55:56]
	v_div_scale_f64 v[47:48], null, v[3:4], v[3:4], 1.0
	v_div_scale_f64 v[58:59], vcc_lo, 1.0, v[3:4], 1.0
	v_rcp_f64_e32 v[53:54], v[47:48]
	v_fma_f64 v[55:56], -v[47:48], v[53:54], 1.0
	v_fma_f64 v[53:54], v[53:54], v[55:56], v[53:54]
	v_fma_f64 v[55:56], -v[47:48], v[53:54], 1.0
	v_fma_f64 v[53:54], v[53:54], v[55:56], v[53:54]
	v_mul_f64 v[55:56], v[58:59], v[53:54]
	v_fma_f64 v[47:48], -v[47:48], v[55:56], v[58:59]
	v_div_fmas_f64 v[47:48], v[47:48], v[53:54], v[55:56]
                                        ; implicit-def: $vgpr55_vgpr56
	v_div_fixup_f64 v[3:4], v[47:48], v[3:4], 1.0
                                        ; implicit-def: $vgpr47_vgpr48
	v_mul_f64 v[53:54], v[1:2], v[3:4]
	v_xor_b32_e32 v4, 0x80000000, v4
	v_xor_b32_e32 v2, 0x80000000, v54
	v_mov_b32_e32 v1, v53
.LBB62_4:
	s_andn2_saveexec_b32 s39, s39
	s_cbranch_execz .LBB62_6
; %bb.5:
	v_div_scale_f64 v[1:2], null, v[47:48], v[47:48], v[55:56]
	v_div_scale_f64 v[58:59], vcc_lo, v[55:56], v[47:48], v[55:56]
	v_rcp_f64_e32 v[3:4], v[1:2]
	v_fma_f64 v[53:54], -v[1:2], v[3:4], 1.0
	v_fma_f64 v[3:4], v[3:4], v[53:54], v[3:4]
	v_fma_f64 v[53:54], -v[1:2], v[3:4], 1.0
	v_fma_f64 v[3:4], v[3:4], v[53:54], v[3:4]
	v_mul_f64 v[53:54], v[58:59], v[3:4]
	v_fma_f64 v[1:2], -v[1:2], v[53:54], v[58:59]
	v_div_fmas_f64 v[1:2], v[1:2], v[3:4], v[53:54]
	v_div_fixup_f64 v[1:2], v[1:2], v[47:48], v[55:56]
	v_fma_f64 v[3:4], v[55:56], v[1:2], v[47:48]
	v_div_scale_f64 v[47:48], null, v[3:4], v[3:4], 1.0
	v_rcp_f64_e32 v[53:54], v[47:48]
	v_fma_f64 v[55:56], -v[47:48], v[53:54], 1.0
	v_fma_f64 v[53:54], v[53:54], v[55:56], v[53:54]
	v_fma_f64 v[55:56], -v[47:48], v[53:54], 1.0
	v_fma_f64 v[53:54], v[53:54], v[55:56], v[53:54]
	v_div_scale_f64 v[55:56], vcc_lo, 1.0, v[3:4], 1.0
	v_mul_f64 v[58:59], v[55:56], v[53:54]
	v_fma_f64 v[47:48], -v[47:48], v[58:59], v[55:56]
	v_div_fmas_f64 v[47:48], v[47:48], v[53:54], v[58:59]
	v_div_fixup_f64 v[53:54], v[47:48], v[3:4], 1.0
	v_mul_f64 v[3:4], v[1:2], -v[53:54]
	v_xor_b32_e32 v2, 0x80000000, v54
	v_mov_b32_e32 v1, v53
.LBB62_6:
	s_or_b32 exec_lo, exec_lo, s39
	buffer_store_dword v4, v57, s[0:3], 0 offen offset:12
	v_xor_b32_e32 v4, 0x80000000, v4
	buffer_store_dword v54, v57, s[0:3], 0 offen offset:4
	buffer_store_dword v53, v57, s[0:3], 0 offen
	buffer_store_dword v3, v57, s[0:3], 0 offen offset:8
	s_branch .LBB62_8
.LBB62_7:
	v_mov_b32_e32 v1, 0
	v_mov_b32_e32 v3, 0
	;; [unrolled: 1-line block ×4, first 2 shown]
.LBB62_8:
	v_add_nc_u32_e32 v48, 0x3f0, v153
	v_mov_b32_e32 v47, v153
	s_mov_b32 s71, 16
	s_mov_b32 s70, 32
	;; [unrolled: 1-line block ×61, first 2 shown]
	s_cmpk_eq_i32 s8, 0x79
	ds_write_b128 v153, v[1:4]
	s_cbranch_scc1 .LBB62_860
; %bb.9:
	v_mov_b32_e32 v4, s10
	v_cmp_eq_u32_e64 s4, 62, v0
	s_clause 0x3
	buffer_load_dword v1, v4, s[0:3], 0 offen
	buffer_load_dword v2, v4, s[0:3], 0 offen offset:4
	buffer_load_dword v3, v4, s[0:3], 0 offen offset:8
	;; [unrolled: 1-line block ×3, first 2 shown]
	s_waitcnt vmcnt(0)
	ds_write_b128 v48, v[1:4]
	s_waitcnt lgkmcnt(0)
	s_waitcnt_vscnt null, 0x0
	s_barrier
	buffer_gl0_inv
	s_and_saveexec_b32 s5, s4
	s_cbranch_execz .LBB62_13
; %bb.10:
	ds_read_b128 v[1:4], v48
	s_andn2_b32 vcc_lo, exec_lo, s7
	s_cbranch_vccnz .LBB62_12
; %bb.11:
	s_clause 0x3
	buffer_load_dword v53, v47, s[0:3], 0 offen offset:8
	buffer_load_dword v54, v47, s[0:3], 0 offen offset:12
	buffer_load_dword v55, v47, s[0:3], 0 offen
	buffer_load_dword v56, v47, s[0:3], 0 offen offset:4
	s_waitcnt vmcnt(2) lgkmcnt(0)
	v_mul_f64 v[57:58], v[3:4], v[53:54]
	v_mul_f64 v[53:54], v[1:2], v[53:54]
	s_waitcnt vmcnt(0)
	v_fma_f64 v[1:2], v[1:2], v[55:56], -v[57:58]
	v_fma_f64 v[3:4], v[3:4], v[55:56], v[53:54]
.LBB62_12:
	v_mov_b32_e32 v53, 0
	ds_read_b128 v[53:56], v53 offset:976
	s_waitcnt lgkmcnt(0)
	v_mul_f64 v[57:58], v[3:4], v[55:56]
	v_mul_f64 v[55:56], v[1:2], v[55:56]
	v_fma_f64 v[1:2], v[1:2], v[53:54], -v[57:58]
	v_fma_f64 v[3:4], v[3:4], v[53:54], v[55:56]
	buffer_store_dword v2, off, s[0:3], 0 offset:980
	buffer_store_dword v1, off, s[0:3], 0 offset:976
	;; [unrolled: 1-line block ×4, first 2 shown]
.LBB62_13:
	s_or_b32 exec_lo, exec_lo, s5
	v_mov_b32_e32 v4, s11
	v_cmp_lt_u32_e64 s5, 60, v0
	s_clause 0x3
	buffer_load_dword v1, v4, s[0:3], 0 offen
	buffer_load_dword v2, v4, s[0:3], 0 offen offset:4
	buffer_load_dword v3, v4, s[0:3], 0 offen offset:8
	;; [unrolled: 1-line block ×3, first 2 shown]
	s_waitcnt vmcnt(0)
	ds_write_b128 v48, v[1:4]
	s_waitcnt lgkmcnt(0)
	s_waitcnt_vscnt null, 0x0
	s_barrier
	buffer_gl0_inv
	s_and_saveexec_b32 s6, s5
	s_cbranch_execz .LBB62_19
; %bb.14:
	ds_read_b128 v[1:4], v48
	s_andn2_b32 vcc_lo, exec_lo, s7
	s_cbranch_vccnz .LBB62_16
; %bb.15:
	s_clause 0x3
	buffer_load_dword v53, v47, s[0:3], 0 offen offset:8
	buffer_load_dword v54, v47, s[0:3], 0 offen offset:12
	buffer_load_dword v55, v47, s[0:3], 0 offen
	buffer_load_dword v56, v47, s[0:3], 0 offen offset:4
	s_waitcnt vmcnt(2) lgkmcnt(0)
	v_mul_f64 v[57:58], v[3:4], v[53:54]
	v_mul_f64 v[53:54], v[1:2], v[53:54]
	s_waitcnt vmcnt(0)
	v_fma_f64 v[1:2], v[1:2], v[55:56], -v[57:58]
	v_fma_f64 v[3:4], v[3:4], v[55:56], v[53:54]
.LBB62_16:
	s_and_saveexec_b32 s8, s4
	s_cbranch_execz .LBB62_18
; %bb.17:
	s_clause 0x3
	buffer_load_dword v57, off, s[0:3], 0 offset:984
	buffer_load_dword v58, off, s[0:3], 0 offset:988
	;; [unrolled: 1-line block ×4, first 2 shown]
	v_mov_b32_e32 v53, 0
	ds_read_b128 v[53:56], v53 offset:1984
	s_waitcnt vmcnt(2) lgkmcnt(0)
	v_mul_f64 v[65:66], v[53:54], v[57:58]
	v_mul_f64 v[57:58], v[55:56], v[57:58]
	s_waitcnt vmcnt(0)
	v_fma_f64 v[55:56], v[55:56], v[59:60], v[65:66]
	v_fma_f64 v[53:54], v[53:54], v[59:60], -v[57:58]
	v_add_f64 v[3:4], v[3:4], v[55:56]
	v_add_f64 v[1:2], v[1:2], v[53:54]
.LBB62_18:
	s_or_b32 exec_lo, exec_lo, s8
	v_mov_b32_e32 v53, 0
	ds_read_b128 v[53:56], v53 offset:960
	s_waitcnt lgkmcnt(0)
	v_mul_f64 v[57:58], v[3:4], v[55:56]
	v_mul_f64 v[55:56], v[1:2], v[55:56]
	v_fma_f64 v[1:2], v[1:2], v[53:54], -v[57:58]
	v_fma_f64 v[3:4], v[3:4], v[53:54], v[55:56]
	buffer_store_dword v2, off, s[0:3], 0 offset:964
	buffer_store_dword v1, off, s[0:3], 0 offset:960
	;; [unrolled: 1-line block ×4, first 2 shown]
.LBB62_19:
	s_or_b32 exec_lo, exec_lo, s6
	v_mov_b32_e32 v4, s12
	v_cmp_lt_u32_e64 s4, 59, v0
	s_clause 0x3
	buffer_load_dword v1, v4, s[0:3], 0 offen
	buffer_load_dword v2, v4, s[0:3], 0 offen offset:4
	buffer_load_dword v3, v4, s[0:3], 0 offen offset:8
	;; [unrolled: 1-line block ×3, first 2 shown]
	s_waitcnt vmcnt(0)
	ds_write_b128 v48, v[1:4]
	s_waitcnt lgkmcnt(0)
	s_waitcnt_vscnt null, 0x0
	s_barrier
	buffer_gl0_inv
	s_and_saveexec_b32 s6, s4
	s_cbranch_execz .LBB62_33
; %bb.20:
	ds_read_b128 v[1:4], v48
	s_andn2_b32 vcc_lo, exec_lo, s7
	s_cbranch_vccnz .LBB62_22
; %bb.21:
	s_clause 0x3
	buffer_load_dword v53, v47, s[0:3], 0 offen offset:8
	buffer_load_dword v54, v47, s[0:3], 0 offen offset:12
	buffer_load_dword v55, v47, s[0:3], 0 offen
	buffer_load_dword v56, v47, s[0:3], 0 offen offset:4
	s_waitcnt vmcnt(2) lgkmcnt(0)
	v_mul_f64 v[57:58], v[3:4], v[53:54]
	v_mul_f64 v[53:54], v[1:2], v[53:54]
	s_waitcnt vmcnt(0)
	v_fma_f64 v[1:2], v[1:2], v[55:56], -v[57:58]
	v_fma_f64 v[3:4], v[3:4], v[55:56], v[53:54]
.LBB62_22:
	s_and_saveexec_b32 s8, s5
	s_cbranch_execz .LBB62_32
; %bb.23:
	v_subrev_nc_u32_e32 v54, 61, v0
	v_mov_b32_e32 v55, 60
	v_subrev_nc_u32_e32 v53, 60, v0
	s_mov_b32 s5, exec_lo
	v_cmpx_lt_u32_e32 6, v54
	s_cbranch_execz .LBB62_27
; %bb.24:
	v_and_b32_e32 v54, -8, v53
	s_movk_i32 s73, 0x7b0
	s_mov_b32 s72, 0
	s_mov_b32 s74, s11
	s_mov_b32 s75, 0
.LBB62_25:                              ; =>This Inner Loop Header: Depth=1
	v_mov_b32_e32 v55, s74
	v_mov_b32_e32 v188, s73
	s_add_i32 s76, s75, 8
	s_addk_i32 s75, 0x44
	v_cmp_eq_u32_e32 vcc_lo, s76, v54
	s_clause 0x1f
	buffer_load_dword v59, v55, s[0:3], 0 offen offset:8
	buffer_load_dword v60, v55, s[0:3], 0 offen offset:12
	;; [unrolled: 1-line block ×4, first 2 shown]
	buffer_load_dword v156, v55, s[0:3], 0 offen
	buffer_load_dword v157, v55, s[0:3], 0 offen offset:4
	buffer_load_dword v158, v55, s[0:3], 0 offen offset:40
	;; [unrolled: 1-line block ×27, first 2 shown]
	ds_read_b128 v[55:58], v188
	ds_read_b128 v[65:68], v188 offset:16
	ds_read_b128 v[69:72], v188 offset:32
	;; [unrolled: 1-line block ×3, first 2 shown]
	s_addk_i32 s73, 0x80
	s_addk_i32 s74, 0x80
	s_or_b32 s72, vcc_lo, s72
	s_waitcnt vmcnt(30) lgkmcnt(3)
	v_mul_f64 v[184:185], v[57:58], v[59:60]
	v_mul_f64 v[59:60], v[55:56], v[59:60]
	s_waitcnt vmcnt(28) lgkmcnt(2)
	v_mul_f64 v[186:187], v[67:68], v[154:155]
	v_mul_f64 v[154:155], v[65:66], v[154:155]
	s_waitcnt vmcnt(26)
	v_fma_f64 v[55:56], v[55:56], v[156:157], -v[184:185]
	v_fma_f64 v[57:58], v[57:58], v[156:157], v[59:60]
	s_waitcnt vmcnt(24) lgkmcnt(1)
	v_mul_f64 v[59:60], v[71:72], v[158:159]
	v_mul_f64 v[156:157], v[69:70], v[158:159]
	s_waitcnt vmcnt(22)
	v_fma_f64 v[65:66], v[65:66], v[160:161], -v[186:187]
	v_fma_f64 v[67:68], v[67:68], v[160:161], v[154:155]
	v_add_f64 v[1:2], v[1:2], v[55:56]
	v_add_f64 v[3:4], v[3:4], v[57:58]
	s_waitcnt vmcnt(20) lgkmcnt(0)
	v_mul_f64 v[55:56], v[75:76], v[162:163]
	v_mul_f64 v[57:58], v[73:74], v[162:163]
	s_waitcnt vmcnt(18)
	v_fma_f64 v[59:60], v[69:70], v[164:165], -v[59:60]
	v_fma_f64 v[69:70], v[71:72], v[164:165], v[156:157]
	v_add_f64 v[65:66], v[1:2], v[65:66]
	v_add_f64 v[67:68], v[3:4], v[67:68]
	ds_read_b128 v[1:4], v188 offset:64
	s_waitcnt vmcnt(14)
	v_fma_f64 v[73:74], v[73:74], v[168:169], -v[55:56]
	v_fma_f64 v[75:76], v[75:76], v[168:169], v[57:58]
	ds_read_b128 v[55:58], v188 offset:80
	s_waitcnt lgkmcnt(1)
	v_mul_f64 v[71:72], v[3:4], v[166:167]
	v_mul_f64 v[154:155], v[1:2], v[166:167]
	v_add_f64 v[59:60], v[65:66], v[59:60]
	v_add_f64 v[65:66], v[67:68], v[69:70]
	s_waitcnt vmcnt(12) lgkmcnt(0)
	v_mul_f64 v[67:68], v[57:58], v[170:171]
	v_mul_f64 v[69:70], v[55:56], v[170:171]
	s_waitcnt vmcnt(10)
	v_fma_f64 v[71:72], v[1:2], v[172:173], -v[71:72]
	v_fma_f64 v[154:155], v[3:4], v[172:173], v[154:155]
	v_add_f64 v[59:60], v[59:60], v[73:74]
	v_add_f64 v[65:66], v[65:66], v[75:76]
	ds_read_b128 v[1:4], v188 offset:96
	s_waitcnt vmcnt(6)
	v_fma_f64 v[67:68], v[55:56], v[176:177], -v[67:68]
	v_fma_f64 v[69:70], v[57:58], v[176:177], v[69:70]
	ds_read_b128 v[55:58], v188 offset:112
	s_waitcnt lgkmcnt(1)
	v_mul_f64 v[73:74], v[3:4], v[174:175]
	v_mul_f64 v[75:76], v[1:2], v[174:175]
	v_add_f64 v[59:60], v[59:60], v[71:72]
	v_add_f64 v[65:66], v[65:66], v[154:155]
	s_waitcnt vmcnt(4) lgkmcnt(0)
	v_mul_f64 v[71:72], v[57:58], v[178:179]
	v_mul_f64 v[154:155], v[55:56], v[178:179]
	s_waitcnt vmcnt(2)
	v_fma_f64 v[1:2], v[1:2], v[180:181], -v[73:74]
	v_fma_f64 v[3:4], v[3:4], v[180:181], v[75:76]
	v_add_f64 v[59:60], v[59:60], v[67:68]
	v_add_f64 v[65:66], v[65:66], v[69:70]
	s_waitcnt vmcnt(0)
	v_fma_f64 v[55:56], v[55:56], v[182:183], -v[71:72]
	v_fma_f64 v[57:58], v[57:58], v[182:183], v[154:155]
	v_add_f64 v[1:2], v[59:60], v[1:2]
	v_add_f64 v[3:4], v[65:66], v[3:4]
	;; [unrolled: 1-line block ×4, first 2 shown]
	v_mov_b32_e32 v55, s75
	s_mov_b32 s75, s76
	s_andn2_b32 exec_lo, exec_lo, s72
	s_cbranch_execnz .LBB62_25
; %bb.26:
	s_or_b32 exec_lo, exec_lo, s72
.LBB62_27:
	s_or_b32 exec_lo, exec_lo, s5
	v_and_b32_e32 v53, 7, v53
	s_mov_b32 s72, 0
	s_mov_b32 s5, exec_lo
	v_cmpx_ne_u32_e32 0, v53
	s_cbranch_execz .LBB62_31
; %bb.28:
	v_lshlrev_b32_e32 v55, 4, v55
	v_add_nc_u32_e32 v54, 0x3f0, v55
	.p2align	6
.LBB62_29:                              ; =>This Inner Loop Header: Depth=1
	s_clause 0x3
	buffer_load_dword v65, v55, s[0:3], 0 offen offset:8
	buffer_load_dword v66, v55, s[0:3], 0 offen offset:12
	buffer_load_dword v67, v55, s[0:3], 0 offen
	buffer_load_dword v68, v55, s[0:3], 0 offen offset:4
	ds_read_b128 v[56:59], v54
	v_add_nc_u32_e32 v53, -1, v53
	v_add_nc_u32_e32 v54, 16, v54
	v_add_nc_u32_e32 v55, 16, v55
	v_cmp_eq_u32_e32 vcc_lo, 0, v53
	s_or_b32 s72, vcc_lo, s72
	s_waitcnt vmcnt(2) lgkmcnt(0)
	v_mul_f64 v[69:70], v[58:59], v[65:66]
	v_mul_f64 v[65:66], v[56:57], v[65:66]
	s_waitcnt vmcnt(0)
	v_fma_f64 v[56:57], v[56:57], v[67:68], -v[69:70]
	v_fma_f64 v[58:59], v[58:59], v[67:68], v[65:66]
	v_add_f64 v[1:2], v[1:2], v[56:57]
	v_add_f64 v[3:4], v[3:4], v[58:59]
	s_andn2_b32 exec_lo, exec_lo, s72
	s_cbranch_execnz .LBB62_29
; %bb.30:
	s_or_b32 exec_lo, exec_lo, s72
.LBB62_31:
	s_or_b32 exec_lo, exec_lo, s5
.LBB62_32:
	s_or_b32 exec_lo, exec_lo, s8
	v_mov_b32_e32 v53, 0
	ds_read_b128 v[53:56], v53 offset:944
	s_waitcnt lgkmcnt(0)
	v_mul_f64 v[57:58], v[3:4], v[55:56]
	v_mul_f64 v[55:56], v[1:2], v[55:56]
	v_fma_f64 v[1:2], v[1:2], v[53:54], -v[57:58]
	v_fma_f64 v[3:4], v[3:4], v[53:54], v[55:56]
	buffer_store_dword v2, off, s[0:3], 0 offset:948
	buffer_store_dword v1, off, s[0:3], 0 offset:944
	;; [unrolled: 1-line block ×4, first 2 shown]
.LBB62_33:
	s_or_b32 exec_lo, exec_lo, s6
	v_mov_b32_e32 v4, s13
	v_cmp_lt_u32_e64 s5, 58, v0
	s_clause 0x3
	buffer_load_dword v1, v4, s[0:3], 0 offen
	buffer_load_dword v2, v4, s[0:3], 0 offen offset:4
	buffer_load_dword v3, v4, s[0:3], 0 offen offset:8
	;; [unrolled: 1-line block ×3, first 2 shown]
	s_waitcnt vmcnt(0)
	ds_write_b128 v48, v[1:4]
	s_waitcnt lgkmcnt(0)
	s_waitcnt_vscnt null, 0x0
	s_barrier
	buffer_gl0_inv
	s_and_saveexec_b32 s6, s5
	s_cbranch_execz .LBB62_47
; %bb.34:
	ds_read_b128 v[1:4], v48
	s_andn2_b32 vcc_lo, exec_lo, s7
	s_cbranch_vccnz .LBB62_36
; %bb.35:
	s_clause 0x3
	buffer_load_dword v53, v47, s[0:3], 0 offen offset:8
	buffer_load_dword v54, v47, s[0:3], 0 offen offset:12
	buffer_load_dword v55, v47, s[0:3], 0 offen
	buffer_load_dword v56, v47, s[0:3], 0 offen offset:4
	s_waitcnt vmcnt(2) lgkmcnt(0)
	v_mul_f64 v[57:58], v[3:4], v[53:54]
	v_mul_f64 v[53:54], v[1:2], v[53:54]
	s_waitcnt vmcnt(0)
	v_fma_f64 v[1:2], v[1:2], v[55:56], -v[57:58]
	v_fma_f64 v[3:4], v[3:4], v[55:56], v[53:54]
.LBB62_36:
	s_and_saveexec_b32 s8, s4
	s_cbranch_execz .LBB62_46
; %bb.37:
	v_subrev_nc_u32_e32 v54, 60, v0
	v_mov_b32_e32 v55, 59
	v_subrev_nc_u32_e32 v53, 59, v0
	s_mov_b32 s4, exec_lo
	v_cmpx_lt_u32_e32 6, v54
	s_cbranch_execz .LBB62_41
; %bb.38:
	v_and_b32_e32 v54, -8, v53
	s_movk_i32 s73, 0x7a0
	s_mov_b32 s72, 0
	s_mov_b32 s74, s12
	;; [unrolled: 1-line block ×3, first 2 shown]
.LBB62_39:                              ; =>This Inner Loop Header: Depth=1
	v_mov_b32_e32 v55, s74
	v_mov_b32_e32 v184, s73
	s_add_i32 s76, s75, 8
	s_addk_i32 s75, 0x43
	v_cmp_eq_u32_e32 vcc_lo, s76, v54
	s_clause 0x1f
	buffer_load_dword v59, v55, s[0:3], 0 offen offset:8
	buffer_load_dword v60, v55, s[0:3], 0 offen offset:12
	buffer_load_dword v69, v55, s[0:3], 0 offen
	buffer_load_dword v70, v55, s[0:3], 0 offen offset:4
	buffer_load_dword v71, v55, s[0:3], 0 offen offset:24
	;; [unrolled: 1-line block ×29, first 2 shown]
	ds_read_b128 v[55:58], v184
	ds_read_b128 v[65:68], v184 offset:16
	s_addk_i32 s73, 0x80
	s_addk_i32 s74, 0x80
	s_or_b32 s72, vcc_lo, s72
	s_waitcnt vmcnt(30) lgkmcnt(1)
	v_mul_f64 v[176:177], v[57:58], v[59:60]
	v_mul_f64 v[59:60], v[55:56], v[59:60]
	s_waitcnt vmcnt(26) lgkmcnt(0)
	v_mul_f64 v[178:179], v[67:68], v[71:72]
	v_mul_f64 v[180:181], v[65:66], v[71:72]
	v_fma_f64 v[176:177], v[55:56], v[69:70], -v[176:177]
	v_fma_f64 v[59:60], v[57:58], v[69:70], v[59:60]
	ds_read_b128 v[55:58], v184 offset:32
	ds_read_b128 v[69:72], v184 offset:48
	s_waitcnt vmcnt(24)
	v_fma_f64 v[65:66], v[65:66], v[73:74], -v[178:179]
	v_fma_f64 v[67:68], v[67:68], v[73:74], v[180:181]
	s_waitcnt vmcnt(22) lgkmcnt(1)
	v_mul_f64 v[182:183], v[57:58], v[75:76]
	v_mul_f64 v[75:76], v[55:56], v[75:76]
	v_add_f64 v[1:2], v[1:2], v[176:177]
	v_add_f64 v[3:4], v[3:4], v[59:60]
	s_waitcnt vmcnt(18) lgkmcnt(0)
	v_mul_f64 v[59:60], v[71:72], v[156:157]
	v_mul_f64 v[73:74], v[69:70], v[156:157]
	v_fma_f64 v[156:157], v[55:56], v[154:155], -v[182:183]
	v_fma_f64 v[75:76], v[57:58], v[154:155], v[75:76]
	v_add_f64 v[65:66], v[1:2], v[65:66]
	v_add_f64 v[67:68], v[3:4], v[67:68]
	ds_read_b128 v[1:4], v184 offset:64
	ds_read_b128 v[55:58], v184 offset:80
	s_waitcnt vmcnt(16)
	v_fma_f64 v[59:60], v[69:70], v[158:159], -v[59:60]
	v_fma_f64 v[69:70], v[71:72], v[158:159], v[73:74]
	s_waitcnt vmcnt(12) lgkmcnt(1)
	v_mul_f64 v[154:155], v[3:4], v[160:161]
	v_mul_f64 v[160:161], v[1:2], v[160:161]
	v_add_f64 v[65:66], v[65:66], v[156:157]
	v_add_f64 v[67:68], v[67:68], v[75:76]
	s_waitcnt vmcnt(10) lgkmcnt(0)
	v_mul_f64 v[71:72], v[57:58], v[162:163]
	v_mul_f64 v[73:74], v[55:56], v[162:163]
	s_waitcnt vmcnt(8)
	v_fma_f64 v[75:76], v[1:2], v[166:167], -v[154:155]
	v_fma_f64 v[154:155], v[3:4], v[166:167], v[160:161]
	v_add_f64 v[59:60], v[65:66], v[59:60]
	v_add_f64 v[69:70], v[67:68], v[69:70]
	ds_read_b128 v[1:4], v184 offset:96
	ds_read_b128 v[65:68], v184 offset:112
	v_fma_f64 v[55:56], v[55:56], v[164:165], -v[71:72]
	v_fma_f64 v[57:58], v[57:58], v[164:165], v[73:74]
	s_waitcnt vmcnt(4) lgkmcnt(1)
	v_mul_f64 v[156:157], v[3:4], v[168:169]
	v_mul_f64 v[158:159], v[1:2], v[168:169]
	v_add_f64 v[59:60], v[59:60], v[75:76]
	v_add_f64 v[69:70], v[69:70], v[154:155]
	s_waitcnt vmcnt(2) lgkmcnt(0)
	v_mul_f64 v[71:72], v[67:68], v[170:171]
	v_mul_f64 v[73:74], v[65:66], v[170:171]
	s_waitcnt vmcnt(0)
	v_fma_f64 v[1:2], v[1:2], v[174:175], -v[156:157]
	v_fma_f64 v[3:4], v[3:4], v[174:175], v[158:159]
	v_add_f64 v[55:56], v[59:60], v[55:56]
	v_add_f64 v[57:58], v[69:70], v[57:58]
	v_fma_f64 v[59:60], v[65:66], v[172:173], -v[71:72]
	v_fma_f64 v[65:66], v[67:68], v[172:173], v[73:74]
	v_add_f64 v[1:2], v[55:56], v[1:2]
	v_add_f64 v[3:4], v[57:58], v[3:4]
	v_mov_b32_e32 v55, s75
	s_mov_b32 s75, s76
	v_add_f64 v[1:2], v[1:2], v[59:60]
	v_add_f64 v[3:4], v[3:4], v[65:66]
	s_andn2_b32 exec_lo, exec_lo, s72
	s_cbranch_execnz .LBB62_39
; %bb.40:
	s_or_b32 exec_lo, exec_lo, s72
.LBB62_41:
	s_or_b32 exec_lo, exec_lo, s4
	v_and_b32_e32 v53, 7, v53
	s_mov_b32 s72, 0
	s_mov_b32 s4, exec_lo
	v_cmpx_ne_u32_e32 0, v53
	s_cbranch_execz .LBB62_45
; %bb.42:
	v_lshlrev_b32_e32 v55, 4, v55
	v_add_nc_u32_e32 v54, 0x3f0, v55
	.p2align	6
.LBB62_43:                              ; =>This Inner Loop Header: Depth=1
	s_clause 0x3
	buffer_load_dword v65, v55, s[0:3], 0 offen offset:8
	buffer_load_dword v66, v55, s[0:3], 0 offen offset:12
	buffer_load_dword v67, v55, s[0:3], 0 offen
	buffer_load_dword v68, v55, s[0:3], 0 offen offset:4
	ds_read_b128 v[56:59], v54
	v_add_nc_u32_e32 v53, -1, v53
	v_add_nc_u32_e32 v54, 16, v54
	v_add_nc_u32_e32 v55, 16, v55
	v_cmp_eq_u32_e32 vcc_lo, 0, v53
	s_or_b32 s72, vcc_lo, s72
	s_waitcnt vmcnt(2) lgkmcnt(0)
	v_mul_f64 v[69:70], v[58:59], v[65:66]
	v_mul_f64 v[65:66], v[56:57], v[65:66]
	s_waitcnt vmcnt(0)
	v_fma_f64 v[56:57], v[56:57], v[67:68], -v[69:70]
	v_fma_f64 v[58:59], v[58:59], v[67:68], v[65:66]
	v_add_f64 v[1:2], v[1:2], v[56:57]
	v_add_f64 v[3:4], v[3:4], v[58:59]
	s_andn2_b32 exec_lo, exec_lo, s72
	s_cbranch_execnz .LBB62_43
; %bb.44:
	s_or_b32 exec_lo, exec_lo, s72
.LBB62_45:
	s_or_b32 exec_lo, exec_lo, s4
.LBB62_46:
	s_or_b32 exec_lo, exec_lo, s8
	v_mov_b32_e32 v53, 0
	ds_read_b128 v[53:56], v53 offset:928
	s_waitcnt lgkmcnt(0)
	v_mul_f64 v[57:58], v[3:4], v[55:56]
	v_mul_f64 v[55:56], v[1:2], v[55:56]
	v_fma_f64 v[1:2], v[1:2], v[53:54], -v[57:58]
	v_fma_f64 v[3:4], v[3:4], v[53:54], v[55:56]
	buffer_store_dword v2, off, s[0:3], 0 offset:932
	buffer_store_dword v1, off, s[0:3], 0 offset:928
	;; [unrolled: 1-line block ×4, first 2 shown]
.LBB62_47:
	s_or_b32 exec_lo, exec_lo, s6
	v_mov_b32_e32 v4, s14
	v_cmp_lt_u32_e64 s4, 57, v0
	s_clause 0x3
	buffer_load_dword v1, v4, s[0:3], 0 offen
	buffer_load_dword v2, v4, s[0:3], 0 offen offset:4
	buffer_load_dword v3, v4, s[0:3], 0 offen offset:8
	;; [unrolled: 1-line block ×3, first 2 shown]
	s_waitcnt vmcnt(0)
	ds_write_b128 v48, v[1:4]
	s_waitcnt lgkmcnt(0)
	s_waitcnt_vscnt null, 0x0
	s_barrier
	buffer_gl0_inv
	s_and_saveexec_b32 s6, s4
	s_cbranch_execz .LBB62_61
; %bb.48:
	ds_read_b128 v[1:4], v48
	s_andn2_b32 vcc_lo, exec_lo, s7
	s_cbranch_vccnz .LBB62_50
; %bb.49:
	s_clause 0x3
	buffer_load_dword v53, v47, s[0:3], 0 offen offset:8
	buffer_load_dword v54, v47, s[0:3], 0 offen offset:12
	buffer_load_dword v55, v47, s[0:3], 0 offen
	buffer_load_dword v56, v47, s[0:3], 0 offen offset:4
	s_waitcnt vmcnt(2) lgkmcnt(0)
	v_mul_f64 v[57:58], v[3:4], v[53:54]
	v_mul_f64 v[53:54], v[1:2], v[53:54]
	s_waitcnt vmcnt(0)
	v_fma_f64 v[1:2], v[1:2], v[55:56], -v[57:58]
	v_fma_f64 v[3:4], v[3:4], v[55:56], v[53:54]
.LBB62_50:
	s_and_saveexec_b32 s8, s5
	s_cbranch_execz .LBB62_60
; %bb.51:
	v_subrev_nc_u32_e32 v54, 59, v0
	v_mov_b32_e32 v55, 58
	v_subrev_nc_u32_e32 v53, 58, v0
	s_mov_b32 s5, exec_lo
	v_cmpx_lt_u32_e32 6, v54
	s_cbranch_execz .LBB62_55
; %bb.52:
	v_and_b32_e32 v54, -8, v53
	s_movk_i32 s73, 0x790
	s_mov_b32 s72, 0
	s_mov_b32 s74, s13
	;; [unrolled: 1-line block ×3, first 2 shown]
.LBB62_53:                              ; =>This Inner Loop Header: Depth=1
	v_mov_b32_e32 v55, s74
	v_mov_b32_e32 v184, s73
	s_add_i32 s76, s75, 8
	s_addk_i32 s75, 0x42
	v_cmp_eq_u32_e32 vcc_lo, s76, v54
	s_clause 0x1f
	buffer_load_dword v59, v55, s[0:3], 0 offen offset:8
	buffer_load_dword v60, v55, s[0:3], 0 offen offset:12
	buffer_load_dword v69, v55, s[0:3], 0 offen
	buffer_load_dword v70, v55, s[0:3], 0 offen offset:4
	buffer_load_dword v71, v55, s[0:3], 0 offen offset:24
	;; [unrolled: 1-line block ×29, first 2 shown]
	ds_read_b128 v[55:58], v184
	ds_read_b128 v[65:68], v184 offset:16
	s_addk_i32 s73, 0x80
	s_addk_i32 s74, 0x80
	s_or_b32 s72, vcc_lo, s72
	s_waitcnt vmcnt(30) lgkmcnt(1)
	v_mul_f64 v[176:177], v[57:58], v[59:60]
	v_mul_f64 v[59:60], v[55:56], v[59:60]
	s_waitcnt vmcnt(26) lgkmcnt(0)
	v_mul_f64 v[178:179], v[67:68], v[71:72]
	v_mul_f64 v[180:181], v[65:66], v[71:72]
	v_fma_f64 v[176:177], v[55:56], v[69:70], -v[176:177]
	v_fma_f64 v[59:60], v[57:58], v[69:70], v[59:60]
	ds_read_b128 v[55:58], v184 offset:32
	ds_read_b128 v[69:72], v184 offset:48
	s_waitcnt vmcnt(24)
	v_fma_f64 v[65:66], v[65:66], v[73:74], -v[178:179]
	v_fma_f64 v[67:68], v[67:68], v[73:74], v[180:181]
	s_waitcnt vmcnt(22) lgkmcnt(1)
	v_mul_f64 v[182:183], v[57:58], v[75:76]
	v_mul_f64 v[75:76], v[55:56], v[75:76]
	v_add_f64 v[1:2], v[1:2], v[176:177]
	v_add_f64 v[3:4], v[3:4], v[59:60]
	s_waitcnt vmcnt(18) lgkmcnt(0)
	v_mul_f64 v[59:60], v[71:72], v[156:157]
	v_mul_f64 v[73:74], v[69:70], v[156:157]
	v_fma_f64 v[156:157], v[55:56], v[154:155], -v[182:183]
	v_fma_f64 v[75:76], v[57:58], v[154:155], v[75:76]
	v_add_f64 v[65:66], v[1:2], v[65:66]
	v_add_f64 v[67:68], v[3:4], v[67:68]
	ds_read_b128 v[1:4], v184 offset:64
	ds_read_b128 v[55:58], v184 offset:80
	s_waitcnt vmcnt(16)
	v_fma_f64 v[59:60], v[69:70], v[158:159], -v[59:60]
	v_fma_f64 v[69:70], v[71:72], v[158:159], v[73:74]
	s_waitcnt vmcnt(12) lgkmcnt(1)
	v_mul_f64 v[154:155], v[3:4], v[160:161]
	v_mul_f64 v[160:161], v[1:2], v[160:161]
	v_add_f64 v[65:66], v[65:66], v[156:157]
	v_add_f64 v[67:68], v[67:68], v[75:76]
	s_waitcnt vmcnt(10) lgkmcnt(0)
	v_mul_f64 v[71:72], v[57:58], v[162:163]
	v_mul_f64 v[73:74], v[55:56], v[162:163]
	s_waitcnt vmcnt(8)
	v_fma_f64 v[75:76], v[1:2], v[166:167], -v[154:155]
	v_fma_f64 v[154:155], v[3:4], v[166:167], v[160:161]
	v_add_f64 v[59:60], v[65:66], v[59:60]
	v_add_f64 v[69:70], v[67:68], v[69:70]
	ds_read_b128 v[1:4], v184 offset:96
	ds_read_b128 v[65:68], v184 offset:112
	v_fma_f64 v[55:56], v[55:56], v[164:165], -v[71:72]
	v_fma_f64 v[57:58], v[57:58], v[164:165], v[73:74]
	s_waitcnt vmcnt(4) lgkmcnt(1)
	v_mul_f64 v[156:157], v[3:4], v[168:169]
	v_mul_f64 v[158:159], v[1:2], v[168:169]
	v_add_f64 v[59:60], v[59:60], v[75:76]
	v_add_f64 v[69:70], v[69:70], v[154:155]
	s_waitcnt vmcnt(2) lgkmcnt(0)
	v_mul_f64 v[71:72], v[67:68], v[170:171]
	v_mul_f64 v[73:74], v[65:66], v[170:171]
	s_waitcnt vmcnt(0)
	v_fma_f64 v[1:2], v[1:2], v[174:175], -v[156:157]
	v_fma_f64 v[3:4], v[3:4], v[174:175], v[158:159]
	v_add_f64 v[55:56], v[59:60], v[55:56]
	v_add_f64 v[57:58], v[69:70], v[57:58]
	v_fma_f64 v[59:60], v[65:66], v[172:173], -v[71:72]
	v_fma_f64 v[65:66], v[67:68], v[172:173], v[73:74]
	v_add_f64 v[1:2], v[55:56], v[1:2]
	v_add_f64 v[3:4], v[57:58], v[3:4]
	v_mov_b32_e32 v55, s75
	s_mov_b32 s75, s76
	v_add_f64 v[1:2], v[1:2], v[59:60]
	v_add_f64 v[3:4], v[3:4], v[65:66]
	s_andn2_b32 exec_lo, exec_lo, s72
	s_cbranch_execnz .LBB62_53
; %bb.54:
	s_or_b32 exec_lo, exec_lo, s72
.LBB62_55:
	s_or_b32 exec_lo, exec_lo, s5
	v_and_b32_e32 v53, 7, v53
	s_mov_b32 s72, 0
	s_mov_b32 s5, exec_lo
	v_cmpx_ne_u32_e32 0, v53
	s_cbranch_execz .LBB62_59
; %bb.56:
	v_lshlrev_b32_e32 v55, 4, v55
	v_add_nc_u32_e32 v54, 0x3f0, v55
	.p2align	6
.LBB62_57:                              ; =>This Inner Loop Header: Depth=1
	s_clause 0x3
	buffer_load_dword v65, v55, s[0:3], 0 offen offset:8
	buffer_load_dword v66, v55, s[0:3], 0 offen offset:12
	buffer_load_dword v67, v55, s[0:3], 0 offen
	buffer_load_dword v68, v55, s[0:3], 0 offen offset:4
	ds_read_b128 v[56:59], v54
	v_add_nc_u32_e32 v53, -1, v53
	v_add_nc_u32_e32 v54, 16, v54
	v_add_nc_u32_e32 v55, 16, v55
	v_cmp_eq_u32_e32 vcc_lo, 0, v53
	s_or_b32 s72, vcc_lo, s72
	s_waitcnt vmcnt(2) lgkmcnt(0)
	v_mul_f64 v[69:70], v[58:59], v[65:66]
	v_mul_f64 v[65:66], v[56:57], v[65:66]
	s_waitcnt vmcnt(0)
	v_fma_f64 v[56:57], v[56:57], v[67:68], -v[69:70]
	v_fma_f64 v[58:59], v[58:59], v[67:68], v[65:66]
	v_add_f64 v[1:2], v[1:2], v[56:57]
	v_add_f64 v[3:4], v[3:4], v[58:59]
	s_andn2_b32 exec_lo, exec_lo, s72
	s_cbranch_execnz .LBB62_57
; %bb.58:
	s_or_b32 exec_lo, exec_lo, s72
.LBB62_59:
	s_or_b32 exec_lo, exec_lo, s5
.LBB62_60:
	s_or_b32 exec_lo, exec_lo, s8
	v_mov_b32_e32 v53, 0
	ds_read_b128 v[53:56], v53 offset:912
	s_waitcnt lgkmcnt(0)
	v_mul_f64 v[57:58], v[3:4], v[55:56]
	v_mul_f64 v[55:56], v[1:2], v[55:56]
	v_fma_f64 v[1:2], v[1:2], v[53:54], -v[57:58]
	v_fma_f64 v[3:4], v[3:4], v[53:54], v[55:56]
	buffer_store_dword v2, off, s[0:3], 0 offset:916
	buffer_store_dword v1, off, s[0:3], 0 offset:912
	;; [unrolled: 1-line block ×4, first 2 shown]
.LBB62_61:
	s_or_b32 exec_lo, exec_lo, s6
	v_mov_b32_e32 v4, s15
	v_cmp_lt_u32_e64 s5, 56, v0
	s_clause 0x3
	buffer_load_dword v1, v4, s[0:3], 0 offen
	buffer_load_dword v2, v4, s[0:3], 0 offen offset:4
	buffer_load_dword v3, v4, s[0:3], 0 offen offset:8
	;; [unrolled: 1-line block ×3, first 2 shown]
	s_waitcnt vmcnt(0)
	ds_write_b128 v48, v[1:4]
	s_waitcnt lgkmcnt(0)
	s_waitcnt_vscnt null, 0x0
	s_barrier
	buffer_gl0_inv
	s_and_saveexec_b32 s6, s5
	s_cbranch_execz .LBB62_75
; %bb.62:
	ds_read_b128 v[1:4], v48
	s_andn2_b32 vcc_lo, exec_lo, s7
	s_cbranch_vccnz .LBB62_64
; %bb.63:
	s_clause 0x3
	buffer_load_dword v53, v47, s[0:3], 0 offen offset:8
	buffer_load_dword v54, v47, s[0:3], 0 offen offset:12
	buffer_load_dword v55, v47, s[0:3], 0 offen
	buffer_load_dword v56, v47, s[0:3], 0 offen offset:4
	s_waitcnt vmcnt(2) lgkmcnt(0)
	v_mul_f64 v[57:58], v[3:4], v[53:54]
	v_mul_f64 v[53:54], v[1:2], v[53:54]
	s_waitcnt vmcnt(0)
	v_fma_f64 v[1:2], v[1:2], v[55:56], -v[57:58]
	v_fma_f64 v[3:4], v[3:4], v[55:56], v[53:54]
.LBB62_64:
	s_and_saveexec_b32 s8, s4
	s_cbranch_execz .LBB62_74
; %bb.65:
	v_subrev_nc_u32_e32 v54, 58, v0
	v_mov_b32_e32 v55, 57
	v_subrev_nc_u32_e32 v53, 57, v0
	s_mov_b32 s4, exec_lo
	v_cmpx_lt_u32_e32 6, v54
	s_cbranch_execz .LBB62_69
; %bb.66:
	v_and_b32_e32 v54, -8, v53
	s_movk_i32 s73, 0x780
	s_mov_b32 s72, 0
	s_mov_b32 s74, s14
	;; [unrolled: 1-line block ×3, first 2 shown]
.LBB62_67:                              ; =>This Inner Loop Header: Depth=1
	v_mov_b32_e32 v55, s74
	v_mov_b32_e32 v184, s73
	s_add_i32 s76, s75, 8
	s_addk_i32 s75, 0x41
	v_cmp_eq_u32_e32 vcc_lo, s76, v54
	s_clause 0x1f
	buffer_load_dword v59, v55, s[0:3], 0 offen offset:8
	buffer_load_dword v60, v55, s[0:3], 0 offen offset:12
	buffer_load_dword v69, v55, s[0:3], 0 offen
	buffer_load_dword v70, v55, s[0:3], 0 offen offset:4
	buffer_load_dword v71, v55, s[0:3], 0 offen offset:24
	;; [unrolled: 1-line block ×29, first 2 shown]
	ds_read_b128 v[55:58], v184
	ds_read_b128 v[65:68], v184 offset:16
	s_addk_i32 s73, 0x80
	s_addk_i32 s74, 0x80
	s_or_b32 s72, vcc_lo, s72
	s_waitcnt vmcnt(30) lgkmcnt(1)
	v_mul_f64 v[176:177], v[57:58], v[59:60]
	v_mul_f64 v[59:60], v[55:56], v[59:60]
	s_waitcnt vmcnt(26) lgkmcnt(0)
	v_mul_f64 v[178:179], v[67:68], v[71:72]
	v_mul_f64 v[180:181], v[65:66], v[71:72]
	v_fma_f64 v[176:177], v[55:56], v[69:70], -v[176:177]
	v_fma_f64 v[59:60], v[57:58], v[69:70], v[59:60]
	ds_read_b128 v[55:58], v184 offset:32
	ds_read_b128 v[69:72], v184 offset:48
	s_waitcnt vmcnt(24)
	v_fma_f64 v[65:66], v[65:66], v[73:74], -v[178:179]
	v_fma_f64 v[67:68], v[67:68], v[73:74], v[180:181]
	s_waitcnt vmcnt(22) lgkmcnt(1)
	v_mul_f64 v[182:183], v[57:58], v[75:76]
	v_mul_f64 v[75:76], v[55:56], v[75:76]
	v_add_f64 v[1:2], v[1:2], v[176:177]
	v_add_f64 v[3:4], v[3:4], v[59:60]
	s_waitcnt vmcnt(18) lgkmcnt(0)
	v_mul_f64 v[59:60], v[71:72], v[156:157]
	v_mul_f64 v[73:74], v[69:70], v[156:157]
	v_fma_f64 v[156:157], v[55:56], v[154:155], -v[182:183]
	v_fma_f64 v[75:76], v[57:58], v[154:155], v[75:76]
	v_add_f64 v[65:66], v[1:2], v[65:66]
	v_add_f64 v[67:68], v[3:4], v[67:68]
	ds_read_b128 v[1:4], v184 offset:64
	ds_read_b128 v[55:58], v184 offset:80
	s_waitcnt vmcnt(16)
	v_fma_f64 v[59:60], v[69:70], v[158:159], -v[59:60]
	v_fma_f64 v[69:70], v[71:72], v[158:159], v[73:74]
	s_waitcnt vmcnt(12) lgkmcnt(1)
	v_mul_f64 v[154:155], v[3:4], v[160:161]
	v_mul_f64 v[160:161], v[1:2], v[160:161]
	v_add_f64 v[65:66], v[65:66], v[156:157]
	v_add_f64 v[67:68], v[67:68], v[75:76]
	s_waitcnt vmcnt(10) lgkmcnt(0)
	v_mul_f64 v[71:72], v[57:58], v[162:163]
	v_mul_f64 v[73:74], v[55:56], v[162:163]
	s_waitcnt vmcnt(8)
	v_fma_f64 v[75:76], v[1:2], v[166:167], -v[154:155]
	v_fma_f64 v[154:155], v[3:4], v[166:167], v[160:161]
	v_add_f64 v[59:60], v[65:66], v[59:60]
	v_add_f64 v[69:70], v[67:68], v[69:70]
	ds_read_b128 v[1:4], v184 offset:96
	ds_read_b128 v[65:68], v184 offset:112
	v_fma_f64 v[55:56], v[55:56], v[164:165], -v[71:72]
	v_fma_f64 v[57:58], v[57:58], v[164:165], v[73:74]
	s_waitcnt vmcnt(4) lgkmcnt(1)
	v_mul_f64 v[156:157], v[3:4], v[168:169]
	v_mul_f64 v[158:159], v[1:2], v[168:169]
	v_add_f64 v[59:60], v[59:60], v[75:76]
	v_add_f64 v[69:70], v[69:70], v[154:155]
	s_waitcnt vmcnt(2) lgkmcnt(0)
	v_mul_f64 v[71:72], v[67:68], v[170:171]
	v_mul_f64 v[73:74], v[65:66], v[170:171]
	s_waitcnt vmcnt(0)
	v_fma_f64 v[1:2], v[1:2], v[174:175], -v[156:157]
	v_fma_f64 v[3:4], v[3:4], v[174:175], v[158:159]
	v_add_f64 v[55:56], v[59:60], v[55:56]
	v_add_f64 v[57:58], v[69:70], v[57:58]
	v_fma_f64 v[59:60], v[65:66], v[172:173], -v[71:72]
	v_fma_f64 v[65:66], v[67:68], v[172:173], v[73:74]
	v_add_f64 v[1:2], v[55:56], v[1:2]
	v_add_f64 v[3:4], v[57:58], v[3:4]
	v_mov_b32_e32 v55, s75
	s_mov_b32 s75, s76
	v_add_f64 v[1:2], v[1:2], v[59:60]
	v_add_f64 v[3:4], v[3:4], v[65:66]
	s_andn2_b32 exec_lo, exec_lo, s72
	s_cbranch_execnz .LBB62_67
; %bb.68:
	s_or_b32 exec_lo, exec_lo, s72
.LBB62_69:
	s_or_b32 exec_lo, exec_lo, s4
	v_and_b32_e32 v53, 7, v53
	s_mov_b32 s72, 0
	s_mov_b32 s4, exec_lo
	v_cmpx_ne_u32_e32 0, v53
	s_cbranch_execz .LBB62_73
; %bb.70:
	v_lshlrev_b32_e32 v55, 4, v55
	v_add_nc_u32_e32 v54, 0x3f0, v55
	.p2align	6
.LBB62_71:                              ; =>This Inner Loop Header: Depth=1
	s_clause 0x3
	buffer_load_dword v65, v55, s[0:3], 0 offen offset:8
	buffer_load_dword v66, v55, s[0:3], 0 offen offset:12
	buffer_load_dword v67, v55, s[0:3], 0 offen
	buffer_load_dword v68, v55, s[0:3], 0 offen offset:4
	ds_read_b128 v[56:59], v54
	v_add_nc_u32_e32 v53, -1, v53
	v_add_nc_u32_e32 v54, 16, v54
	v_add_nc_u32_e32 v55, 16, v55
	v_cmp_eq_u32_e32 vcc_lo, 0, v53
	s_or_b32 s72, vcc_lo, s72
	s_waitcnt vmcnt(2) lgkmcnt(0)
	v_mul_f64 v[69:70], v[58:59], v[65:66]
	v_mul_f64 v[65:66], v[56:57], v[65:66]
	s_waitcnt vmcnt(0)
	v_fma_f64 v[56:57], v[56:57], v[67:68], -v[69:70]
	v_fma_f64 v[58:59], v[58:59], v[67:68], v[65:66]
	v_add_f64 v[1:2], v[1:2], v[56:57]
	v_add_f64 v[3:4], v[3:4], v[58:59]
	s_andn2_b32 exec_lo, exec_lo, s72
	s_cbranch_execnz .LBB62_71
; %bb.72:
	s_or_b32 exec_lo, exec_lo, s72
.LBB62_73:
	s_or_b32 exec_lo, exec_lo, s4
.LBB62_74:
	s_or_b32 exec_lo, exec_lo, s8
	v_mov_b32_e32 v53, 0
	ds_read_b128 v[53:56], v53 offset:896
	s_waitcnt lgkmcnt(0)
	v_mul_f64 v[57:58], v[3:4], v[55:56]
	v_mul_f64 v[55:56], v[1:2], v[55:56]
	v_fma_f64 v[1:2], v[1:2], v[53:54], -v[57:58]
	v_fma_f64 v[3:4], v[3:4], v[53:54], v[55:56]
	buffer_store_dword v2, off, s[0:3], 0 offset:900
	buffer_store_dword v1, off, s[0:3], 0 offset:896
	;; [unrolled: 1-line block ×4, first 2 shown]
.LBB62_75:
	s_or_b32 exec_lo, exec_lo, s6
	v_mov_b32_e32 v4, s16
	v_cmp_lt_u32_e64 s6, 55, v0
	s_clause 0x3
	buffer_load_dword v1, v4, s[0:3], 0 offen
	buffer_load_dword v2, v4, s[0:3], 0 offen offset:4
	buffer_load_dword v3, v4, s[0:3], 0 offen offset:8
	;; [unrolled: 1-line block ×3, first 2 shown]
	s_waitcnt vmcnt(0)
	ds_write_b128 v48, v[1:4]
	s_waitcnt lgkmcnt(0)
	s_waitcnt_vscnt null, 0x0
	s_barrier
	buffer_gl0_inv
	s_and_saveexec_b32 s4, s6
	s_cbranch_execz .LBB62_89
; %bb.76:
	ds_read_b128 v[1:4], v48
	s_andn2_b32 vcc_lo, exec_lo, s7
	s_cbranch_vccnz .LBB62_78
; %bb.77:
	s_clause 0x3
	buffer_load_dword v53, v47, s[0:3], 0 offen offset:8
	buffer_load_dword v54, v47, s[0:3], 0 offen offset:12
	buffer_load_dword v55, v47, s[0:3], 0 offen
	buffer_load_dword v56, v47, s[0:3], 0 offen offset:4
	s_waitcnt vmcnt(2) lgkmcnt(0)
	v_mul_f64 v[57:58], v[3:4], v[53:54]
	v_mul_f64 v[53:54], v[1:2], v[53:54]
	s_waitcnt vmcnt(0)
	v_fma_f64 v[1:2], v[1:2], v[55:56], -v[57:58]
	v_fma_f64 v[3:4], v[3:4], v[55:56], v[53:54]
.LBB62_78:
	s_and_saveexec_b32 s8, s5
	s_cbranch_execz .LBB62_88
; %bb.79:
	v_subrev_nc_u32_e32 v53, 57, v0
	v_cmp_lt_u32_e32 vcc_lo, 6, v53
	v_mov_b32_e32 v53, 56
	s_and_saveexec_b32 s5, vcc_lo
	s_cbranch_execz .LBB62_83
; %bb.80:
	v_and_b32_e32 v53, 56, v0
	s_mov_b32 s72, 56
	s_movk_i32 s74, 0x770
	s_mov_b32 s73, 0
	s_mov_b32 s75, s15
.LBB62_81:                              ; =>This Inner Loop Header: Depth=1
	v_mov_b32_e32 v54, s75
	v_mov_b32_e32 v60, s74
	s_add_i32 s72, s72, 8
	s_addk_i32 s74, 0x80
	v_cmp_eq_u32_e32 vcc_lo, s72, v53
	s_clause 0x1f
	buffer_load_dword v58, v54, s[0:3], 0 offen offset:8
	buffer_load_dword v59, v54, s[0:3], 0 offen offset:12
	buffer_load_dword v69, v54, s[0:3], 0 offen
	buffer_load_dword v70, v54, s[0:3], 0 offen offset:4
	buffer_load_dword v71, v54, s[0:3], 0 offen offset:24
	;; [unrolled: 1-line block ×29, first 2 shown]
	ds_read_b128 v[54:57], v60
	ds_read_b128 v[65:68], v60 offset:16
	s_addk_i32 s75, 0x80
	s_or_b32 s73, vcc_lo, s73
	s_waitcnt vmcnt(30) lgkmcnt(1)
	v_mul_f64 v[176:177], v[56:57], v[58:59]
	v_mul_f64 v[58:59], v[54:55], v[58:59]
	s_waitcnt vmcnt(26) lgkmcnt(0)
	v_mul_f64 v[178:179], v[67:68], v[71:72]
	v_mul_f64 v[180:181], v[65:66], v[71:72]
	v_fma_f64 v[176:177], v[54:55], v[69:70], -v[176:177]
	v_fma_f64 v[58:59], v[56:57], v[69:70], v[58:59]
	ds_read_b128 v[54:57], v60 offset:32
	ds_read_b128 v[69:72], v60 offset:48
	s_waitcnt vmcnt(24)
	v_fma_f64 v[65:66], v[65:66], v[73:74], -v[178:179]
	v_fma_f64 v[67:68], v[67:68], v[73:74], v[180:181]
	s_waitcnt vmcnt(22) lgkmcnt(1)
	v_mul_f64 v[182:183], v[56:57], v[75:76]
	v_mul_f64 v[75:76], v[54:55], v[75:76]
	v_add_f64 v[1:2], v[1:2], v[176:177]
	v_add_f64 v[3:4], v[3:4], v[58:59]
	s_waitcnt vmcnt(18) lgkmcnt(0)
	v_mul_f64 v[58:59], v[71:72], v[156:157]
	v_mul_f64 v[73:74], v[69:70], v[156:157]
	v_fma_f64 v[156:157], v[54:55], v[154:155], -v[182:183]
	v_fma_f64 v[75:76], v[56:57], v[154:155], v[75:76]
	v_add_f64 v[65:66], v[1:2], v[65:66]
	v_add_f64 v[67:68], v[3:4], v[67:68]
	ds_read_b128 v[1:4], v60 offset:64
	ds_read_b128 v[54:57], v60 offset:80
	s_waitcnt vmcnt(16)
	v_fma_f64 v[58:59], v[69:70], v[158:159], -v[58:59]
	v_fma_f64 v[69:70], v[71:72], v[158:159], v[73:74]
	s_waitcnt vmcnt(12) lgkmcnt(1)
	v_mul_f64 v[154:155], v[3:4], v[160:161]
	v_mul_f64 v[160:161], v[1:2], v[160:161]
	v_add_f64 v[65:66], v[65:66], v[156:157]
	v_add_f64 v[67:68], v[67:68], v[75:76]
	s_waitcnt vmcnt(10) lgkmcnt(0)
	v_mul_f64 v[71:72], v[56:57], v[162:163]
	v_mul_f64 v[73:74], v[54:55], v[162:163]
	s_waitcnt vmcnt(8)
	v_fma_f64 v[75:76], v[1:2], v[166:167], -v[154:155]
	v_fma_f64 v[154:155], v[3:4], v[166:167], v[160:161]
	v_add_f64 v[58:59], v[65:66], v[58:59]
	v_add_f64 v[69:70], v[67:68], v[69:70]
	ds_read_b128 v[1:4], v60 offset:96
	ds_read_b128 v[65:68], v60 offset:112
	v_fma_f64 v[54:55], v[54:55], v[164:165], -v[71:72]
	v_fma_f64 v[56:57], v[56:57], v[164:165], v[73:74]
	s_waitcnt vmcnt(4) lgkmcnt(1)
	v_mul_f64 v[156:157], v[3:4], v[168:169]
	v_mul_f64 v[158:159], v[1:2], v[168:169]
	v_add_f64 v[58:59], v[58:59], v[75:76]
	v_add_f64 v[69:70], v[69:70], v[154:155]
	s_waitcnt vmcnt(2) lgkmcnt(0)
	v_mul_f64 v[71:72], v[67:68], v[170:171]
	v_mul_f64 v[73:74], v[65:66], v[170:171]
	s_waitcnt vmcnt(0)
	v_fma_f64 v[1:2], v[1:2], v[174:175], -v[156:157]
	v_fma_f64 v[3:4], v[3:4], v[174:175], v[158:159]
	v_add_f64 v[54:55], v[58:59], v[54:55]
	v_add_f64 v[56:57], v[69:70], v[56:57]
	v_fma_f64 v[58:59], v[65:66], v[172:173], -v[71:72]
	v_fma_f64 v[65:66], v[67:68], v[172:173], v[73:74]
	v_add_f64 v[1:2], v[54:55], v[1:2]
	v_add_f64 v[3:4], v[56:57], v[3:4]
	;; [unrolled: 1-line block ×4, first 2 shown]
	s_andn2_b32 exec_lo, exec_lo, s73
	s_cbranch_execnz .LBB62_81
; %bb.82:
	s_or_b32 exec_lo, exec_lo, s73
.LBB62_83:
	s_or_b32 exec_lo, exec_lo, s5
	v_and_b32_e32 v54, 7, v0
	s_mov_b32 s72, 0
	s_mov_b32 s5, exec_lo
	v_cmpx_ne_u32_e32 0, v54
	s_cbranch_execz .LBB62_87
; %bb.84:
	v_lshlrev_b32_e32 v55, 4, v53
	v_add_nc_u32_e32 v53, 0x3f0, v55
	.p2align	6
.LBB62_85:                              ; =>This Inner Loop Header: Depth=1
	s_clause 0x3
	buffer_load_dword v65, v55, s[0:3], 0 offen offset:8
	buffer_load_dword v66, v55, s[0:3], 0 offen offset:12
	buffer_load_dword v67, v55, s[0:3], 0 offen
	buffer_load_dword v68, v55, s[0:3], 0 offen offset:4
	ds_read_b128 v[56:59], v53
	v_add_nc_u32_e32 v54, -1, v54
	v_add_nc_u32_e32 v53, 16, v53
	v_add_nc_u32_e32 v55, 16, v55
	v_cmp_eq_u32_e32 vcc_lo, 0, v54
	s_or_b32 s72, vcc_lo, s72
	s_waitcnt vmcnt(2) lgkmcnt(0)
	v_mul_f64 v[69:70], v[58:59], v[65:66]
	v_mul_f64 v[65:66], v[56:57], v[65:66]
	s_waitcnt vmcnt(0)
	v_fma_f64 v[56:57], v[56:57], v[67:68], -v[69:70]
	v_fma_f64 v[58:59], v[58:59], v[67:68], v[65:66]
	v_add_f64 v[1:2], v[1:2], v[56:57]
	v_add_f64 v[3:4], v[3:4], v[58:59]
	s_andn2_b32 exec_lo, exec_lo, s72
	s_cbranch_execnz .LBB62_85
; %bb.86:
	s_or_b32 exec_lo, exec_lo, s72
.LBB62_87:
	s_or_b32 exec_lo, exec_lo, s5
.LBB62_88:
	s_or_b32 exec_lo, exec_lo, s8
	v_mov_b32_e32 v53, 0
	ds_read_b128 v[53:56], v53 offset:880
	s_waitcnt lgkmcnt(0)
	v_mul_f64 v[57:58], v[3:4], v[55:56]
	v_mul_f64 v[55:56], v[1:2], v[55:56]
	v_fma_f64 v[1:2], v[1:2], v[53:54], -v[57:58]
	v_fma_f64 v[3:4], v[3:4], v[53:54], v[55:56]
	buffer_store_dword v2, off, s[0:3], 0 offset:884
	buffer_store_dword v1, off, s[0:3], 0 offset:880
	;; [unrolled: 1-line block ×4, first 2 shown]
.LBB62_89:
	s_or_b32 exec_lo, exec_lo, s4
	v_mov_b32_e32 v4, s17
	v_cmp_lt_u32_e64 s4, 54, v0
	s_clause 0x3
	buffer_load_dword v1, v4, s[0:3], 0 offen
	buffer_load_dword v2, v4, s[0:3], 0 offen offset:4
	buffer_load_dword v3, v4, s[0:3], 0 offen offset:8
	;; [unrolled: 1-line block ×3, first 2 shown]
	s_waitcnt vmcnt(0)
	ds_write_b128 v48, v[1:4]
	s_waitcnt lgkmcnt(0)
	s_waitcnt_vscnt null, 0x0
	s_barrier
	buffer_gl0_inv
	s_and_saveexec_b32 s5, s4
	s_cbranch_execz .LBB62_103
; %bb.90:
	ds_read_b128 v[1:4], v48
	s_andn2_b32 vcc_lo, exec_lo, s7
	s_cbranch_vccnz .LBB62_92
; %bb.91:
	s_clause 0x3
	buffer_load_dword v53, v47, s[0:3], 0 offen offset:8
	buffer_load_dword v54, v47, s[0:3], 0 offen offset:12
	buffer_load_dword v55, v47, s[0:3], 0 offen
	buffer_load_dword v56, v47, s[0:3], 0 offen offset:4
	s_waitcnt vmcnt(2) lgkmcnt(0)
	v_mul_f64 v[57:58], v[3:4], v[53:54]
	v_mul_f64 v[53:54], v[1:2], v[53:54]
	s_waitcnt vmcnt(0)
	v_fma_f64 v[1:2], v[1:2], v[55:56], -v[57:58]
	v_fma_f64 v[3:4], v[3:4], v[55:56], v[53:54]
.LBB62_92:
	s_and_saveexec_b32 s8, s6
	s_cbranch_execz .LBB62_102
; %bb.93:
	v_subrev_nc_u32_e32 v54, 56, v0
	v_mov_b32_e32 v55, 55
	v_subrev_nc_u32_e32 v53, 55, v0
	s_mov_b32 s6, exec_lo
	v_cmpx_lt_u32_e32 6, v54
	s_cbranch_execz .LBB62_97
; %bb.94:
	v_and_b32_e32 v54, -8, v53
	s_movk_i32 s73, 0x760
	s_mov_b32 s72, 0
	s_mov_b32 s74, s16
	;; [unrolled: 1-line block ×3, first 2 shown]
.LBB62_95:                              ; =>This Inner Loop Header: Depth=1
	v_mov_b32_e32 v55, s74
	v_mov_b32_e32 v184, s73
	s_add_i32 s76, s75, 8
	s_add_i32 s75, s75, 63
	v_cmp_eq_u32_e32 vcc_lo, s76, v54
	s_clause 0x1f
	buffer_load_dword v59, v55, s[0:3], 0 offen offset:8
	buffer_load_dword v60, v55, s[0:3], 0 offen offset:12
	buffer_load_dword v69, v55, s[0:3], 0 offen
	buffer_load_dword v70, v55, s[0:3], 0 offen offset:4
	buffer_load_dword v71, v55, s[0:3], 0 offen offset:24
	;; [unrolled: 1-line block ×29, first 2 shown]
	ds_read_b128 v[55:58], v184
	ds_read_b128 v[65:68], v184 offset:16
	s_addk_i32 s73, 0x80
	s_addk_i32 s74, 0x80
	s_or_b32 s72, vcc_lo, s72
	s_waitcnt vmcnt(30) lgkmcnt(1)
	v_mul_f64 v[176:177], v[57:58], v[59:60]
	v_mul_f64 v[59:60], v[55:56], v[59:60]
	s_waitcnt vmcnt(26) lgkmcnt(0)
	v_mul_f64 v[178:179], v[67:68], v[71:72]
	v_mul_f64 v[180:181], v[65:66], v[71:72]
	v_fma_f64 v[176:177], v[55:56], v[69:70], -v[176:177]
	v_fma_f64 v[59:60], v[57:58], v[69:70], v[59:60]
	ds_read_b128 v[55:58], v184 offset:32
	ds_read_b128 v[69:72], v184 offset:48
	s_waitcnt vmcnt(24)
	v_fma_f64 v[65:66], v[65:66], v[73:74], -v[178:179]
	v_fma_f64 v[67:68], v[67:68], v[73:74], v[180:181]
	s_waitcnt vmcnt(22) lgkmcnt(1)
	v_mul_f64 v[182:183], v[57:58], v[75:76]
	v_mul_f64 v[75:76], v[55:56], v[75:76]
	v_add_f64 v[1:2], v[1:2], v[176:177]
	v_add_f64 v[3:4], v[3:4], v[59:60]
	s_waitcnt vmcnt(18) lgkmcnt(0)
	v_mul_f64 v[59:60], v[71:72], v[156:157]
	v_mul_f64 v[73:74], v[69:70], v[156:157]
	v_fma_f64 v[156:157], v[55:56], v[154:155], -v[182:183]
	v_fma_f64 v[75:76], v[57:58], v[154:155], v[75:76]
	v_add_f64 v[65:66], v[1:2], v[65:66]
	v_add_f64 v[67:68], v[3:4], v[67:68]
	ds_read_b128 v[1:4], v184 offset:64
	ds_read_b128 v[55:58], v184 offset:80
	s_waitcnt vmcnt(16)
	v_fma_f64 v[59:60], v[69:70], v[158:159], -v[59:60]
	v_fma_f64 v[69:70], v[71:72], v[158:159], v[73:74]
	s_waitcnt vmcnt(12) lgkmcnt(1)
	v_mul_f64 v[154:155], v[3:4], v[160:161]
	v_mul_f64 v[160:161], v[1:2], v[160:161]
	v_add_f64 v[65:66], v[65:66], v[156:157]
	v_add_f64 v[67:68], v[67:68], v[75:76]
	s_waitcnt vmcnt(10) lgkmcnt(0)
	v_mul_f64 v[71:72], v[57:58], v[162:163]
	v_mul_f64 v[73:74], v[55:56], v[162:163]
	s_waitcnt vmcnt(8)
	v_fma_f64 v[75:76], v[1:2], v[166:167], -v[154:155]
	v_fma_f64 v[154:155], v[3:4], v[166:167], v[160:161]
	v_add_f64 v[59:60], v[65:66], v[59:60]
	v_add_f64 v[69:70], v[67:68], v[69:70]
	ds_read_b128 v[1:4], v184 offset:96
	ds_read_b128 v[65:68], v184 offset:112
	v_fma_f64 v[55:56], v[55:56], v[164:165], -v[71:72]
	v_fma_f64 v[57:58], v[57:58], v[164:165], v[73:74]
	s_waitcnt vmcnt(4) lgkmcnt(1)
	v_mul_f64 v[156:157], v[3:4], v[168:169]
	v_mul_f64 v[158:159], v[1:2], v[168:169]
	v_add_f64 v[59:60], v[59:60], v[75:76]
	v_add_f64 v[69:70], v[69:70], v[154:155]
	s_waitcnt vmcnt(2) lgkmcnt(0)
	v_mul_f64 v[71:72], v[67:68], v[170:171]
	v_mul_f64 v[73:74], v[65:66], v[170:171]
	s_waitcnt vmcnt(0)
	v_fma_f64 v[1:2], v[1:2], v[174:175], -v[156:157]
	v_fma_f64 v[3:4], v[3:4], v[174:175], v[158:159]
	v_add_f64 v[55:56], v[59:60], v[55:56]
	v_add_f64 v[57:58], v[69:70], v[57:58]
	v_fma_f64 v[59:60], v[65:66], v[172:173], -v[71:72]
	v_fma_f64 v[65:66], v[67:68], v[172:173], v[73:74]
	v_add_f64 v[1:2], v[55:56], v[1:2]
	v_add_f64 v[3:4], v[57:58], v[3:4]
	v_mov_b32_e32 v55, s75
	s_mov_b32 s75, s76
	v_add_f64 v[1:2], v[1:2], v[59:60]
	v_add_f64 v[3:4], v[3:4], v[65:66]
	s_andn2_b32 exec_lo, exec_lo, s72
	s_cbranch_execnz .LBB62_95
; %bb.96:
	s_or_b32 exec_lo, exec_lo, s72
.LBB62_97:
	s_or_b32 exec_lo, exec_lo, s6
	v_and_b32_e32 v53, 7, v53
	s_mov_b32 s72, 0
	s_mov_b32 s6, exec_lo
	v_cmpx_ne_u32_e32 0, v53
	s_cbranch_execz .LBB62_101
; %bb.98:
	v_lshlrev_b32_e32 v55, 4, v55
	v_add_nc_u32_e32 v54, 0x3f0, v55
	.p2align	6
.LBB62_99:                              ; =>This Inner Loop Header: Depth=1
	s_clause 0x3
	buffer_load_dword v65, v55, s[0:3], 0 offen offset:8
	buffer_load_dword v66, v55, s[0:3], 0 offen offset:12
	buffer_load_dword v67, v55, s[0:3], 0 offen
	buffer_load_dword v68, v55, s[0:3], 0 offen offset:4
	ds_read_b128 v[56:59], v54
	v_add_nc_u32_e32 v53, -1, v53
	v_add_nc_u32_e32 v54, 16, v54
	v_add_nc_u32_e32 v55, 16, v55
	v_cmp_eq_u32_e32 vcc_lo, 0, v53
	s_or_b32 s72, vcc_lo, s72
	s_waitcnt vmcnt(2) lgkmcnt(0)
	v_mul_f64 v[69:70], v[58:59], v[65:66]
	v_mul_f64 v[65:66], v[56:57], v[65:66]
	s_waitcnt vmcnt(0)
	v_fma_f64 v[56:57], v[56:57], v[67:68], -v[69:70]
	v_fma_f64 v[58:59], v[58:59], v[67:68], v[65:66]
	v_add_f64 v[1:2], v[1:2], v[56:57]
	v_add_f64 v[3:4], v[3:4], v[58:59]
	s_andn2_b32 exec_lo, exec_lo, s72
	s_cbranch_execnz .LBB62_99
; %bb.100:
	s_or_b32 exec_lo, exec_lo, s72
.LBB62_101:
	s_or_b32 exec_lo, exec_lo, s6
.LBB62_102:
	s_or_b32 exec_lo, exec_lo, s8
	v_mov_b32_e32 v53, 0
	ds_read_b128 v[53:56], v53 offset:864
	s_waitcnt lgkmcnt(0)
	v_mul_f64 v[57:58], v[3:4], v[55:56]
	v_mul_f64 v[55:56], v[1:2], v[55:56]
	v_fma_f64 v[1:2], v[1:2], v[53:54], -v[57:58]
	v_fma_f64 v[3:4], v[3:4], v[53:54], v[55:56]
	buffer_store_dword v2, off, s[0:3], 0 offset:868
	buffer_store_dword v1, off, s[0:3], 0 offset:864
	;; [unrolled: 1-line block ×4, first 2 shown]
.LBB62_103:
	s_or_b32 exec_lo, exec_lo, s5
	v_mov_b32_e32 v4, s18
	v_cmp_lt_u32_e64 s5, 53, v0
	s_clause 0x3
	buffer_load_dword v1, v4, s[0:3], 0 offen
	buffer_load_dword v2, v4, s[0:3], 0 offen offset:4
	buffer_load_dword v3, v4, s[0:3], 0 offen offset:8
	;; [unrolled: 1-line block ×3, first 2 shown]
	s_waitcnt vmcnt(0)
	ds_write_b128 v48, v[1:4]
	s_waitcnt lgkmcnt(0)
	s_waitcnt_vscnt null, 0x0
	s_barrier
	buffer_gl0_inv
	s_and_saveexec_b32 s6, s5
	s_cbranch_execz .LBB62_117
; %bb.104:
	ds_read_b128 v[1:4], v48
	s_andn2_b32 vcc_lo, exec_lo, s7
	s_cbranch_vccnz .LBB62_106
; %bb.105:
	s_clause 0x3
	buffer_load_dword v53, v47, s[0:3], 0 offen offset:8
	buffer_load_dword v54, v47, s[0:3], 0 offen offset:12
	buffer_load_dword v55, v47, s[0:3], 0 offen
	buffer_load_dword v56, v47, s[0:3], 0 offen offset:4
	s_waitcnt vmcnt(2) lgkmcnt(0)
	v_mul_f64 v[57:58], v[3:4], v[53:54]
	v_mul_f64 v[53:54], v[1:2], v[53:54]
	s_waitcnt vmcnt(0)
	v_fma_f64 v[1:2], v[1:2], v[55:56], -v[57:58]
	v_fma_f64 v[3:4], v[3:4], v[55:56], v[53:54]
.LBB62_106:
	s_and_saveexec_b32 s8, s4
	s_cbranch_execz .LBB62_116
; %bb.107:
	v_subrev_nc_u32_e32 v54, 55, v0
	v_mov_b32_e32 v55, 54
	v_subrev_nc_u32_e32 v53, 54, v0
	s_mov_b32 s4, exec_lo
	v_cmpx_lt_u32_e32 6, v54
	s_cbranch_execz .LBB62_111
; %bb.108:
	v_and_b32_e32 v54, -8, v53
	s_movk_i32 s73, 0x750
	s_mov_b32 s72, 0
	s_mov_b32 s74, s17
	;; [unrolled: 1-line block ×3, first 2 shown]
.LBB62_109:                             ; =>This Inner Loop Header: Depth=1
	v_mov_b32_e32 v55, s74
	v_mov_b32_e32 v184, s73
	s_add_i32 s76, s75, 8
	s_add_i32 s75, s75, 62
	v_cmp_eq_u32_e32 vcc_lo, s76, v54
	s_clause 0x1f
	buffer_load_dword v59, v55, s[0:3], 0 offen offset:8
	buffer_load_dword v60, v55, s[0:3], 0 offen offset:12
	buffer_load_dword v69, v55, s[0:3], 0 offen
	buffer_load_dword v70, v55, s[0:3], 0 offen offset:4
	buffer_load_dword v71, v55, s[0:3], 0 offen offset:24
	buffer_load_dword v72, v55, s[0:3], 0 offen offset:28
	buffer_load_dword v73, v55, s[0:3], 0 offen offset:16
	buffer_load_dword v74, v55, s[0:3], 0 offen offset:20
	buffer_load_dword v75, v55, s[0:3], 0 offen offset:40
	buffer_load_dword v76, v55, s[0:3], 0 offen offset:44
	buffer_load_dword v154, v55, s[0:3], 0 offen offset:32
	buffer_load_dword v155, v55, s[0:3], 0 offen offset:36
	buffer_load_dword v156, v55, s[0:3], 0 offen offset:56
	buffer_load_dword v157, v55, s[0:3], 0 offen offset:60
	buffer_load_dword v158, v55, s[0:3], 0 offen offset:48
	buffer_load_dword v159, v55, s[0:3], 0 offen offset:52
	buffer_load_dword v161, v55, s[0:3], 0 offen offset:76
	buffer_load_dword v162, v55, s[0:3], 0 offen offset:88
	buffer_load_dword v164, v55, s[0:3], 0 offen offset:80
	buffer_load_dword v160, v55, s[0:3], 0 offen offset:72
	buffer_load_dword v165, v55, s[0:3], 0 offen offset:84
	buffer_load_dword v163, v55, s[0:3], 0 offen offset:92
	buffer_load_dword v167, v55, s[0:3], 0 offen offset:68
	buffer_load_dword v166, v55, s[0:3], 0 offen offset:64
	buffer_load_dword v169, v55, s[0:3], 0 offen offset:108
	buffer_load_dword v170, v55, s[0:3], 0 offen offset:120
	buffer_load_dword v172, v55, s[0:3], 0 offen offset:112
	buffer_load_dword v168, v55, s[0:3], 0 offen offset:104
	buffer_load_dword v173, v55, s[0:3], 0 offen offset:116
	buffer_load_dword v171, v55, s[0:3], 0 offen offset:124
	buffer_load_dword v175, v55, s[0:3], 0 offen offset:100
	buffer_load_dword v174, v55, s[0:3], 0 offen offset:96
	ds_read_b128 v[55:58], v184
	ds_read_b128 v[65:68], v184 offset:16
	s_addk_i32 s73, 0x80
	s_addk_i32 s74, 0x80
	s_or_b32 s72, vcc_lo, s72
	s_waitcnt vmcnt(30) lgkmcnt(1)
	v_mul_f64 v[176:177], v[57:58], v[59:60]
	v_mul_f64 v[59:60], v[55:56], v[59:60]
	s_waitcnt vmcnt(26) lgkmcnt(0)
	v_mul_f64 v[178:179], v[67:68], v[71:72]
	v_mul_f64 v[180:181], v[65:66], v[71:72]
	v_fma_f64 v[176:177], v[55:56], v[69:70], -v[176:177]
	v_fma_f64 v[59:60], v[57:58], v[69:70], v[59:60]
	ds_read_b128 v[55:58], v184 offset:32
	ds_read_b128 v[69:72], v184 offset:48
	s_waitcnt vmcnt(24)
	v_fma_f64 v[65:66], v[65:66], v[73:74], -v[178:179]
	v_fma_f64 v[67:68], v[67:68], v[73:74], v[180:181]
	s_waitcnt vmcnt(22) lgkmcnt(1)
	v_mul_f64 v[182:183], v[57:58], v[75:76]
	v_mul_f64 v[75:76], v[55:56], v[75:76]
	v_add_f64 v[1:2], v[1:2], v[176:177]
	v_add_f64 v[3:4], v[3:4], v[59:60]
	s_waitcnt vmcnt(18) lgkmcnt(0)
	v_mul_f64 v[59:60], v[71:72], v[156:157]
	v_mul_f64 v[73:74], v[69:70], v[156:157]
	v_fma_f64 v[156:157], v[55:56], v[154:155], -v[182:183]
	v_fma_f64 v[75:76], v[57:58], v[154:155], v[75:76]
	v_add_f64 v[65:66], v[1:2], v[65:66]
	v_add_f64 v[67:68], v[3:4], v[67:68]
	ds_read_b128 v[1:4], v184 offset:64
	ds_read_b128 v[55:58], v184 offset:80
	s_waitcnt vmcnt(16)
	v_fma_f64 v[59:60], v[69:70], v[158:159], -v[59:60]
	v_fma_f64 v[69:70], v[71:72], v[158:159], v[73:74]
	s_waitcnt vmcnt(12) lgkmcnt(1)
	v_mul_f64 v[154:155], v[3:4], v[160:161]
	v_mul_f64 v[160:161], v[1:2], v[160:161]
	v_add_f64 v[65:66], v[65:66], v[156:157]
	v_add_f64 v[67:68], v[67:68], v[75:76]
	s_waitcnt vmcnt(10) lgkmcnt(0)
	v_mul_f64 v[71:72], v[57:58], v[162:163]
	v_mul_f64 v[73:74], v[55:56], v[162:163]
	s_waitcnt vmcnt(8)
	v_fma_f64 v[75:76], v[1:2], v[166:167], -v[154:155]
	v_fma_f64 v[154:155], v[3:4], v[166:167], v[160:161]
	v_add_f64 v[59:60], v[65:66], v[59:60]
	v_add_f64 v[69:70], v[67:68], v[69:70]
	ds_read_b128 v[1:4], v184 offset:96
	ds_read_b128 v[65:68], v184 offset:112
	v_fma_f64 v[55:56], v[55:56], v[164:165], -v[71:72]
	v_fma_f64 v[57:58], v[57:58], v[164:165], v[73:74]
	s_waitcnt vmcnt(4) lgkmcnt(1)
	v_mul_f64 v[156:157], v[3:4], v[168:169]
	v_mul_f64 v[158:159], v[1:2], v[168:169]
	v_add_f64 v[59:60], v[59:60], v[75:76]
	v_add_f64 v[69:70], v[69:70], v[154:155]
	s_waitcnt vmcnt(2) lgkmcnt(0)
	v_mul_f64 v[71:72], v[67:68], v[170:171]
	v_mul_f64 v[73:74], v[65:66], v[170:171]
	s_waitcnt vmcnt(0)
	v_fma_f64 v[1:2], v[1:2], v[174:175], -v[156:157]
	v_fma_f64 v[3:4], v[3:4], v[174:175], v[158:159]
	v_add_f64 v[55:56], v[59:60], v[55:56]
	v_add_f64 v[57:58], v[69:70], v[57:58]
	v_fma_f64 v[59:60], v[65:66], v[172:173], -v[71:72]
	v_fma_f64 v[65:66], v[67:68], v[172:173], v[73:74]
	v_add_f64 v[1:2], v[55:56], v[1:2]
	v_add_f64 v[3:4], v[57:58], v[3:4]
	v_mov_b32_e32 v55, s75
	s_mov_b32 s75, s76
	v_add_f64 v[1:2], v[1:2], v[59:60]
	v_add_f64 v[3:4], v[3:4], v[65:66]
	s_andn2_b32 exec_lo, exec_lo, s72
	s_cbranch_execnz .LBB62_109
; %bb.110:
	s_or_b32 exec_lo, exec_lo, s72
.LBB62_111:
	s_or_b32 exec_lo, exec_lo, s4
	v_and_b32_e32 v53, 7, v53
	s_mov_b32 s72, 0
	s_mov_b32 s4, exec_lo
	v_cmpx_ne_u32_e32 0, v53
	s_cbranch_execz .LBB62_115
; %bb.112:
	v_lshlrev_b32_e32 v55, 4, v55
	v_add_nc_u32_e32 v54, 0x3f0, v55
	.p2align	6
.LBB62_113:                             ; =>This Inner Loop Header: Depth=1
	s_clause 0x3
	buffer_load_dword v65, v55, s[0:3], 0 offen offset:8
	buffer_load_dword v66, v55, s[0:3], 0 offen offset:12
	buffer_load_dword v67, v55, s[0:3], 0 offen
	buffer_load_dword v68, v55, s[0:3], 0 offen offset:4
	ds_read_b128 v[56:59], v54
	v_add_nc_u32_e32 v53, -1, v53
	v_add_nc_u32_e32 v54, 16, v54
	v_add_nc_u32_e32 v55, 16, v55
	v_cmp_eq_u32_e32 vcc_lo, 0, v53
	s_or_b32 s72, vcc_lo, s72
	s_waitcnt vmcnt(2) lgkmcnt(0)
	v_mul_f64 v[69:70], v[58:59], v[65:66]
	v_mul_f64 v[65:66], v[56:57], v[65:66]
	s_waitcnt vmcnt(0)
	v_fma_f64 v[56:57], v[56:57], v[67:68], -v[69:70]
	v_fma_f64 v[58:59], v[58:59], v[67:68], v[65:66]
	v_add_f64 v[1:2], v[1:2], v[56:57]
	v_add_f64 v[3:4], v[3:4], v[58:59]
	s_andn2_b32 exec_lo, exec_lo, s72
	s_cbranch_execnz .LBB62_113
; %bb.114:
	s_or_b32 exec_lo, exec_lo, s72
.LBB62_115:
	s_or_b32 exec_lo, exec_lo, s4
.LBB62_116:
	s_or_b32 exec_lo, exec_lo, s8
	v_mov_b32_e32 v53, 0
	ds_read_b128 v[53:56], v53 offset:848
	s_waitcnt lgkmcnt(0)
	v_mul_f64 v[57:58], v[3:4], v[55:56]
	v_mul_f64 v[55:56], v[1:2], v[55:56]
	v_fma_f64 v[1:2], v[1:2], v[53:54], -v[57:58]
	v_fma_f64 v[3:4], v[3:4], v[53:54], v[55:56]
	buffer_store_dword v2, off, s[0:3], 0 offset:852
	buffer_store_dword v1, off, s[0:3], 0 offset:848
	;; [unrolled: 1-line block ×4, first 2 shown]
.LBB62_117:
	s_or_b32 exec_lo, exec_lo, s6
	v_mov_b32_e32 v4, s19
	v_cmp_lt_u32_e64 s4, 52, v0
	s_clause 0x3
	buffer_load_dword v1, v4, s[0:3], 0 offen
	buffer_load_dword v2, v4, s[0:3], 0 offen offset:4
	buffer_load_dword v3, v4, s[0:3], 0 offen offset:8
	;; [unrolled: 1-line block ×3, first 2 shown]
	s_waitcnt vmcnt(0)
	ds_write_b128 v48, v[1:4]
	s_waitcnt lgkmcnt(0)
	s_waitcnt_vscnt null, 0x0
	s_barrier
	buffer_gl0_inv
	s_and_saveexec_b32 s6, s4
	s_cbranch_execz .LBB62_131
; %bb.118:
	ds_read_b128 v[1:4], v48
	s_andn2_b32 vcc_lo, exec_lo, s7
	s_cbranch_vccnz .LBB62_120
; %bb.119:
	s_clause 0x3
	buffer_load_dword v53, v47, s[0:3], 0 offen offset:8
	buffer_load_dword v54, v47, s[0:3], 0 offen offset:12
	buffer_load_dword v55, v47, s[0:3], 0 offen
	buffer_load_dword v56, v47, s[0:3], 0 offen offset:4
	s_waitcnt vmcnt(2) lgkmcnt(0)
	v_mul_f64 v[57:58], v[3:4], v[53:54]
	v_mul_f64 v[53:54], v[1:2], v[53:54]
	s_waitcnt vmcnt(0)
	v_fma_f64 v[1:2], v[1:2], v[55:56], -v[57:58]
	v_fma_f64 v[3:4], v[3:4], v[55:56], v[53:54]
.LBB62_120:
	s_and_saveexec_b32 s8, s5
	s_cbranch_execz .LBB62_130
; %bb.121:
	v_subrev_nc_u32_e32 v54, 54, v0
	v_mov_b32_e32 v55, 53
	v_subrev_nc_u32_e32 v53, 53, v0
	s_mov_b32 s5, exec_lo
	v_cmpx_lt_u32_e32 6, v54
	s_cbranch_execz .LBB62_125
; %bb.122:
	v_and_b32_e32 v54, -8, v53
	s_movk_i32 s73, 0x740
	s_mov_b32 s72, 0
	s_mov_b32 s74, s18
	;; [unrolled: 1-line block ×3, first 2 shown]
.LBB62_123:                             ; =>This Inner Loop Header: Depth=1
	v_mov_b32_e32 v55, s74
	v_mov_b32_e32 v184, s73
	s_add_i32 s76, s75, 8
	s_add_i32 s75, s75, 61
	v_cmp_eq_u32_e32 vcc_lo, s76, v54
	s_clause 0x1f
	buffer_load_dword v59, v55, s[0:3], 0 offen offset:8
	buffer_load_dword v60, v55, s[0:3], 0 offen offset:12
	buffer_load_dword v69, v55, s[0:3], 0 offen
	buffer_load_dword v70, v55, s[0:3], 0 offen offset:4
	buffer_load_dword v71, v55, s[0:3], 0 offen offset:24
	;; [unrolled: 1-line block ×29, first 2 shown]
	ds_read_b128 v[55:58], v184
	ds_read_b128 v[65:68], v184 offset:16
	s_addk_i32 s73, 0x80
	s_addk_i32 s74, 0x80
	s_or_b32 s72, vcc_lo, s72
	s_waitcnt vmcnt(30) lgkmcnt(1)
	v_mul_f64 v[176:177], v[57:58], v[59:60]
	v_mul_f64 v[59:60], v[55:56], v[59:60]
	s_waitcnt vmcnt(26) lgkmcnt(0)
	v_mul_f64 v[178:179], v[67:68], v[71:72]
	v_mul_f64 v[180:181], v[65:66], v[71:72]
	v_fma_f64 v[176:177], v[55:56], v[69:70], -v[176:177]
	v_fma_f64 v[59:60], v[57:58], v[69:70], v[59:60]
	ds_read_b128 v[55:58], v184 offset:32
	ds_read_b128 v[69:72], v184 offset:48
	s_waitcnt vmcnt(24)
	v_fma_f64 v[65:66], v[65:66], v[73:74], -v[178:179]
	v_fma_f64 v[67:68], v[67:68], v[73:74], v[180:181]
	s_waitcnt vmcnt(22) lgkmcnt(1)
	v_mul_f64 v[182:183], v[57:58], v[75:76]
	v_mul_f64 v[75:76], v[55:56], v[75:76]
	v_add_f64 v[1:2], v[1:2], v[176:177]
	v_add_f64 v[3:4], v[3:4], v[59:60]
	s_waitcnt vmcnt(18) lgkmcnt(0)
	v_mul_f64 v[59:60], v[71:72], v[156:157]
	v_mul_f64 v[73:74], v[69:70], v[156:157]
	v_fma_f64 v[156:157], v[55:56], v[154:155], -v[182:183]
	v_fma_f64 v[75:76], v[57:58], v[154:155], v[75:76]
	v_add_f64 v[65:66], v[1:2], v[65:66]
	v_add_f64 v[67:68], v[3:4], v[67:68]
	ds_read_b128 v[1:4], v184 offset:64
	ds_read_b128 v[55:58], v184 offset:80
	s_waitcnt vmcnt(16)
	v_fma_f64 v[59:60], v[69:70], v[158:159], -v[59:60]
	v_fma_f64 v[69:70], v[71:72], v[158:159], v[73:74]
	s_waitcnt vmcnt(12) lgkmcnt(1)
	v_mul_f64 v[154:155], v[3:4], v[160:161]
	v_mul_f64 v[160:161], v[1:2], v[160:161]
	v_add_f64 v[65:66], v[65:66], v[156:157]
	v_add_f64 v[67:68], v[67:68], v[75:76]
	s_waitcnt vmcnt(10) lgkmcnt(0)
	v_mul_f64 v[71:72], v[57:58], v[162:163]
	v_mul_f64 v[73:74], v[55:56], v[162:163]
	s_waitcnt vmcnt(8)
	v_fma_f64 v[75:76], v[1:2], v[166:167], -v[154:155]
	v_fma_f64 v[154:155], v[3:4], v[166:167], v[160:161]
	v_add_f64 v[59:60], v[65:66], v[59:60]
	v_add_f64 v[69:70], v[67:68], v[69:70]
	ds_read_b128 v[1:4], v184 offset:96
	ds_read_b128 v[65:68], v184 offset:112
	v_fma_f64 v[55:56], v[55:56], v[164:165], -v[71:72]
	v_fma_f64 v[57:58], v[57:58], v[164:165], v[73:74]
	s_waitcnt vmcnt(4) lgkmcnt(1)
	v_mul_f64 v[156:157], v[3:4], v[168:169]
	v_mul_f64 v[158:159], v[1:2], v[168:169]
	v_add_f64 v[59:60], v[59:60], v[75:76]
	v_add_f64 v[69:70], v[69:70], v[154:155]
	s_waitcnt vmcnt(2) lgkmcnt(0)
	v_mul_f64 v[71:72], v[67:68], v[170:171]
	v_mul_f64 v[73:74], v[65:66], v[170:171]
	s_waitcnt vmcnt(0)
	v_fma_f64 v[1:2], v[1:2], v[174:175], -v[156:157]
	v_fma_f64 v[3:4], v[3:4], v[174:175], v[158:159]
	v_add_f64 v[55:56], v[59:60], v[55:56]
	v_add_f64 v[57:58], v[69:70], v[57:58]
	v_fma_f64 v[59:60], v[65:66], v[172:173], -v[71:72]
	v_fma_f64 v[65:66], v[67:68], v[172:173], v[73:74]
	v_add_f64 v[1:2], v[55:56], v[1:2]
	v_add_f64 v[3:4], v[57:58], v[3:4]
	v_mov_b32_e32 v55, s75
	s_mov_b32 s75, s76
	v_add_f64 v[1:2], v[1:2], v[59:60]
	v_add_f64 v[3:4], v[3:4], v[65:66]
	s_andn2_b32 exec_lo, exec_lo, s72
	s_cbranch_execnz .LBB62_123
; %bb.124:
	s_or_b32 exec_lo, exec_lo, s72
.LBB62_125:
	s_or_b32 exec_lo, exec_lo, s5
	v_and_b32_e32 v53, 7, v53
	s_mov_b32 s72, 0
	s_mov_b32 s5, exec_lo
	v_cmpx_ne_u32_e32 0, v53
	s_cbranch_execz .LBB62_129
; %bb.126:
	v_lshlrev_b32_e32 v55, 4, v55
	v_add_nc_u32_e32 v54, 0x3f0, v55
	.p2align	6
.LBB62_127:                             ; =>This Inner Loop Header: Depth=1
	s_clause 0x3
	buffer_load_dword v65, v55, s[0:3], 0 offen offset:8
	buffer_load_dword v66, v55, s[0:3], 0 offen offset:12
	buffer_load_dword v67, v55, s[0:3], 0 offen
	buffer_load_dword v68, v55, s[0:3], 0 offen offset:4
	ds_read_b128 v[56:59], v54
	v_add_nc_u32_e32 v53, -1, v53
	v_add_nc_u32_e32 v54, 16, v54
	v_add_nc_u32_e32 v55, 16, v55
	v_cmp_eq_u32_e32 vcc_lo, 0, v53
	s_or_b32 s72, vcc_lo, s72
	s_waitcnt vmcnt(2) lgkmcnt(0)
	v_mul_f64 v[69:70], v[58:59], v[65:66]
	v_mul_f64 v[65:66], v[56:57], v[65:66]
	s_waitcnt vmcnt(0)
	v_fma_f64 v[56:57], v[56:57], v[67:68], -v[69:70]
	v_fma_f64 v[58:59], v[58:59], v[67:68], v[65:66]
	v_add_f64 v[1:2], v[1:2], v[56:57]
	v_add_f64 v[3:4], v[3:4], v[58:59]
	s_andn2_b32 exec_lo, exec_lo, s72
	s_cbranch_execnz .LBB62_127
; %bb.128:
	s_or_b32 exec_lo, exec_lo, s72
.LBB62_129:
	s_or_b32 exec_lo, exec_lo, s5
.LBB62_130:
	s_or_b32 exec_lo, exec_lo, s8
	v_mov_b32_e32 v53, 0
	ds_read_b128 v[53:56], v53 offset:832
	s_waitcnt lgkmcnt(0)
	v_mul_f64 v[57:58], v[3:4], v[55:56]
	v_mul_f64 v[55:56], v[1:2], v[55:56]
	v_fma_f64 v[1:2], v[1:2], v[53:54], -v[57:58]
	v_fma_f64 v[3:4], v[3:4], v[53:54], v[55:56]
	buffer_store_dword v2, off, s[0:3], 0 offset:836
	buffer_store_dword v1, off, s[0:3], 0 offset:832
	;; [unrolled: 1-line block ×4, first 2 shown]
.LBB62_131:
	s_or_b32 exec_lo, exec_lo, s6
	v_mov_b32_e32 v4, s20
	v_cmp_lt_u32_e64 s5, 51, v0
	s_clause 0x3
	buffer_load_dword v1, v4, s[0:3], 0 offen
	buffer_load_dword v2, v4, s[0:3], 0 offen offset:4
	buffer_load_dword v3, v4, s[0:3], 0 offen offset:8
	;; [unrolled: 1-line block ×3, first 2 shown]
	s_waitcnt vmcnt(0)
	ds_write_b128 v48, v[1:4]
	s_waitcnt lgkmcnt(0)
	s_waitcnt_vscnt null, 0x0
	s_barrier
	buffer_gl0_inv
	s_and_saveexec_b32 s6, s5
	s_cbranch_execz .LBB62_145
; %bb.132:
	ds_read_b128 v[1:4], v48
	s_andn2_b32 vcc_lo, exec_lo, s7
	s_cbranch_vccnz .LBB62_134
; %bb.133:
	s_clause 0x3
	buffer_load_dword v53, v47, s[0:3], 0 offen offset:8
	buffer_load_dword v54, v47, s[0:3], 0 offen offset:12
	buffer_load_dword v55, v47, s[0:3], 0 offen
	buffer_load_dword v56, v47, s[0:3], 0 offen offset:4
	s_waitcnt vmcnt(2) lgkmcnt(0)
	v_mul_f64 v[57:58], v[3:4], v[53:54]
	v_mul_f64 v[53:54], v[1:2], v[53:54]
	s_waitcnt vmcnt(0)
	v_fma_f64 v[1:2], v[1:2], v[55:56], -v[57:58]
	v_fma_f64 v[3:4], v[3:4], v[55:56], v[53:54]
.LBB62_134:
	s_and_saveexec_b32 s8, s4
	s_cbranch_execz .LBB62_144
; %bb.135:
	v_subrev_nc_u32_e32 v54, 53, v0
	v_mov_b32_e32 v55, 52
	v_subrev_nc_u32_e32 v53, 52, v0
	s_mov_b32 s4, exec_lo
	v_cmpx_lt_u32_e32 6, v54
	s_cbranch_execz .LBB62_139
; %bb.136:
	v_and_b32_e32 v54, -8, v53
	s_movk_i32 s73, 0x730
	s_mov_b32 s72, 0
	s_mov_b32 s74, s19
	;; [unrolled: 1-line block ×3, first 2 shown]
.LBB62_137:                             ; =>This Inner Loop Header: Depth=1
	v_mov_b32_e32 v55, s74
	v_mov_b32_e32 v184, s73
	s_add_i32 s76, s75, 8
	s_add_i32 s75, s75, 60
	v_cmp_eq_u32_e32 vcc_lo, s76, v54
	s_clause 0x1f
	buffer_load_dword v59, v55, s[0:3], 0 offen offset:8
	buffer_load_dword v60, v55, s[0:3], 0 offen offset:12
	buffer_load_dword v69, v55, s[0:3], 0 offen
	buffer_load_dword v70, v55, s[0:3], 0 offen offset:4
	buffer_load_dword v71, v55, s[0:3], 0 offen offset:24
	;; [unrolled: 1-line block ×29, first 2 shown]
	ds_read_b128 v[55:58], v184
	ds_read_b128 v[65:68], v184 offset:16
	s_addk_i32 s73, 0x80
	s_addk_i32 s74, 0x80
	s_or_b32 s72, vcc_lo, s72
	s_waitcnt vmcnt(30) lgkmcnt(1)
	v_mul_f64 v[176:177], v[57:58], v[59:60]
	v_mul_f64 v[59:60], v[55:56], v[59:60]
	s_waitcnt vmcnt(26) lgkmcnt(0)
	v_mul_f64 v[178:179], v[67:68], v[71:72]
	v_mul_f64 v[180:181], v[65:66], v[71:72]
	v_fma_f64 v[176:177], v[55:56], v[69:70], -v[176:177]
	v_fma_f64 v[59:60], v[57:58], v[69:70], v[59:60]
	ds_read_b128 v[55:58], v184 offset:32
	ds_read_b128 v[69:72], v184 offset:48
	s_waitcnt vmcnt(24)
	v_fma_f64 v[65:66], v[65:66], v[73:74], -v[178:179]
	v_fma_f64 v[67:68], v[67:68], v[73:74], v[180:181]
	s_waitcnt vmcnt(22) lgkmcnt(1)
	v_mul_f64 v[182:183], v[57:58], v[75:76]
	v_mul_f64 v[75:76], v[55:56], v[75:76]
	v_add_f64 v[1:2], v[1:2], v[176:177]
	v_add_f64 v[3:4], v[3:4], v[59:60]
	s_waitcnt vmcnt(18) lgkmcnt(0)
	v_mul_f64 v[59:60], v[71:72], v[156:157]
	v_mul_f64 v[73:74], v[69:70], v[156:157]
	v_fma_f64 v[156:157], v[55:56], v[154:155], -v[182:183]
	v_fma_f64 v[75:76], v[57:58], v[154:155], v[75:76]
	v_add_f64 v[65:66], v[1:2], v[65:66]
	v_add_f64 v[67:68], v[3:4], v[67:68]
	ds_read_b128 v[1:4], v184 offset:64
	ds_read_b128 v[55:58], v184 offset:80
	s_waitcnt vmcnt(16)
	v_fma_f64 v[59:60], v[69:70], v[158:159], -v[59:60]
	v_fma_f64 v[69:70], v[71:72], v[158:159], v[73:74]
	s_waitcnt vmcnt(12) lgkmcnt(1)
	v_mul_f64 v[154:155], v[3:4], v[160:161]
	v_mul_f64 v[160:161], v[1:2], v[160:161]
	v_add_f64 v[65:66], v[65:66], v[156:157]
	v_add_f64 v[67:68], v[67:68], v[75:76]
	s_waitcnt vmcnt(10) lgkmcnt(0)
	v_mul_f64 v[71:72], v[57:58], v[162:163]
	v_mul_f64 v[73:74], v[55:56], v[162:163]
	s_waitcnt vmcnt(8)
	v_fma_f64 v[75:76], v[1:2], v[166:167], -v[154:155]
	v_fma_f64 v[154:155], v[3:4], v[166:167], v[160:161]
	v_add_f64 v[59:60], v[65:66], v[59:60]
	v_add_f64 v[69:70], v[67:68], v[69:70]
	ds_read_b128 v[1:4], v184 offset:96
	ds_read_b128 v[65:68], v184 offset:112
	v_fma_f64 v[55:56], v[55:56], v[164:165], -v[71:72]
	v_fma_f64 v[57:58], v[57:58], v[164:165], v[73:74]
	s_waitcnt vmcnt(4) lgkmcnt(1)
	v_mul_f64 v[156:157], v[3:4], v[168:169]
	v_mul_f64 v[158:159], v[1:2], v[168:169]
	v_add_f64 v[59:60], v[59:60], v[75:76]
	v_add_f64 v[69:70], v[69:70], v[154:155]
	s_waitcnt vmcnt(2) lgkmcnt(0)
	v_mul_f64 v[71:72], v[67:68], v[170:171]
	v_mul_f64 v[73:74], v[65:66], v[170:171]
	s_waitcnt vmcnt(0)
	v_fma_f64 v[1:2], v[1:2], v[174:175], -v[156:157]
	v_fma_f64 v[3:4], v[3:4], v[174:175], v[158:159]
	v_add_f64 v[55:56], v[59:60], v[55:56]
	v_add_f64 v[57:58], v[69:70], v[57:58]
	v_fma_f64 v[59:60], v[65:66], v[172:173], -v[71:72]
	v_fma_f64 v[65:66], v[67:68], v[172:173], v[73:74]
	v_add_f64 v[1:2], v[55:56], v[1:2]
	v_add_f64 v[3:4], v[57:58], v[3:4]
	v_mov_b32_e32 v55, s75
	s_mov_b32 s75, s76
	v_add_f64 v[1:2], v[1:2], v[59:60]
	v_add_f64 v[3:4], v[3:4], v[65:66]
	s_andn2_b32 exec_lo, exec_lo, s72
	s_cbranch_execnz .LBB62_137
; %bb.138:
	s_or_b32 exec_lo, exec_lo, s72
.LBB62_139:
	s_or_b32 exec_lo, exec_lo, s4
	v_and_b32_e32 v53, 7, v53
	s_mov_b32 s72, 0
	s_mov_b32 s4, exec_lo
	v_cmpx_ne_u32_e32 0, v53
	s_cbranch_execz .LBB62_143
; %bb.140:
	v_lshlrev_b32_e32 v55, 4, v55
	v_add_nc_u32_e32 v54, 0x3f0, v55
	.p2align	6
.LBB62_141:                             ; =>This Inner Loop Header: Depth=1
	s_clause 0x3
	buffer_load_dword v65, v55, s[0:3], 0 offen offset:8
	buffer_load_dword v66, v55, s[0:3], 0 offen offset:12
	buffer_load_dword v67, v55, s[0:3], 0 offen
	buffer_load_dword v68, v55, s[0:3], 0 offen offset:4
	ds_read_b128 v[56:59], v54
	v_add_nc_u32_e32 v53, -1, v53
	v_add_nc_u32_e32 v54, 16, v54
	v_add_nc_u32_e32 v55, 16, v55
	v_cmp_eq_u32_e32 vcc_lo, 0, v53
	s_or_b32 s72, vcc_lo, s72
	s_waitcnt vmcnt(2) lgkmcnt(0)
	v_mul_f64 v[69:70], v[58:59], v[65:66]
	v_mul_f64 v[65:66], v[56:57], v[65:66]
	s_waitcnt vmcnt(0)
	v_fma_f64 v[56:57], v[56:57], v[67:68], -v[69:70]
	v_fma_f64 v[58:59], v[58:59], v[67:68], v[65:66]
	v_add_f64 v[1:2], v[1:2], v[56:57]
	v_add_f64 v[3:4], v[3:4], v[58:59]
	s_andn2_b32 exec_lo, exec_lo, s72
	s_cbranch_execnz .LBB62_141
; %bb.142:
	s_or_b32 exec_lo, exec_lo, s72
.LBB62_143:
	s_or_b32 exec_lo, exec_lo, s4
.LBB62_144:
	s_or_b32 exec_lo, exec_lo, s8
	v_mov_b32_e32 v53, 0
	ds_read_b128 v[53:56], v53 offset:816
	s_waitcnt lgkmcnt(0)
	v_mul_f64 v[57:58], v[3:4], v[55:56]
	v_mul_f64 v[55:56], v[1:2], v[55:56]
	v_fma_f64 v[1:2], v[1:2], v[53:54], -v[57:58]
	v_fma_f64 v[3:4], v[3:4], v[53:54], v[55:56]
	buffer_store_dword v2, off, s[0:3], 0 offset:820
	buffer_store_dword v1, off, s[0:3], 0 offset:816
	;; [unrolled: 1-line block ×4, first 2 shown]
.LBB62_145:
	s_or_b32 exec_lo, exec_lo, s6
	v_mov_b32_e32 v4, s21
	v_cmp_lt_u32_e64 s4, 50, v0
	s_clause 0x3
	buffer_load_dword v1, v4, s[0:3], 0 offen
	buffer_load_dword v2, v4, s[0:3], 0 offen offset:4
	buffer_load_dword v3, v4, s[0:3], 0 offen offset:8
	;; [unrolled: 1-line block ×3, first 2 shown]
	s_waitcnt vmcnt(0)
	ds_write_b128 v48, v[1:4]
	s_waitcnt lgkmcnt(0)
	s_waitcnt_vscnt null, 0x0
	s_barrier
	buffer_gl0_inv
	s_and_saveexec_b32 s6, s4
	s_cbranch_execz .LBB62_159
; %bb.146:
	ds_read_b128 v[1:4], v48
	s_andn2_b32 vcc_lo, exec_lo, s7
	s_cbranch_vccnz .LBB62_148
; %bb.147:
	s_clause 0x3
	buffer_load_dword v53, v47, s[0:3], 0 offen offset:8
	buffer_load_dword v54, v47, s[0:3], 0 offen offset:12
	buffer_load_dword v55, v47, s[0:3], 0 offen
	buffer_load_dword v56, v47, s[0:3], 0 offen offset:4
	s_waitcnt vmcnt(2) lgkmcnt(0)
	v_mul_f64 v[57:58], v[3:4], v[53:54]
	v_mul_f64 v[53:54], v[1:2], v[53:54]
	s_waitcnt vmcnt(0)
	v_fma_f64 v[1:2], v[1:2], v[55:56], -v[57:58]
	v_fma_f64 v[3:4], v[3:4], v[55:56], v[53:54]
.LBB62_148:
	s_and_saveexec_b32 s8, s5
	s_cbranch_execz .LBB62_158
; %bb.149:
	v_subrev_nc_u32_e32 v54, 52, v0
	v_mov_b32_e32 v55, 51
	v_subrev_nc_u32_e32 v53, 51, v0
	s_mov_b32 s5, exec_lo
	v_cmpx_lt_u32_e32 6, v54
	s_cbranch_execz .LBB62_153
; %bb.150:
	v_and_b32_e32 v54, -8, v53
	s_movk_i32 s73, 0x720
	s_mov_b32 s72, 0
	s_mov_b32 s74, s20
	;; [unrolled: 1-line block ×3, first 2 shown]
.LBB62_151:                             ; =>This Inner Loop Header: Depth=1
	v_mov_b32_e32 v55, s74
	v_mov_b32_e32 v184, s73
	s_add_i32 s76, s75, 8
	s_add_i32 s75, s75, 59
	v_cmp_eq_u32_e32 vcc_lo, s76, v54
	s_clause 0x1f
	buffer_load_dword v59, v55, s[0:3], 0 offen offset:8
	buffer_load_dword v60, v55, s[0:3], 0 offen offset:12
	buffer_load_dword v69, v55, s[0:3], 0 offen
	buffer_load_dword v70, v55, s[0:3], 0 offen offset:4
	buffer_load_dword v71, v55, s[0:3], 0 offen offset:24
	buffer_load_dword v72, v55, s[0:3], 0 offen offset:28
	buffer_load_dword v73, v55, s[0:3], 0 offen offset:16
	buffer_load_dword v74, v55, s[0:3], 0 offen offset:20
	buffer_load_dword v75, v55, s[0:3], 0 offen offset:40
	buffer_load_dword v76, v55, s[0:3], 0 offen offset:44
	buffer_load_dword v154, v55, s[0:3], 0 offen offset:32
	buffer_load_dword v155, v55, s[0:3], 0 offen offset:36
	buffer_load_dword v156, v55, s[0:3], 0 offen offset:56
	buffer_load_dword v157, v55, s[0:3], 0 offen offset:60
	buffer_load_dword v158, v55, s[0:3], 0 offen offset:48
	buffer_load_dword v159, v55, s[0:3], 0 offen offset:52
	buffer_load_dword v161, v55, s[0:3], 0 offen offset:76
	buffer_load_dword v162, v55, s[0:3], 0 offen offset:88
	buffer_load_dword v164, v55, s[0:3], 0 offen offset:80
	buffer_load_dword v160, v55, s[0:3], 0 offen offset:72
	buffer_load_dword v165, v55, s[0:3], 0 offen offset:84
	buffer_load_dword v163, v55, s[0:3], 0 offen offset:92
	buffer_load_dword v167, v55, s[0:3], 0 offen offset:68
	buffer_load_dword v166, v55, s[0:3], 0 offen offset:64
	buffer_load_dword v169, v55, s[0:3], 0 offen offset:108
	buffer_load_dword v170, v55, s[0:3], 0 offen offset:120
	buffer_load_dword v172, v55, s[0:3], 0 offen offset:112
	buffer_load_dword v168, v55, s[0:3], 0 offen offset:104
	buffer_load_dword v173, v55, s[0:3], 0 offen offset:116
	buffer_load_dword v171, v55, s[0:3], 0 offen offset:124
	buffer_load_dword v175, v55, s[0:3], 0 offen offset:100
	buffer_load_dword v174, v55, s[0:3], 0 offen offset:96
	ds_read_b128 v[55:58], v184
	ds_read_b128 v[65:68], v184 offset:16
	s_addk_i32 s73, 0x80
	s_addk_i32 s74, 0x80
	s_or_b32 s72, vcc_lo, s72
	s_waitcnt vmcnt(30) lgkmcnt(1)
	v_mul_f64 v[176:177], v[57:58], v[59:60]
	v_mul_f64 v[59:60], v[55:56], v[59:60]
	s_waitcnt vmcnt(26) lgkmcnt(0)
	v_mul_f64 v[178:179], v[67:68], v[71:72]
	v_mul_f64 v[180:181], v[65:66], v[71:72]
	v_fma_f64 v[176:177], v[55:56], v[69:70], -v[176:177]
	v_fma_f64 v[59:60], v[57:58], v[69:70], v[59:60]
	ds_read_b128 v[55:58], v184 offset:32
	ds_read_b128 v[69:72], v184 offset:48
	s_waitcnt vmcnt(24)
	v_fma_f64 v[65:66], v[65:66], v[73:74], -v[178:179]
	v_fma_f64 v[67:68], v[67:68], v[73:74], v[180:181]
	s_waitcnt vmcnt(22) lgkmcnt(1)
	v_mul_f64 v[182:183], v[57:58], v[75:76]
	v_mul_f64 v[75:76], v[55:56], v[75:76]
	v_add_f64 v[1:2], v[1:2], v[176:177]
	v_add_f64 v[3:4], v[3:4], v[59:60]
	s_waitcnt vmcnt(18) lgkmcnt(0)
	v_mul_f64 v[59:60], v[71:72], v[156:157]
	v_mul_f64 v[73:74], v[69:70], v[156:157]
	v_fma_f64 v[156:157], v[55:56], v[154:155], -v[182:183]
	v_fma_f64 v[75:76], v[57:58], v[154:155], v[75:76]
	v_add_f64 v[65:66], v[1:2], v[65:66]
	v_add_f64 v[67:68], v[3:4], v[67:68]
	ds_read_b128 v[1:4], v184 offset:64
	ds_read_b128 v[55:58], v184 offset:80
	s_waitcnt vmcnt(16)
	v_fma_f64 v[59:60], v[69:70], v[158:159], -v[59:60]
	v_fma_f64 v[69:70], v[71:72], v[158:159], v[73:74]
	s_waitcnt vmcnt(12) lgkmcnt(1)
	v_mul_f64 v[154:155], v[3:4], v[160:161]
	v_mul_f64 v[160:161], v[1:2], v[160:161]
	v_add_f64 v[65:66], v[65:66], v[156:157]
	v_add_f64 v[67:68], v[67:68], v[75:76]
	s_waitcnt vmcnt(10) lgkmcnt(0)
	v_mul_f64 v[71:72], v[57:58], v[162:163]
	v_mul_f64 v[73:74], v[55:56], v[162:163]
	s_waitcnt vmcnt(8)
	v_fma_f64 v[75:76], v[1:2], v[166:167], -v[154:155]
	v_fma_f64 v[154:155], v[3:4], v[166:167], v[160:161]
	v_add_f64 v[59:60], v[65:66], v[59:60]
	v_add_f64 v[69:70], v[67:68], v[69:70]
	ds_read_b128 v[1:4], v184 offset:96
	ds_read_b128 v[65:68], v184 offset:112
	v_fma_f64 v[55:56], v[55:56], v[164:165], -v[71:72]
	v_fma_f64 v[57:58], v[57:58], v[164:165], v[73:74]
	s_waitcnt vmcnt(4) lgkmcnt(1)
	v_mul_f64 v[156:157], v[3:4], v[168:169]
	v_mul_f64 v[158:159], v[1:2], v[168:169]
	v_add_f64 v[59:60], v[59:60], v[75:76]
	v_add_f64 v[69:70], v[69:70], v[154:155]
	s_waitcnt vmcnt(2) lgkmcnt(0)
	v_mul_f64 v[71:72], v[67:68], v[170:171]
	v_mul_f64 v[73:74], v[65:66], v[170:171]
	s_waitcnt vmcnt(0)
	v_fma_f64 v[1:2], v[1:2], v[174:175], -v[156:157]
	v_fma_f64 v[3:4], v[3:4], v[174:175], v[158:159]
	v_add_f64 v[55:56], v[59:60], v[55:56]
	v_add_f64 v[57:58], v[69:70], v[57:58]
	v_fma_f64 v[59:60], v[65:66], v[172:173], -v[71:72]
	v_fma_f64 v[65:66], v[67:68], v[172:173], v[73:74]
	v_add_f64 v[1:2], v[55:56], v[1:2]
	v_add_f64 v[3:4], v[57:58], v[3:4]
	v_mov_b32_e32 v55, s75
	s_mov_b32 s75, s76
	v_add_f64 v[1:2], v[1:2], v[59:60]
	v_add_f64 v[3:4], v[3:4], v[65:66]
	s_andn2_b32 exec_lo, exec_lo, s72
	s_cbranch_execnz .LBB62_151
; %bb.152:
	s_or_b32 exec_lo, exec_lo, s72
.LBB62_153:
	s_or_b32 exec_lo, exec_lo, s5
	v_and_b32_e32 v53, 7, v53
	s_mov_b32 s72, 0
	s_mov_b32 s5, exec_lo
	v_cmpx_ne_u32_e32 0, v53
	s_cbranch_execz .LBB62_157
; %bb.154:
	v_lshlrev_b32_e32 v55, 4, v55
	v_add_nc_u32_e32 v54, 0x3f0, v55
	.p2align	6
.LBB62_155:                             ; =>This Inner Loop Header: Depth=1
	s_clause 0x3
	buffer_load_dword v65, v55, s[0:3], 0 offen offset:8
	buffer_load_dword v66, v55, s[0:3], 0 offen offset:12
	buffer_load_dword v67, v55, s[0:3], 0 offen
	buffer_load_dword v68, v55, s[0:3], 0 offen offset:4
	ds_read_b128 v[56:59], v54
	v_add_nc_u32_e32 v53, -1, v53
	v_add_nc_u32_e32 v54, 16, v54
	v_add_nc_u32_e32 v55, 16, v55
	v_cmp_eq_u32_e32 vcc_lo, 0, v53
	s_or_b32 s72, vcc_lo, s72
	s_waitcnt vmcnt(2) lgkmcnt(0)
	v_mul_f64 v[69:70], v[58:59], v[65:66]
	v_mul_f64 v[65:66], v[56:57], v[65:66]
	s_waitcnt vmcnt(0)
	v_fma_f64 v[56:57], v[56:57], v[67:68], -v[69:70]
	v_fma_f64 v[58:59], v[58:59], v[67:68], v[65:66]
	v_add_f64 v[1:2], v[1:2], v[56:57]
	v_add_f64 v[3:4], v[3:4], v[58:59]
	s_andn2_b32 exec_lo, exec_lo, s72
	s_cbranch_execnz .LBB62_155
; %bb.156:
	s_or_b32 exec_lo, exec_lo, s72
.LBB62_157:
	s_or_b32 exec_lo, exec_lo, s5
.LBB62_158:
	s_or_b32 exec_lo, exec_lo, s8
	v_mov_b32_e32 v53, 0
	ds_read_b128 v[53:56], v53 offset:800
	s_waitcnt lgkmcnt(0)
	v_mul_f64 v[57:58], v[3:4], v[55:56]
	v_mul_f64 v[55:56], v[1:2], v[55:56]
	v_fma_f64 v[1:2], v[1:2], v[53:54], -v[57:58]
	v_fma_f64 v[3:4], v[3:4], v[53:54], v[55:56]
	buffer_store_dword v2, off, s[0:3], 0 offset:804
	buffer_store_dword v1, off, s[0:3], 0 offset:800
	;; [unrolled: 1-line block ×4, first 2 shown]
.LBB62_159:
	s_or_b32 exec_lo, exec_lo, s6
	v_mov_b32_e32 v4, s22
	v_cmp_lt_u32_e64 s5, 49, v0
	s_clause 0x3
	buffer_load_dword v1, v4, s[0:3], 0 offen
	buffer_load_dword v2, v4, s[0:3], 0 offen offset:4
	buffer_load_dword v3, v4, s[0:3], 0 offen offset:8
	;; [unrolled: 1-line block ×3, first 2 shown]
	s_waitcnt vmcnt(0)
	ds_write_b128 v48, v[1:4]
	s_waitcnt lgkmcnt(0)
	s_waitcnt_vscnt null, 0x0
	s_barrier
	buffer_gl0_inv
	s_and_saveexec_b32 s6, s5
	s_cbranch_execz .LBB62_173
; %bb.160:
	ds_read_b128 v[1:4], v48
	s_andn2_b32 vcc_lo, exec_lo, s7
	s_cbranch_vccnz .LBB62_162
; %bb.161:
	s_clause 0x3
	buffer_load_dword v53, v47, s[0:3], 0 offen offset:8
	buffer_load_dword v54, v47, s[0:3], 0 offen offset:12
	buffer_load_dword v55, v47, s[0:3], 0 offen
	buffer_load_dword v56, v47, s[0:3], 0 offen offset:4
	s_waitcnt vmcnt(2) lgkmcnt(0)
	v_mul_f64 v[57:58], v[3:4], v[53:54]
	v_mul_f64 v[53:54], v[1:2], v[53:54]
	s_waitcnt vmcnt(0)
	v_fma_f64 v[1:2], v[1:2], v[55:56], -v[57:58]
	v_fma_f64 v[3:4], v[3:4], v[55:56], v[53:54]
.LBB62_162:
	s_and_saveexec_b32 s8, s4
	s_cbranch_execz .LBB62_172
; %bb.163:
	v_subrev_nc_u32_e32 v54, 51, v0
	v_mov_b32_e32 v55, 50
	v_subrev_nc_u32_e32 v53, 50, v0
	s_mov_b32 s4, exec_lo
	v_cmpx_lt_u32_e32 6, v54
	s_cbranch_execz .LBB62_167
; %bb.164:
	v_and_b32_e32 v54, -8, v53
	s_movk_i32 s73, 0x710
	s_mov_b32 s72, 0
	s_mov_b32 s74, s21
	;; [unrolled: 1-line block ×3, first 2 shown]
.LBB62_165:                             ; =>This Inner Loop Header: Depth=1
	v_mov_b32_e32 v55, s74
	v_mov_b32_e32 v184, s73
	s_add_i32 s76, s75, 8
	s_add_i32 s75, s75, 58
	v_cmp_eq_u32_e32 vcc_lo, s76, v54
	s_clause 0x1f
	buffer_load_dword v59, v55, s[0:3], 0 offen offset:8
	buffer_load_dword v60, v55, s[0:3], 0 offen offset:12
	buffer_load_dword v69, v55, s[0:3], 0 offen
	buffer_load_dword v70, v55, s[0:3], 0 offen offset:4
	buffer_load_dword v71, v55, s[0:3], 0 offen offset:24
	;; [unrolled: 1-line block ×29, first 2 shown]
	ds_read_b128 v[55:58], v184
	ds_read_b128 v[65:68], v184 offset:16
	s_addk_i32 s73, 0x80
	s_addk_i32 s74, 0x80
	s_or_b32 s72, vcc_lo, s72
	s_waitcnt vmcnt(30) lgkmcnt(1)
	v_mul_f64 v[176:177], v[57:58], v[59:60]
	v_mul_f64 v[59:60], v[55:56], v[59:60]
	s_waitcnt vmcnt(26) lgkmcnt(0)
	v_mul_f64 v[178:179], v[67:68], v[71:72]
	v_mul_f64 v[180:181], v[65:66], v[71:72]
	v_fma_f64 v[176:177], v[55:56], v[69:70], -v[176:177]
	v_fma_f64 v[59:60], v[57:58], v[69:70], v[59:60]
	ds_read_b128 v[55:58], v184 offset:32
	ds_read_b128 v[69:72], v184 offset:48
	s_waitcnt vmcnt(24)
	v_fma_f64 v[65:66], v[65:66], v[73:74], -v[178:179]
	v_fma_f64 v[67:68], v[67:68], v[73:74], v[180:181]
	s_waitcnt vmcnt(22) lgkmcnt(1)
	v_mul_f64 v[182:183], v[57:58], v[75:76]
	v_mul_f64 v[75:76], v[55:56], v[75:76]
	v_add_f64 v[1:2], v[1:2], v[176:177]
	v_add_f64 v[3:4], v[3:4], v[59:60]
	s_waitcnt vmcnt(18) lgkmcnt(0)
	v_mul_f64 v[59:60], v[71:72], v[156:157]
	v_mul_f64 v[73:74], v[69:70], v[156:157]
	v_fma_f64 v[156:157], v[55:56], v[154:155], -v[182:183]
	v_fma_f64 v[75:76], v[57:58], v[154:155], v[75:76]
	v_add_f64 v[65:66], v[1:2], v[65:66]
	v_add_f64 v[67:68], v[3:4], v[67:68]
	ds_read_b128 v[1:4], v184 offset:64
	ds_read_b128 v[55:58], v184 offset:80
	s_waitcnt vmcnt(16)
	v_fma_f64 v[59:60], v[69:70], v[158:159], -v[59:60]
	v_fma_f64 v[69:70], v[71:72], v[158:159], v[73:74]
	s_waitcnt vmcnt(12) lgkmcnt(1)
	v_mul_f64 v[154:155], v[3:4], v[160:161]
	v_mul_f64 v[160:161], v[1:2], v[160:161]
	v_add_f64 v[65:66], v[65:66], v[156:157]
	v_add_f64 v[67:68], v[67:68], v[75:76]
	s_waitcnt vmcnt(10) lgkmcnt(0)
	v_mul_f64 v[71:72], v[57:58], v[162:163]
	v_mul_f64 v[73:74], v[55:56], v[162:163]
	s_waitcnt vmcnt(8)
	v_fma_f64 v[75:76], v[1:2], v[166:167], -v[154:155]
	v_fma_f64 v[154:155], v[3:4], v[166:167], v[160:161]
	v_add_f64 v[59:60], v[65:66], v[59:60]
	v_add_f64 v[69:70], v[67:68], v[69:70]
	ds_read_b128 v[1:4], v184 offset:96
	ds_read_b128 v[65:68], v184 offset:112
	v_fma_f64 v[55:56], v[55:56], v[164:165], -v[71:72]
	v_fma_f64 v[57:58], v[57:58], v[164:165], v[73:74]
	s_waitcnt vmcnt(4) lgkmcnt(1)
	v_mul_f64 v[156:157], v[3:4], v[168:169]
	v_mul_f64 v[158:159], v[1:2], v[168:169]
	v_add_f64 v[59:60], v[59:60], v[75:76]
	v_add_f64 v[69:70], v[69:70], v[154:155]
	s_waitcnt vmcnt(2) lgkmcnt(0)
	v_mul_f64 v[71:72], v[67:68], v[170:171]
	v_mul_f64 v[73:74], v[65:66], v[170:171]
	s_waitcnt vmcnt(0)
	v_fma_f64 v[1:2], v[1:2], v[174:175], -v[156:157]
	v_fma_f64 v[3:4], v[3:4], v[174:175], v[158:159]
	v_add_f64 v[55:56], v[59:60], v[55:56]
	v_add_f64 v[57:58], v[69:70], v[57:58]
	v_fma_f64 v[59:60], v[65:66], v[172:173], -v[71:72]
	v_fma_f64 v[65:66], v[67:68], v[172:173], v[73:74]
	v_add_f64 v[1:2], v[55:56], v[1:2]
	v_add_f64 v[3:4], v[57:58], v[3:4]
	v_mov_b32_e32 v55, s75
	s_mov_b32 s75, s76
	v_add_f64 v[1:2], v[1:2], v[59:60]
	v_add_f64 v[3:4], v[3:4], v[65:66]
	s_andn2_b32 exec_lo, exec_lo, s72
	s_cbranch_execnz .LBB62_165
; %bb.166:
	s_or_b32 exec_lo, exec_lo, s72
.LBB62_167:
	s_or_b32 exec_lo, exec_lo, s4
	v_and_b32_e32 v53, 7, v53
	s_mov_b32 s72, 0
	s_mov_b32 s4, exec_lo
	v_cmpx_ne_u32_e32 0, v53
	s_cbranch_execz .LBB62_171
; %bb.168:
	v_lshlrev_b32_e32 v55, 4, v55
	v_add_nc_u32_e32 v54, 0x3f0, v55
	.p2align	6
.LBB62_169:                             ; =>This Inner Loop Header: Depth=1
	s_clause 0x3
	buffer_load_dword v65, v55, s[0:3], 0 offen offset:8
	buffer_load_dword v66, v55, s[0:3], 0 offen offset:12
	buffer_load_dword v67, v55, s[0:3], 0 offen
	buffer_load_dword v68, v55, s[0:3], 0 offen offset:4
	ds_read_b128 v[56:59], v54
	v_add_nc_u32_e32 v53, -1, v53
	v_add_nc_u32_e32 v54, 16, v54
	v_add_nc_u32_e32 v55, 16, v55
	v_cmp_eq_u32_e32 vcc_lo, 0, v53
	s_or_b32 s72, vcc_lo, s72
	s_waitcnt vmcnt(2) lgkmcnt(0)
	v_mul_f64 v[69:70], v[58:59], v[65:66]
	v_mul_f64 v[65:66], v[56:57], v[65:66]
	s_waitcnt vmcnt(0)
	v_fma_f64 v[56:57], v[56:57], v[67:68], -v[69:70]
	v_fma_f64 v[58:59], v[58:59], v[67:68], v[65:66]
	v_add_f64 v[1:2], v[1:2], v[56:57]
	v_add_f64 v[3:4], v[3:4], v[58:59]
	s_andn2_b32 exec_lo, exec_lo, s72
	s_cbranch_execnz .LBB62_169
; %bb.170:
	s_or_b32 exec_lo, exec_lo, s72
.LBB62_171:
	s_or_b32 exec_lo, exec_lo, s4
.LBB62_172:
	s_or_b32 exec_lo, exec_lo, s8
	v_mov_b32_e32 v53, 0
	ds_read_b128 v[53:56], v53 offset:784
	s_waitcnt lgkmcnt(0)
	v_mul_f64 v[57:58], v[3:4], v[55:56]
	v_mul_f64 v[55:56], v[1:2], v[55:56]
	v_fma_f64 v[1:2], v[1:2], v[53:54], -v[57:58]
	v_fma_f64 v[3:4], v[3:4], v[53:54], v[55:56]
	buffer_store_dword v2, off, s[0:3], 0 offset:788
	buffer_store_dword v1, off, s[0:3], 0 offset:784
	;; [unrolled: 1-line block ×4, first 2 shown]
.LBB62_173:
	s_or_b32 exec_lo, exec_lo, s6
	v_mov_b32_e32 v4, s23
	v_cmp_lt_u32_e64 s4, 48, v0
	s_clause 0x3
	buffer_load_dword v1, v4, s[0:3], 0 offen
	buffer_load_dword v2, v4, s[0:3], 0 offen offset:4
	buffer_load_dword v3, v4, s[0:3], 0 offen offset:8
	;; [unrolled: 1-line block ×3, first 2 shown]
	s_waitcnt vmcnt(0)
	ds_write_b128 v48, v[1:4]
	s_waitcnt lgkmcnt(0)
	s_waitcnt_vscnt null, 0x0
	s_barrier
	buffer_gl0_inv
	s_and_saveexec_b32 s6, s4
	s_cbranch_execz .LBB62_187
; %bb.174:
	ds_read_b128 v[1:4], v48
	s_andn2_b32 vcc_lo, exec_lo, s7
	s_cbranch_vccnz .LBB62_176
; %bb.175:
	s_clause 0x3
	buffer_load_dword v53, v47, s[0:3], 0 offen offset:8
	buffer_load_dword v54, v47, s[0:3], 0 offen offset:12
	buffer_load_dword v55, v47, s[0:3], 0 offen
	buffer_load_dword v56, v47, s[0:3], 0 offen offset:4
	s_waitcnt vmcnt(2) lgkmcnt(0)
	v_mul_f64 v[57:58], v[3:4], v[53:54]
	v_mul_f64 v[53:54], v[1:2], v[53:54]
	s_waitcnt vmcnt(0)
	v_fma_f64 v[1:2], v[1:2], v[55:56], -v[57:58]
	v_fma_f64 v[3:4], v[3:4], v[55:56], v[53:54]
.LBB62_176:
	s_and_saveexec_b32 s8, s5
	s_cbranch_execz .LBB62_186
; %bb.177:
	v_subrev_nc_u32_e32 v54, 50, v0
	v_mov_b32_e32 v55, 49
	v_subrev_nc_u32_e32 v53, 49, v0
	s_mov_b32 s5, exec_lo
	v_cmpx_lt_u32_e32 6, v54
	s_cbranch_execz .LBB62_181
; %bb.178:
	v_and_b32_e32 v54, -8, v53
	s_movk_i32 s73, 0x700
	s_mov_b32 s72, 0
	s_mov_b32 s74, s22
	;; [unrolled: 1-line block ×3, first 2 shown]
.LBB62_179:                             ; =>This Inner Loop Header: Depth=1
	v_mov_b32_e32 v55, s74
	v_mov_b32_e32 v184, s73
	s_add_i32 s76, s75, 8
	s_add_i32 s75, s75, 57
	v_cmp_eq_u32_e32 vcc_lo, s76, v54
	s_clause 0x1f
	buffer_load_dword v59, v55, s[0:3], 0 offen offset:8
	buffer_load_dword v60, v55, s[0:3], 0 offen offset:12
	buffer_load_dword v69, v55, s[0:3], 0 offen
	buffer_load_dword v70, v55, s[0:3], 0 offen offset:4
	buffer_load_dword v71, v55, s[0:3], 0 offen offset:24
	;; [unrolled: 1-line block ×29, first 2 shown]
	ds_read_b128 v[55:58], v184
	ds_read_b128 v[65:68], v184 offset:16
	s_addk_i32 s73, 0x80
	s_addk_i32 s74, 0x80
	s_or_b32 s72, vcc_lo, s72
	s_waitcnt vmcnt(30) lgkmcnt(1)
	v_mul_f64 v[176:177], v[57:58], v[59:60]
	v_mul_f64 v[59:60], v[55:56], v[59:60]
	s_waitcnt vmcnt(26) lgkmcnt(0)
	v_mul_f64 v[178:179], v[67:68], v[71:72]
	v_mul_f64 v[180:181], v[65:66], v[71:72]
	v_fma_f64 v[176:177], v[55:56], v[69:70], -v[176:177]
	v_fma_f64 v[59:60], v[57:58], v[69:70], v[59:60]
	ds_read_b128 v[55:58], v184 offset:32
	ds_read_b128 v[69:72], v184 offset:48
	s_waitcnt vmcnt(24)
	v_fma_f64 v[65:66], v[65:66], v[73:74], -v[178:179]
	v_fma_f64 v[67:68], v[67:68], v[73:74], v[180:181]
	s_waitcnt vmcnt(22) lgkmcnt(1)
	v_mul_f64 v[182:183], v[57:58], v[75:76]
	v_mul_f64 v[75:76], v[55:56], v[75:76]
	v_add_f64 v[1:2], v[1:2], v[176:177]
	v_add_f64 v[3:4], v[3:4], v[59:60]
	s_waitcnt vmcnt(18) lgkmcnt(0)
	v_mul_f64 v[59:60], v[71:72], v[156:157]
	v_mul_f64 v[73:74], v[69:70], v[156:157]
	v_fma_f64 v[156:157], v[55:56], v[154:155], -v[182:183]
	v_fma_f64 v[75:76], v[57:58], v[154:155], v[75:76]
	v_add_f64 v[65:66], v[1:2], v[65:66]
	v_add_f64 v[67:68], v[3:4], v[67:68]
	ds_read_b128 v[1:4], v184 offset:64
	ds_read_b128 v[55:58], v184 offset:80
	s_waitcnt vmcnt(16)
	v_fma_f64 v[59:60], v[69:70], v[158:159], -v[59:60]
	v_fma_f64 v[69:70], v[71:72], v[158:159], v[73:74]
	s_waitcnt vmcnt(12) lgkmcnt(1)
	v_mul_f64 v[154:155], v[3:4], v[160:161]
	v_mul_f64 v[160:161], v[1:2], v[160:161]
	v_add_f64 v[65:66], v[65:66], v[156:157]
	v_add_f64 v[67:68], v[67:68], v[75:76]
	s_waitcnt vmcnt(10) lgkmcnt(0)
	v_mul_f64 v[71:72], v[57:58], v[162:163]
	v_mul_f64 v[73:74], v[55:56], v[162:163]
	s_waitcnt vmcnt(8)
	v_fma_f64 v[75:76], v[1:2], v[166:167], -v[154:155]
	v_fma_f64 v[154:155], v[3:4], v[166:167], v[160:161]
	v_add_f64 v[59:60], v[65:66], v[59:60]
	v_add_f64 v[69:70], v[67:68], v[69:70]
	ds_read_b128 v[1:4], v184 offset:96
	ds_read_b128 v[65:68], v184 offset:112
	v_fma_f64 v[55:56], v[55:56], v[164:165], -v[71:72]
	v_fma_f64 v[57:58], v[57:58], v[164:165], v[73:74]
	s_waitcnt vmcnt(4) lgkmcnt(1)
	v_mul_f64 v[156:157], v[3:4], v[168:169]
	v_mul_f64 v[158:159], v[1:2], v[168:169]
	v_add_f64 v[59:60], v[59:60], v[75:76]
	v_add_f64 v[69:70], v[69:70], v[154:155]
	s_waitcnt vmcnt(2) lgkmcnt(0)
	v_mul_f64 v[71:72], v[67:68], v[170:171]
	v_mul_f64 v[73:74], v[65:66], v[170:171]
	s_waitcnt vmcnt(0)
	v_fma_f64 v[1:2], v[1:2], v[174:175], -v[156:157]
	v_fma_f64 v[3:4], v[3:4], v[174:175], v[158:159]
	v_add_f64 v[55:56], v[59:60], v[55:56]
	v_add_f64 v[57:58], v[69:70], v[57:58]
	v_fma_f64 v[59:60], v[65:66], v[172:173], -v[71:72]
	v_fma_f64 v[65:66], v[67:68], v[172:173], v[73:74]
	v_add_f64 v[1:2], v[55:56], v[1:2]
	v_add_f64 v[3:4], v[57:58], v[3:4]
	v_mov_b32_e32 v55, s75
	s_mov_b32 s75, s76
	v_add_f64 v[1:2], v[1:2], v[59:60]
	v_add_f64 v[3:4], v[3:4], v[65:66]
	s_andn2_b32 exec_lo, exec_lo, s72
	s_cbranch_execnz .LBB62_179
; %bb.180:
	s_or_b32 exec_lo, exec_lo, s72
.LBB62_181:
	s_or_b32 exec_lo, exec_lo, s5
	v_and_b32_e32 v53, 7, v53
	s_mov_b32 s72, 0
	s_mov_b32 s5, exec_lo
	v_cmpx_ne_u32_e32 0, v53
	s_cbranch_execz .LBB62_185
; %bb.182:
	v_lshlrev_b32_e32 v55, 4, v55
	v_add_nc_u32_e32 v54, 0x3f0, v55
	.p2align	6
.LBB62_183:                             ; =>This Inner Loop Header: Depth=1
	s_clause 0x3
	buffer_load_dword v65, v55, s[0:3], 0 offen offset:8
	buffer_load_dword v66, v55, s[0:3], 0 offen offset:12
	buffer_load_dword v67, v55, s[0:3], 0 offen
	buffer_load_dword v68, v55, s[0:3], 0 offen offset:4
	ds_read_b128 v[56:59], v54
	v_add_nc_u32_e32 v53, -1, v53
	v_add_nc_u32_e32 v54, 16, v54
	v_add_nc_u32_e32 v55, 16, v55
	v_cmp_eq_u32_e32 vcc_lo, 0, v53
	s_or_b32 s72, vcc_lo, s72
	s_waitcnt vmcnt(2) lgkmcnt(0)
	v_mul_f64 v[69:70], v[58:59], v[65:66]
	v_mul_f64 v[65:66], v[56:57], v[65:66]
	s_waitcnt vmcnt(0)
	v_fma_f64 v[56:57], v[56:57], v[67:68], -v[69:70]
	v_fma_f64 v[58:59], v[58:59], v[67:68], v[65:66]
	v_add_f64 v[1:2], v[1:2], v[56:57]
	v_add_f64 v[3:4], v[3:4], v[58:59]
	s_andn2_b32 exec_lo, exec_lo, s72
	s_cbranch_execnz .LBB62_183
; %bb.184:
	s_or_b32 exec_lo, exec_lo, s72
.LBB62_185:
	s_or_b32 exec_lo, exec_lo, s5
.LBB62_186:
	s_or_b32 exec_lo, exec_lo, s8
	v_mov_b32_e32 v53, 0
	ds_read_b128 v[53:56], v53 offset:768
	s_waitcnt lgkmcnt(0)
	v_mul_f64 v[57:58], v[3:4], v[55:56]
	v_mul_f64 v[55:56], v[1:2], v[55:56]
	v_fma_f64 v[1:2], v[1:2], v[53:54], -v[57:58]
	v_fma_f64 v[3:4], v[3:4], v[53:54], v[55:56]
	buffer_store_dword v2, off, s[0:3], 0 offset:772
	buffer_store_dword v1, off, s[0:3], 0 offset:768
	;; [unrolled: 1-line block ×4, first 2 shown]
.LBB62_187:
	s_or_b32 exec_lo, exec_lo, s6
	v_mov_b32_e32 v4, s24
	v_cmp_lt_u32_e64 s5, 47, v0
	s_clause 0x3
	buffer_load_dword v1, v4, s[0:3], 0 offen
	buffer_load_dword v2, v4, s[0:3], 0 offen offset:4
	buffer_load_dword v3, v4, s[0:3], 0 offen offset:8
	;; [unrolled: 1-line block ×3, first 2 shown]
	s_waitcnt vmcnt(0)
	ds_write_b128 v48, v[1:4]
	s_waitcnt lgkmcnt(0)
	s_waitcnt_vscnt null, 0x0
	s_barrier
	buffer_gl0_inv
	s_and_saveexec_b32 s6, s5
	s_cbranch_execz .LBB62_201
; %bb.188:
	ds_read_b128 v[1:4], v48
	s_andn2_b32 vcc_lo, exec_lo, s7
	s_cbranch_vccnz .LBB62_190
; %bb.189:
	s_clause 0x3
	buffer_load_dword v53, v47, s[0:3], 0 offen offset:8
	buffer_load_dword v54, v47, s[0:3], 0 offen offset:12
	buffer_load_dword v55, v47, s[0:3], 0 offen
	buffer_load_dword v56, v47, s[0:3], 0 offen offset:4
	s_waitcnt vmcnt(2) lgkmcnt(0)
	v_mul_f64 v[57:58], v[3:4], v[53:54]
	v_mul_f64 v[53:54], v[1:2], v[53:54]
	s_waitcnt vmcnt(0)
	v_fma_f64 v[1:2], v[1:2], v[55:56], -v[57:58]
	v_fma_f64 v[3:4], v[3:4], v[55:56], v[53:54]
.LBB62_190:
	s_and_saveexec_b32 s8, s4
	s_cbranch_execz .LBB62_200
; %bb.191:
	v_subrev_nc_u32_e32 v53, 49, v0
	v_cmp_lt_u32_e32 vcc_lo, 6, v53
	v_mov_b32_e32 v53, 48
	s_and_saveexec_b32 s4, vcc_lo
	s_cbranch_execz .LBB62_195
; %bb.192:
	v_and_b32_e32 v53, 56, v0
	s_mov_b32 s72, 48
	s_movk_i32 s74, 0x6f0
	s_mov_b32 s73, 0
	s_mov_b32 s75, s23
.LBB62_193:                             ; =>This Inner Loop Header: Depth=1
	v_mov_b32_e32 v54, s75
	v_mov_b32_e32 v60, s74
	s_add_i32 s72, s72, 8
	s_addk_i32 s74, 0x80
	v_cmp_eq_u32_e32 vcc_lo, s72, v53
	s_clause 0x1f
	buffer_load_dword v58, v54, s[0:3], 0 offen offset:8
	buffer_load_dword v59, v54, s[0:3], 0 offen offset:12
	buffer_load_dword v69, v54, s[0:3], 0 offen
	buffer_load_dword v70, v54, s[0:3], 0 offen offset:4
	buffer_load_dword v71, v54, s[0:3], 0 offen offset:24
	;; [unrolled: 1-line block ×29, first 2 shown]
	ds_read_b128 v[54:57], v60
	ds_read_b128 v[65:68], v60 offset:16
	s_addk_i32 s75, 0x80
	s_or_b32 s73, vcc_lo, s73
	s_waitcnt vmcnt(30) lgkmcnt(1)
	v_mul_f64 v[176:177], v[56:57], v[58:59]
	v_mul_f64 v[58:59], v[54:55], v[58:59]
	s_waitcnt vmcnt(26) lgkmcnt(0)
	v_mul_f64 v[178:179], v[67:68], v[71:72]
	v_mul_f64 v[180:181], v[65:66], v[71:72]
	v_fma_f64 v[176:177], v[54:55], v[69:70], -v[176:177]
	v_fma_f64 v[58:59], v[56:57], v[69:70], v[58:59]
	ds_read_b128 v[54:57], v60 offset:32
	ds_read_b128 v[69:72], v60 offset:48
	s_waitcnt vmcnt(24)
	v_fma_f64 v[65:66], v[65:66], v[73:74], -v[178:179]
	v_fma_f64 v[67:68], v[67:68], v[73:74], v[180:181]
	s_waitcnt vmcnt(22) lgkmcnt(1)
	v_mul_f64 v[182:183], v[56:57], v[75:76]
	v_mul_f64 v[75:76], v[54:55], v[75:76]
	v_add_f64 v[1:2], v[1:2], v[176:177]
	v_add_f64 v[3:4], v[3:4], v[58:59]
	s_waitcnt vmcnt(18) lgkmcnt(0)
	v_mul_f64 v[58:59], v[71:72], v[156:157]
	v_mul_f64 v[73:74], v[69:70], v[156:157]
	v_fma_f64 v[156:157], v[54:55], v[154:155], -v[182:183]
	v_fma_f64 v[75:76], v[56:57], v[154:155], v[75:76]
	v_add_f64 v[65:66], v[1:2], v[65:66]
	v_add_f64 v[67:68], v[3:4], v[67:68]
	ds_read_b128 v[1:4], v60 offset:64
	ds_read_b128 v[54:57], v60 offset:80
	s_waitcnt vmcnt(16)
	v_fma_f64 v[58:59], v[69:70], v[158:159], -v[58:59]
	v_fma_f64 v[69:70], v[71:72], v[158:159], v[73:74]
	s_waitcnt vmcnt(12) lgkmcnt(1)
	v_mul_f64 v[154:155], v[3:4], v[160:161]
	v_mul_f64 v[160:161], v[1:2], v[160:161]
	v_add_f64 v[65:66], v[65:66], v[156:157]
	v_add_f64 v[67:68], v[67:68], v[75:76]
	s_waitcnt vmcnt(10) lgkmcnt(0)
	v_mul_f64 v[71:72], v[56:57], v[162:163]
	v_mul_f64 v[73:74], v[54:55], v[162:163]
	s_waitcnt vmcnt(8)
	v_fma_f64 v[75:76], v[1:2], v[166:167], -v[154:155]
	v_fma_f64 v[154:155], v[3:4], v[166:167], v[160:161]
	v_add_f64 v[58:59], v[65:66], v[58:59]
	v_add_f64 v[69:70], v[67:68], v[69:70]
	ds_read_b128 v[1:4], v60 offset:96
	ds_read_b128 v[65:68], v60 offset:112
	v_fma_f64 v[54:55], v[54:55], v[164:165], -v[71:72]
	v_fma_f64 v[56:57], v[56:57], v[164:165], v[73:74]
	s_waitcnt vmcnt(4) lgkmcnt(1)
	v_mul_f64 v[156:157], v[3:4], v[168:169]
	v_mul_f64 v[158:159], v[1:2], v[168:169]
	v_add_f64 v[58:59], v[58:59], v[75:76]
	v_add_f64 v[69:70], v[69:70], v[154:155]
	s_waitcnt vmcnt(2) lgkmcnt(0)
	v_mul_f64 v[71:72], v[67:68], v[170:171]
	v_mul_f64 v[73:74], v[65:66], v[170:171]
	s_waitcnt vmcnt(0)
	v_fma_f64 v[1:2], v[1:2], v[174:175], -v[156:157]
	v_fma_f64 v[3:4], v[3:4], v[174:175], v[158:159]
	v_add_f64 v[54:55], v[58:59], v[54:55]
	v_add_f64 v[56:57], v[69:70], v[56:57]
	v_fma_f64 v[58:59], v[65:66], v[172:173], -v[71:72]
	v_fma_f64 v[65:66], v[67:68], v[172:173], v[73:74]
	v_add_f64 v[1:2], v[54:55], v[1:2]
	v_add_f64 v[3:4], v[56:57], v[3:4]
	;; [unrolled: 1-line block ×4, first 2 shown]
	s_andn2_b32 exec_lo, exec_lo, s73
	s_cbranch_execnz .LBB62_193
; %bb.194:
	s_or_b32 exec_lo, exec_lo, s73
.LBB62_195:
	s_or_b32 exec_lo, exec_lo, s4
	v_and_b32_e32 v54, 7, v0
	s_mov_b32 s72, 0
	s_mov_b32 s4, exec_lo
	v_cmpx_ne_u32_e32 0, v54
	s_cbranch_execz .LBB62_199
; %bb.196:
	v_lshlrev_b32_e32 v55, 4, v53
	v_add_nc_u32_e32 v53, 0x3f0, v55
	.p2align	6
.LBB62_197:                             ; =>This Inner Loop Header: Depth=1
	s_clause 0x3
	buffer_load_dword v65, v55, s[0:3], 0 offen offset:8
	buffer_load_dword v66, v55, s[0:3], 0 offen offset:12
	buffer_load_dword v67, v55, s[0:3], 0 offen
	buffer_load_dword v68, v55, s[0:3], 0 offen offset:4
	ds_read_b128 v[56:59], v53
	v_add_nc_u32_e32 v54, -1, v54
	v_add_nc_u32_e32 v53, 16, v53
	v_add_nc_u32_e32 v55, 16, v55
	v_cmp_eq_u32_e32 vcc_lo, 0, v54
	s_or_b32 s72, vcc_lo, s72
	s_waitcnt vmcnt(2) lgkmcnt(0)
	v_mul_f64 v[69:70], v[58:59], v[65:66]
	v_mul_f64 v[65:66], v[56:57], v[65:66]
	s_waitcnt vmcnt(0)
	v_fma_f64 v[56:57], v[56:57], v[67:68], -v[69:70]
	v_fma_f64 v[58:59], v[58:59], v[67:68], v[65:66]
	v_add_f64 v[1:2], v[1:2], v[56:57]
	v_add_f64 v[3:4], v[3:4], v[58:59]
	s_andn2_b32 exec_lo, exec_lo, s72
	s_cbranch_execnz .LBB62_197
; %bb.198:
	s_or_b32 exec_lo, exec_lo, s72
.LBB62_199:
	s_or_b32 exec_lo, exec_lo, s4
.LBB62_200:
	s_or_b32 exec_lo, exec_lo, s8
	v_mov_b32_e32 v53, 0
	ds_read_b128 v[53:56], v53 offset:752
	s_waitcnt lgkmcnt(0)
	v_mul_f64 v[57:58], v[3:4], v[55:56]
	v_mul_f64 v[55:56], v[1:2], v[55:56]
	v_fma_f64 v[1:2], v[1:2], v[53:54], -v[57:58]
	v_fma_f64 v[3:4], v[3:4], v[53:54], v[55:56]
	buffer_store_dword v2, off, s[0:3], 0 offset:756
	buffer_store_dword v1, off, s[0:3], 0 offset:752
	;; [unrolled: 1-line block ×4, first 2 shown]
.LBB62_201:
	s_or_b32 exec_lo, exec_lo, s6
	v_mov_b32_e32 v4, s25
	v_cmp_lt_u32_e64 s4, 46, v0
	s_clause 0x3
	buffer_load_dword v1, v4, s[0:3], 0 offen
	buffer_load_dword v2, v4, s[0:3], 0 offen offset:4
	buffer_load_dword v3, v4, s[0:3], 0 offen offset:8
	buffer_load_dword v4, v4, s[0:3], 0 offen offset:12
	s_waitcnt vmcnt(0)
	ds_write_b128 v48, v[1:4]
	s_waitcnt lgkmcnt(0)
	s_waitcnt_vscnt null, 0x0
	s_barrier
	buffer_gl0_inv
	s_and_saveexec_b32 s6, s4
	s_cbranch_execz .LBB62_215
; %bb.202:
	ds_read_b128 v[1:4], v48
	s_andn2_b32 vcc_lo, exec_lo, s7
	s_cbranch_vccnz .LBB62_204
; %bb.203:
	s_clause 0x3
	buffer_load_dword v53, v47, s[0:3], 0 offen offset:8
	buffer_load_dword v54, v47, s[0:3], 0 offen offset:12
	buffer_load_dword v55, v47, s[0:3], 0 offen
	buffer_load_dword v56, v47, s[0:3], 0 offen offset:4
	s_waitcnt vmcnt(2) lgkmcnt(0)
	v_mul_f64 v[57:58], v[3:4], v[53:54]
	v_mul_f64 v[53:54], v[1:2], v[53:54]
	s_waitcnt vmcnt(0)
	v_fma_f64 v[1:2], v[1:2], v[55:56], -v[57:58]
	v_fma_f64 v[3:4], v[3:4], v[55:56], v[53:54]
.LBB62_204:
	s_and_saveexec_b32 s8, s5
	s_cbranch_execz .LBB62_214
; %bb.205:
	v_subrev_nc_u32_e32 v54, 48, v0
	v_mov_b32_e32 v55, 47
	v_subrev_nc_u32_e32 v53, 47, v0
	s_mov_b32 s5, exec_lo
	v_cmpx_lt_u32_e32 6, v54
	s_cbranch_execz .LBB62_209
; %bb.206:
	v_and_b32_e32 v54, -8, v53
	s_movk_i32 s73, 0x6e0
	s_mov_b32 s72, 0
	s_mov_b32 s74, s24
	;; [unrolled: 1-line block ×3, first 2 shown]
.LBB62_207:                             ; =>This Inner Loop Header: Depth=1
	v_mov_b32_e32 v55, s74
	v_mov_b32_e32 v184, s73
	s_add_i32 s76, s75, 8
	s_add_i32 s75, s75, 55
	v_cmp_eq_u32_e32 vcc_lo, s76, v54
	s_clause 0x1f
	buffer_load_dword v59, v55, s[0:3], 0 offen offset:8
	buffer_load_dword v60, v55, s[0:3], 0 offen offset:12
	buffer_load_dword v69, v55, s[0:3], 0 offen
	buffer_load_dword v70, v55, s[0:3], 0 offen offset:4
	buffer_load_dword v71, v55, s[0:3], 0 offen offset:24
	buffer_load_dword v72, v55, s[0:3], 0 offen offset:28
	buffer_load_dword v73, v55, s[0:3], 0 offen offset:16
	buffer_load_dword v74, v55, s[0:3], 0 offen offset:20
	buffer_load_dword v75, v55, s[0:3], 0 offen offset:40
	buffer_load_dword v76, v55, s[0:3], 0 offen offset:44
	buffer_load_dword v154, v55, s[0:3], 0 offen offset:32
	buffer_load_dword v155, v55, s[0:3], 0 offen offset:36
	buffer_load_dword v156, v55, s[0:3], 0 offen offset:56
	buffer_load_dword v157, v55, s[0:3], 0 offen offset:60
	buffer_load_dword v158, v55, s[0:3], 0 offen offset:48
	buffer_load_dword v159, v55, s[0:3], 0 offen offset:52
	buffer_load_dword v161, v55, s[0:3], 0 offen offset:76
	buffer_load_dword v162, v55, s[0:3], 0 offen offset:88
	buffer_load_dword v164, v55, s[0:3], 0 offen offset:80
	buffer_load_dword v160, v55, s[0:3], 0 offen offset:72
	buffer_load_dword v165, v55, s[0:3], 0 offen offset:84
	buffer_load_dword v163, v55, s[0:3], 0 offen offset:92
	buffer_load_dword v167, v55, s[0:3], 0 offen offset:68
	buffer_load_dword v166, v55, s[0:3], 0 offen offset:64
	buffer_load_dword v169, v55, s[0:3], 0 offen offset:108
	buffer_load_dword v170, v55, s[0:3], 0 offen offset:120
	buffer_load_dword v172, v55, s[0:3], 0 offen offset:112
	buffer_load_dword v168, v55, s[0:3], 0 offen offset:104
	buffer_load_dword v173, v55, s[0:3], 0 offen offset:116
	buffer_load_dword v171, v55, s[0:3], 0 offen offset:124
	buffer_load_dword v175, v55, s[0:3], 0 offen offset:100
	buffer_load_dword v174, v55, s[0:3], 0 offen offset:96
	ds_read_b128 v[55:58], v184
	ds_read_b128 v[65:68], v184 offset:16
	s_addk_i32 s73, 0x80
	s_addk_i32 s74, 0x80
	s_or_b32 s72, vcc_lo, s72
	s_waitcnt vmcnt(30) lgkmcnt(1)
	v_mul_f64 v[176:177], v[57:58], v[59:60]
	v_mul_f64 v[59:60], v[55:56], v[59:60]
	s_waitcnt vmcnt(26) lgkmcnt(0)
	v_mul_f64 v[178:179], v[67:68], v[71:72]
	v_mul_f64 v[180:181], v[65:66], v[71:72]
	v_fma_f64 v[176:177], v[55:56], v[69:70], -v[176:177]
	v_fma_f64 v[59:60], v[57:58], v[69:70], v[59:60]
	ds_read_b128 v[55:58], v184 offset:32
	ds_read_b128 v[69:72], v184 offset:48
	s_waitcnt vmcnt(24)
	v_fma_f64 v[65:66], v[65:66], v[73:74], -v[178:179]
	v_fma_f64 v[67:68], v[67:68], v[73:74], v[180:181]
	s_waitcnt vmcnt(22) lgkmcnt(1)
	v_mul_f64 v[182:183], v[57:58], v[75:76]
	v_mul_f64 v[75:76], v[55:56], v[75:76]
	v_add_f64 v[1:2], v[1:2], v[176:177]
	v_add_f64 v[3:4], v[3:4], v[59:60]
	s_waitcnt vmcnt(18) lgkmcnt(0)
	v_mul_f64 v[59:60], v[71:72], v[156:157]
	v_mul_f64 v[73:74], v[69:70], v[156:157]
	v_fma_f64 v[156:157], v[55:56], v[154:155], -v[182:183]
	v_fma_f64 v[75:76], v[57:58], v[154:155], v[75:76]
	v_add_f64 v[65:66], v[1:2], v[65:66]
	v_add_f64 v[67:68], v[3:4], v[67:68]
	ds_read_b128 v[1:4], v184 offset:64
	ds_read_b128 v[55:58], v184 offset:80
	s_waitcnt vmcnt(16)
	v_fma_f64 v[59:60], v[69:70], v[158:159], -v[59:60]
	v_fma_f64 v[69:70], v[71:72], v[158:159], v[73:74]
	s_waitcnt vmcnt(12) lgkmcnt(1)
	v_mul_f64 v[154:155], v[3:4], v[160:161]
	v_mul_f64 v[160:161], v[1:2], v[160:161]
	v_add_f64 v[65:66], v[65:66], v[156:157]
	v_add_f64 v[67:68], v[67:68], v[75:76]
	s_waitcnt vmcnt(10) lgkmcnt(0)
	v_mul_f64 v[71:72], v[57:58], v[162:163]
	v_mul_f64 v[73:74], v[55:56], v[162:163]
	s_waitcnt vmcnt(8)
	v_fma_f64 v[75:76], v[1:2], v[166:167], -v[154:155]
	v_fma_f64 v[154:155], v[3:4], v[166:167], v[160:161]
	v_add_f64 v[59:60], v[65:66], v[59:60]
	v_add_f64 v[69:70], v[67:68], v[69:70]
	ds_read_b128 v[1:4], v184 offset:96
	ds_read_b128 v[65:68], v184 offset:112
	v_fma_f64 v[55:56], v[55:56], v[164:165], -v[71:72]
	v_fma_f64 v[57:58], v[57:58], v[164:165], v[73:74]
	s_waitcnt vmcnt(4) lgkmcnt(1)
	v_mul_f64 v[156:157], v[3:4], v[168:169]
	v_mul_f64 v[158:159], v[1:2], v[168:169]
	v_add_f64 v[59:60], v[59:60], v[75:76]
	v_add_f64 v[69:70], v[69:70], v[154:155]
	s_waitcnt vmcnt(2) lgkmcnt(0)
	v_mul_f64 v[71:72], v[67:68], v[170:171]
	v_mul_f64 v[73:74], v[65:66], v[170:171]
	s_waitcnt vmcnt(0)
	v_fma_f64 v[1:2], v[1:2], v[174:175], -v[156:157]
	v_fma_f64 v[3:4], v[3:4], v[174:175], v[158:159]
	v_add_f64 v[55:56], v[59:60], v[55:56]
	v_add_f64 v[57:58], v[69:70], v[57:58]
	v_fma_f64 v[59:60], v[65:66], v[172:173], -v[71:72]
	v_fma_f64 v[65:66], v[67:68], v[172:173], v[73:74]
	v_add_f64 v[1:2], v[55:56], v[1:2]
	v_add_f64 v[3:4], v[57:58], v[3:4]
	v_mov_b32_e32 v55, s75
	s_mov_b32 s75, s76
	v_add_f64 v[1:2], v[1:2], v[59:60]
	v_add_f64 v[3:4], v[3:4], v[65:66]
	s_andn2_b32 exec_lo, exec_lo, s72
	s_cbranch_execnz .LBB62_207
; %bb.208:
	s_or_b32 exec_lo, exec_lo, s72
.LBB62_209:
	s_or_b32 exec_lo, exec_lo, s5
	v_and_b32_e32 v53, 7, v53
	s_mov_b32 s72, 0
	s_mov_b32 s5, exec_lo
	v_cmpx_ne_u32_e32 0, v53
	s_cbranch_execz .LBB62_213
; %bb.210:
	v_lshlrev_b32_e32 v55, 4, v55
	v_add_nc_u32_e32 v54, 0x3f0, v55
	.p2align	6
.LBB62_211:                             ; =>This Inner Loop Header: Depth=1
	s_clause 0x3
	buffer_load_dword v65, v55, s[0:3], 0 offen offset:8
	buffer_load_dword v66, v55, s[0:3], 0 offen offset:12
	buffer_load_dword v67, v55, s[0:3], 0 offen
	buffer_load_dword v68, v55, s[0:3], 0 offen offset:4
	ds_read_b128 v[56:59], v54
	v_add_nc_u32_e32 v53, -1, v53
	v_add_nc_u32_e32 v54, 16, v54
	v_add_nc_u32_e32 v55, 16, v55
	v_cmp_eq_u32_e32 vcc_lo, 0, v53
	s_or_b32 s72, vcc_lo, s72
	s_waitcnt vmcnt(2) lgkmcnt(0)
	v_mul_f64 v[69:70], v[58:59], v[65:66]
	v_mul_f64 v[65:66], v[56:57], v[65:66]
	s_waitcnt vmcnt(0)
	v_fma_f64 v[56:57], v[56:57], v[67:68], -v[69:70]
	v_fma_f64 v[58:59], v[58:59], v[67:68], v[65:66]
	v_add_f64 v[1:2], v[1:2], v[56:57]
	v_add_f64 v[3:4], v[3:4], v[58:59]
	s_andn2_b32 exec_lo, exec_lo, s72
	s_cbranch_execnz .LBB62_211
; %bb.212:
	s_or_b32 exec_lo, exec_lo, s72
.LBB62_213:
	s_or_b32 exec_lo, exec_lo, s5
.LBB62_214:
	s_or_b32 exec_lo, exec_lo, s8
	v_mov_b32_e32 v53, 0
	ds_read_b128 v[53:56], v53 offset:736
	s_waitcnt lgkmcnt(0)
	v_mul_f64 v[57:58], v[3:4], v[55:56]
	v_mul_f64 v[55:56], v[1:2], v[55:56]
	v_fma_f64 v[1:2], v[1:2], v[53:54], -v[57:58]
	v_fma_f64 v[3:4], v[3:4], v[53:54], v[55:56]
	buffer_store_dword v2, off, s[0:3], 0 offset:740
	buffer_store_dword v1, off, s[0:3], 0 offset:736
	;; [unrolled: 1-line block ×4, first 2 shown]
.LBB62_215:
	s_or_b32 exec_lo, exec_lo, s6
	v_mov_b32_e32 v4, s26
	v_cmp_lt_u32_e64 s5, 45, v0
	s_clause 0x3
	buffer_load_dword v1, v4, s[0:3], 0 offen
	buffer_load_dword v2, v4, s[0:3], 0 offen offset:4
	buffer_load_dword v3, v4, s[0:3], 0 offen offset:8
	;; [unrolled: 1-line block ×3, first 2 shown]
	s_waitcnt vmcnt(0)
	ds_write_b128 v48, v[1:4]
	s_waitcnt lgkmcnt(0)
	s_waitcnt_vscnt null, 0x0
	s_barrier
	buffer_gl0_inv
	s_and_saveexec_b32 s6, s5
	s_cbranch_execz .LBB62_229
; %bb.216:
	ds_read_b128 v[1:4], v48
	s_andn2_b32 vcc_lo, exec_lo, s7
	s_cbranch_vccnz .LBB62_218
; %bb.217:
	s_clause 0x3
	buffer_load_dword v53, v47, s[0:3], 0 offen offset:8
	buffer_load_dword v54, v47, s[0:3], 0 offen offset:12
	buffer_load_dword v55, v47, s[0:3], 0 offen
	buffer_load_dword v56, v47, s[0:3], 0 offen offset:4
	s_waitcnt vmcnt(2) lgkmcnt(0)
	v_mul_f64 v[57:58], v[3:4], v[53:54]
	v_mul_f64 v[53:54], v[1:2], v[53:54]
	s_waitcnt vmcnt(0)
	v_fma_f64 v[1:2], v[1:2], v[55:56], -v[57:58]
	v_fma_f64 v[3:4], v[3:4], v[55:56], v[53:54]
.LBB62_218:
	s_and_saveexec_b32 s8, s4
	s_cbranch_execz .LBB62_228
; %bb.219:
	v_subrev_nc_u32_e32 v54, 47, v0
	v_mov_b32_e32 v55, 46
	v_subrev_nc_u32_e32 v53, 46, v0
	s_mov_b32 s4, exec_lo
	v_cmpx_lt_u32_e32 6, v54
	s_cbranch_execz .LBB62_223
; %bb.220:
	v_and_b32_e32 v54, -8, v53
	s_movk_i32 s73, 0x6d0
	s_mov_b32 s72, 0
	s_mov_b32 s74, s25
	;; [unrolled: 1-line block ×3, first 2 shown]
.LBB62_221:                             ; =>This Inner Loop Header: Depth=1
	v_mov_b32_e32 v55, s74
	v_mov_b32_e32 v184, s73
	s_add_i32 s76, s75, 8
	s_add_i32 s75, s75, 54
	v_cmp_eq_u32_e32 vcc_lo, s76, v54
	s_clause 0x1f
	buffer_load_dword v59, v55, s[0:3], 0 offen offset:8
	buffer_load_dword v60, v55, s[0:3], 0 offen offset:12
	buffer_load_dword v69, v55, s[0:3], 0 offen
	buffer_load_dword v70, v55, s[0:3], 0 offen offset:4
	buffer_load_dword v71, v55, s[0:3], 0 offen offset:24
	;; [unrolled: 1-line block ×29, first 2 shown]
	ds_read_b128 v[55:58], v184
	ds_read_b128 v[65:68], v184 offset:16
	s_addk_i32 s73, 0x80
	s_addk_i32 s74, 0x80
	s_or_b32 s72, vcc_lo, s72
	s_waitcnt vmcnt(30) lgkmcnt(1)
	v_mul_f64 v[176:177], v[57:58], v[59:60]
	v_mul_f64 v[59:60], v[55:56], v[59:60]
	s_waitcnt vmcnt(26) lgkmcnt(0)
	v_mul_f64 v[178:179], v[67:68], v[71:72]
	v_mul_f64 v[180:181], v[65:66], v[71:72]
	v_fma_f64 v[176:177], v[55:56], v[69:70], -v[176:177]
	v_fma_f64 v[59:60], v[57:58], v[69:70], v[59:60]
	ds_read_b128 v[55:58], v184 offset:32
	ds_read_b128 v[69:72], v184 offset:48
	s_waitcnt vmcnt(24)
	v_fma_f64 v[65:66], v[65:66], v[73:74], -v[178:179]
	v_fma_f64 v[67:68], v[67:68], v[73:74], v[180:181]
	s_waitcnt vmcnt(22) lgkmcnt(1)
	v_mul_f64 v[182:183], v[57:58], v[75:76]
	v_mul_f64 v[75:76], v[55:56], v[75:76]
	v_add_f64 v[1:2], v[1:2], v[176:177]
	v_add_f64 v[3:4], v[3:4], v[59:60]
	s_waitcnt vmcnt(18) lgkmcnt(0)
	v_mul_f64 v[59:60], v[71:72], v[156:157]
	v_mul_f64 v[73:74], v[69:70], v[156:157]
	v_fma_f64 v[156:157], v[55:56], v[154:155], -v[182:183]
	v_fma_f64 v[75:76], v[57:58], v[154:155], v[75:76]
	v_add_f64 v[65:66], v[1:2], v[65:66]
	v_add_f64 v[67:68], v[3:4], v[67:68]
	ds_read_b128 v[1:4], v184 offset:64
	ds_read_b128 v[55:58], v184 offset:80
	s_waitcnt vmcnt(16)
	v_fma_f64 v[59:60], v[69:70], v[158:159], -v[59:60]
	v_fma_f64 v[69:70], v[71:72], v[158:159], v[73:74]
	s_waitcnt vmcnt(12) lgkmcnt(1)
	v_mul_f64 v[154:155], v[3:4], v[160:161]
	v_mul_f64 v[160:161], v[1:2], v[160:161]
	v_add_f64 v[65:66], v[65:66], v[156:157]
	v_add_f64 v[67:68], v[67:68], v[75:76]
	s_waitcnt vmcnt(10) lgkmcnt(0)
	v_mul_f64 v[71:72], v[57:58], v[162:163]
	v_mul_f64 v[73:74], v[55:56], v[162:163]
	s_waitcnt vmcnt(8)
	v_fma_f64 v[75:76], v[1:2], v[166:167], -v[154:155]
	v_fma_f64 v[154:155], v[3:4], v[166:167], v[160:161]
	v_add_f64 v[59:60], v[65:66], v[59:60]
	v_add_f64 v[69:70], v[67:68], v[69:70]
	ds_read_b128 v[1:4], v184 offset:96
	ds_read_b128 v[65:68], v184 offset:112
	v_fma_f64 v[55:56], v[55:56], v[164:165], -v[71:72]
	v_fma_f64 v[57:58], v[57:58], v[164:165], v[73:74]
	s_waitcnt vmcnt(4) lgkmcnt(1)
	v_mul_f64 v[156:157], v[3:4], v[168:169]
	v_mul_f64 v[158:159], v[1:2], v[168:169]
	v_add_f64 v[59:60], v[59:60], v[75:76]
	v_add_f64 v[69:70], v[69:70], v[154:155]
	s_waitcnt vmcnt(2) lgkmcnt(0)
	v_mul_f64 v[71:72], v[67:68], v[170:171]
	v_mul_f64 v[73:74], v[65:66], v[170:171]
	s_waitcnt vmcnt(0)
	v_fma_f64 v[1:2], v[1:2], v[174:175], -v[156:157]
	v_fma_f64 v[3:4], v[3:4], v[174:175], v[158:159]
	v_add_f64 v[55:56], v[59:60], v[55:56]
	v_add_f64 v[57:58], v[69:70], v[57:58]
	v_fma_f64 v[59:60], v[65:66], v[172:173], -v[71:72]
	v_fma_f64 v[65:66], v[67:68], v[172:173], v[73:74]
	v_add_f64 v[1:2], v[55:56], v[1:2]
	v_add_f64 v[3:4], v[57:58], v[3:4]
	v_mov_b32_e32 v55, s75
	s_mov_b32 s75, s76
	v_add_f64 v[1:2], v[1:2], v[59:60]
	v_add_f64 v[3:4], v[3:4], v[65:66]
	s_andn2_b32 exec_lo, exec_lo, s72
	s_cbranch_execnz .LBB62_221
; %bb.222:
	s_or_b32 exec_lo, exec_lo, s72
.LBB62_223:
	s_or_b32 exec_lo, exec_lo, s4
	v_and_b32_e32 v53, 7, v53
	s_mov_b32 s72, 0
	s_mov_b32 s4, exec_lo
	v_cmpx_ne_u32_e32 0, v53
	s_cbranch_execz .LBB62_227
; %bb.224:
	v_lshlrev_b32_e32 v55, 4, v55
	v_add_nc_u32_e32 v54, 0x3f0, v55
	.p2align	6
.LBB62_225:                             ; =>This Inner Loop Header: Depth=1
	s_clause 0x3
	buffer_load_dword v65, v55, s[0:3], 0 offen offset:8
	buffer_load_dword v66, v55, s[0:3], 0 offen offset:12
	buffer_load_dword v67, v55, s[0:3], 0 offen
	buffer_load_dword v68, v55, s[0:3], 0 offen offset:4
	ds_read_b128 v[56:59], v54
	v_add_nc_u32_e32 v53, -1, v53
	v_add_nc_u32_e32 v54, 16, v54
	v_add_nc_u32_e32 v55, 16, v55
	v_cmp_eq_u32_e32 vcc_lo, 0, v53
	s_or_b32 s72, vcc_lo, s72
	s_waitcnt vmcnt(2) lgkmcnt(0)
	v_mul_f64 v[69:70], v[58:59], v[65:66]
	v_mul_f64 v[65:66], v[56:57], v[65:66]
	s_waitcnt vmcnt(0)
	v_fma_f64 v[56:57], v[56:57], v[67:68], -v[69:70]
	v_fma_f64 v[58:59], v[58:59], v[67:68], v[65:66]
	v_add_f64 v[1:2], v[1:2], v[56:57]
	v_add_f64 v[3:4], v[3:4], v[58:59]
	s_andn2_b32 exec_lo, exec_lo, s72
	s_cbranch_execnz .LBB62_225
; %bb.226:
	s_or_b32 exec_lo, exec_lo, s72
.LBB62_227:
	s_or_b32 exec_lo, exec_lo, s4
.LBB62_228:
	s_or_b32 exec_lo, exec_lo, s8
	v_mov_b32_e32 v53, 0
	ds_read_b128 v[53:56], v53 offset:720
	s_waitcnt lgkmcnt(0)
	v_mul_f64 v[57:58], v[3:4], v[55:56]
	v_mul_f64 v[55:56], v[1:2], v[55:56]
	v_fma_f64 v[1:2], v[1:2], v[53:54], -v[57:58]
	v_fma_f64 v[3:4], v[3:4], v[53:54], v[55:56]
	buffer_store_dword v2, off, s[0:3], 0 offset:724
	buffer_store_dword v1, off, s[0:3], 0 offset:720
	;; [unrolled: 1-line block ×4, first 2 shown]
.LBB62_229:
	s_or_b32 exec_lo, exec_lo, s6
	v_mov_b32_e32 v4, s27
	v_cmp_lt_u32_e64 s4, 44, v0
	s_clause 0x3
	buffer_load_dword v1, v4, s[0:3], 0 offen
	buffer_load_dword v2, v4, s[0:3], 0 offen offset:4
	buffer_load_dword v3, v4, s[0:3], 0 offen offset:8
	;; [unrolled: 1-line block ×3, first 2 shown]
	s_waitcnt vmcnt(0)
	ds_write_b128 v48, v[1:4]
	s_waitcnt lgkmcnt(0)
	s_waitcnt_vscnt null, 0x0
	s_barrier
	buffer_gl0_inv
	s_and_saveexec_b32 s6, s4
	s_cbranch_execz .LBB62_243
; %bb.230:
	ds_read_b128 v[1:4], v48
	s_andn2_b32 vcc_lo, exec_lo, s7
	s_cbranch_vccnz .LBB62_232
; %bb.231:
	s_clause 0x3
	buffer_load_dword v53, v47, s[0:3], 0 offen offset:8
	buffer_load_dword v54, v47, s[0:3], 0 offen offset:12
	buffer_load_dword v55, v47, s[0:3], 0 offen
	buffer_load_dword v56, v47, s[0:3], 0 offen offset:4
	s_waitcnt vmcnt(2) lgkmcnt(0)
	v_mul_f64 v[57:58], v[3:4], v[53:54]
	v_mul_f64 v[53:54], v[1:2], v[53:54]
	s_waitcnt vmcnt(0)
	v_fma_f64 v[1:2], v[1:2], v[55:56], -v[57:58]
	v_fma_f64 v[3:4], v[3:4], v[55:56], v[53:54]
.LBB62_232:
	s_and_saveexec_b32 s8, s5
	s_cbranch_execz .LBB62_242
; %bb.233:
	v_subrev_nc_u32_e32 v54, 46, v0
	v_mov_b32_e32 v55, 45
	v_subrev_nc_u32_e32 v53, 45, v0
	s_mov_b32 s5, exec_lo
	v_cmpx_lt_u32_e32 6, v54
	s_cbranch_execz .LBB62_237
; %bb.234:
	v_and_b32_e32 v54, -8, v53
	s_movk_i32 s73, 0x6c0
	s_mov_b32 s72, 0
	s_mov_b32 s74, s26
	;; [unrolled: 1-line block ×3, first 2 shown]
.LBB62_235:                             ; =>This Inner Loop Header: Depth=1
	v_mov_b32_e32 v55, s74
	v_mov_b32_e32 v184, s73
	s_add_i32 s76, s75, 8
	s_add_i32 s75, s75, 53
	v_cmp_eq_u32_e32 vcc_lo, s76, v54
	s_clause 0x1f
	buffer_load_dword v59, v55, s[0:3], 0 offen offset:8
	buffer_load_dword v60, v55, s[0:3], 0 offen offset:12
	buffer_load_dword v69, v55, s[0:3], 0 offen
	buffer_load_dword v70, v55, s[0:3], 0 offen offset:4
	buffer_load_dword v71, v55, s[0:3], 0 offen offset:24
	;; [unrolled: 1-line block ×29, first 2 shown]
	ds_read_b128 v[55:58], v184
	ds_read_b128 v[65:68], v184 offset:16
	s_addk_i32 s73, 0x80
	s_addk_i32 s74, 0x80
	s_or_b32 s72, vcc_lo, s72
	s_waitcnt vmcnt(30) lgkmcnt(1)
	v_mul_f64 v[176:177], v[57:58], v[59:60]
	v_mul_f64 v[59:60], v[55:56], v[59:60]
	s_waitcnt vmcnt(26) lgkmcnt(0)
	v_mul_f64 v[178:179], v[67:68], v[71:72]
	v_mul_f64 v[180:181], v[65:66], v[71:72]
	v_fma_f64 v[176:177], v[55:56], v[69:70], -v[176:177]
	v_fma_f64 v[59:60], v[57:58], v[69:70], v[59:60]
	ds_read_b128 v[55:58], v184 offset:32
	ds_read_b128 v[69:72], v184 offset:48
	s_waitcnt vmcnt(24)
	v_fma_f64 v[65:66], v[65:66], v[73:74], -v[178:179]
	v_fma_f64 v[67:68], v[67:68], v[73:74], v[180:181]
	s_waitcnt vmcnt(22) lgkmcnt(1)
	v_mul_f64 v[182:183], v[57:58], v[75:76]
	v_mul_f64 v[75:76], v[55:56], v[75:76]
	v_add_f64 v[1:2], v[1:2], v[176:177]
	v_add_f64 v[3:4], v[3:4], v[59:60]
	s_waitcnt vmcnt(18) lgkmcnt(0)
	v_mul_f64 v[59:60], v[71:72], v[156:157]
	v_mul_f64 v[73:74], v[69:70], v[156:157]
	v_fma_f64 v[156:157], v[55:56], v[154:155], -v[182:183]
	v_fma_f64 v[75:76], v[57:58], v[154:155], v[75:76]
	v_add_f64 v[65:66], v[1:2], v[65:66]
	v_add_f64 v[67:68], v[3:4], v[67:68]
	ds_read_b128 v[1:4], v184 offset:64
	ds_read_b128 v[55:58], v184 offset:80
	s_waitcnt vmcnt(16)
	v_fma_f64 v[59:60], v[69:70], v[158:159], -v[59:60]
	v_fma_f64 v[69:70], v[71:72], v[158:159], v[73:74]
	s_waitcnt vmcnt(12) lgkmcnt(1)
	v_mul_f64 v[154:155], v[3:4], v[160:161]
	v_mul_f64 v[160:161], v[1:2], v[160:161]
	v_add_f64 v[65:66], v[65:66], v[156:157]
	v_add_f64 v[67:68], v[67:68], v[75:76]
	s_waitcnt vmcnt(10) lgkmcnt(0)
	v_mul_f64 v[71:72], v[57:58], v[162:163]
	v_mul_f64 v[73:74], v[55:56], v[162:163]
	s_waitcnt vmcnt(8)
	v_fma_f64 v[75:76], v[1:2], v[166:167], -v[154:155]
	v_fma_f64 v[154:155], v[3:4], v[166:167], v[160:161]
	v_add_f64 v[59:60], v[65:66], v[59:60]
	v_add_f64 v[69:70], v[67:68], v[69:70]
	ds_read_b128 v[1:4], v184 offset:96
	ds_read_b128 v[65:68], v184 offset:112
	v_fma_f64 v[55:56], v[55:56], v[164:165], -v[71:72]
	v_fma_f64 v[57:58], v[57:58], v[164:165], v[73:74]
	s_waitcnt vmcnt(4) lgkmcnt(1)
	v_mul_f64 v[156:157], v[3:4], v[168:169]
	v_mul_f64 v[158:159], v[1:2], v[168:169]
	v_add_f64 v[59:60], v[59:60], v[75:76]
	v_add_f64 v[69:70], v[69:70], v[154:155]
	s_waitcnt vmcnt(2) lgkmcnt(0)
	v_mul_f64 v[71:72], v[67:68], v[170:171]
	v_mul_f64 v[73:74], v[65:66], v[170:171]
	s_waitcnt vmcnt(0)
	v_fma_f64 v[1:2], v[1:2], v[174:175], -v[156:157]
	v_fma_f64 v[3:4], v[3:4], v[174:175], v[158:159]
	v_add_f64 v[55:56], v[59:60], v[55:56]
	v_add_f64 v[57:58], v[69:70], v[57:58]
	v_fma_f64 v[59:60], v[65:66], v[172:173], -v[71:72]
	v_fma_f64 v[65:66], v[67:68], v[172:173], v[73:74]
	v_add_f64 v[1:2], v[55:56], v[1:2]
	v_add_f64 v[3:4], v[57:58], v[3:4]
	v_mov_b32_e32 v55, s75
	s_mov_b32 s75, s76
	v_add_f64 v[1:2], v[1:2], v[59:60]
	v_add_f64 v[3:4], v[3:4], v[65:66]
	s_andn2_b32 exec_lo, exec_lo, s72
	s_cbranch_execnz .LBB62_235
; %bb.236:
	s_or_b32 exec_lo, exec_lo, s72
.LBB62_237:
	s_or_b32 exec_lo, exec_lo, s5
	v_and_b32_e32 v53, 7, v53
	s_mov_b32 s72, 0
	s_mov_b32 s5, exec_lo
	v_cmpx_ne_u32_e32 0, v53
	s_cbranch_execz .LBB62_241
; %bb.238:
	v_lshlrev_b32_e32 v55, 4, v55
	v_add_nc_u32_e32 v54, 0x3f0, v55
	.p2align	6
.LBB62_239:                             ; =>This Inner Loop Header: Depth=1
	s_clause 0x3
	buffer_load_dword v65, v55, s[0:3], 0 offen offset:8
	buffer_load_dword v66, v55, s[0:3], 0 offen offset:12
	buffer_load_dword v67, v55, s[0:3], 0 offen
	buffer_load_dword v68, v55, s[0:3], 0 offen offset:4
	ds_read_b128 v[56:59], v54
	v_add_nc_u32_e32 v53, -1, v53
	v_add_nc_u32_e32 v54, 16, v54
	v_add_nc_u32_e32 v55, 16, v55
	v_cmp_eq_u32_e32 vcc_lo, 0, v53
	s_or_b32 s72, vcc_lo, s72
	s_waitcnt vmcnt(2) lgkmcnt(0)
	v_mul_f64 v[69:70], v[58:59], v[65:66]
	v_mul_f64 v[65:66], v[56:57], v[65:66]
	s_waitcnt vmcnt(0)
	v_fma_f64 v[56:57], v[56:57], v[67:68], -v[69:70]
	v_fma_f64 v[58:59], v[58:59], v[67:68], v[65:66]
	v_add_f64 v[1:2], v[1:2], v[56:57]
	v_add_f64 v[3:4], v[3:4], v[58:59]
	s_andn2_b32 exec_lo, exec_lo, s72
	s_cbranch_execnz .LBB62_239
; %bb.240:
	s_or_b32 exec_lo, exec_lo, s72
.LBB62_241:
	s_or_b32 exec_lo, exec_lo, s5
.LBB62_242:
	s_or_b32 exec_lo, exec_lo, s8
	v_mov_b32_e32 v53, 0
	ds_read_b128 v[53:56], v53 offset:704
	s_waitcnt lgkmcnt(0)
	v_mul_f64 v[57:58], v[3:4], v[55:56]
	v_mul_f64 v[55:56], v[1:2], v[55:56]
	v_fma_f64 v[1:2], v[1:2], v[53:54], -v[57:58]
	v_fma_f64 v[3:4], v[3:4], v[53:54], v[55:56]
	buffer_store_dword v2, off, s[0:3], 0 offset:708
	buffer_store_dword v1, off, s[0:3], 0 offset:704
	;; [unrolled: 1-line block ×4, first 2 shown]
.LBB62_243:
	s_or_b32 exec_lo, exec_lo, s6
	v_mov_b32_e32 v4, s28
	v_cmp_lt_u32_e64 s5, 43, v0
	s_clause 0x3
	buffer_load_dword v1, v4, s[0:3], 0 offen
	buffer_load_dword v2, v4, s[0:3], 0 offen offset:4
	buffer_load_dword v3, v4, s[0:3], 0 offen offset:8
	;; [unrolled: 1-line block ×3, first 2 shown]
	s_waitcnt vmcnt(0)
	ds_write_b128 v48, v[1:4]
	s_waitcnt lgkmcnt(0)
	s_waitcnt_vscnt null, 0x0
	s_barrier
	buffer_gl0_inv
	s_and_saveexec_b32 s6, s5
	s_cbranch_execz .LBB62_257
; %bb.244:
	ds_read_b128 v[1:4], v48
	s_andn2_b32 vcc_lo, exec_lo, s7
	s_cbranch_vccnz .LBB62_246
; %bb.245:
	s_clause 0x3
	buffer_load_dword v53, v47, s[0:3], 0 offen offset:8
	buffer_load_dword v54, v47, s[0:3], 0 offen offset:12
	buffer_load_dword v55, v47, s[0:3], 0 offen
	buffer_load_dword v56, v47, s[0:3], 0 offen offset:4
	s_waitcnt vmcnt(2) lgkmcnt(0)
	v_mul_f64 v[57:58], v[3:4], v[53:54]
	v_mul_f64 v[53:54], v[1:2], v[53:54]
	s_waitcnt vmcnt(0)
	v_fma_f64 v[1:2], v[1:2], v[55:56], -v[57:58]
	v_fma_f64 v[3:4], v[3:4], v[55:56], v[53:54]
.LBB62_246:
	s_and_saveexec_b32 s8, s4
	s_cbranch_execz .LBB62_256
; %bb.247:
	v_subrev_nc_u32_e32 v54, 45, v0
	v_mov_b32_e32 v55, 44
	v_subrev_nc_u32_e32 v53, 44, v0
	s_mov_b32 s4, exec_lo
	v_cmpx_lt_u32_e32 6, v54
	s_cbranch_execz .LBB62_251
; %bb.248:
	v_and_b32_e32 v54, -8, v53
	s_movk_i32 s73, 0x6b0
	s_mov_b32 s72, 0
	s_mov_b32 s74, s27
	;; [unrolled: 1-line block ×3, first 2 shown]
.LBB62_249:                             ; =>This Inner Loop Header: Depth=1
	v_mov_b32_e32 v55, s74
	v_mov_b32_e32 v184, s73
	s_add_i32 s76, s75, 8
	s_add_i32 s75, s75, 52
	v_cmp_eq_u32_e32 vcc_lo, s76, v54
	s_clause 0x1f
	buffer_load_dword v59, v55, s[0:3], 0 offen offset:8
	buffer_load_dword v60, v55, s[0:3], 0 offen offset:12
	buffer_load_dword v69, v55, s[0:3], 0 offen
	buffer_load_dword v70, v55, s[0:3], 0 offen offset:4
	buffer_load_dword v71, v55, s[0:3], 0 offen offset:24
	;; [unrolled: 1-line block ×29, first 2 shown]
	ds_read_b128 v[55:58], v184
	ds_read_b128 v[65:68], v184 offset:16
	s_addk_i32 s73, 0x80
	s_addk_i32 s74, 0x80
	s_or_b32 s72, vcc_lo, s72
	s_waitcnt vmcnt(30) lgkmcnt(1)
	v_mul_f64 v[176:177], v[57:58], v[59:60]
	v_mul_f64 v[59:60], v[55:56], v[59:60]
	s_waitcnt vmcnt(26) lgkmcnt(0)
	v_mul_f64 v[178:179], v[67:68], v[71:72]
	v_mul_f64 v[180:181], v[65:66], v[71:72]
	v_fma_f64 v[176:177], v[55:56], v[69:70], -v[176:177]
	v_fma_f64 v[59:60], v[57:58], v[69:70], v[59:60]
	ds_read_b128 v[55:58], v184 offset:32
	ds_read_b128 v[69:72], v184 offset:48
	s_waitcnt vmcnt(24)
	v_fma_f64 v[65:66], v[65:66], v[73:74], -v[178:179]
	v_fma_f64 v[67:68], v[67:68], v[73:74], v[180:181]
	s_waitcnt vmcnt(22) lgkmcnt(1)
	v_mul_f64 v[182:183], v[57:58], v[75:76]
	v_mul_f64 v[75:76], v[55:56], v[75:76]
	v_add_f64 v[1:2], v[1:2], v[176:177]
	v_add_f64 v[3:4], v[3:4], v[59:60]
	s_waitcnt vmcnt(18) lgkmcnt(0)
	v_mul_f64 v[59:60], v[71:72], v[156:157]
	v_mul_f64 v[73:74], v[69:70], v[156:157]
	v_fma_f64 v[156:157], v[55:56], v[154:155], -v[182:183]
	v_fma_f64 v[75:76], v[57:58], v[154:155], v[75:76]
	v_add_f64 v[65:66], v[1:2], v[65:66]
	v_add_f64 v[67:68], v[3:4], v[67:68]
	ds_read_b128 v[1:4], v184 offset:64
	ds_read_b128 v[55:58], v184 offset:80
	s_waitcnt vmcnt(16)
	v_fma_f64 v[59:60], v[69:70], v[158:159], -v[59:60]
	v_fma_f64 v[69:70], v[71:72], v[158:159], v[73:74]
	s_waitcnt vmcnt(12) lgkmcnt(1)
	v_mul_f64 v[154:155], v[3:4], v[160:161]
	v_mul_f64 v[160:161], v[1:2], v[160:161]
	v_add_f64 v[65:66], v[65:66], v[156:157]
	v_add_f64 v[67:68], v[67:68], v[75:76]
	s_waitcnt vmcnt(10) lgkmcnt(0)
	v_mul_f64 v[71:72], v[57:58], v[162:163]
	v_mul_f64 v[73:74], v[55:56], v[162:163]
	s_waitcnt vmcnt(8)
	v_fma_f64 v[75:76], v[1:2], v[166:167], -v[154:155]
	v_fma_f64 v[154:155], v[3:4], v[166:167], v[160:161]
	v_add_f64 v[59:60], v[65:66], v[59:60]
	v_add_f64 v[69:70], v[67:68], v[69:70]
	ds_read_b128 v[1:4], v184 offset:96
	ds_read_b128 v[65:68], v184 offset:112
	v_fma_f64 v[55:56], v[55:56], v[164:165], -v[71:72]
	v_fma_f64 v[57:58], v[57:58], v[164:165], v[73:74]
	s_waitcnt vmcnt(4) lgkmcnt(1)
	v_mul_f64 v[156:157], v[3:4], v[168:169]
	v_mul_f64 v[158:159], v[1:2], v[168:169]
	v_add_f64 v[59:60], v[59:60], v[75:76]
	v_add_f64 v[69:70], v[69:70], v[154:155]
	s_waitcnt vmcnt(2) lgkmcnt(0)
	v_mul_f64 v[71:72], v[67:68], v[170:171]
	v_mul_f64 v[73:74], v[65:66], v[170:171]
	s_waitcnt vmcnt(0)
	v_fma_f64 v[1:2], v[1:2], v[174:175], -v[156:157]
	v_fma_f64 v[3:4], v[3:4], v[174:175], v[158:159]
	v_add_f64 v[55:56], v[59:60], v[55:56]
	v_add_f64 v[57:58], v[69:70], v[57:58]
	v_fma_f64 v[59:60], v[65:66], v[172:173], -v[71:72]
	v_fma_f64 v[65:66], v[67:68], v[172:173], v[73:74]
	v_add_f64 v[1:2], v[55:56], v[1:2]
	v_add_f64 v[3:4], v[57:58], v[3:4]
	v_mov_b32_e32 v55, s75
	s_mov_b32 s75, s76
	v_add_f64 v[1:2], v[1:2], v[59:60]
	v_add_f64 v[3:4], v[3:4], v[65:66]
	s_andn2_b32 exec_lo, exec_lo, s72
	s_cbranch_execnz .LBB62_249
; %bb.250:
	s_or_b32 exec_lo, exec_lo, s72
.LBB62_251:
	s_or_b32 exec_lo, exec_lo, s4
	v_and_b32_e32 v53, 7, v53
	s_mov_b32 s72, 0
	s_mov_b32 s4, exec_lo
	v_cmpx_ne_u32_e32 0, v53
	s_cbranch_execz .LBB62_255
; %bb.252:
	v_lshlrev_b32_e32 v55, 4, v55
	v_add_nc_u32_e32 v54, 0x3f0, v55
	.p2align	6
.LBB62_253:                             ; =>This Inner Loop Header: Depth=1
	s_clause 0x3
	buffer_load_dword v65, v55, s[0:3], 0 offen offset:8
	buffer_load_dword v66, v55, s[0:3], 0 offen offset:12
	buffer_load_dword v67, v55, s[0:3], 0 offen
	buffer_load_dword v68, v55, s[0:3], 0 offen offset:4
	ds_read_b128 v[56:59], v54
	v_add_nc_u32_e32 v53, -1, v53
	v_add_nc_u32_e32 v54, 16, v54
	v_add_nc_u32_e32 v55, 16, v55
	v_cmp_eq_u32_e32 vcc_lo, 0, v53
	s_or_b32 s72, vcc_lo, s72
	s_waitcnt vmcnt(2) lgkmcnt(0)
	v_mul_f64 v[69:70], v[58:59], v[65:66]
	v_mul_f64 v[65:66], v[56:57], v[65:66]
	s_waitcnt vmcnt(0)
	v_fma_f64 v[56:57], v[56:57], v[67:68], -v[69:70]
	v_fma_f64 v[58:59], v[58:59], v[67:68], v[65:66]
	v_add_f64 v[1:2], v[1:2], v[56:57]
	v_add_f64 v[3:4], v[3:4], v[58:59]
	s_andn2_b32 exec_lo, exec_lo, s72
	s_cbranch_execnz .LBB62_253
; %bb.254:
	s_or_b32 exec_lo, exec_lo, s72
.LBB62_255:
	s_or_b32 exec_lo, exec_lo, s4
.LBB62_256:
	s_or_b32 exec_lo, exec_lo, s8
	v_mov_b32_e32 v53, 0
	ds_read_b128 v[53:56], v53 offset:688
	s_waitcnt lgkmcnt(0)
	v_mul_f64 v[57:58], v[3:4], v[55:56]
	v_mul_f64 v[55:56], v[1:2], v[55:56]
	v_fma_f64 v[1:2], v[1:2], v[53:54], -v[57:58]
	v_fma_f64 v[3:4], v[3:4], v[53:54], v[55:56]
	buffer_store_dword v2, off, s[0:3], 0 offset:692
	buffer_store_dword v1, off, s[0:3], 0 offset:688
	;; [unrolled: 1-line block ×4, first 2 shown]
.LBB62_257:
	s_or_b32 exec_lo, exec_lo, s6
	v_mov_b32_e32 v4, s29
	v_cmp_lt_u32_e64 s4, 42, v0
	s_clause 0x3
	buffer_load_dword v1, v4, s[0:3], 0 offen
	buffer_load_dword v2, v4, s[0:3], 0 offen offset:4
	buffer_load_dword v3, v4, s[0:3], 0 offen offset:8
	;; [unrolled: 1-line block ×3, first 2 shown]
	s_waitcnt vmcnt(0)
	ds_write_b128 v48, v[1:4]
	s_waitcnt lgkmcnt(0)
	s_waitcnt_vscnt null, 0x0
	s_barrier
	buffer_gl0_inv
	s_and_saveexec_b32 s6, s4
	s_cbranch_execz .LBB62_271
; %bb.258:
	ds_read_b128 v[1:4], v48
	s_andn2_b32 vcc_lo, exec_lo, s7
	s_cbranch_vccnz .LBB62_260
; %bb.259:
	s_clause 0x3
	buffer_load_dword v53, v47, s[0:3], 0 offen offset:8
	buffer_load_dword v54, v47, s[0:3], 0 offen offset:12
	buffer_load_dword v55, v47, s[0:3], 0 offen
	buffer_load_dword v56, v47, s[0:3], 0 offen offset:4
	s_waitcnt vmcnt(2) lgkmcnt(0)
	v_mul_f64 v[57:58], v[3:4], v[53:54]
	v_mul_f64 v[53:54], v[1:2], v[53:54]
	s_waitcnt vmcnt(0)
	v_fma_f64 v[1:2], v[1:2], v[55:56], -v[57:58]
	v_fma_f64 v[3:4], v[3:4], v[55:56], v[53:54]
.LBB62_260:
	s_and_saveexec_b32 s8, s5
	s_cbranch_execz .LBB62_270
; %bb.261:
	v_subrev_nc_u32_e32 v54, 44, v0
	v_mov_b32_e32 v55, 43
	v_subrev_nc_u32_e32 v53, 43, v0
	s_mov_b32 s5, exec_lo
	v_cmpx_lt_u32_e32 6, v54
	s_cbranch_execz .LBB62_265
; %bb.262:
	v_and_b32_e32 v54, -8, v53
	s_movk_i32 s73, 0x6a0
	s_mov_b32 s72, 0
	s_mov_b32 s74, s28
	;; [unrolled: 1-line block ×3, first 2 shown]
.LBB62_263:                             ; =>This Inner Loop Header: Depth=1
	v_mov_b32_e32 v55, s74
	v_mov_b32_e32 v184, s73
	s_add_i32 s76, s75, 8
	s_add_i32 s75, s75, 51
	v_cmp_eq_u32_e32 vcc_lo, s76, v54
	s_clause 0x1f
	buffer_load_dword v59, v55, s[0:3], 0 offen offset:8
	buffer_load_dword v60, v55, s[0:3], 0 offen offset:12
	buffer_load_dword v69, v55, s[0:3], 0 offen
	buffer_load_dword v70, v55, s[0:3], 0 offen offset:4
	buffer_load_dword v71, v55, s[0:3], 0 offen offset:24
	;; [unrolled: 1-line block ×29, first 2 shown]
	ds_read_b128 v[55:58], v184
	ds_read_b128 v[65:68], v184 offset:16
	s_addk_i32 s73, 0x80
	s_addk_i32 s74, 0x80
	s_or_b32 s72, vcc_lo, s72
	s_waitcnt vmcnt(30) lgkmcnt(1)
	v_mul_f64 v[176:177], v[57:58], v[59:60]
	v_mul_f64 v[59:60], v[55:56], v[59:60]
	s_waitcnt vmcnt(26) lgkmcnt(0)
	v_mul_f64 v[178:179], v[67:68], v[71:72]
	v_mul_f64 v[180:181], v[65:66], v[71:72]
	v_fma_f64 v[176:177], v[55:56], v[69:70], -v[176:177]
	v_fma_f64 v[59:60], v[57:58], v[69:70], v[59:60]
	ds_read_b128 v[55:58], v184 offset:32
	ds_read_b128 v[69:72], v184 offset:48
	s_waitcnt vmcnt(24)
	v_fma_f64 v[65:66], v[65:66], v[73:74], -v[178:179]
	v_fma_f64 v[67:68], v[67:68], v[73:74], v[180:181]
	s_waitcnt vmcnt(22) lgkmcnt(1)
	v_mul_f64 v[182:183], v[57:58], v[75:76]
	v_mul_f64 v[75:76], v[55:56], v[75:76]
	v_add_f64 v[1:2], v[1:2], v[176:177]
	v_add_f64 v[3:4], v[3:4], v[59:60]
	s_waitcnt vmcnt(18) lgkmcnt(0)
	v_mul_f64 v[59:60], v[71:72], v[156:157]
	v_mul_f64 v[73:74], v[69:70], v[156:157]
	v_fma_f64 v[156:157], v[55:56], v[154:155], -v[182:183]
	v_fma_f64 v[75:76], v[57:58], v[154:155], v[75:76]
	v_add_f64 v[65:66], v[1:2], v[65:66]
	v_add_f64 v[67:68], v[3:4], v[67:68]
	ds_read_b128 v[1:4], v184 offset:64
	ds_read_b128 v[55:58], v184 offset:80
	s_waitcnt vmcnt(16)
	v_fma_f64 v[59:60], v[69:70], v[158:159], -v[59:60]
	v_fma_f64 v[69:70], v[71:72], v[158:159], v[73:74]
	s_waitcnt vmcnt(12) lgkmcnt(1)
	v_mul_f64 v[154:155], v[3:4], v[160:161]
	v_mul_f64 v[160:161], v[1:2], v[160:161]
	v_add_f64 v[65:66], v[65:66], v[156:157]
	v_add_f64 v[67:68], v[67:68], v[75:76]
	s_waitcnt vmcnt(10) lgkmcnt(0)
	v_mul_f64 v[71:72], v[57:58], v[162:163]
	v_mul_f64 v[73:74], v[55:56], v[162:163]
	s_waitcnt vmcnt(8)
	v_fma_f64 v[75:76], v[1:2], v[166:167], -v[154:155]
	v_fma_f64 v[154:155], v[3:4], v[166:167], v[160:161]
	v_add_f64 v[59:60], v[65:66], v[59:60]
	v_add_f64 v[69:70], v[67:68], v[69:70]
	ds_read_b128 v[1:4], v184 offset:96
	ds_read_b128 v[65:68], v184 offset:112
	v_fma_f64 v[55:56], v[55:56], v[164:165], -v[71:72]
	v_fma_f64 v[57:58], v[57:58], v[164:165], v[73:74]
	s_waitcnt vmcnt(4) lgkmcnt(1)
	v_mul_f64 v[156:157], v[3:4], v[168:169]
	v_mul_f64 v[158:159], v[1:2], v[168:169]
	v_add_f64 v[59:60], v[59:60], v[75:76]
	v_add_f64 v[69:70], v[69:70], v[154:155]
	s_waitcnt vmcnt(2) lgkmcnt(0)
	v_mul_f64 v[71:72], v[67:68], v[170:171]
	v_mul_f64 v[73:74], v[65:66], v[170:171]
	s_waitcnt vmcnt(0)
	v_fma_f64 v[1:2], v[1:2], v[174:175], -v[156:157]
	v_fma_f64 v[3:4], v[3:4], v[174:175], v[158:159]
	v_add_f64 v[55:56], v[59:60], v[55:56]
	v_add_f64 v[57:58], v[69:70], v[57:58]
	v_fma_f64 v[59:60], v[65:66], v[172:173], -v[71:72]
	v_fma_f64 v[65:66], v[67:68], v[172:173], v[73:74]
	v_add_f64 v[1:2], v[55:56], v[1:2]
	v_add_f64 v[3:4], v[57:58], v[3:4]
	v_mov_b32_e32 v55, s75
	s_mov_b32 s75, s76
	v_add_f64 v[1:2], v[1:2], v[59:60]
	v_add_f64 v[3:4], v[3:4], v[65:66]
	s_andn2_b32 exec_lo, exec_lo, s72
	s_cbranch_execnz .LBB62_263
; %bb.264:
	s_or_b32 exec_lo, exec_lo, s72
.LBB62_265:
	s_or_b32 exec_lo, exec_lo, s5
	v_and_b32_e32 v53, 7, v53
	s_mov_b32 s72, 0
	s_mov_b32 s5, exec_lo
	v_cmpx_ne_u32_e32 0, v53
	s_cbranch_execz .LBB62_269
; %bb.266:
	v_lshlrev_b32_e32 v55, 4, v55
	v_add_nc_u32_e32 v54, 0x3f0, v55
	.p2align	6
.LBB62_267:                             ; =>This Inner Loop Header: Depth=1
	s_clause 0x3
	buffer_load_dword v65, v55, s[0:3], 0 offen offset:8
	buffer_load_dword v66, v55, s[0:3], 0 offen offset:12
	buffer_load_dword v67, v55, s[0:3], 0 offen
	buffer_load_dword v68, v55, s[0:3], 0 offen offset:4
	ds_read_b128 v[56:59], v54
	v_add_nc_u32_e32 v53, -1, v53
	v_add_nc_u32_e32 v54, 16, v54
	v_add_nc_u32_e32 v55, 16, v55
	v_cmp_eq_u32_e32 vcc_lo, 0, v53
	s_or_b32 s72, vcc_lo, s72
	s_waitcnt vmcnt(2) lgkmcnt(0)
	v_mul_f64 v[69:70], v[58:59], v[65:66]
	v_mul_f64 v[65:66], v[56:57], v[65:66]
	s_waitcnt vmcnt(0)
	v_fma_f64 v[56:57], v[56:57], v[67:68], -v[69:70]
	v_fma_f64 v[58:59], v[58:59], v[67:68], v[65:66]
	v_add_f64 v[1:2], v[1:2], v[56:57]
	v_add_f64 v[3:4], v[3:4], v[58:59]
	s_andn2_b32 exec_lo, exec_lo, s72
	s_cbranch_execnz .LBB62_267
; %bb.268:
	s_or_b32 exec_lo, exec_lo, s72
.LBB62_269:
	s_or_b32 exec_lo, exec_lo, s5
.LBB62_270:
	s_or_b32 exec_lo, exec_lo, s8
	v_mov_b32_e32 v53, 0
	ds_read_b128 v[53:56], v53 offset:672
	s_waitcnt lgkmcnt(0)
	v_mul_f64 v[57:58], v[3:4], v[55:56]
	v_mul_f64 v[55:56], v[1:2], v[55:56]
	v_fma_f64 v[1:2], v[1:2], v[53:54], -v[57:58]
	v_fma_f64 v[3:4], v[3:4], v[53:54], v[55:56]
	buffer_store_dword v2, off, s[0:3], 0 offset:676
	buffer_store_dword v1, off, s[0:3], 0 offset:672
	;; [unrolled: 1-line block ×4, first 2 shown]
.LBB62_271:
	s_or_b32 exec_lo, exec_lo, s6
	v_mov_b32_e32 v4, s30
	v_cmp_lt_u32_e64 s5, 41, v0
	s_clause 0x3
	buffer_load_dword v1, v4, s[0:3], 0 offen
	buffer_load_dword v2, v4, s[0:3], 0 offen offset:4
	buffer_load_dword v3, v4, s[0:3], 0 offen offset:8
	;; [unrolled: 1-line block ×3, first 2 shown]
	s_waitcnt vmcnt(0)
	ds_write_b128 v48, v[1:4]
	s_waitcnt lgkmcnt(0)
	s_waitcnt_vscnt null, 0x0
	s_barrier
	buffer_gl0_inv
	s_and_saveexec_b32 s6, s5
	s_cbranch_execz .LBB62_285
; %bb.272:
	ds_read_b128 v[1:4], v48
	s_andn2_b32 vcc_lo, exec_lo, s7
	s_cbranch_vccnz .LBB62_274
; %bb.273:
	s_clause 0x3
	buffer_load_dword v53, v47, s[0:3], 0 offen offset:8
	buffer_load_dword v54, v47, s[0:3], 0 offen offset:12
	buffer_load_dword v55, v47, s[0:3], 0 offen
	buffer_load_dword v56, v47, s[0:3], 0 offen offset:4
	s_waitcnt vmcnt(2) lgkmcnt(0)
	v_mul_f64 v[57:58], v[3:4], v[53:54]
	v_mul_f64 v[53:54], v[1:2], v[53:54]
	s_waitcnt vmcnt(0)
	v_fma_f64 v[1:2], v[1:2], v[55:56], -v[57:58]
	v_fma_f64 v[3:4], v[3:4], v[55:56], v[53:54]
.LBB62_274:
	s_and_saveexec_b32 s8, s4
	s_cbranch_execz .LBB62_284
; %bb.275:
	v_subrev_nc_u32_e32 v54, 43, v0
	v_mov_b32_e32 v55, 42
	v_subrev_nc_u32_e32 v53, 42, v0
	s_mov_b32 s4, exec_lo
	v_cmpx_lt_u32_e32 6, v54
	s_cbranch_execz .LBB62_279
; %bb.276:
	v_and_b32_e32 v54, -8, v53
	s_movk_i32 s73, 0x690
	s_mov_b32 s72, 0
	s_mov_b32 s74, s29
	;; [unrolled: 1-line block ×3, first 2 shown]
.LBB62_277:                             ; =>This Inner Loop Header: Depth=1
	v_mov_b32_e32 v55, s74
	v_mov_b32_e32 v184, s73
	s_add_i32 s76, s75, 8
	s_add_i32 s75, s75, 50
	v_cmp_eq_u32_e32 vcc_lo, s76, v54
	s_clause 0x1f
	buffer_load_dword v59, v55, s[0:3], 0 offen offset:8
	buffer_load_dword v60, v55, s[0:3], 0 offen offset:12
	buffer_load_dword v69, v55, s[0:3], 0 offen
	buffer_load_dword v70, v55, s[0:3], 0 offen offset:4
	buffer_load_dword v71, v55, s[0:3], 0 offen offset:24
	;; [unrolled: 1-line block ×29, first 2 shown]
	ds_read_b128 v[55:58], v184
	ds_read_b128 v[65:68], v184 offset:16
	s_addk_i32 s73, 0x80
	s_addk_i32 s74, 0x80
	s_or_b32 s72, vcc_lo, s72
	s_waitcnt vmcnt(30) lgkmcnt(1)
	v_mul_f64 v[176:177], v[57:58], v[59:60]
	v_mul_f64 v[59:60], v[55:56], v[59:60]
	s_waitcnt vmcnt(26) lgkmcnt(0)
	v_mul_f64 v[178:179], v[67:68], v[71:72]
	v_mul_f64 v[180:181], v[65:66], v[71:72]
	v_fma_f64 v[176:177], v[55:56], v[69:70], -v[176:177]
	v_fma_f64 v[59:60], v[57:58], v[69:70], v[59:60]
	ds_read_b128 v[55:58], v184 offset:32
	ds_read_b128 v[69:72], v184 offset:48
	s_waitcnt vmcnt(24)
	v_fma_f64 v[65:66], v[65:66], v[73:74], -v[178:179]
	v_fma_f64 v[67:68], v[67:68], v[73:74], v[180:181]
	s_waitcnt vmcnt(22) lgkmcnt(1)
	v_mul_f64 v[182:183], v[57:58], v[75:76]
	v_mul_f64 v[75:76], v[55:56], v[75:76]
	v_add_f64 v[1:2], v[1:2], v[176:177]
	v_add_f64 v[3:4], v[3:4], v[59:60]
	s_waitcnt vmcnt(18) lgkmcnt(0)
	v_mul_f64 v[59:60], v[71:72], v[156:157]
	v_mul_f64 v[73:74], v[69:70], v[156:157]
	v_fma_f64 v[156:157], v[55:56], v[154:155], -v[182:183]
	v_fma_f64 v[75:76], v[57:58], v[154:155], v[75:76]
	v_add_f64 v[65:66], v[1:2], v[65:66]
	v_add_f64 v[67:68], v[3:4], v[67:68]
	ds_read_b128 v[1:4], v184 offset:64
	ds_read_b128 v[55:58], v184 offset:80
	s_waitcnt vmcnt(16)
	v_fma_f64 v[59:60], v[69:70], v[158:159], -v[59:60]
	v_fma_f64 v[69:70], v[71:72], v[158:159], v[73:74]
	s_waitcnt vmcnt(12) lgkmcnt(1)
	v_mul_f64 v[154:155], v[3:4], v[160:161]
	v_mul_f64 v[160:161], v[1:2], v[160:161]
	v_add_f64 v[65:66], v[65:66], v[156:157]
	v_add_f64 v[67:68], v[67:68], v[75:76]
	s_waitcnt vmcnt(10) lgkmcnt(0)
	v_mul_f64 v[71:72], v[57:58], v[162:163]
	v_mul_f64 v[73:74], v[55:56], v[162:163]
	s_waitcnt vmcnt(8)
	v_fma_f64 v[75:76], v[1:2], v[166:167], -v[154:155]
	v_fma_f64 v[154:155], v[3:4], v[166:167], v[160:161]
	v_add_f64 v[59:60], v[65:66], v[59:60]
	v_add_f64 v[69:70], v[67:68], v[69:70]
	ds_read_b128 v[1:4], v184 offset:96
	ds_read_b128 v[65:68], v184 offset:112
	v_fma_f64 v[55:56], v[55:56], v[164:165], -v[71:72]
	v_fma_f64 v[57:58], v[57:58], v[164:165], v[73:74]
	s_waitcnt vmcnt(4) lgkmcnt(1)
	v_mul_f64 v[156:157], v[3:4], v[168:169]
	v_mul_f64 v[158:159], v[1:2], v[168:169]
	v_add_f64 v[59:60], v[59:60], v[75:76]
	v_add_f64 v[69:70], v[69:70], v[154:155]
	s_waitcnt vmcnt(2) lgkmcnt(0)
	v_mul_f64 v[71:72], v[67:68], v[170:171]
	v_mul_f64 v[73:74], v[65:66], v[170:171]
	s_waitcnt vmcnt(0)
	v_fma_f64 v[1:2], v[1:2], v[174:175], -v[156:157]
	v_fma_f64 v[3:4], v[3:4], v[174:175], v[158:159]
	v_add_f64 v[55:56], v[59:60], v[55:56]
	v_add_f64 v[57:58], v[69:70], v[57:58]
	v_fma_f64 v[59:60], v[65:66], v[172:173], -v[71:72]
	v_fma_f64 v[65:66], v[67:68], v[172:173], v[73:74]
	v_add_f64 v[1:2], v[55:56], v[1:2]
	v_add_f64 v[3:4], v[57:58], v[3:4]
	v_mov_b32_e32 v55, s75
	s_mov_b32 s75, s76
	v_add_f64 v[1:2], v[1:2], v[59:60]
	v_add_f64 v[3:4], v[3:4], v[65:66]
	s_andn2_b32 exec_lo, exec_lo, s72
	s_cbranch_execnz .LBB62_277
; %bb.278:
	s_or_b32 exec_lo, exec_lo, s72
.LBB62_279:
	s_or_b32 exec_lo, exec_lo, s4
	v_and_b32_e32 v53, 7, v53
	s_mov_b32 s72, 0
	s_mov_b32 s4, exec_lo
	v_cmpx_ne_u32_e32 0, v53
	s_cbranch_execz .LBB62_283
; %bb.280:
	v_lshlrev_b32_e32 v55, 4, v55
	v_add_nc_u32_e32 v54, 0x3f0, v55
	.p2align	6
.LBB62_281:                             ; =>This Inner Loop Header: Depth=1
	s_clause 0x3
	buffer_load_dword v65, v55, s[0:3], 0 offen offset:8
	buffer_load_dword v66, v55, s[0:3], 0 offen offset:12
	buffer_load_dword v67, v55, s[0:3], 0 offen
	buffer_load_dword v68, v55, s[0:3], 0 offen offset:4
	ds_read_b128 v[56:59], v54
	v_add_nc_u32_e32 v53, -1, v53
	v_add_nc_u32_e32 v54, 16, v54
	v_add_nc_u32_e32 v55, 16, v55
	v_cmp_eq_u32_e32 vcc_lo, 0, v53
	s_or_b32 s72, vcc_lo, s72
	s_waitcnt vmcnt(2) lgkmcnt(0)
	v_mul_f64 v[69:70], v[58:59], v[65:66]
	v_mul_f64 v[65:66], v[56:57], v[65:66]
	s_waitcnt vmcnt(0)
	v_fma_f64 v[56:57], v[56:57], v[67:68], -v[69:70]
	v_fma_f64 v[58:59], v[58:59], v[67:68], v[65:66]
	v_add_f64 v[1:2], v[1:2], v[56:57]
	v_add_f64 v[3:4], v[3:4], v[58:59]
	s_andn2_b32 exec_lo, exec_lo, s72
	s_cbranch_execnz .LBB62_281
; %bb.282:
	s_or_b32 exec_lo, exec_lo, s72
.LBB62_283:
	s_or_b32 exec_lo, exec_lo, s4
.LBB62_284:
	s_or_b32 exec_lo, exec_lo, s8
	v_mov_b32_e32 v53, 0
	ds_read_b128 v[53:56], v53 offset:656
	s_waitcnt lgkmcnt(0)
	v_mul_f64 v[57:58], v[3:4], v[55:56]
	v_mul_f64 v[55:56], v[1:2], v[55:56]
	v_fma_f64 v[1:2], v[1:2], v[53:54], -v[57:58]
	v_fma_f64 v[3:4], v[3:4], v[53:54], v[55:56]
	buffer_store_dword v2, off, s[0:3], 0 offset:660
	buffer_store_dword v1, off, s[0:3], 0 offset:656
	;; [unrolled: 1-line block ×4, first 2 shown]
.LBB62_285:
	s_or_b32 exec_lo, exec_lo, s6
	v_mov_b32_e32 v4, s31
	v_cmp_lt_u32_e64 s4, 40, v0
	s_clause 0x3
	buffer_load_dword v1, v4, s[0:3], 0 offen
	buffer_load_dword v2, v4, s[0:3], 0 offen offset:4
	buffer_load_dword v3, v4, s[0:3], 0 offen offset:8
	;; [unrolled: 1-line block ×3, first 2 shown]
	s_waitcnt vmcnt(0)
	ds_write_b128 v48, v[1:4]
	s_waitcnt lgkmcnt(0)
	s_waitcnt_vscnt null, 0x0
	s_barrier
	buffer_gl0_inv
	s_and_saveexec_b32 s6, s4
	s_cbranch_execz .LBB62_299
; %bb.286:
	ds_read_b128 v[1:4], v48
	s_andn2_b32 vcc_lo, exec_lo, s7
	s_cbranch_vccnz .LBB62_288
; %bb.287:
	s_clause 0x3
	buffer_load_dword v53, v47, s[0:3], 0 offen offset:8
	buffer_load_dword v54, v47, s[0:3], 0 offen offset:12
	buffer_load_dword v55, v47, s[0:3], 0 offen
	buffer_load_dword v56, v47, s[0:3], 0 offen offset:4
	s_waitcnt vmcnt(2) lgkmcnt(0)
	v_mul_f64 v[57:58], v[3:4], v[53:54]
	v_mul_f64 v[53:54], v[1:2], v[53:54]
	s_waitcnt vmcnt(0)
	v_fma_f64 v[1:2], v[1:2], v[55:56], -v[57:58]
	v_fma_f64 v[3:4], v[3:4], v[55:56], v[53:54]
.LBB62_288:
	s_and_saveexec_b32 s8, s5
	s_cbranch_execz .LBB62_298
; %bb.289:
	v_subrev_nc_u32_e32 v54, 42, v0
	v_mov_b32_e32 v55, 41
	v_subrev_nc_u32_e32 v53, 41, v0
	s_mov_b32 s5, exec_lo
	v_cmpx_lt_u32_e32 6, v54
	s_cbranch_execz .LBB62_293
; %bb.290:
	v_and_b32_e32 v54, -8, v53
	s_movk_i32 s73, 0x680
	s_mov_b32 s72, 0
	s_mov_b32 s74, s30
	;; [unrolled: 1-line block ×3, first 2 shown]
.LBB62_291:                             ; =>This Inner Loop Header: Depth=1
	v_mov_b32_e32 v55, s74
	v_mov_b32_e32 v184, s73
	s_add_i32 s76, s75, 8
	s_add_i32 s75, s75, 49
	v_cmp_eq_u32_e32 vcc_lo, s76, v54
	s_clause 0x1f
	buffer_load_dword v59, v55, s[0:3], 0 offen offset:8
	buffer_load_dword v60, v55, s[0:3], 0 offen offset:12
	buffer_load_dword v69, v55, s[0:3], 0 offen
	buffer_load_dword v70, v55, s[0:3], 0 offen offset:4
	buffer_load_dword v71, v55, s[0:3], 0 offen offset:24
	;; [unrolled: 1-line block ×29, first 2 shown]
	ds_read_b128 v[55:58], v184
	ds_read_b128 v[65:68], v184 offset:16
	s_addk_i32 s73, 0x80
	s_addk_i32 s74, 0x80
	s_or_b32 s72, vcc_lo, s72
	s_waitcnt vmcnt(30) lgkmcnt(1)
	v_mul_f64 v[176:177], v[57:58], v[59:60]
	v_mul_f64 v[59:60], v[55:56], v[59:60]
	s_waitcnt vmcnt(26) lgkmcnt(0)
	v_mul_f64 v[178:179], v[67:68], v[71:72]
	v_mul_f64 v[180:181], v[65:66], v[71:72]
	v_fma_f64 v[176:177], v[55:56], v[69:70], -v[176:177]
	v_fma_f64 v[59:60], v[57:58], v[69:70], v[59:60]
	ds_read_b128 v[55:58], v184 offset:32
	ds_read_b128 v[69:72], v184 offset:48
	s_waitcnt vmcnt(24)
	v_fma_f64 v[65:66], v[65:66], v[73:74], -v[178:179]
	v_fma_f64 v[67:68], v[67:68], v[73:74], v[180:181]
	s_waitcnt vmcnt(22) lgkmcnt(1)
	v_mul_f64 v[182:183], v[57:58], v[75:76]
	v_mul_f64 v[75:76], v[55:56], v[75:76]
	v_add_f64 v[1:2], v[1:2], v[176:177]
	v_add_f64 v[3:4], v[3:4], v[59:60]
	s_waitcnt vmcnt(18) lgkmcnt(0)
	v_mul_f64 v[59:60], v[71:72], v[156:157]
	v_mul_f64 v[73:74], v[69:70], v[156:157]
	v_fma_f64 v[156:157], v[55:56], v[154:155], -v[182:183]
	v_fma_f64 v[75:76], v[57:58], v[154:155], v[75:76]
	v_add_f64 v[65:66], v[1:2], v[65:66]
	v_add_f64 v[67:68], v[3:4], v[67:68]
	ds_read_b128 v[1:4], v184 offset:64
	ds_read_b128 v[55:58], v184 offset:80
	s_waitcnt vmcnt(16)
	v_fma_f64 v[59:60], v[69:70], v[158:159], -v[59:60]
	v_fma_f64 v[69:70], v[71:72], v[158:159], v[73:74]
	s_waitcnt vmcnt(12) lgkmcnt(1)
	v_mul_f64 v[154:155], v[3:4], v[160:161]
	v_mul_f64 v[160:161], v[1:2], v[160:161]
	v_add_f64 v[65:66], v[65:66], v[156:157]
	v_add_f64 v[67:68], v[67:68], v[75:76]
	s_waitcnt vmcnt(10) lgkmcnt(0)
	v_mul_f64 v[71:72], v[57:58], v[162:163]
	v_mul_f64 v[73:74], v[55:56], v[162:163]
	s_waitcnt vmcnt(8)
	v_fma_f64 v[75:76], v[1:2], v[166:167], -v[154:155]
	v_fma_f64 v[154:155], v[3:4], v[166:167], v[160:161]
	v_add_f64 v[59:60], v[65:66], v[59:60]
	v_add_f64 v[69:70], v[67:68], v[69:70]
	ds_read_b128 v[1:4], v184 offset:96
	ds_read_b128 v[65:68], v184 offset:112
	v_fma_f64 v[55:56], v[55:56], v[164:165], -v[71:72]
	v_fma_f64 v[57:58], v[57:58], v[164:165], v[73:74]
	s_waitcnt vmcnt(4) lgkmcnt(1)
	v_mul_f64 v[156:157], v[3:4], v[168:169]
	v_mul_f64 v[158:159], v[1:2], v[168:169]
	v_add_f64 v[59:60], v[59:60], v[75:76]
	v_add_f64 v[69:70], v[69:70], v[154:155]
	s_waitcnt vmcnt(2) lgkmcnt(0)
	v_mul_f64 v[71:72], v[67:68], v[170:171]
	v_mul_f64 v[73:74], v[65:66], v[170:171]
	s_waitcnt vmcnt(0)
	v_fma_f64 v[1:2], v[1:2], v[174:175], -v[156:157]
	v_fma_f64 v[3:4], v[3:4], v[174:175], v[158:159]
	v_add_f64 v[55:56], v[59:60], v[55:56]
	v_add_f64 v[57:58], v[69:70], v[57:58]
	v_fma_f64 v[59:60], v[65:66], v[172:173], -v[71:72]
	v_fma_f64 v[65:66], v[67:68], v[172:173], v[73:74]
	v_add_f64 v[1:2], v[55:56], v[1:2]
	v_add_f64 v[3:4], v[57:58], v[3:4]
	v_mov_b32_e32 v55, s75
	s_mov_b32 s75, s76
	v_add_f64 v[1:2], v[1:2], v[59:60]
	v_add_f64 v[3:4], v[3:4], v[65:66]
	s_andn2_b32 exec_lo, exec_lo, s72
	s_cbranch_execnz .LBB62_291
; %bb.292:
	s_or_b32 exec_lo, exec_lo, s72
.LBB62_293:
	s_or_b32 exec_lo, exec_lo, s5
	v_and_b32_e32 v53, 7, v53
	s_mov_b32 s72, 0
	s_mov_b32 s5, exec_lo
	v_cmpx_ne_u32_e32 0, v53
	s_cbranch_execz .LBB62_297
; %bb.294:
	v_lshlrev_b32_e32 v55, 4, v55
	v_add_nc_u32_e32 v54, 0x3f0, v55
	.p2align	6
.LBB62_295:                             ; =>This Inner Loop Header: Depth=1
	s_clause 0x3
	buffer_load_dword v65, v55, s[0:3], 0 offen offset:8
	buffer_load_dword v66, v55, s[0:3], 0 offen offset:12
	buffer_load_dword v67, v55, s[0:3], 0 offen
	buffer_load_dword v68, v55, s[0:3], 0 offen offset:4
	ds_read_b128 v[56:59], v54
	v_add_nc_u32_e32 v53, -1, v53
	v_add_nc_u32_e32 v54, 16, v54
	v_add_nc_u32_e32 v55, 16, v55
	v_cmp_eq_u32_e32 vcc_lo, 0, v53
	s_or_b32 s72, vcc_lo, s72
	s_waitcnt vmcnt(2) lgkmcnt(0)
	v_mul_f64 v[69:70], v[58:59], v[65:66]
	v_mul_f64 v[65:66], v[56:57], v[65:66]
	s_waitcnt vmcnt(0)
	v_fma_f64 v[56:57], v[56:57], v[67:68], -v[69:70]
	v_fma_f64 v[58:59], v[58:59], v[67:68], v[65:66]
	v_add_f64 v[1:2], v[1:2], v[56:57]
	v_add_f64 v[3:4], v[3:4], v[58:59]
	s_andn2_b32 exec_lo, exec_lo, s72
	s_cbranch_execnz .LBB62_295
; %bb.296:
	s_or_b32 exec_lo, exec_lo, s72
.LBB62_297:
	s_or_b32 exec_lo, exec_lo, s5
.LBB62_298:
	s_or_b32 exec_lo, exec_lo, s8
	v_mov_b32_e32 v53, 0
	ds_read_b128 v[53:56], v53 offset:640
	s_waitcnt lgkmcnt(0)
	v_mul_f64 v[57:58], v[3:4], v[55:56]
	v_mul_f64 v[55:56], v[1:2], v[55:56]
	v_fma_f64 v[1:2], v[1:2], v[53:54], -v[57:58]
	v_fma_f64 v[3:4], v[3:4], v[53:54], v[55:56]
	buffer_store_dword v2, off, s[0:3], 0 offset:644
	buffer_store_dword v1, off, s[0:3], 0 offset:640
	;; [unrolled: 1-line block ×4, first 2 shown]
.LBB62_299:
	s_or_b32 exec_lo, exec_lo, s6
	v_mov_b32_e32 v4, s33
	v_cmp_lt_u32_e64 s5, 39, v0
	s_clause 0x3
	buffer_load_dword v1, v4, s[0:3], 0 offen
	buffer_load_dword v2, v4, s[0:3], 0 offen offset:4
	buffer_load_dword v3, v4, s[0:3], 0 offen offset:8
	;; [unrolled: 1-line block ×3, first 2 shown]
	s_waitcnt vmcnt(0)
	ds_write_b128 v48, v[1:4]
	s_waitcnt lgkmcnt(0)
	s_waitcnt_vscnt null, 0x0
	s_barrier
	buffer_gl0_inv
	s_and_saveexec_b32 s6, s5
	s_cbranch_execz .LBB62_313
; %bb.300:
	ds_read_b128 v[1:4], v48
	s_andn2_b32 vcc_lo, exec_lo, s7
	s_cbranch_vccnz .LBB62_302
; %bb.301:
	s_clause 0x3
	buffer_load_dword v53, v47, s[0:3], 0 offen offset:8
	buffer_load_dword v54, v47, s[0:3], 0 offen offset:12
	buffer_load_dword v55, v47, s[0:3], 0 offen
	buffer_load_dword v56, v47, s[0:3], 0 offen offset:4
	s_waitcnt vmcnt(2) lgkmcnt(0)
	v_mul_f64 v[57:58], v[3:4], v[53:54]
	v_mul_f64 v[53:54], v[1:2], v[53:54]
	s_waitcnt vmcnt(0)
	v_fma_f64 v[1:2], v[1:2], v[55:56], -v[57:58]
	v_fma_f64 v[3:4], v[3:4], v[55:56], v[53:54]
.LBB62_302:
	s_and_saveexec_b32 s8, s4
	s_cbranch_execz .LBB62_312
; %bb.303:
	v_subrev_nc_u32_e32 v53, 41, v0
	v_cmp_lt_u32_e32 vcc_lo, 6, v53
	v_mov_b32_e32 v53, 40
	s_and_saveexec_b32 s4, vcc_lo
	s_cbranch_execz .LBB62_307
; %bb.304:
	v_and_b32_e32 v53, 56, v0
	s_mov_b32 s72, 40
	s_movk_i32 s74, 0x670
	s_mov_b32 s73, 0
	s_mov_b32 s75, s31
.LBB62_305:                             ; =>This Inner Loop Header: Depth=1
	v_mov_b32_e32 v54, s75
	v_mov_b32_e32 v60, s74
	s_add_i32 s72, s72, 8
	s_addk_i32 s74, 0x80
	v_cmp_eq_u32_e32 vcc_lo, s72, v53
	s_clause 0x1f
	buffer_load_dword v58, v54, s[0:3], 0 offen offset:8
	buffer_load_dword v59, v54, s[0:3], 0 offen offset:12
	buffer_load_dword v69, v54, s[0:3], 0 offen
	buffer_load_dword v70, v54, s[0:3], 0 offen offset:4
	buffer_load_dword v71, v54, s[0:3], 0 offen offset:24
	;; [unrolled: 1-line block ×29, first 2 shown]
	ds_read_b128 v[54:57], v60
	ds_read_b128 v[65:68], v60 offset:16
	s_addk_i32 s75, 0x80
	s_or_b32 s73, vcc_lo, s73
	s_waitcnt vmcnt(30) lgkmcnt(1)
	v_mul_f64 v[176:177], v[56:57], v[58:59]
	v_mul_f64 v[58:59], v[54:55], v[58:59]
	s_waitcnt vmcnt(26) lgkmcnt(0)
	v_mul_f64 v[178:179], v[67:68], v[71:72]
	v_mul_f64 v[180:181], v[65:66], v[71:72]
	v_fma_f64 v[176:177], v[54:55], v[69:70], -v[176:177]
	v_fma_f64 v[58:59], v[56:57], v[69:70], v[58:59]
	ds_read_b128 v[54:57], v60 offset:32
	ds_read_b128 v[69:72], v60 offset:48
	s_waitcnt vmcnt(24)
	v_fma_f64 v[65:66], v[65:66], v[73:74], -v[178:179]
	v_fma_f64 v[67:68], v[67:68], v[73:74], v[180:181]
	s_waitcnt vmcnt(22) lgkmcnt(1)
	v_mul_f64 v[182:183], v[56:57], v[75:76]
	v_mul_f64 v[75:76], v[54:55], v[75:76]
	v_add_f64 v[1:2], v[1:2], v[176:177]
	v_add_f64 v[3:4], v[3:4], v[58:59]
	s_waitcnt vmcnt(18) lgkmcnt(0)
	v_mul_f64 v[58:59], v[71:72], v[156:157]
	v_mul_f64 v[73:74], v[69:70], v[156:157]
	v_fma_f64 v[156:157], v[54:55], v[154:155], -v[182:183]
	v_fma_f64 v[75:76], v[56:57], v[154:155], v[75:76]
	v_add_f64 v[65:66], v[1:2], v[65:66]
	v_add_f64 v[67:68], v[3:4], v[67:68]
	ds_read_b128 v[1:4], v60 offset:64
	ds_read_b128 v[54:57], v60 offset:80
	s_waitcnt vmcnt(16)
	v_fma_f64 v[58:59], v[69:70], v[158:159], -v[58:59]
	v_fma_f64 v[69:70], v[71:72], v[158:159], v[73:74]
	s_waitcnt vmcnt(12) lgkmcnt(1)
	v_mul_f64 v[154:155], v[3:4], v[160:161]
	v_mul_f64 v[160:161], v[1:2], v[160:161]
	v_add_f64 v[65:66], v[65:66], v[156:157]
	v_add_f64 v[67:68], v[67:68], v[75:76]
	s_waitcnt vmcnt(10) lgkmcnt(0)
	v_mul_f64 v[71:72], v[56:57], v[162:163]
	v_mul_f64 v[73:74], v[54:55], v[162:163]
	s_waitcnt vmcnt(8)
	v_fma_f64 v[75:76], v[1:2], v[166:167], -v[154:155]
	v_fma_f64 v[154:155], v[3:4], v[166:167], v[160:161]
	v_add_f64 v[58:59], v[65:66], v[58:59]
	v_add_f64 v[69:70], v[67:68], v[69:70]
	ds_read_b128 v[1:4], v60 offset:96
	ds_read_b128 v[65:68], v60 offset:112
	v_fma_f64 v[54:55], v[54:55], v[164:165], -v[71:72]
	v_fma_f64 v[56:57], v[56:57], v[164:165], v[73:74]
	s_waitcnt vmcnt(4) lgkmcnt(1)
	v_mul_f64 v[156:157], v[3:4], v[168:169]
	v_mul_f64 v[158:159], v[1:2], v[168:169]
	v_add_f64 v[58:59], v[58:59], v[75:76]
	v_add_f64 v[69:70], v[69:70], v[154:155]
	s_waitcnt vmcnt(2) lgkmcnt(0)
	v_mul_f64 v[71:72], v[67:68], v[170:171]
	v_mul_f64 v[73:74], v[65:66], v[170:171]
	s_waitcnt vmcnt(0)
	v_fma_f64 v[1:2], v[1:2], v[174:175], -v[156:157]
	v_fma_f64 v[3:4], v[3:4], v[174:175], v[158:159]
	v_add_f64 v[54:55], v[58:59], v[54:55]
	v_add_f64 v[56:57], v[69:70], v[56:57]
	v_fma_f64 v[58:59], v[65:66], v[172:173], -v[71:72]
	v_fma_f64 v[65:66], v[67:68], v[172:173], v[73:74]
	v_add_f64 v[1:2], v[54:55], v[1:2]
	v_add_f64 v[3:4], v[56:57], v[3:4]
	;; [unrolled: 1-line block ×4, first 2 shown]
	s_andn2_b32 exec_lo, exec_lo, s73
	s_cbranch_execnz .LBB62_305
; %bb.306:
	s_or_b32 exec_lo, exec_lo, s73
.LBB62_307:
	s_or_b32 exec_lo, exec_lo, s4
	v_and_b32_e32 v54, 7, v0
	s_mov_b32 s72, 0
	s_mov_b32 s4, exec_lo
	v_cmpx_ne_u32_e32 0, v54
	s_cbranch_execz .LBB62_311
; %bb.308:
	v_lshlrev_b32_e32 v55, 4, v53
	v_add_nc_u32_e32 v53, 0x3f0, v55
	.p2align	6
.LBB62_309:                             ; =>This Inner Loop Header: Depth=1
	s_clause 0x3
	buffer_load_dword v65, v55, s[0:3], 0 offen offset:8
	buffer_load_dword v66, v55, s[0:3], 0 offen offset:12
	buffer_load_dword v67, v55, s[0:3], 0 offen
	buffer_load_dword v68, v55, s[0:3], 0 offen offset:4
	ds_read_b128 v[56:59], v53
	v_add_nc_u32_e32 v54, -1, v54
	v_add_nc_u32_e32 v53, 16, v53
	v_add_nc_u32_e32 v55, 16, v55
	v_cmp_eq_u32_e32 vcc_lo, 0, v54
	s_or_b32 s72, vcc_lo, s72
	s_waitcnt vmcnt(2) lgkmcnt(0)
	v_mul_f64 v[69:70], v[58:59], v[65:66]
	v_mul_f64 v[65:66], v[56:57], v[65:66]
	s_waitcnt vmcnt(0)
	v_fma_f64 v[56:57], v[56:57], v[67:68], -v[69:70]
	v_fma_f64 v[58:59], v[58:59], v[67:68], v[65:66]
	v_add_f64 v[1:2], v[1:2], v[56:57]
	v_add_f64 v[3:4], v[3:4], v[58:59]
	s_andn2_b32 exec_lo, exec_lo, s72
	s_cbranch_execnz .LBB62_309
; %bb.310:
	s_or_b32 exec_lo, exec_lo, s72
.LBB62_311:
	s_or_b32 exec_lo, exec_lo, s4
.LBB62_312:
	s_or_b32 exec_lo, exec_lo, s8
	v_mov_b32_e32 v53, 0
	ds_read_b128 v[53:56], v53 offset:624
	s_waitcnt lgkmcnt(0)
	v_mul_f64 v[57:58], v[3:4], v[55:56]
	v_mul_f64 v[55:56], v[1:2], v[55:56]
	v_fma_f64 v[1:2], v[1:2], v[53:54], -v[57:58]
	v_fma_f64 v[3:4], v[3:4], v[53:54], v[55:56]
	buffer_store_dword v2, off, s[0:3], 0 offset:628
	buffer_store_dword v1, off, s[0:3], 0 offset:624
	;; [unrolled: 1-line block ×4, first 2 shown]
.LBB62_313:
	s_or_b32 exec_lo, exec_lo, s6
	v_mov_b32_e32 v4, s34
	v_cmp_lt_u32_e64 s4, 38, v0
	s_clause 0x3
	buffer_load_dword v1, v4, s[0:3], 0 offen
	buffer_load_dword v2, v4, s[0:3], 0 offen offset:4
	buffer_load_dword v3, v4, s[0:3], 0 offen offset:8
	;; [unrolled: 1-line block ×3, first 2 shown]
	s_waitcnt vmcnt(0)
	ds_write_b128 v48, v[1:4]
	s_waitcnt lgkmcnt(0)
	s_waitcnt_vscnt null, 0x0
	s_barrier
	buffer_gl0_inv
	s_and_saveexec_b32 s6, s4
	s_cbranch_execz .LBB62_327
; %bb.314:
	ds_read_b128 v[1:4], v48
	s_andn2_b32 vcc_lo, exec_lo, s7
	s_cbranch_vccnz .LBB62_316
; %bb.315:
	s_clause 0x3
	buffer_load_dword v53, v47, s[0:3], 0 offen offset:8
	buffer_load_dword v54, v47, s[0:3], 0 offen offset:12
	buffer_load_dword v55, v47, s[0:3], 0 offen
	buffer_load_dword v56, v47, s[0:3], 0 offen offset:4
	s_waitcnt vmcnt(2) lgkmcnt(0)
	v_mul_f64 v[57:58], v[3:4], v[53:54]
	v_mul_f64 v[53:54], v[1:2], v[53:54]
	s_waitcnt vmcnt(0)
	v_fma_f64 v[1:2], v[1:2], v[55:56], -v[57:58]
	v_fma_f64 v[3:4], v[3:4], v[55:56], v[53:54]
.LBB62_316:
	s_and_saveexec_b32 s8, s5
	s_cbranch_execz .LBB62_326
; %bb.317:
	v_subrev_nc_u32_e32 v54, 40, v0
	v_mov_b32_e32 v55, 39
	v_subrev_nc_u32_e32 v53, 39, v0
	s_mov_b32 s5, exec_lo
	v_cmpx_lt_u32_e32 6, v54
	s_cbranch_execz .LBB62_321
; %bb.318:
	v_and_b32_e32 v54, -8, v53
	s_movk_i32 s73, 0x660
	s_mov_b32 s72, 0
	s_mov_b32 s74, s33
	;; [unrolled: 1-line block ×3, first 2 shown]
.LBB62_319:                             ; =>This Inner Loop Header: Depth=1
	v_mov_b32_e32 v55, s74
	v_mov_b32_e32 v184, s73
	s_add_i32 s76, s75, 8
	s_add_i32 s75, s75, 47
	v_cmp_eq_u32_e32 vcc_lo, s76, v54
	s_clause 0x1f
	buffer_load_dword v59, v55, s[0:3], 0 offen offset:8
	buffer_load_dword v60, v55, s[0:3], 0 offen offset:12
	buffer_load_dword v69, v55, s[0:3], 0 offen
	buffer_load_dword v70, v55, s[0:3], 0 offen offset:4
	buffer_load_dword v71, v55, s[0:3], 0 offen offset:24
	;; [unrolled: 1-line block ×29, first 2 shown]
	ds_read_b128 v[55:58], v184
	ds_read_b128 v[65:68], v184 offset:16
	s_addk_i32 s73, 0x80
	s_addk_i32 s74, 0x80
	s_or_b32 s72, vcc_lo, s72
	s_waitcnt vmcnt(30) lgkmcnt(1)
	v_mul_f64 v[176:177], v[57:58], v[59:60]
	v_mul_f64 v[59:60], v[55:56], v[59:60]
	s_waitcnt vmcnt(26) lgkmcnt(0)
	v_mul_f64 v[178:179], v[67:68], v[71:72]
	v_mul_f64 v[180:181], v[65:66], v[71:72]
	v_fma_f64 v[176:177], v[55:56], v[69:70], -v[176:177]
	v_fma_f64 v[59:60], v[57:58], v[69:70], v[59:60]
	ds_read_b128 v[55:58], v184 offset:32
	ds_read_b128 v[69:72], v184 offset:48
	s_waitcnt vmcnt(24)
	v_fma_f64 v[65:66], v[65:66], v[73:74], -v[178:179]
	v_fma_f64 v[67:68], v[67:68], v[73:74], v[180:181]
	s_waitcnt vmcnt(22) lgkmcnt(1)
	v_mul_f64 v[182:183], v[57:58], v[75:76]
	v_mul_f64 v[75:76], v[55:56], v[75:76]
	v_add_f64 v[1:2], v[1:2], v[176:177]
	v_add_f64 v[3:4], v[3:4], v[59:60]
	s_waitcnt vmcnt(18) lgkmcnt(0)
	v_mul_f64 v[59:60], v[71:72], v[156:157]
	v_mul_f64 v[73:74], v[69:70], v[156:157]
	v_fma_f64 v[156:157], v[55:56], v[154:155], -v[182:183]
	v_fma_f64 v[75:76], v[57:58], v[154:155], v[75:76]
	v_add_f64 v[65:66], v[1:2], v[65:66]
	v_add_f64 v[67:68], v[3:4], v[67:68]
	ds_read_b128 v[1:4], v184 offset:64
	ds_read_b128 v[55:58], v184 offset:80
	s_waitcnt vmcnt(16)
	v_fma_f64 v[59:60], v[69:70], v[158:159], -v[59:60]
	v_fma_f64 v[69:70], v[71:72], v[158:159], v[73:74]
	s_waitcnt vmcnt(12) lgkmcnt(1)
	v_mul_f64 v[154:155], v[3:4], v[160:161]
	v_mul_f64 v[160:161], v[1:2], v[160:161]
	v_add_f64 v[65:66], v[65:66], v[156:157]
	v_add_f64 v[67:68], v[67:68], v[75:76]
	s_waitcnt vmcnt(10) lgkmcnt(0)
	v_mul_f64 v[71:72], v[57:58], v[162:163]
	v_mul_f64 v[73:74], v[55:56], v[162:163]
	s_waitcnt vmcnt(8)
	v_fma_f64 v[75:76], v[1:2], v[166:167], -v[154:155]
	v_fma_f64 v[154:155], v[3:4], v[166:167], v[160:161]
	v_add_f64 v[59:60], v[65:66], v[59:60]
	v_add_f64 v[69:70], v[67:68], v[69:70]
	ds_read_b128 v[1:4], v184 offset:96
	ds_read_b128 v[65:68], v184 offset:112
	v_fma_f64 v[55:56], v[55:56], v[164:165], -v[71:72]
	v_fma_f64 v[57:58], v[57:58], v[164:165], v[73:74]
	s_waitcnt vmcnt(4) lgkmcnt(1)
	v_mul_f64 v[156:157], v[3:4], v[168:169]
	v_mul_f64 v[158:159], v[1:2], v[168:169]
	v_add_f64 v[59:60], v[59:60], v[75:76]
	v_add_f64 v[69:70], v[69:70], v[154:155]
	s_waitcnt vmcnt(2) lgkmcnt(0)
	v_mul_f64 v[71:72], v[67:68], v[170:171]
	v_mul_f64 v[73:74], v[65:66], v[170:171]
	s_waitcnt vmcnt(0)
	v_fma_f64 v[1:2], v[1:2], v[174:175], -v[156:157]
	v_fma_f64 v[3:4], v[3:4], v[174:175], v[158:159]
	v_add_f64 v[55:56], v[59:60], v[55:56]
	v_add_f64 v[57:58], v[69:70], v[57:58]
	v_fma_f64 v[59:60], v[65:66], v[172:173], -v[71:72]
	v_fma_f64 v[65:66], v[67:68], v[172:173], v[73:74]
	v_add_f64 v[1:2], v[55:56], v[1:2]
	v_add_f64 v[3:4], v[57:58], v[3:4]
	v_mov_b32_e32 v55, s75
	s_mov_b32 s75, s76
	v_add_f64 v[1:2], v[1:2], v[59:60]
	v_add_f64 v[3:4], v[3:4], v[65:66]
	s_andn2_b32 exec_lo, exec_lo, s72
	s_cbranch_execnz .LBB62_319
; %bb.320:
	s_or_b32 exec_lo, exec_lo, s72
.LBB62_321:
	s_or_b32 exec_lo, exec_lo, s5
	v_and_b32_e32 v53, 7, v53
	s_mov_b32 s72, 0
	s_mov_b32 s5, exec_lo
	v_cmpx_ne_u32_e32 0, v53
	s_cbranch_execz .LBB62_325
; %bb.322:
	v_lshlrev_b32_e32 v55, 4, v55
	v_add_nc_u32_e32 v54, 0x3f0, v55
	.p2align	6
.LBB62_323:                             ; =>This Inner Loop Header: Depth=1
	s_clause 0x3
	buffer_load_dword v65, v55, s[0:3], 0 offen offset:8
	buffer_load_dword v66, v55, s[0:3], 0 offen offset:12
	buffer_load_dword v67, v55, s[0:3], 0 offen
	buffer_load_dword v68, v55, s[0:3], 0 offen offset:4
	ds_read_b128 v[56:59], v54
	v_add_nc_u32_e32 v53, -1, v53
	v_add_nc_u32_e32 v54, 16, v54
	v_add_nc_u32_e32 v55, 16, v55
	v_cmp_eq_u32_e32 vcc_lo, 0, v53
	s_or_b32 s72, vcc_lo, s72
	s_waitcnt vmcnt(2) lgkmcnt(0)
	v_mul_f64 v[69:70], v[58:59], v[65:66]
	v_mul_f64 v[65:66], v[56:57], v[65:66]
	s_waitcnt vmcnt(0)
	v_fma_f64 v[56:57], v[56:57], v[67:68], -v[69:70]
	v_fma_f64 v[58:59], v[58:59], v[67:68], v[65:66]
	v_add_f64 v[1:2], v[1:2], v[56:57]
	v_add_f64 v[3:4], v[3:4], v[58:59]
	s_andn2_b32 exec_lo, exec_lo, s72
	s_cbranch_execnz .LBB62_323
; %bb.324:
	s_or_b32 exec_lo, exec_lo, s72
.LBB62_325:
	s_or_b32 exec_lo, exec_lo, s5
.LBB62_326:
	s_or_b32 exec_lo, exec_lo, s8
	v_mov_b32_e32 v53, 0
	ds_read_b128 v[53:56], v53 offset:608
	s_waitcnt lgkmcnt(0)
	v_mul_f64 v[57:58], v[3:4], v[55:56]
	v_mul_f64 v[55:56], v[1:2], v[55:56]
	v_fma_f64 v[1:2], v[1:2], v[53:54], -v[57:58]
	v_fma_f64 v[3:4], v[3:4], v[53:54], v[55:56]
	buffer_store_dword v2, off, s[0:3], 0 offset:612
	buffer_store_dword v1, off, s[0:3], 0 offset:608
	;; [unrolled: 1-line block ×4, first 2 shown]
.LBB62_327:
	s_or_b32 exec_lo, exec_lo, s6
	v_mov_b32_e32 v4, s35
	v_cmp_lt_u32_e64 s5, 37, v0
	s_clause 0x3
	buffer_load_dword v1, v4, s[0:3], 0 offen
	buffer_load_dword v2, v4, s[0:3], 0 offen offset:4
	buffer_load_dword v3, v4, s[0:3], 0 offen offset:8
	;; [unrolled: 1-line block ×3, first 2 shown]
	s_waitcnt vmcnt(0)
	ds_write_b128 v48, v[1:4]
	s_waitcnt lgkmcnt(0)
	s_waitcnt_vscnt null, 0x0
	s_barrier
	buffer_gl0_inv
	s_and_saveexec_b32 s6, s5
	s_cbranch_execz .LBB62_341
; %bb.328:
	ds_read_b128 v[1:4], v48
	s_andn2_b32 vcc_lo, exec_lo, s7
	s_cbranch_vccnz .LBB62_330
; %bb.329:
	s_clause 0x3
	buffer_load_dword v53, v47, s[0:3], 0 offen offset:8
	buffer_load_dword v54, v47, s[0:3], 0 offen offset:12
	buffer_load_dword v55, v47, s[0:3], 0 offen
	buffer_load_dword v56, v47, s[0:3], 0 offen offset:4
	s_waitcnt vmcnt(2) lgkmcnt(0)
	v_mul_f64 v[57:58], v[3:4], v[53:54]
	v_mul_f64 v[53:54], v[1:2], v[53:54]
	s_waitcnt vmcnt(0)
	v_fma_f64 v[1:2], v[1:2], v[55:56], -v[57:58]
	v_fma_f64 v[3:4], v[3:4], v[55:56], v[53:54]
.LBB62_330:
	s_and_saveexec_b32 s8, s4
	s_cbranch_execz .LBB62_340
; %bb.331:
	v_subrev_nc_u32_e32 v54, 39, v0
	v_mov_b32_e32 v55, 38
	v_subrev_nc_u32_e32 v53, 38, v0
	s_mov_b32 s4, exec_lo
	v_cmpx_lt_u32_e32 6, v54
	s_cbranch_execz .LBB62_335
; %bb.332:
	v_and_b32_e32 v54, -8, v53
	s_movk_i32 s73, 0x650
	s_mov_b32 s72, 0
	s_mov_b32 s74, s34
	;; [unrolled: 1-line block ×3, first 2 shown]
.LBB62_333:                             ; =>This Inner Loop Header: Depth=1
	v_mov_b32_e32 v55, s74
	v_mov_b32_e32 v184, s73
	s_add_i32 s76, s75, 8
	s_add_i32 s75, s75, 46
	v_cmp_eq_u32_e32 vcc_lo, s76, v54
	s_clause 0x1f
	buffer_load_dword v59, v55, s[0:3], 0 offen offset:8
	buffer_load_dword v60, v55, s[0:3], 0 offen offset:12
	buffer_load_dword v69, v55, s[0:3], 0 offen
	buffer_load_dword v70, v55, s[0:3], 0 offen offset:4
	buffer_load_dword v71, v55, s[0:3], 0 offen offset:24
	buffer_load_dword v72, v55, s[0:3], 0 offen offset:28
	buffer_load_dword v73, v55, s[0:3], 0 offen offset:16
	buffer_load_dword v74, v55, s[0:3], 0 offen offset:20
	buffer_load_dword v75, v55, s[0:3], 0 offen offset:40
	buffer_load_dword v76, v55, s[0:3], 0 offen offset:44
	buffer_load_dword v154, v55, s[0:3], 0 offen offset:32
	buffer_load_dword v155, v55, s[0:3], 0 offen offset:36
	buffer_load_dword v156, v55, s[0:3], 0 offen offset:56
	buffer_load_dword v157, v55, s[0:3], 0 offen offset:60
	buffer_load_dword v158, v55, s[0:3], 0 offen offset:48
	buffer_load_dword v159, v55, s[0:3], 0 offen offset:52
	buffer_load_dword v161, v55, s[0:3], 0 offen offset:76
	buffer_load_dword v162, v55, s[0:3], 0 offen offset:88
	buffer_load_dword v164, v55, s[0:3], 0 offen offset:80
	buffer_load_dword v160, v55, s[0:3], 0 offen offset:72
	buffer_load_dword v165, v55, s[0:3], 0 offen offset:84
	buffer_load_dword v163, v55, s[0:3], 0 offen offset:92
	buffer_load_dword v167, v55, s[0:3], 0 offen offset:68
	buffer_load_dword v166, v55, s[0:3], 0 offen offset:64
	buffer_load_dword v169, v55, s[0:3], 0 offen offset:108
	buffer_load_dword v170, v55, s[0:3], 0 offen offset:120
	buffer_load_dword v172, v55, s[0:3], 0 offen offset:112
	buffer_load_dword v168, v55, s[0:3], 0 offen offset:104
	buffer_load_dword v173, v55, s[0:3], 0 offen offset:116
	buffer_load_dword v171, v55, s[0:3], 0 offen offset:124
	buffer_load_dword v175, v55, s[0:3], 0 offen offset:100
	buffer_load_dword v174, v55, s[0:3], 0 offen offset:96
	ds_read_b128 v[55:58], v184
	ds_read_b128 v[65:68], v184 offset:16
	s_addk_i32 s73, 0x80
	s_addk_i32 s74, 0x80
	s_or_b32 s72, vcc_lo, s72
	s_waitcnt vmcnt(30) lgkmcnt(1)
	v_mul_f64 v[176:177], v[57:58], v[59:60]
	v_mul_f64 v[59:60], v[55:56], v[59:60]
	s_waitcnt vmcnt(26) lgkmcnt(0)
	v_mul_f64 v[178:179], v[67:68], v[71:72]
	v_mul_f64 v[180:181], v[65:66], v[71:72]
	v_fma_f64 v[176:177], v[55:56], v[69:70], -v[176:177]
	v_fma_f64 v[59:60], v[57:58], v[69:70], v[59:60]
	ds_read_b128 v[55:58], v184 offset:32
	ds_read_b128 v[69:72], v184 offset:48
	s_waitcnt vmcnt(24)
	v_fma_f64 v[65:66], v[65:66], v[73:74], -v[178:179]
	v_fma_f64 v[67:68], v[67:68], v[73:74], v[180:181]
	s_waitcnt vmcnt(22) lgkmcnt(1)
	v_mul_f64 v[182:183], v[57:58], v[75:76]
	v_mul_f64 v[75:76], v[55:56], v[75:76]
	v_add_f64 v[1:2], v[1:2], v[176:177]
	v_add_f64 v[3:4], v[3:4], v[59:60]
	s_waitcnt vmcnt(18) lgkmcnt(0)
	v_mul_f64 v[59:60], v[71:72], v[156:157]
	v_mul_f64 v[73:74], v[69:70], v[156:157]
	v_fma_f64 v[156:157], v[55:56], v[154:155], -v[182:183]
	v_fma_f64 v[75:76], v[57:58], v[154:155], v[75:76]
	v_add_f64 v[65:66], v[1:2], v[65:66]
	v_add_f64 v[67:68], v[3:4], v[67:68]
	ds_read_b128 v[1:4], v184 offset:64
	ds_read_b128 v[55:58], v184 offset:80
	s_waitcnt vmcnt(16)
	v_fma_f64 v[59:60], v[69:70], v[158:159], -v[59:60]
	v_fma_f64 v[69:70], v[71:72], v[158:159], v[73:74]
	s_waitcnt vmcnt(12) lgkmcnt(1)
	v_mul_f64 v[154:155], v[3:4], v[160:161]
	v_mul_f64 v[160:161], v[1:2], v[160:161]
	v_add_f64 v[65:66], v[65:66], v[156:157]
	v_add_f64 v[67:68], v[67:68], v[75:76]
	s_waitcnt vmcnt(10) lgkmcnt(0)
	v_mul_f64 v[71:72], v[57:58], v[162:163]
	v_mul_f64 v[73:74], v[55:56], v[162:163]
	s_waitcnt vmcnt(8)
	v_fma_f64 v[75:76], v[1:2], v[166:167], -v[154:155]
	v_fma_f64 v[154:155], v[3:4], v[166:167], v[160:161]
	v_add_f64 v[59:60], v[65:66], v[59:60]
	v_add_f64 v[69:70], v[67:68], v[69:70]
	ds_read_b128 v[1:4], v184 offset:96
	ds_read_b128 v[65:68], v184 offset:112
	v_fma_f64 v[55:56], v[55:56], v[164:165], -v[71:72]
	v_fma_f64 v[57:58], v[57:58], v[164:165], v[73:74]
	s_waitcnt vmcnt(4) lgkmcnt(1)
	v_mul_f64 v[156:157], v[3:4], v[168:169]
	v_mul_f64 v[158:159], v[1:2], v[168:169]
	v_add_f64 v[59:60], v[59:60], v[75:76]
	v_add_f64 v[69:70], v[69:70], v[154:155]
	s_waitcnt vmcnt(2) lgkmcnt(0)
	v_mul_f64 v[71:72], v[67:68], v[170:171]
	v_mul_f64 v[73:74], v[65:66], v[170:171]
	s_waitcnt vmcnt(0)
	v_fma_f64 v[1:2], v[1:2], v[174:175], -v[156:157]
	v_fma_f64 v[3:4], v[3:4], v[174:175], v[158:159]
	v_add_f64 v[55:56], v[59:60], v[55:56]
	v_add_f64 v[57:58], v[69:70], v[57:58]
	v_fma_f64 v[59:60], v[65:66], v[172:173], -v[71:72]
	v_fma_f64 v[65:66], v[67:68], v[172:173], v[73:74]
	v_add_f64 v[1:2], v[55:56], v[1:2]
	v_add_f64 v[3:4], v[57:58], v[3:4]
	v_mov_b32_e32 v55, s75
	s_mov_b32 s75, s76
	v_add_f64 v[1:2], v[1:2], v[59:60]
	v_add_f64 v[3:4], v[3:4], v[65:66]
	s_andn2_b32 exec_lo, exec_lo, s72
	s_cbranch_execnz .LBB62_333
; %bb.334:
	s_or_b32 exec_lo, exec_lo, s72
.LBB62_335:
	s_or_b32 exec_lo, exec_lo, s4
	v_and_b32_e32 v53, 7, v53
	s_mov_b32 s72, 0
	s_mov_b32 s4, exec_lo
	v_cmpx_ne_u32_e32 0, v53
	s_cbranch_execz .LBB62_339
; %bb.336:
	v_lshlrev_b32_e32 v55, 4, v55
	v_add_nc_u32_e32 v54, 0x3f0, v55
	.p2align	6
.LBB62_337:                             ; =>This Inner Loop Header: Depth=1
	s_clause 0x3
	buffer_load_dword v65, v55, s[0:3], 0 offen offset:8
	buffer_load_dword v66, v55, s[0:3], 0 offen offset:12
	buffer_load_dword v67, v55, s[0:3], 0 offen
	buffer_load_dword v68, v55, s[0:3], 0 offen offset:4
	ds_read_b128 v[56:59], v54
	v_add_nc_u32_e32 v53, -1, v53
	v_add_nc_u32_e32 v54, 16, v54
	v_add_nc_u32_e32 v55, 16, v55
	v_cmp_eq_u32_e32 vcc_lo, 0, v53
	s_or_b32 s72, vcc_lo, s72
	s_waitcnt vmcnt(2) lgkmcnt(0)
	v_mul_f64 v[69:70], v[58:59], v[65:66]
	v_mul_f64 v[65:66], v[56:57], v[65:66]
	s_waitcnt vmcnt(0)
	v_fma_f64 v[56:57], v[56:57], v[67:68], -v[69:70]
	v_fma_f64 v[58:59], v[58:59], v[67:68], v[65:66]
	v_add_f64 v[1:2], v[1:2], v[56:57]
	v_add_f64 v[3:4], v[3:4], v[58:59]
	s_andn2_b32 exec_lo, exec_lo, s72
	s_cbranch_execnz .LBB62_337
; %bb.338:
	s_or_b32 exec_lo, exec_lo, s72
.LBB62_339:
	s_or_b32 exec_lo, exec_lo, s4
.LBB62_340:
	s_or_b32 exec_lo, exec_lo, s8
	v_mov_b32_e32 v53, 0
	ds_read_b128 v[53:56], v53 offset:592
	s_waitcnt lgkmcnt(0)
	v_mul_f64 v[57:58], v[3:4], v[55:56]
	v_mul_f64 v[55:56], v[1:2], v[55:56]
	v_fma_f64 v[1:2], v[1:2], v[53:54], -v[57:58]
	v_fma_f64 v[3:4], v[3:4], v[53:54], v[55:56]
	buffer_store_dword v2, off, s[0:3], 0 offset:596
	buffer_store_dword v1, off, s[0:3], 0 offset:592
	;; [unrolled: 1-line block ×4, first 2 shown]
.LBB62_341:
	s_or_b32 exec_lo, exec_lo, s6
	v_mov_b32_e32 v4, s36
	v_cmp_lt_u32_e64 s4, 36, v0
	s_clause 0x3
	buffer_load_dword v1, v4, s[0:3], 0 offen
	buffer_load_dword v2, v4, s[0:3], 0 offen offset:4
	buffer_load_dword v3, v4, s[0:3], 0 offen offset:8
	;; [unrolled: 1-line block ×3, first 2 shown]
	s_waitcnt vmcnt(0)
	ds_write_b128 v48, v[1:4]
	s_waitcnt lgkmcnt(0)
	s_waitcnt_vscnt null, 0x0
	s_barrier
	buffer_gl0_inv
	s_and_saveexec_b32 s6, s4
	s_cbranch_execz .LBB62_355
; %bb.342:
	ds_read_b128 v[1:4], v48
	s_andn2_b32 vcc_lo, exec_lo, s7
	s_cbranch_vccnz .LBB62_344
; %bb.343:
	s_clause 0x3
	buffer_load_dword v53, v47, s[0:3], 0 offen offset:8
	buffer_load_dword v54, v47, s[0:3], 0 offen offset:12
	buffer_load_dword v55, v47, s[0:3], 0 offen
	buffer_load_dword v56, v47, s[0:3], 0 offen offset:4
	s_waitcnt vmcnt(2) lgkmcnt(0)
	v_mul_f64 v[57:58], v[3:4], v[53:54]
	v_mul_f64 v[53:54], v[1:2], v[53:54]
	s_waitcnt vmcnt(0)
	v_fma_f64 v[1:2], v[1:2], v[55:56], -v[57:58]
	v_fma_f64 v[3:4], v[3:4], v[55:56], v[53:54]
.LBB62_344:
	s_and_saveexec_b32 s8, s5
	s_cbranch_execz .LBB62_354
; %bb.345:
	v_subrev_nc_u32_e32 v54, 38, v0
	v_mov_b32_e32 v55, 37
	v_subrev_nc_u32_e32 v53, 37, v0
	s_mov_b32 s5, exec_lo
	v_cmpx_lt_u32_e32 6, v54
	s_cbranch_execz .LBB62_349
; %bb.346:
	v_and_b32_e32 v54, -8, v53
	s_movk_i32 s73, 0x640
	s_mov_b32 s72, 0
	s_mov_b32 s74, s35
	;; [unrolled: 1-line block ×3, first 2 shown]
.LBB62_347:                             ; =>This Inner Loop Header: Depth=1
	v_mov_b32_e32 v55, s74
	v_mov_b32_e32 v184, s73
	s_add_i32 s76, s75, 8
	s_add_i32 s75, s75, 45
	v_cmp_eq_u32_e32 vcc_lo, s76, v54
	s_clause 0x1f
	buffer_load_dword v59, v55, s[0:3], 0 offen offset:8
	buffer_load_dword v60, v55, s[0:3], 0 offen offset:12
	buffer_load_dword v69, v55, s[0:3], 0 offen
	buffer_load_dword v70, v55, s[0:3], 0 offen offset:4
	buffer_load_dword v71, v55, s[0:3], 0 offen offset:24
	;; [unrolled: 1-line block ×29, first 2 shown]
	ds_read_b128 v[55:58], v184
	ds_read_b128 v[65:68], v184 offset:16
	s_addk_i32 s73, 0x80
	s_addk_i32 s74, 0x80
	s_or_b32 s72, vcc_lo, s72
	s_waitcnt vmcnt(30) lgkmcnt(1)
	v_mul_f64 v[176:177], v[57:58], v[59:60]
	v_mul_f64 v[59:60], v[55:56], v[59:60]
	s_waitcnt vmcnt(26) lgkmcnt(0)
	v_mul_f64 v[178:179], v[67:68], v[71:72]
	v_mul_f64 v[180:181], v[65:66], v[71:72]
	v_fma_f64 v[176:177], v[55:56], v[69:70], -v[176:177]
	v_fma_f64 v[59:60], v[57:58], v[69:70], v[59:60]
	ds_read_b128 v[55:58], v184 offset:32
	ds_read_b128 v[69:72], v184 offset:48
	s_waitcnt vmcnt(24)
	v_fma_f64 v[65:66], v[65:66], v[73:74], -v[178:179]
	v_fma_f64 v[67:68], v[67:68], v[73:74], v[180:181]
	s_waitcnt vmcnt(22) lgkmcnt(1)
	v_mul_f64 v[182:183], v[57:58], v[75:76]
	v_mul_f64 v[75:76], v[55:56], v[75:76]
	v_add_f64 v[1:2], v[1:2], v[176:177]
	v_add_f64 v[3:4], v[3:4], v[59:60]
	s_waitcnt vmcnt(18) lgkmcnt(0)
	v_mul_f64 v[59:60], v[71:72], v[156:157]
	v_mul_f64 v[73:74], v[69:70], v[156:157]
	v_fma_f64 v[156:157], v[55:56], v[154:155], -v[182:183]
	v_fma_f64 v[75:76], v[57:58], v[154:155], v[75:76]
	v_add_f64 v[65:66], v[1:2], v[65:66]
	v_add_f64 v[67:68], v[3:4], v[67:68]
	ds_read_b128 v[1:4], v184 offset:64
	ds_read_b128 v[55:58], v184 offset:80
	s_waitcnt vmcnt(16)
	v_fma_f64 v[59:60], v[69:70], v[158:159], -v[59:60]
	v_fma_f64 v[69:70], v[71:72], v[158:159], v[73:74]
	s_waitcnt vmcnt(12) lgkmcnt(1)
	v_mul_f64 v[154:155], v[3:4], v[160:161]
	v_mul_f64 v[160:161], v[1:2], v[160:161]
	v_add_f64 v[65:66], v[65:66], v[156:157]
	v_add_f64 v[67:68], v[67:68], v[75:76]
	s_waitcnt vmcnt(10) lgkmcnt(0)
	v_mul_f64 v[71:72], v[57:58], v[162:163]
	v_mul_f64 v[73:74], v[55:56], v[162:163]
	s_waitcnt vmcnt(8)
	v_fma_f64 v[75:76], v[1:2], v[166:167], -v[154:155]
	v_fma_f64 v[154:155], v[3:4], v[166:167], v[160:161]
	v_add_f64 v[59:60], v[65:66], v[59:60]
	v_add_f64 v[69:70], v[67:68], v[69:70]
	ds_read_b128 v[1:4], v184 offset:96
	ds_read_b128 v[65:68], v184 offset:112
	v_fma_f64 v[55:56], v[55:56], v[164:165], -v[71:72]
	v_fma_f64 v[57:58], v[57:58], v[164:165], v[73:74]
	s_waitcnt vmcnt(4) lgkmcnt(1)
	v_mul_f64 v[156:157], v[3:4], v[168:169]
	v_mul_f64 v[158:159], v[1:2], v[168:169]
	v_add_f64 v[59:60], v[59:60], v[75:76]
	v_add_f64 v[69:70], v[69:70], v[154:155]
	s_waitcnt vmcnt(2) lgkmcnt(0)
	v_mul_f64 v[71:72], v[67:68], v[170:171]
	v_mul_f64 v[73:74], v[65:66], v[170:171]
	s_waitcnt vmcnt(0)
	v_fma_f64 v[1:2], v[1:2], v[174:175], -v[156:157]
	v_fma_f64 v[3:4], v[3:4], v[174:175], v[158:159]
	v_add_f64 v[55:56], v[59:60], v[55:56]
	v_add_f64 v[57:58], v[69:70], v[57:58]
	v_fma_f64 v[59:60], v[65:66], v[172:173], -v[71:72]
	v_fma_f64 v[65:66], v[67:68], v[172:173], v[73:74]
	v_add_f64 v[1:2], v[55:56], v[1:2]
	v_add_f64 v[3:4], v[57:58], v[3:4]
	v_mov_b32_e32 v55, s75
	s_mov_b32 s75, s76
	v_add_f64 v[1:2], v[1:2], v[59:60]
	v_add_f64 v[3:4], v[3:4], v[65:66]
	s_andn2_b32 exec_lo, exec_lo, s72
	s_cbranch_execnz .LBB62_347
; %bb.348:
	s_or_b32 exec_lo, exec_lo, s72
.LBB62_349:
	s_or_b32 exec_lo, exec_lo, s5
	v_and_b32_e32 v53, 7, v53
	s_mov_b32 s72, 0
	s_mov_b32 s5, exec_lo
	v_cmpx_ne_u32_e32 0, v53
	s_cbranch_execz .LBB62_353
; %bb.350:
	v_lshlrev_b32_e32 v55, 4, v55
	v_add_nc_u32_e32 v54, 0x3f0, v55
	.p2align	6
.LBB62_351:                             ; =>This Inner Loop Header: Depth=1
	s_clause 0x3
	buffer_load_dword v65, v55, s[0:3], 0 offen offset:8
	buffer_load_dword v66, v55, s[0:3], 0 offen offset:12
	buffer_load_dword v67, v55, s[0:3], 0 offen
	buffer_load_dword v68, v55, s[0:3], 0 offen offset:4
	ds_read_b128 v[56:59], v54
	v_add_nc_u32_e32 v53, -1, v53
	v_add_nc_u32_e32 v54, 16, v54
	v_add_nc_u32_e32 v55, 16, v55
	v_cmp_eq_u32_e32 vcc_lo, 0, v53
	s_or_b32 s72, vcc_lo, s72
	s_waitcnt vmcnt(2) lgkmcnt(0)
	v_mul_f64 v[69:70], v[58:59], v[65:66]
	v_mul_f64 v[65:66], v[56:57], v[65:66]
	s_waitcnt vmcnt(0)
	v_fma_f64 v[56:57], v[56:57], v[67:68], -v[69:70]
	v_fma_f64 v[58:59], v[58:59], v[67:68], v[65:66]
	v_add_f64 v[1:2], v[1:2], v[56:57]
	v_add_f64 v[3:4], v[3:4], v[58:59]
	s_andn2_b32 exec_lo, exec_lo, s72
	s_cbranch_execnz .LBB62_351
; %bb.352:
	s_or_b32 exec_lo, exec_lo, s72
.LBB62_353:
	s_or_b32 exec_lo, exec_lo, s5
.LBB62_354:
	s_or_b32 exec_lo, exec_lo, s8
	v_mov_b32_e32 v53, 0
	ds_read_b128 v[53:56], v53 offset:576
	s_waitcnt lgkmcnt(0)
	v_mul_f64 v[57:58], v[3:4], v[55:56]
	v_mul_f64 v[55:56], v[1:2], v[55:56]
	v_fma_f64 v[1:2], v[1:2], v[53:54], -v[57:58]
	v_fma_f64 v[3:4], v[3:4], v[53:54], v[55:56]
	buffer_store_dword v2, off, s[0:3], 0 offset:580
	buffer_store_dword v1, off, s[0:3], 0 offset:576
	;; [unrolled: 1-line block ×4, first 2 shown]
.LBB62_355:
	s_or_b32 exec_lo, exec_lo, s6
	v_mov_b32_e32 v4, s37
	v_cmp_lt_u32_e64 s5, 35, v0
	s_clause 0x3
	buffer_load_dword v1, v4, s[0:3], 0 offen
	buffer_load_dword v2, v4, s[0:3], 0 offen offset:4
	buffer_load_dword v3, v4, s[0:3], 0 offen offset:8
	;; [unrolled: 1-line block ×3, first 2 shown]
	s_waitcnt vmcnt(0)
	ds_write_b128 v48, v[1:4]
	s_waitcnt lgkmcnt(0)
	s_waitcnt_vscnt null, 0x0
	s_barrier
	buffer_gl0_inv
	s_and_saveexec_b32 s6, s5
	s_cbranch_execz .LBB62_369
; %bb.356:
	ds_read_b128 v[1:4], v48
	s_andn2_b32 vcc_lo, exec_lo, s7
	s_cbranch_vccnz .LBB62_358
; %bb.357:
	s_clause 0x3
	buffer_load_dword v53, v47, s[0:3], 0 offen offset:8
	buffer_load_dword v54, v47, s[0:3], 0 offen offset:12
	buffer_load_dword v55, v47, s[0:3], 0 offen
	buffer_load_dword v56, v47, s[0:3], 0 offen offset:4
	s_waitcnt vmcnt(2) lgkmcnt(0)
	v_mul_f64 v[57:58], v[3:4], v[53:54]
	v_mul_f64 v[53:54], v[1:2], v[53:54]
	s_waitcnt vmcnt(0)
	v_fma_f64 v[1:2], v[1:2], v[55:56], -v[57:58]
	v_fma_f64 v[3:4], v[3:4], v[55:56], v[53:54]
.LBB62_358:
	s_and_saveexec_b32 s8, s4
	s_cbranch_execz .LBB62_368
; %bb.359:
	v_subrev_nc_u32_e32 v54, 37, v0
	v_mov_b32_e32 v55, 36
	v_subrev_nc_u32_e32 v53, 36, v0
	s_mov_b32 s4, exec_lo
	v_cmpx_lt_u32_e32 6, v54
	s_cbranch_execz .LBB62_363
; %bb.360:
	v_and_b32_e32 v54, -8, v53
	s_movk_i32 s73, 0x630
	s_mov_b32 s72, 0
	s_mov_b32 s74, s36
	;; [unrolled: 1-line block ×3, first 2 shown]
.LBB62_361:                             ; =>This Inner Loop Header: Depth=1
	v_mov_b32_e32 v55, s74
	v_mov_b32_e32 v184, s73
	s_add_i32 s76, s75, 8
	s_add_i32 s75, s75, 44
	v_cmp_eq_u32_e32 vcc_lo, s76, v54
	s_clause 0x1f
	buffer_load_dword v59, v55, s[0:3], 0 offen offset:8
	buffer_load_dword v60, v55, s[0:3], 0 offen offset:12
	buffer_load_dword v69, v55, s[0:3], 0 offen
	buffer_load_dword v70, v55, s[0:3], 0 offen offset:4
	buffer_load_dword v71, v55, s[0:3], 0 offen offset:24
	;; [unrolled: 1-line block ×29, first 2 shown]
	ds_read_b128 v[55:58], v184
	ds_read_b128 v[65:68], v184 offset:16
	s_addk_i32 s73, 0x80
	s_addk_i32 s74, 0x80
	s_or_b32 s72, vcc_lo, s72
	s_waitcnt vmcnt(30) lgkmcnt(1)
	v_mul_f64 v[176:177], v[57:58], v[59:60]
	v_mul_f64 v[59:60], v[55:56], v[59:60]
	s_waitcnt vmcnt(26) lgkmcnt(0)
	v_mul_f64 v[178:179], v[67:68], v[71:72]
	v_mul_f64 v[180:181], v[65:66], v[71:72]
	v_fma_f64 v[176:177], v[55:56], v[69:70], -v[176:177]
	v_fma_f64 v[59:60], v[57:58], v[69:70], v[59:60]
	ds_read_b128 v[55:58], v184 offset:32
	ds_read_b128 v[69:72], v184 offset:48
	s_waitcnt vmcnt(24)
	v_fma_f64 v[65:66], v[65:66], v[73:74], -v[178:179]
	v_fma_f64 v[67:68], v[67:68], v[73:74], v[180:181]
	s_waitcnt vmcnt(22) lgkmcnt(1)
	v_mul_f64 v[182:183], v[57:58], v[75:76]
	v_mul_f64 v[75:76], v[55:56], v[75:76]
	v_add_f64 v[1:2], v[1:2], v[176:177]
	v_add_f64 v[3:4], v[3:4], v[59:60]
	s_waitcnt vmcnt(18) lgkmcnt(0)
	v_mul_f64 v[59:60], v[71:72], v[156:157]
	v_mul_f64 v[73:74], v[69:70], v[156:157]
	v_fma_f64 v[156:157], v[55:56], v[154:155], -v[182:183]
	v_fma_f64 v[75:76], v[57:58], v[154:155], v[75:76]
	v_add_f64 v[65:66], v[1:2], v[65:66]
	v_add_f64 v[67:68], v[3:4], v[67:68]
	ds_read_b128 v[1:4], v184 offset:64
	ds_read_b128 v[55:58], v184 offset:80
	s_waitcnt vmcnt(16)
	v_fma_f64 v[59:60], v[69:70], v[158:159], -v[59:60]
	v_fma_f64 v[69:70], v[71:72], v[158:159], v[73:74]
	s_waitcnt vmcnt(12) lgkmcnt(1)
	v_mul_f64 v[154:155], v[3:4], v[160:161]
	v_mul_f64 v[160:161], v[1:2], v[160:161]
	v_add_f64 v[65:66], v[65:66], v[156:157]
	v_add_f64 v[67:68], v[67:68], v[75:76]
	s_waitcnt vmcnt(10) lgkmcnt(0)
	v_mul_f64 v[71:72], v[57:58], v[162:163]
	v_mul_f64 v[73:74], v[55:56], v[162:163]
	s_waitcnt vmcnt(8)
	v_fma_f64 v[75:76], v[1:2], v[166:167], -v[154:155]
	v_fma_f64 v[154:155], v[3:4], v[166:167], v[160:161]
	v_add_f64 v[59:60], v[65:66], v[59:60]
	v_add_f64 v[69:70], v[67:68], v[69:70]
	ds_read_b128 v[1:4], v184 offset:96
	ds_read_b128 v[65:68], v184 offset:112
	v_fma_f64 v[55:56], v[55:56], v[164:165], -v[71:72]
	v_fma_f64 v[57:58], v[57:58], v[164:165], v[73:74]
	s_waitcnt vmcnt(4) lgkmcnt(1)
	v_mul_f64 v[156:157], v[3:4], v[168:169]
	v_mul_f64 v[158:159], v[1:2], v[168:169]
	v_add_f64 v[59:60], v[59:60], v[75:76]
	v_add_f64 v[69:70], v[69:70], v[154:155]
	s_waitcnt vmcnt(2) lgkmcnt(0)
	v_mul_f64 v[71:72], v[67:68], v[170:171]
	v_mul_f64 v[73:74], v[65:66], v[170:171]
	s_waitcnt vmcnt(0)
	v_fma_f64 v[1:2], v[1:2], v[174:175], -v[156:157]
	v_fma_f64 v[3:4], v[3:4], v[174:175], v[158:159]
	v_add_f64 v[55:56], v[59:60], v[55:56]
	v_add_f64 v[57:58], v[69:70], v[57:58]
	v_fma_f64 v[59:60], v[65:66], v[172:173], -v[71:72]
	v_fma_f64 v[65:66], v[67:68], v[172:173], v[73:74]
	v_add_f64 v[1:2], v[55:56], v[1:2]
	v_add_f64 v[3:4], v[57:58], v[3:4]
	v_mov_b32_e32 v55, s75
	s_mov_b32 s75, s76
	v_add_f64 v[1:2], v[1:2], v[59:60]
	v_add_f64 v[3:4], v[3:4], v[65:66]
	s_andn2_b32 exec_lo, exec_lo, s72
	s_cbranch_execnz .LBB62_361
; %bb.362:
	s_or_b32 exec_lo, exec_lo, s72
.LBB62_363:
	s_or_b32 exec_lo, exec_lo, s4
	v_and_b32_e32 v53, 7, v53
	s_mov_b32 s72, 0
	s_mov_b32 s4, exec_lo
	v_cmpx_ne_u32_e32 0, v53
	s_cbranch_execz .LBB62_367
; %bb.364:
	v_lshlrev_b32_e32 v55, 4, v55
	v_add_nc_u32_e32 v54, 0x3f0, v55
	.p2align	6
.LBB62_365:                             ; =>This Inner Loop Header: Depth=1
	s_clause 0x3
	buffer_load_dword v65, v55, s[0:3], 0 offen offset:8
	buffer_load_dword v66, v55, s[0:3], 0 offen offset:12
	buffer_load_dword v67, v55, s[0:3], 0 offen
	buffer_load_dword v68, v55, s[0:3], 0 offen offset:4
	ds_read_b128 v[56:59], v54
	v_add_nc_u32_e32 v53, -1, v53
	v_add_nc_u32_e32 v54, 16, v54
	v_add_nc_u32_e32 v55, 16, v55
	v_cmp_eq_u32_e32 vcc_lo, 0, v53
	s_or_b32 s72, vcc_lo, s72
	s_waitcnt vmcnt(2) lgkmcnt(0)
	v_mul_f64 v[69:70], v[58:59], v[65:66]
	v_mul_f64 v[65:66], v[56:57], v[65:66]
	s_waitcnt vmcnt(0)
	v_fma_f64 v[56:57], v[56:57], v[67:68], -v[69:70]
	v_fma_f64 v[58:59], v[58:59], v[67:68], v[65:66]
	v_add_f64 v[1:2], v[1:2], v[56:57]
	v_add_f64 v[3:4], v[3:4], v[58:59]
	s_andn2_b32 exec_lo, exec_lo, s72
	s_cbranch_execnz .LBB62_365
; %bb.366:
	s_or_b32 exec_lo, exec_lo, s72
.LBB62_367:
	s_or_b32 exec_lo, exec_lo, s4
.LBB62_368:
	s_or_b32 exec_lo, exec_lo, s8
	v_mov_b32_e32 v53, 0
	ds_read_b128 v[53:56], v53 offset:560
	s_waitcnt lgkmcnt(0)
	v_mul_f64 v[57:58], v[3:4], v[55:56]
	v_mul_f64 v[55:56], v[1:2], v[55:56]
	v_fma_f64 v[1:2], v[1:2], v[53:54], -v[57:58]
	v_fma_f64 v[3:4], v[3:4], v[53:54], v[55:56]
	buffer_store_dword v2, off, s[0:3], 0 offset:564
	buffer_store_dword v1, off, s[0:3], 0 offset:560
	;; [unrolled: 1-line block ×4, first 2 shown]
.LBB62_369:
	s_or_b32 exec_lo, exec_lo, s6
	v_mov_b32_e32 v4, s38
	v_cmp_lt_u32_e64 s4, 34, v0
	s_clause 0x3
	buffer_load_dword v1, v4, s[0:3], 0 offen
	buffer_load_dword v2, v4, s[0:3], 0 offen offset:4
	buffer_load_dword v3, v4, s[0:3], 0 offen offset:8
	;; [unrolled: 1-line block ×3, first 2 shown]
	s_waitcnt vmcnt(0)
	ds_write_b128 v48, v[1:4]
	s_waitcnt lgkmcnt(0)
	s_waitcnt_vscnt null, 0x0
	s_barrier
	buffer_gl0_inv
	s_and_saveexec_b32 s6, s4
	s_cbranch_execz .LBB62_383
; %bb.370:
	ds_read_b128 v[1:4], v48
	s_andn2_b32 vcc_lo, exec_lo, s7
	s_cbranch_vccnz .LBB62_372
; %bb.371:
	s_clause 0x3
	buffer_load_dword v53, v47, s[0:3], 0 offen offset:8
	buffer_load_dword v54, v47, s[0:3], 0 offen offset:12
	buffer_load_dword v55, v47, s[0:3], 0 offen
	buffer_load_dword v56, v47, s[0:3], 0 offen offset:4
	s_waitcnt vmcnt(2) lgkmcnt(0)
	v_mul_f64 v[57:58], v[3:4], v[53:54]
	v_mul_f64 v[53:54], v[1:2], v[53:54]
	s_waitcnt vmcnt(0)
	v_fma_f64 v[1:2], v[1:2], v[55:56], -v[57:58]
	v_fma_f64 v[3:4], v[3:4], v[55:56], v[53:54]
.LBB62_372:
	s_and_saveexec_b32 s8, s5
	s_cbranch_execz .LBB62_382
; %bb.373:
	v_subrev_nc_u32_e32 v54, 36, v0
	v_mov_b32_e32 v55, 35
	v_subrev_nc_u32_e32 v53, 35, v0
	s_mov_b32 s5, exec_lo
	v_cmpx_lt_u32_e32 6, v54
	s_cbranch_execz .LBB62_377
; %bb.374:
	v_and_b32_e32 v54, -8, v53
	s_movk_i32 s73, 0x620
	s_mov_b32 s72, 0
	s_mov_b32 s74, s37
	;; [unrolled: 1-line block ×3, first 2 shown]
.LBB62_375:                             ; =>This Inner Loop Header: Depth=1
	v_mov_b32_e32 v55, s74
	v_mov_b32_e32 v184, s73
	s_add_i32 s76, s75, 8
	s_add_i32 s75, s75, 43
	v_cmp_eq_u32_e32 vcc_lo, s76, v54
	s_clause 0x1f
	buffer_load_dword v59, v55, s[0:3], 0 offen offset:8
	buffer_load_dword v60, v55, s[0:3], 0 offen offset:12
	buffer_load_dword v69, v55, s[0:3], 0 offen
	buffer_load_dword v70, v55, s[0:3], 0 offen offset:4
	buffer_load_dword v71, v55, s[0:3], 0 offen offset:24
	;; [unrolled: 1-line block ×29, first 2 shown]
	ds_read_b128 v[55:58], v184
	ds_read_b128 v[65:68], v184 offset:16
	s_addk_i32 s73, 0x80
	s_addk_i32 s74, 0x80
	s_or_b32 s72, vcc_lo, s72
	s_waitcnt vmcnt(30) lgkmcnt(1)
	v_mul_f64 v[176:177], v[57:58], v[59:60]
	v_mul_f64 v[59:60], v[55:56], v[59:60]
	s_waitcnt vmcnt(26) lgkmcnt(0)
	v_mul_f64 v[178:179], v[67:68], v[71:72]
	v_mul_f64 v[180:181], v[65:66], v[71:72]
	v_fma_f64 v[176:177], v[55:56], v[69:70], -v[176:177]
	v_fma_f64 v[59:60], v[57:58], v[69:70], v[59:60]
	ds_read_b128 v[55:58], v184 offset:32
	ds_read_b128 v[69:72], v184 offset:48
	s_waitcnt vmcnt(24)
	v_fma_f64 v[65:66], v[65:66], v[73:74], -v[178:179]
	v_fma_f64 v[67:68], v[67:68], v[73:74], v[180:181]
	s_waitcnt vmcnt(22) lgkmcnt(1)
	v_mul_f64 v[182:183], v[57:58], v[75:76]
	v_mul_f64 v[75:76], v[55:56], v[75:76]
	v_add_f64 v[1:2], v[1:2], v[176:177]
	v_add_f64 v[3:4], v[3:4], v[59:60]
	s_waitcnt vmcnt(18) lgkmcnt(0)
	v_mul_f64 v[59:60], v[71:72], v[156:157]
	v_mul_f64 v[73:74], v[69:70], v[156:157]
	v_fma_f64 v[156:157], v[55:56], v[154:155], -v[182:183]
	v_fma_f64 v[75:76], v[57:58], v[154:155], v[75:76]
	v_add_f64 v[65:66], v[1:2], v[65:66]
	v_add_f64 v[67:68], v[3:4], v[67:68]
	ds_read_b128 v[1:4], v184 offset:64
	ds_read_b128 v[55:58], v184 offset:80
	s_waitcnt vmcnt(16)
	v_fma_f64 v[59:60], v[69:70], v[158:159], -v[59:60]
	v_fma_f64 v[69:70], v[71:72], v[158:159], v[73:74]
	s_waitcnt vmcnt(12) lgkmcnt(1)
	v_mul_f64 v[154:155], v[3:4], v[160:161]
	v_mul_f64 v[160:161], v[1:2], v[160:161]
	v_add_f64 v[65:66], v[65:66], v[156:157]
	v_add_f64 v[67:68], v[67:68], v[75:76]
	s_waitcnt vmcnt(10) lgkmcnt(0)
	v_mul_f64 v[71:72], v[57:58], v[162:163]
	v_mul_f64 v[73:74], v[55:56], v[162:163]
	s_waitcnt vmcnt(8)
	v_fma_f64 v[75:76], v[1:2], v[166:167], -v[154:155]
	v_fma_f64 v[154:155], v[3:4], v[166:167], v[160:161]
	v_add_f64 v[59:60], v[65:66], v[59:60]
	v_add_f64 v[69:70], v[67:68], v[69:70]
	ds_read_b128 v[1:4], v184 offset:96
	ds_read_b128 v[65:68], v184 offset:112
	v_fma_f64 v[55:56], v[55:56], v[164:165], -v[71:72]
	v_fma_f64 v[57:58], v[57:58], v[164:165], v[73:74]
	s_waitcnt vmcnt(4) lgkmcnt(1)
	v_mul_f64 v[156:157], v[3:4], v[168:169]
	v_mul_f64 v[158:159], v[1:2], v[168:169]
	v_add_f64 v[59:60], v[59:60], v[75:76]
	v_add_f64 v[69:70], v[69:70], v[154:155]
	s_waitcnt vmcnt(2) lgkmcnt(0)
	v_mul_f64 v[71:72], v[67:68], v[170:171]
	v_mul_f64 v[73:74], v[65:66], v[170:171]
	s_waitcnt vmcnt(0)
	v_fma_f64 v[1:2], v[1:2], v[174:175], -v[156:157]
	v_fma_f64 v[3:4], v[3:4], v[174:175], v[158:159]
	v_add_f64 v[55:56], v[59:60], v[55:56]
	v_add_f64 v[57:58], v[69:70], v[57:58]
	v_fma_f64 v[59:60], v[65:66], v[172:173], -v[71:72]
	v_fma_f64 v[65:66], v[67:68], v[172:173], v[73:74]
	v_add_f64 v[1:2], v[55:56], v[1:2]
	v_add_f64 v[3:4], v[57:58], v[3:4]
	v_mov_b32_e32 v55, s75
	s_mov_b32 s75, s76
	v_add_f64 v[1:2], v[1:2], v[59:60]
	v_add_f64 v[3:4], v[3:4], v[65:66]
	s_andn2_b32 exec_lo, exec_lo, s72
	s_cbranch_execnz .LBB62_375
; %bb.376:
	s_or_b32 exec_lo, exec_lo, s72
.LBB62_377:
	s_or_b32 exec_lo, exec_lo, s5
	v_and_b32_e32 v53, 7, v53
	s_mov_b32 s72, 0
	s_mov_b32 s5, exec_lo
	v_cmpx_ne_u32_e32 0, v53
	s_cbranch_execz .LBB62_381
; %bb.378:
	v_lshlrev_b32_e32 v55, 4, v55
	v_add_nc_u32_e32 v54, 0x3f0, v55
	.p2align	6
.LBB62_379:                             ; =>This Inner Loop Header: Depth=1
	s_clause 0x3
	buffer_load_dword v65, v55, s[0:3], 0 offen offset:8
	buffer_load_dword v66, v55, s[0:3], 0 offen offset:12
	buffer_load_dword v67, v55, s[0:3], 0 offen
	buffer_load_dword v68, v55, s[0:3], 0 offen offset:4
	ds_read_b128 v[56:59], v54
	v_add_nc_u32_e32 v53, -1, v53
	v_add_nc_u32_e32 v54, 16, v54
	v_add_nc_u32_e32 v55, 16, v55
	v_cmp_eq_u32_e32 vcc_lo, 0, v53
	s_or_b32 s72, vcc_lo, s72
	s_waitcnt vmcnt(2) lgkmcnt(0)
	v_mul_f64 v[69:70], v[58:59], v[65:66]
	v_mul_f64 v[65:66], v[56:57], v[65:66]
	s_waitcnt vmcnt(0)
	v_fma_f64 v[56:57], v[56:57], v[67:68], -v[69:70]
	v_fma_f64 v[58:59], v[58:59], v[67:68], v[65:66]
	v_add_f64 v[1:2], v[1:2], v[56:57]
	v_add_f64 v[3:4], v[3:4], v[58:59]
	s_andn2_b32 exec_lo, exec_lo, s72
	s_cbranch_execnz .LBB62_379
; %bb.380:
	s_or_b32 exec_lo, exec_lo, s72
.LBB62_381:
	s_or_b32 exec_lo, exec_lo, s5
.LBB62_382:
	s_or_b32 exec_lo, exec_lo, s8
	v_mov_b32_e32 v53, 0
	ds_read_b128 v[53:56], v53 offset:544
	s_waitcnt lgkmcnt(0)
	v_mul_f64 v[57:58], v[3:4], v[55:56]
	v_mul_f64 v[55:56], v[1:2], v[55:56]
	v_fma_f64 v[1:2], v[1:2], v[53:54], -v[57:58]
	v_fma_f64 v[3:4], v[3:4], v[53:54], v[55:56]
	buffer_store_dword v2, off, s[0:3], 0 offset:548
	buffer_store_dword v1, off, s[0:3], 0 offset:544
	;; [unrolled: 1-line block ×4, first 2 shown]
.LBB62_383:
	s_or_b32 exec_lo, exec_lo, s6
	v_mov_b32_e32 v4, s39
	v_cmp_lt_u32_e64 s5, 33, v0
	s_clause 0x3
	buffer_load_dword v1, v4, s[0:3], 0 offen
	buffer_load_dword v2, v4, s[0:3], 0 offen offset:4
	buffer_load_dword v3, v4, s[0:3], 0 offen offset:8
	;; [unrolled: 1-line block ×3, first 2 shown]
	s_waitcnt vmcnt(0)
	ds_write_b128 v48, v[1:4]
	s_waitcnt lgkmcnt(0)
	s_waitcnt_vscnt null, 0x0
	s_barrier
	buffer_gl0_inv
	s_and_saveexec_b32 s6, s5
	s_cbranch_execz .LBB62_397
; %bb.384:
	ds_read_b128 v[1:4], v48
	s_andn2_b32 vcc_lo, exec_lo, s7
	s_cbranch_vccnz .LBB62_386
; %bb.385:
	s_clause 0x3
	buffer_load_dword v53, v47, s[0:3], 0 offen offset:8
	buffer_load_dword v54, v47, s[0:3], 0 offen offset:12
	buffer_load_dword v55, v47, s[0:3], 0 offen
	buffer_load_dword v56, v47, s[0:3], 0 offen offset:4
	s_waitcnt vmcnt(2) lgkmcnt(0)
	v_mul_f64 v[57:58], v[3:4], v[53:54]
	v_mul_f64 v[53:54], v[1:2], v[53:54]
	s_waitcnt vmcnt(0)
	v_fma_f64 v[1:2], v[1:2], v[55:56], -v[57:58]
	v_fma_f64 v[3:4], v[3:4], v[55:56], v[53:54]
.LBB62_386:
	s_and_saveexec_b32 s8, s4
	s_cbranch_execz .LBB62_396
; %bb.387:
	v_subrev_nc_u32_e32 v54, 35, v0
	v_mov_b32_e32 v55, 34
	v_subrev_nc_u32_e32 v53, 34, v0
	s_mov_b32 s4, exec_lo
	v_cmpx_lt_u32_e32 6, v54
	s_cbranch_execz .LBB62_391
; %bb.388:
	v_and_b32_e32 v54, -8, v53
	s_movk_i32 s73, 0x610
	s_mov_b32 s72, 0
	s_mov_b32 s74, s38
	;; [unrolled: 1-line block ×3, first 2 shown]
.LBB62_389:                             ; =>This Inner Loop Header: Depth=1
	v_mov_b32_e32 v55, s74
	v_mov_b32_e32 v184, s73
	s_add_i32 s76, s75, 8
	s_add_i32 s75, s75, 42
	v_cmp_eq_u32_e32 vcc_lo, s76, v54
	s_clause 0x1f
	buffer_load_dword v59, v55, s[0:3], 0 offen offset:8
	buffer_load_dword v60, v55, s[0:3], 0 offen offset:12
	buffer_load_dword v69, v55, s[0:3], 0 offen
	buffer_load_dword v70, v55, s[0:3], 0 offen offset:4
	buffer_load_dword v71, v55, s[0:3], 0 offen offset:24
	;; [unrolled: 1-line block ×29, first 2 shown]
	ds_read_b128 v[55:58], v184
	ds_read_b128 v[65:68], v184 offset:16
	s_addk_i32 s73, 0x80
	s_addk_i32 s74, 0x80
	s_or_b32 s72, vcc_lo, s72
	s_waitcnt vmcnt(30) lgkmcnt(1)
	v_mul_f64 v[176:177], v[57:58], v[59:60]
	v_mul_f64 v[59:60], v[55:56], v[59:60]
	s_waitcnt vmcnt(26) lgkmcnt(0)
	v_mul_f64 v[178:179], v[67:68], v[71:72]
	v_mul_f64 v[180:181], v[65:66], v[71:72]
	v_fma_f64 v[176:177], v[55:56], v[69:70], -v[176:177]
	v_fma_f64 v[59:60], v[57:58], v[69:70], v[59:60]
	ds_read_b128 v[55:58], v184 offset:32
	ds_read_b128 v[69:72], v184 offset:48
	s_waitcnt vmcnt(24)
	v_fma_f64 v[65:66], v[65:66], v[73:74], -v[178:179]
	v_fma_f64 v[67:68], v[67:68], v[73:74], v[180:181]
	s_waitcnt vmcnt(22) lgkmcnt(1)
	v_mul_f64 v[182:183], v[57:58], v[75:76]
	v_mul_f64 v[75:76], v[55:56], v[75:76]
	v_add_f64 v[1:2], v[1:2], v[176:177]
	v_add_f64 v[3:4], v[3:4], v[59:60]
	s_waitcnt vmcnt(18) lgkmcnt(0)
	v_mul_f64 v[59:60], v[71:72], v[156:157]
	v_mul_f64 v[73:74], v[69:70], v[156:157]
	v_fma_f64 v[156:157], v[55:56], v[154:155], -v[182:183]
	v_fma_f64 v[75:76], v[57:58], v[154:155], v[75:76]
	v_add_f64 v[65:66], v[1:2], v[65:66]
	v_add_f64 v[67:68], v[3:4], v[67:68]
	ds_read_b128 v[1:4], v184 offset:64
	ds_read_b128 v[55:58], v184 offset:80
	s_waitcnt vmcnt(16)
	v_fma_f64 v[59:60], v[69:70], v[158:159], -v[59:60]
	v_fma_f64 v[69:70], v[71:72], v[158:159], v[73:74]
	s_waitcnt vmcnt(12) lgkmcnt(1)
	v_mul_f64 v[154:155], v[3:4], v[160:161]
	v_mul_f64 v[160:161], v[1:2], v[160:161]
	v_add_f64 v[65:66], v[65:66], v[156:157]
	v_add_f64 v[67:68], v[67:68], v[75:76]
	s_waitcnt vmcnt(10) lgkmcnt(0)
	v_mul_f64 v[71:72], v[57:58], v[162:163]
	v_mul_f64 v[73:74], v[55:56], v[162:163]
	s_waitcnt vmcnt(8)
	v_fma_f64 v[75:76], v[1:2], v[166:167], -v[154:155]
	v_fma_f64 v[154:155], v[3:4], v[166:167], v[160:161]
	v_add_f64 v[59:60], v[65:66], v[59:60]
	v_add_f64 v[69:70], v[67:68], v[69:70]
	ds_read_b128 v[1:4], v184 offset:96
	ds_read_b128 v[65:68], v184 offset:112
	v_fma_f64 v[55:56], v[55:56], v[164:165], -v[71:72]
	v_fma_f64 v[57:58], v[57:58], v[164:165], v[73:74]
	s_waitcnt vmcnt(4) lgkmcnt(1)
	v_mul_f64 v[156:157], v[3:4], v[168:169]
	v_mul_f64 v[158:159], v[1:2], v[168:169]
	v_add_f64 v[59:60], v[59:60], v[75:76]
	v_add_f64 v[69:70], v[69:70], v[154:155]
	s_waitcnt vmcnt(2) lgkmcnt(0)
	v_mul_f64 v[71:72], v[67:68], v[170:171]
	v_mul_f64 v[73:74], v[65:66], v[170:171]
	s_waitcnt vmcnt(0)
	v_fma_f64 v[1:2], v[1:2], v[174:175], -v[156:157]
	v_fma_f64 v[3:4], v[3:4], v[174:175], v[158:159]
	v_add_f64 v[55:56], v[59:60], v[55:56]
	v_add_f64 v[57:58], v[69:70], v[57:58]
	v_fma_f64 v[59:60], v[65:66], v[172:173], -v[71:72]
	v_fma_f64 v[65:66], v[67:68], v[172:173], v[73:74]
	v_add_f64 v[1:2], v[55:56], v[1:2]
	v_add_f64 v[3:4], v[57:58], v[3:4]
	v_mov_b32_e32 v55, s75
	s_mov_b32 s75, s76
	v_add_f64 v[1:2], v[1:2], v[59:60]
	v_add_f64 v[3:4], v[3:4], v[65:66]
	s_andn2_b32 exec_lo, exec_lo, s72
	s_cbranch_execnz .LBB62_389
; %bb.390:
	s_or_b32 exec_lo, exec_lo, s72
.LBB62_391:
	s_or_b32 exec_lo, exec_lo, s4
	v_and_b32_e32 v53, 7, v53
	s_mov_b32 s72, 0
	s_mov_b32 s4, exec_lo
	v_cmpx_ne_u32_e32 0, v53
	s_cbranch_execz .LBB62_395
; %bb.392:
	v_lshlrev_b32_e32 v55, 4, v55
	v_add_nc_u32_e32 v54, 0x3f0, v55
	.p2align	6
.LBB62_393:                             ; =>This Inner Loop Header: Depth=1
	s_clause 0x3
	buffer_load_dword v65, v55, s[0:3], 0 offen offset:8
	buffer_load_dword v66, v55, s[0:3], 0 offen offset:12
	buffer_load_dword v67, v55, s[0:3], 0 offen
	buffer_load_dword v68, v55, s[0:3], 0 offen offset:4
	ds_read_b128 v[56:59], v54
	v_add_nc_u32_e32 v53, -1, v53
	v_add_nc_u32_e32 v54, 16, v54
	v_add_nc_u32_e32 v55, 16, v55
	v_cmp_eq_u32_e32 vcc_lo, 0, v53
	s_or_b32 s72, vcc_lo, s72
	s_waitcnt vmcnt(2) lgkmcnt(0)
	v_mul_f64 v[69:70], v[58:59], v[65:66]
	v_mul_f64 v[65:66], v[56:57], v[65:66]
	s_waitcnt vmcnt(0)
	v_fma_f64 v[56:57], v[56:57], v[67:68], -v[69:70]
	v_fma_f64 v[58:59], v[58:59], v[67:68], v[65:66]
	v_add_f64 v[1:2], v[1:2], v[56:57]
	v_add_f64 v[3:4], v[3:4], v[58:59]
	s_andn2_b32 exec_lo, exec_lo, s72
	s_cbranch_execnz .LBB62_393
; %bb.394:
	s_or_b32 exec_lo, exec_lo, s72
.LBB62_395:
	s_or_b32 exec_lo, exec_lo, s4
.LBB62_396:
	s_or_b32 exec_lo, exec_lo, s8
	v_mov_b32_e32 v53, 0
	ds_read_b128 v[53:56], v53 offset:528
	s_waitcnt lgkmcnt(0)
	v_mul_f64 v[57:58], v[3:4], v[55:56]
	v_mul_f64 v[55:56], v[1:2], v[55:56]
	v_fma_f64 v[1:2], v[1:2], v[53:54], -v[57:58]
	v_fma_f64 v[3:4], v[3:4], v[53:54], v[55:56]
	buffer_store_dword v2, off, s[0:3], 0 offset:532
	buffer_store_dword v1, off, s[0:3], 0 offset:528
	;; [unrolled: 1-line block ×4, first 2 shown]
.LBB62_397:
	s_or_b32 exec_lo, exec_lo, s6
	v_mov_b32_e32 v4, s40
	v_cmp_lt_u32_e64 s4, 32, v0
	s_clause 0x3
	buffer_load_dword v1, v4, s[0:3], 0 offen
	buffer_load_dword v2, v4, s[0:3], 0 offen offset:4
	buffer_load_dword v3, v4, s[0:3], 0 offen offset:8
	;; [unrolled: 1-line block ×3, first 2 shown]
	s_waitcnt vmcnt(0)
	ds_write_b128 v48, v[1:4]
	s_waitcnt lgkmcnt(0)
	s_waitcnt_vscnt null, 0x0
	s_barrier
	buffer_gl0_inv
	s_and_saveexec_b32 s6, s4
	s_cbranch_execz .LBB62_411
; %bb.398:
	ds_read_b128 v[1:4], v48
	s_andn2_b32 vcc_lo, exec_lo, s7
	s_cbranch_vccnz .LBB62_400
; %bb.399:
	s_clause 0x3
	buffer_load_dword v53, v47, s[0:3], 0 offen offset:8
	buffer_load_dword v54, v47, s[0:3], 0 offen offset:12
	buffer_load_dword v55, v47, s[0:3], 0 offen
	buffer_load_dword v56, v47, s[0:3], 0 offen offset:4
	s_waitcnt vmcnt(2) lgkmcnt(0)
	v_mul_f64 v[57:58], v[3:4], v[53:54]
	v_mul_f64 v[53:54], v[1:2], v[53:54]
	s_waitcnt vmcnt(0)
	v_fma_f64 v[1:2], v[1:2], v[55:56], -v[57:58]
	v_fma_f64 v[3:4], v[3:4], v[55:56], v[53:54]
.LBB62_400:
	s_and_saveexec_b32 s8, s5
	s_cbranch_execz .LBB62_410
; %bb.401:
	v_subrev_nc_u32_e32 v54, 34, v0
	v_mov_b32_e32 v55, 33
	v_subrev_nc_u32_e32 v53, 33, v0
	s_mov_b32 s5, exec_lo
	v_cmpx_lt_u32_e32 6, v54
	s_cbranch_execz .LBB62_405
; %bb.402:
	v_and_b32_e32 v54, -8, v53
	s_movk_i32 s73, 0x600
	s_mov_b32 s72, 0
	s_mov_b32 s74, s39
	s_mov_b32 s75, 0
.LBB62_403:                             ; =>This Inner Loop Header: Depth=1
	v_mov_b32_e32 v55, s74
	v_mov_b32_e32 v184, s73
	s_add_i32 s76, s75, 8
	s_add_i32 s75, s75, 41
	v_cmp_eq_u32_e32 vcc_lo, s76, v54
	s_clause 0x1f
	buffer_load_dword v59, v55, s[0:3], 0 offen offset:8
	buffer_load_dword v60, v55, s[0:3], 0 offen offset:12
	buffer_load_dword v69, v55, s[0:3], 0 offen
	buffer_load_dword v70, v55, s[0:3], 0 offen offset:4
	buffer_load_dword v71, v55, s[0:3], 0 offen offset:24
	;; [unrolled: 1-line block ×29, first 2 shown]
	ds_read_b128 v[55:58], v184
	ds_read_b128 v[65:68], v184 offset:16
	s_addk_i32 s73, 0x80
	s_addk_i32 s74, 0x80
	s_or_b32 s72, vcc_lo, s72
	s_waitcnt vmcnt(30) lgkmcnt(1)
	v_mul_f64 v[176:177], v[57:58], v[59:60]
	v_mul_f64 v[59:60], v[55:56], v[59:60]
	s_waitcnt vmcnt(26) lgkmcnt(0)
	v_mul_f64 v[178:179], v[67:68], v[71:72]
	v_mul_f64 v[180:181], v[65:66], v[71:72]
	v_fma_f64 v[176:177], v[55:56], v[69:70], -v[176:177]
	v_fma_f64 v[59:60], v[57:58], v[69:70], v[59:60]
	ds_read_b128 v[55:58], v184 offset:32
	ds_read_b128 v[69:72], v184 offset:48
	s_waitcnt vmcnt(24)
	v_fma_f64 v[65:66], v[65:66], v[73:74], -v[178:179]
	v_fma_f64 v[67:68], v[67:68], v[73:74], v[180:181]
	s_waitcnt vmcnt(22) lgkmcnt(1)
	v_mul_f64 v[182:183], v[57:58], v[75:76]
	v_mul_f64 v[75:76], v[55:56], v[75:76]
	v_add_f64 v[1:2], v[1:2], v[176:177]
	v_add_f64 v[3:4], v[3:4], v[59:60]
	s_waitcnt vmcnt(18) lgkmcnt(0)
	v_mul_f64 v[59:60], v[71:72], v[156:157]
	v_mul_f64 v[73:74], v[69:70], v[156:157]
	v_fma_f64 v[156:157], v[55:56], v[154:155], -v[182:183]
	v_fma_f64 v[75:76], v[57:58], v[154:155], v[75:76]
	v_add_f64 v[65:66], v[1:2], v[65:66]
	v_add_f64 v[67:68], v[3:4], v[67:68]
	ds_read_b128 v[1:4], v184 offset:64
	ds_read_b128 v[55:58], v184 offset:80
	s_waitcnt vmcnt(16)
	v_fma_f64 v[59:60], v[69:70], v[158:159], -v[59:60]
	v_fma_f64 v[69:70], v[71:72], v[158:159], v[73:74]
	s_waitcnt vmcnt(12) lgkmcnt(1)
	v_mul_f64 v[154:155], v[3:4], v[160:161]
	v_mul_f64 v[160:161], v[1:2], v[160:161]
	v_add_f64 v[65:66], v[65:66], v[156:157]
	v_add_f64 v[67:68], v[67:68], v[75:76]
	s_waitcnt vmcnt(10) lgkmcnt(0)
	v_mul_f64 v[71:72], v[57:58], v[162:163]
	v_mul_f64 v[73:74], v[55:56], v[162:163]
	s_waitcnt vmcnt(8)
	v_fma_f64 v[75:76], v[1:2], v[166:167], -v[154:155]
	v_fma_f64 v[154:155], v[3:4], v[166:167], v[160:161]
	v_add_f64 v[59:60], v[65:66], v[59:60]
	v_add_f64 v[69:70], v[67:68], v[69:70]
	ds_read_b128 v[1:4], v184 offset:96
	ds_read_b128 v[65:68], v184 offset:112
	v_fma_f64 v[55:56], v[55:56], v[164:165], -v[71:72]
	v_fma_f64 v[57:58], v[57:58], v[164:165], v[73:74]
	s_waitcnt vmcnt(4) lgkmcnt(1)
	v_mul_f64 v[156:157], v[3:4], v[168:169]
	v_mul_f64 v[158:159], v[1:2], v[168:169]
	v_add_f64 v[59:60], v[59:60], v[75:76]
	v_add_f64 v[69:70], v[69:70], v[154:155]
	s_waitcnt vmcnt(2) lgkmcnt(0)
	v_mul_f64 v[71:72], v[67:68], v[170:171]
	v_mul_f64 v[73:74], v[65:66], v[170:171]
	s_waitcnt vmcnt(0)
	v_fma_f64 v[1:2], v[1:2], v[174:175], -v[156:157]
	v_fma_f64 v[3:4], v[3:4], v[174:175], v[158:159]
	v_add_f64 v[55:56], v[59:60], v[55:56]
	v_add_f64 v[57:58], v[69:70], v[57:58]
	v_fma_f64 v[59:60], v[65:66], v[172:173], -v[71:72]
	v_fma_f64 v[65:66], v[67:68], v[172:173], v[73:74]
	v_add_f64 v[1:2], v[55:56], v[1:2]
	v_add_f64 v[3:4], v[57:58], v[3:4]
	v_mov_b32_e32 v55, s75
	s_mov_b32 s75, s76
	v_add_f64 v[1:2], v[1:2], v[59:60]
	v_add_f64 v[3:4], v[3:4], v[65:66]
	s_andn2_b32 exec_lo, exec_lo, s72
	s_cbranch_execnz .LBB62_403
; %bb.404:
	s_or_b32 exec_lo, exec_lo, s72
.LBB62_405:
	s_or_b32 exec_lo, exec_lo, s5
	v_and_b32_e32 v53, 7, v53
	s_mov_b32 s72, 0
	s_mov_b32 s5, exec_lo
	v_cmpx_ne_u32_e32 0, v53
	s_cbranch_execz .LBB62_409
; %bb.406:
	v_lshlrev_b32_e32 v55, 4, v55
	v_add_nc_u32_e32 v54, 0x3f0, v55
	.p2align	6
.LBB62_407:                             ; =>This Inner Loop Header: Depth=1
	s_clause 0x3
	buffer_load_dword v65, v55, s[0:3], 0 offen offset:8
	buffer_load_dword v66, v55, s[0:3], 0 offen offset:12
	buffer_load_dword v67, v55, s[0:3], 0 offen
	buffer_load_dword v68, v55, s[0:3], 0 offen offset:4
	ds_read_b128 v[56:59], v54
	v_add_nc_u32_e32 v53, -1, v53
	v_add_nc_u32_e32 v54, 16, v54
	v_add_nc_u32_e32 v55, 16, v55
	v_cmp_eq_u32_e32 vcc_lo, 0, v53
	s_or_b32 s72, vcc_lo, s72
	s_waitcnt vmcnt(2) lgkmcnt(0)
	v_mul_f64 v[69:70], v[58:59], v[65:66]
	v_mul_f64 v[65:66], v[56:57], v[65:66]
	s_waitcnt vmcnt(0)
	v_fma_f64 v[56:57], v[56:57], v[67:68], -v[69:70]
	v_fma_f64 v[58:59], v[58:59], v[67:68], v[65:66]
	v_add_f64 v[1:2], v[1:2], v[56:57]
	v_add_f64 v[3:4], v[3:4], v[58:59]
	s_andn2_b32 exec_lo, exec_lo, s72
	s_cbranch_execnz .LBB62_407
; %bb.408:
	s_or_b32 exec_lo, exec_lo, s72
.LBB62_409:
	s_or_b32 exec_lo, exec_lo, s5
.LBB62_410:
	s_or_b32 exec_lo, exec_lo, s8
	v_mov_b32_e32 v53, 0
	ds_read_b128 v[53:56], v53 offset:512
	s_waitcnt lgkmcnt(0)
	v_mul_f64 v[57:58], v[3:4], v[55:56]
	v_mul_f64 v[55:56], v[1:2], v[55:56]
	v_fma_f64 v[1:2], v[1:2], v[53:54], -v[57:58]
	v_fma_f64 v[3:4], v[3:4], v[53:54], v[55:56]
	buffer_store_dword v2, off, s[0:3], 0 offset:516
	buffer_store_dword v1, off, s[0:3], 0 offset:512
	;; [unrolled: 1-line block ×4, first 2 shown]
.LBB62_411:
	s_or_b32 exec_lo, exec_lo, s6
	v_mov_b32_e32 v4, s41
	v_cmp_lt_u32_e64 s5, 31, v0
	s_clause 0x3
	buffer_load_dword v1, v4, s[0:3], 0 offen
	buffer_load_dword v2, v4, s[0:3], 0 offen offset:4
	buffer_load_dword v3, v4, s[0:3], 0 offen offset:8
	;; [unrolled: 1-line block ×3, first 2 shown]
	s_waitcnt vmcnt(0)
	ds_write_b128 v48, v[1:4]
	s_waitcnt lgkmcnt(0)
	s_waitcnt_vscnt null, 0x0
	s_barrier
	buffer_gl0_inv
	s_and_saveexec_b32 s6, s5
	s_cbranch_execz .LBB62_425
; %bb.412:
	ds_read_b128 v[1:4], v48
	s_andn2_b32 vcc_lo, exec_lo, s7
	s_cbranch_vccnz .LBB62_414
; %bb.413:
	s_clause 0x3
	buffer_load_dword v53, v47, s[0:3], 0 offen offset:8
	buffer_load_dword v54, v47, s[0:3], 0 offen offset:12
	buffer_load_dword v55, v47, s[0:3], 0 offen
	buffer_load_dword v56, v47, s[0:3], 0 offen offset:4
	s_waitcnt vmcnt(2) lgkmcnt(0)
	v_mul_f64 v[57:58], v[3:4], v[53:54]
	v_mul_f64 v[53:54], v[1:2], v[53:54]
	s_waitcnt vmcnt(0)
	v_fma_f64 v[1:2], v[1:2], v[55:56], -v[57:58]
	v_fma_f64 v[3:4], v[3:4], v[55:56], v[53:54]
.LBB62_414:
	s_and_saveexec_b32 s8, s4
	s_cbranch_execz .LBB62_424
; %bb.415:
	v_subrev_nc_u32_e32 v53, 33, v0
	v_cmp_lt_u32_e32 vcc_lo, 6, v53
	v_mov_b32_e32 v53, 32
	s_and_saveexec_b32 s4, vcc_lo
	s_cbranch_execz .LBB62_419
; %bb.416:
	v_and_b32_e32 v53, 56, v0
	s_mov_b32 s72, 32
	s_movk_i32 s74, 0x5f0
	s_mov_b32 s73, 0
	s_mov_b32 s75, s40
.LBB62_417:                             ; =>This Inner Loop Header: Depth=1
	v_mov_b32_e32 v54, s75
	v_mov_b32_e32 v60, s74
	s_add_i32 s72, s72, 8
	s_addk_i32 s74, 0x80
	v_cmp_eq_u32_e32 vcc_lo, s72, v53
	s_clause 0x1f
	buffer_load_dword v58, v54, s[0:3], 0 offen offset:8
	buffer_load_dword v59, v54, s[0:3], 0 offen offset:12
	buffer_load_dword v69, v54, s[0:3], 0 offen
	buffer_load_dword v70, v54, s[0:3], 0 offen offset:4
	buffer_load_dword v71, v54, s[0:3], 0 offen offset:24
	;; [unrolled: 1-line block ×29, first 2 shown]
	ds_read_b128 v[54:57], v60
	ds_read_b128 v[65:68], v60 offset:16
	s_addk_i32 s75, 0x80
	s_or_b32 s73, vcc_lo, s73
	s_waitcnt vmcnt(30) lgkmcnt(1)
	v_mul_f64 v[176:177], v[56:57], v[58:59]
	v_mul_f64 v[58:59], v[54:55], v[58:59]
	s_waitcnt vmcnt(26) lgkmcnt(0)
	v_mul_f64 v[178:179], v[67:68], v[71:72]
	v_mul_f64 v[180:181], v[65:66], v[71:72]
	v_fma_f64 v[176:177], v[54:55], v[69:70], -v[176:177]
	v_fma_f64 v[58:59], v[56:57], v[69:70], v[58:59]
	ds_read_b128 v[54:57], v60 offset:32
	ds_read_b128 v[69:72], v60 offset:48
	s_waitcnt vmcnt(24)
	v_fma_f64 v[65:66], v[65:66], v[73:74], -v[178:179]
	v_fma_f64 v[67:68], v[67:68], v[73:74], v[180:181]
	s_waitcnt vmcnt(22) lgkmcnt(1)
	v_mul_f64 v[182:183], v[56:57], v[75:76]
	v_mul_f64 v[75:76], v[54:55], v[75:76]
	v_add_f64 v[1:2], v[1:2], v[176:177]
	v_add_f64 v[3:4], v[3:4], v[58:59]
	s_waitcnt vmcnt(18) lgkmcnt(0)
	v_mul_f64 v[58:59], v[71:72], v[156:157]
	v_mul_f64 v[73:74], v[69:70], v[156:157]
	v_fma_f64 v[156:157], v[54:55], v[154:155], -v[182:183]
	v_fma_f64 v[75:76], v[56:57], v[154:155], v[75:76]
	v_add_f64 v[65:66], v[1:2], v[65:66]
	v_add_f64 v[67:68], v[3:4], v[67:68]
	ds_read_b128 v[1:4], v60 offset:64
	ds_read_b128 v[54:57], v60 offset:80
	s_waitcnt vmcnt(16)
	v_fma_f64 v[58:59], v[69:70], v[158:159], -v[58:59]
	v_fma_f64 v[69:70], v[71:72], v[158:159], v[73:74]
	s_waitcnt vmcnt(12) lgkmcnt(1)
	v_mul_f64 v[154:155], v[3:4], v[160:161]
	v_mul_f64 v[160:161], v[1:2], v[160:161]
	v_add_f64 v[65:66], v[65:66], v[156:157]
	v_add_f64 v[67:68], v[67:68], v[75:76]
	s_waitcnt vmcnt(10) lgkmcnt(0)
	v_mul_f64 v[71:72], v[56:57], v[162:163]
	v_mul_f64 v[73:74], v[54:55], v[162:163]
	s_waitcnt vmcnt(8)
	v_fma_f64 v[75:76], v[1:2], v[166:167], -v[154:155]
	v_fma_f64 v[154:155], v[3:4], v[166:167], v[160:161]
	v_add_f64 v[58:59], v[65:66], v[58:59]
	v_add_f64 v[69:70], v[67:68], v[69:70]
	ds_read_b128 v[1:4], v60 offset:96
	ds_read_b128 v[65:68], v60 offset:112
	v_fma_f64 v[54:55], v[54:55], v[164:165], -v[71:72]
	v_fma_f64 v[56:57], v[56:57], v[164:165], v[73:74]
	s_waitcnt vmcnt(4) lgkmcnt(1)
	v_mul_f64 v[156:157], v[3:4], v[168:169]
	v_mul_f64 v[158:159], v[1:2], v[168:169]
	v_add_f64 v[58:59], v[58:59], v[75:76]
	v_add_f64 v[69:70], v[69:70], v[154:155]
	s_waitcnt vmcnt(2) lgkmcnt(0)
	v_mul_f64 v[71:72], v[67:68], v[170:171]
	v_mul_f64 v[73:74], v[65:66], v[170:171]
	s_waitcnt vmcnt(0)
	v_fma_f64 v[1:2], v[1:2], v[174:175], -v[156:157]
	v_fma_f64 v[3:4], v[3:4], v[174:175], v[158:159]
	v_add_f64 v[54:55], v[58:59], v[54:55]
	v_add_f64 v[56:57], v[69:70], v[56:57]
	v_fma_f64 v[58:59], v[65:66], v[172:173], -v[71:72]
	v_fma_f64 v[65:66], v[67:68], v[172:173], v[73:74]
	v_add_f64 v[1:2], v[54:55], v[1:2]
	v_add_f64 v[3:4], v[56:57], v[3:4]
	;; [unrolled: 1-line block ×4, first 2 shown]
	s_andn2_b32 exec_lo, exec_lo, s73
	s_cbranch_execnz .LBB62_417
; %bb.418:
	s_or_b32 exec_lo, exec_lo, s73
.LBB62_419:
	s_or_b32 exec_lo, exec_lo, s4
	v_and_b32_e32 v54, 7, v0
	s_mov_b32 s72, 0
	s_mov_b32 s4, exec_lo
	v_cmpx_ne_u32_e32 0, v54
	s_cbranch_execz .LBB62_423
; %bb.420:
	v_lshlrev_b32_e32 v55, 4, v53
	v_add_nc_u32_e32 v53, 0x3f0, v55
	.p2align	6
.LBB62_421:                             ; =>This Inner Loop Header: Depth=1
	s_clause 0x3
	buffer_load_dword v65, v55, s[0:3], 0 offen offset:8
	buffer_load_dword v66, v55, s[0:3], 0 offen offset:12
	buffer_load_dword v67, v55, s[0:3], 0 offen
	buffer_load_dword v68, v55, s[0:3], 0 offen offset:4
	ds_read_b128 v[56:59], v53
	v_add_nc_u32_e32 v54, -1, v54
	v_add_nc_u32_e32 v53, 16, v53
	v_add_nc_u32_e32 v55, 16, v55
	v_cmp_eq_u32_e32 vcc_lo, 0, v54
	s_or_b32 s72, vcc_lo, s72
	s_waitcnt vmcnt(2) lgkmcnt(0)
	v_mul_f64 v[69:70], v[58:59], v[65:66]
	v_mul_f64 v[65:66], v[56:57], v[65:66]
	s_waitcnt vmcnt(0)
	v_fma_f64 v[56:57], v[56:57], v[67:68], -v[69:70]
	v_fma_f64 v[58:59], v[58:59], v[67:68], v[65:66]
	v_add_f64 v[1:2], v[1:2], v[56:57]
	v_add_f64 v[3:4], v[3:4], v[58:59]
	s_andn2_b32 exec_lo, exec_lo, s72
	s_cbranch_execnz .LBB62_421
; %bb.422:
	s_or_b32 exec_lo, exec_lo, s72
.LBB62_423:
	s_or_b32 exec_lo, exec_lo, s4
.LBB62_424:
	s_or_b32 exec_lo, exec_lo, s8
	v_mov_b32_e32 v53, 0
	ds_read_b128 v[53:56], v53 offset:496
	s_waitcnt lgkmcnt(0)
	v_mul_f64 v[57:58], v[3:4], v[55:56]
	v_mul_f64 v[55:56], v[1:2], v[55:56]
	v_fma_f64 v[1:2], v[1:2], v[53:54], -v[57:58]
	v_fma_f64 v[3:4], v[3:4], v[53:54], v[55:56]
	buffer_store_dword v2, off, s[0:3], 0 offset:500
	buffer_store_dword v1, off, s[0:3], 0 offset:496
	;; [unrolled: 1-line block ×4, first 2 shown]
.LBB62_425:
	s_or_b32 exec_lo, exec_lo, s6
	v_mov_b32_e32 v4, s42
	v_cmp_lt_u32_e64 s4, 30, v0
	s_clause 0x3
	buffer_load_dword v1, v4, s[0:3], 0 offen
	buffer_load_dword v2, v4, s[0:3], 0 offen offset:4
	buffer_load_dword v3, v4, s[0:3], 0 offen offset:8
	;; [unrolled: 1-line block ×3, first 2 shown]
	s_waitcnt vmcnt(0)
	ds_write_b128 v48, v[1:4]
	s_waitcnt lgkmcnt(0)
	s_waitcnt_vscnt null, 0x0
	s_barrier
	buffer_gl0_inv
	s_and_saveexec_b32 s6, s4
	s_cbranch_execz .LBB62_439
; %bb.426:
	ds_read_b128 v[1:4], v48
	s_andn2_b32 vcc_lo, exec_lo, s7
	s_cbranch_vccnz .LBB62_428
; %bb.427:
	s_clause 0x3
	buffer_load_dword v53, v47, s[0:3], 0 offen offset:8
	buffer_load_dword v54, v47, s[0:3], 0 offen offset:12
	buffer_load_dword v55, v47, s[0:3], 0 offen
	buffer_load_dword v56, v47, s[0:3], 0 offen offset:4
	s_waitcnt vmcnt(2) lgkmcnt(0)
	v_mul_f64 v[57:58], v[3:4], v[53:54]
	v_mul_f64 v[53:54], v[1:2], v[53:54]
	s_waitcnt vmcnt(0)
	v_fma_f64 v[1:2], v[1:2], v[55:56], -v[57:58]
	v_fma_f64 v[3:4], v[3:4], v[55:56], v[53:54]
.LBB62_428:
	s_and_saveexec_b32 s8, s5
	s_cbranch_execz .LBB62_438
; %bb.429:
	v_subrev_nc_u32_e32 v54, 32, v0
	v_mov_b32_e32 v55, 31
	v_subrev_nc_u32_e32 v53, 31, v0
	s_mov_b32 s5, exec_lo
	v_cmpx_lt_u32_e32 6, v54
	s_cbranch_execz .LBB62_433
; %bb.430:
	v_and_b32_e32 v54, -8, v53
	s_movk_i32 s73, 0x5e0
	s_mov_b32 s72, 0
	s_mov_b32 s74, s41
	;; [unrolled: 1-line block ×3, first 2 shown]
.LBB62_431:                             ; =>This Inner Loop Header: Depth=1
	v_mov_b32_e32 v55, s74
	v_mov_b32_e32 v184, s73
	s_add_i32 s76, s75, 8
	s_add_i32 s75, s75, 39
	v_cmp_eq_u32_e32 vcc_lo, s76, v54
	s_clause 0x1f
	buffer_load_dword v59, v55, s[0:3], 0 offen offset:8
	buffer_load_dword v60, v55, s[0:3], 0 offen offset:12
	buffer_load_dword v69, v55, s[0:3], 0 offen
	buffer_load_dword v70, v55, s[0:3], 0 offen offset:4
	buffer_load_dword v71, v55, s[0:3], 0 offen offset:24
	;; [unrolled: 1-line block ×29, first 2 shown]
	ds_read_b128 v[55:58], v184
	ds_read_b128 v[65:68], v184 offset:16
	s_addk_i32 s73, 0x80
	s_addk_i32 s74, 0x80
	s_or_b32 s72, vcc_lo, s72
	s_waitcnt vmcnt(30) lgkmcnt(1)
	v_mul_f64 v[176:177], v[57:58], v[59:60]
	v_mul_f64 v[59:60], v[55:56], v[59:60]
	s_waitcnt vmcnt(26) lgkmcnt(0)
	v_mul_f64 v[178:179], v[67:68], v[71:72]
	v_mul_f64 v[180:181], v[65:66], v[71:72]
	v_fma_f64 v[176:177], v[55:56], v[69:70], -v[176:177]
	v_fma_f64 v[59:60], v[57:58], v[69:70], v[59:60]
	ds_read_b128 v[55:58], v184 offset:32
	ds_read_b128 v[69:72], v184 offset:48
	s_waitcnt vmcnt(24)
	v_fma_f64 v[65:66], v[65:66], v[73:74], -v[178:179]
	v_fma_f64 v[67:68], v[67:68], v[73:74], v[180:181]
	s_waitcnt vmcnt(22) lgkmcnt(1)
	v_mul_f64 v[182:183], v[57:58], v[75:76]
	v_mul_f64 v[75:76], v[55:56], v[75:76]
	v_add_f64 v[1:2], v[1:2], v[176:177]
	v_add_f64 v[3:4], v[3:4], v[59:60]
	s_waitcnt vmcnt(18) lgkmcnt(0)
	v_mul_f64 v[59:60], v[71:72], v[156:157]
	v_mul_f64 v[73:74], v[69:70], v[156:157]
	v_fma_f64 v[156:157], v[55:56], v[154:155], -v[182:183]
	v_fma_f64 v[75:76], v[57:58], v[154:155], v[75:76]
	v_add_f64 v[65:66], v[1:2], v[65:66]
	v_add_f64 v[67:68], v[3:4], v[67:68]
	ds_read_b128 v[1:4], v184 offset:64
	ds_read_b128 v[55:58], v184 offset:80
	s_waitcnt vmcnt(16)
	v_fma_f64 v[59:60], v[69:70], v[158:159], -v[59:60]
	v_fma_f64 v[69:70], v[71:72], v[158:159], v[73:74]
	s_waitcnt vmcnt(12) lgkmcnt(1)
	v_mul_f64 v[154:155], v[3:4], v[160:161]
	v_mul_f64 v[160:161], v[1:2], v[160:161]
	v_add_f64 v[65:66], v[65:66], v[156:157]
	v_add_f64 v[67:68], v[67:68], v[75:76]
	s_waitcnt vmcnt(10) lgkmcnt(0)
	v_mul_f64 v[71:72], v[57:58], v[162:163]
	v_mul_f64 v[73:74], v[55:56], v[162:163]
	s_waitcnt vmcnt(8)
	v_fma_f64 v[75:76], v[1:2], v[166:167], -v[154:155]
	v_fma_f64 v[154:155], v[3:4], v[166:167], v[160:161]
	v_add_f64 v[59:60], v[65:66], v[59:60]
	v_add_f64 v[69:70], v[67:68], v[69:70]
	ds_read_b128 v[1:4], v184 offset:96
	ds_read_b128 v[65:68], v184 offset:112
	v_fma_f64 v[55:56], v[55:56], v[164:165], -v[71:72]
	v_fma_f64 v[57:58], v[57:58], v[164:165], v[73:74]
	s_waitcnt vmcnt(4) lgkmcnt(1)
	v_mul_f64 v[156:157], v[3:4], v[168:169]
	v_mul_f64 v[158:159], v[1:2], v[168:169]
	v_add_f64 v[59:60], v[59:60], v[75:76]
	v_add_f64 v[69:70], v[69:70], v[154:155]
	s_waitcnt vmcnt(2) lgkmcnt(0)
	v_mul_f64 v[71:72], v[67:68], v[170:171]
	v_mul_f64 v[73:74], v[65:66], v[170:171]
	s_waitcnt vmcnt(0)
	v_fma_f64 v[1:2], v[1:2], v[174:175], -v[156:157]
	v_fma_f64 v[3:4], v[3:4], v[174:175], v[158:159]
	v_add_f64 v[55:56], v[59:60], v[55:56]
	v_add_f64 v[57:58], v[69:70], v[57:58]
	v_fma_f64 v[59:60], v[65:66], v[172:173], -v[71:72]
	v_fma_f64 v[65:66], v[67:68], v[172:173], v[73:74]
	v_add_f64 v[1:2], v[55:56], v[1:2]
	v_add_f64 v[3:4], v[57:58], v[3:4]
	v_mov_b32_e32 v55, s75
	s_mov_b32 s75, s76
	v_add_f64 v[1:2], v[1:2], v[59:60]
	v_add_f64 v[3:4], v[3:4], v[65:66]
	s_andn2_b32 exec_lo, exec_lo, s72
	s_cbranch_execnz .LBB62_431
; %bb.432:
	s_or_b32 exec_lo, exec_lo, s72
.LBB62_433:
	s_or_b32 exec_lo, exec_lo, s5
	v_and_b32_e32 v53, 7, v53
	s_mov_b32 s72, 0
	s_mov_b32 s5, exec_lo
	v_cmpx_ne_u32_e32 0, v53
	s_cbranch_execz .LBB62_437
; %bb.434:
	v_lshlrev_b32_e32 v55, 4, v55
	v_add_nc_u32_e32 v54, 0x3f0, v55
	.p2align	6
.LBB62_435:                             ; =>This Inner Loop Header: Depth=1
	s_clause 0x3
	buffer_load_dword v65, v55, s[0:3], 0 offen offset:8
	buffer_load_dword v66, v55, s[0:3], 0 offen offset:12
	buffer_load_dword v67, v55, s[0:3], 0 offen
	buffer_load_dword v68, v55, s[0:3], 0 offen offset:4
	ds_read_b128 v[56:59], v54
	v_add_nc_u32_e32 v53, -1, v53
	v_add_nc_u32_e32 v54, 16, v54
	v_add_nc_u32_e32 v55, 16, v55
	v_cmp_eq_u32_e32 vcc_lo, 0, v53
	s_or_b32 s72, vcc_lo, s72
	s_waitcnt vmcnt(2) lgkmcnt(0)
	v_mul_f64 v[69:70], v[58:59], v[65:66]
	v_mul_f64 v[65:66], v[56:57], v[65:66]
	s_waitcnt vmcnt(0)
	v_fma_f64 v[56:57], v[56:57], v[67:68], -v[69:70]
	v_fma_f64 v[58:59], v[58:59], v[67:68], v[65:66]
	v_add_f64 v[1:2], v[1:2], v[56:57]
	v_add_f64 v[3:4], v[3:4], v[58:59]
	s_andn2_b32 exec_lo, exec_lo, s72
	s_cbranch_execnz .LBB62_435
; %bb.436:
	s_or_b32 exec_lo, exec_lo, s72
.LBB62_437:
	s_or_b32 exec_lo, exec_lo, s5
.LBB62_438:
	s_or_b32 exec_lo, exec_lo, s8
	v_mov_b32_e32 v53, 0
	ds_read_b128 v[53:56], v53 offset:480
	s_waitcnt lgkmcnt(0)
	v_mul_f64 v[57:58], v[3:4], v[55:56]
	v_mul_f64 v[55:56], v[1:2], v[55:56]
	v_fma_f64 v[1:2], v[1:2], v[53:54], -v[57:58]
	v_fma_f64 v[3:4], v[3:4], v[53:54], v[55:56]
	buffer_store_dword v2, off, s[0:3], 0 offset:484
	buffer_store_dword v1, off, s[0:3], 0 offset:480
	;; [unrolled: 1-line block ×4, first 2 shown]
.LBB62_439:
	s_or_b32 exec_lo, exec_lo, s6
	v_mov_b32_e32 v4, s43
	v_cmp_lt_u32_e64 s5, 29, v0
	s_clause 0x3
	buffer_load_dword v1, v4, s[0:3], 0 offen
	buffer_load_dword v2, v4, s[0:3], 0 offen offset:4
	buffer_load_dword v3, v4, s[0:3], 0 offen offset:8
	;; [unrolled: 1-line block ×3, first 2 shown]
	s_waitcnt vmcnt(0)
	ds_write_b128 v48, v[1:4]
	s_waitcnt lgkmcnt(0)
	s_waitcnt_vscnt null, 0x0
	s_barrier
	buffer_gl0_inv
	s_and_saveexec_b32 s6, s5
	s_cbranch_execz .LBB62_453
; %bb.440:
	ds_read_b128 v[1:4], v48
	s_andn2_b32 vcc_lo, exec_lo, s7
	s_cbranch_vccnz .LBB62_442
; %bb.441:
	s_clause 0x3
	buffer_load_dword v53, v47, s[0:3], 0 offen offset:8
	buffer_load_dword v54, v47, s[0:3], 0 offen offset:12
	buffer_load_dword v55, v47, s[0:3], 0 offen
	buffer_load_dword v56, v47, s[0:3], 0 offen offset:4
	s_waitcnt vmcnt(2) lgkmcnt(0)
	v_mul_f64 v[57:58], v[3:4], v[53:54]
	v_mul_f64 v[53:54], v[1:2], v[53:54]
	s_waitcnt vmcnt(0)
	v_fma_f64 v[1:2], v[1:2], v[55:56], -v[57:58]
	v_fma_f64 v[3:4], v[3:4], v[55:56], v[53:54]
.LBB62_442:
	s_and_saveexec_b32 s8, s4
	s_cbranch_execz .LBB62_452
; %bb.443:
	v_subrev_nc_u32_e32 v54, 31, v0
	v_mov_b32_e32 v55, 30
	v_subrev_nc_u32_e32 v53, 30, v0
	s_mov_b32 s4, exec_lo
	v_cmpx_lt_u32_e32 6, v54
	s_cbranch_execz .LBB62_447
; %bb.444:
	v_and_b32_e32 v54, -8, v53
	s_movk_i32 s73, 0x5d0
	s_mov_b32 s72, 0
	s_mov_b32 s74, s42
	;; [unrolled: 1-line block ×3, first 2 shown]
.LBB62_445:                             ; =>This Inner Loop Header: Depth=1
	v_mov_b32_e32 v55, s74
	v_mov_b32_e32 v184, s73
	s_add_i32 s76, s75, 8
	s_add_i32 s75, s75, 38
	v_cmp_eq_u32_e32 vcc_lo, s76, v54
	s_clause 0x1f
	buffer_load_dword v59, v55, s[0:3], 0 offen offset:8
	buffer_load_dword v60, v55, s[0:3], 0 offen offset:12
	buffer_load_dword v69, v55, s[0:3], 0 offen
	buffer_load_dword v70, v55, s[0:3], 0 offen offset:4
	buffer_load_dword v71, v55, s[0:3], 0 offen offset:24
	;; [unrolled: 1-line block ×29, first 2 shown]
	ds_read_b128 v[55:58], v184
	ds_read_b128 v[65:68], v184 offset:16
	s_addk_i32 s73, 0x80
	s_addk_i32 s74, 0x80
	s_or_b32 s72, vcc_lo, s72
	s_waitcnt vmcnt(30) lgkmcnt(1)
	v_mul_f64 v[176:177], v[57:58], v[59:60]
	v_mul_f64 v[59:60], v[55:56], v[59:60]
	s_waitcnt vmcnt(26) lgkmcnt(0)
	v_mul_f64 v[178:179], v[67:68], v[71:72]
	v_mul_f64 v[180:181], v[65:66], v[71:72]
	v_fma_f64 v[176:177], v[55:56], v[69:70], -v[176:177]
	v_fma_f64 v[59:60], v[57:58], v[69:70], v[59:60]
	ds_read_b128 v[55:58], v184 offset:32
	ds_read_b128 v[69:72], v184 offset:48
	s_waitcnt vmcnt(24)
	v_fma_f64 v[65:66], v[65:66], v[73:74], -v[178:179]
	v_fma_f64 v[67:68], v[67:68], v[73:74], v[180:181]
	s_waitcnt vmcnt(22) lgkmcnt(1)
	v_mul_f64 v[182:183], v[57:58], v[75:76]
	v_mul_f64 v[75:76], v[55:56], v[75:76]
	v_add_f64 v[1:2], v[1:2], v[176:177]
	v_add_f64 v[3:4], v[3:4], v[59:60]
	s_waitcnt vmcnt(18) lgkmcnt(0)
	v_mul_f64 v[59:60], v[71:72], v[156:157]
	v_mul_f64 v[73:74], v[69:70], v[156:157]
	v_fma_f64 v[156:157], v[55:56], v[154:155], -v[182:183]
	v_fma_f64 v[75:76], v[57:58], v[154:155], v[75:76]
	v_add_f64 v[65:66], v[1:2], v[65:66]
	v_add_f64 v[67:68], v[3:4], v[67:68]
	ds_read_b128 v[1:4], v184 offset:64
	ds_read_b128 v[55:58], v184 offset:80
	s_waitcnt vmcnt(16)
	v_fma_f64 v[59:60], v[69:70], v[158:159], -v[59:60]
	v_fma_f64 v[69:70], v[71:72], v[158:159], v[73:74]
	s_waitcnt vmcnt(12) lgkmcnt(1)
	v_mul_f64 v[154:155], v[3:4], v[160:161]
	v_mul_f64 v[160:161], v[1:2], v[160:161]
	v_add_f64 v[65:66], v[65:66], v[156:157]
	v_add_f64 v[67:68], v[67:68], v[75:76]
	s_waitcnt vmcnt(10) lgkmcnt(0)
	v_mul_f64 v[71:72], v[57:58], v[162:163]
	v_mul_f64 v[73:74], v[55:56], v[162:163]
	s_waitcnt vmcnt(8)
	v_fma_f64 v[75:76], v[1:2], v[166:167], -v[154:155]
	v_fma_f64 v[154:155], v[3:4], v[166:167], v[160:161]
	v_add_f64 v[59:60], v[65:66], v[59:60]
	v_add_f64 v[69:70], v[67:68], v[69:70]
	ds_read_b128 v[1:4], v184 offset:96
	ds_read_b128 v[65:68], v184 offset:112
	v_fma_f64 v[55:56], v[55:56], v[164:165], -v[71:72]
	v_fma_f64 v[57:58], v[57:58], v[164:165], v[73:74]
	s_waitcnt vmcnt(4) lgkmcnt(1)
	v_mul_f64 v[156:157], v[3:4], v[168:169]
	v_mul_f64 v[158:159], v[1:2], v[168:169]
	v_add_f64 v[59:60], v[59:60], v[75:76]
	v_add_f64 v[69:70], v[69:70], v[154:155]
	s_waitcnt vmcnt(2) lgkmcnt(0)
	v_mul_f64 v[71:72], v[67:68], v[170:171]
	v_mul_f64 v[73:74], v[65:66], v[170:171]
	s_waitcnt vmcnt(0)
	v_fma_f64 v[1:2], v[1:2], v[174:175], -v[156:157]
	v_fma_f64 v[3:4], v[3:4], v[174:175], v[158:159]
	v_add_f64 v[55:56], v[59:60], v[55:56]
	v_add_f64 v[57:58], v[69:70], v[57:58]
	v_fma_f64 v[59:60], v[65:66], v[172:173], -v[71:72]
	v_fma_f64 v[65:66], v[67:68], v[172:173], v[73:74]
	v_add_f64 v[1:2], v[55:56], v[1:2]
	v_add_f64 v[3:4], v[57:58], v[3:4]
	v_mov_b32_e32 v55, s75
	s_mov_b32 s75, s76
	v_add_f64 v[1:2], v[1:2], v[59:60]
	v_add_f64 v[3:4], v[3:4], v[65:66]
	s_andn2_b32 exec_lo, exec_lo, s72
	s_cbranch_execnz .LBB62_445
; %bb.446:
	s_or_b32 exec_lo, exec_lo, s72
.LBB62_447:
	s_or_b32 exec_lo, exec_lo, s4
	v_and_b32_e32 v53, 7, v53
	s_mov_b32 s72, 0
	s_mov_b32 s4, exec_lo
	v_cmpx_ne_u32_e32 0, v53
	s_cbranch_execz .LBB62_451
; %bb.448:
	v_lshlrev_b32_e32 v55, 4, v55
	v_add_nc_u32_e32 v54, 0x3f0, v55
	.p2align	6
.LBB62_449:                             ; =>This Inner Loop Header: Depth=1
	s_clause 0x3
	buffer_load_dword v65, v55, s[0:3], 0 offen offset:8
	buffer_load_dword v66, v55, s[0:3], 0 offen offset:12
	buffer_load_dword v67, v55, s[0:3], 0 offen
	buffer_load_dword v68, v55, s[0:3], 0 offen offset:4
	ds_read_b128 v[56:59], v54
	v_add_nc_u32_e32 v53, -1, v53
	v_add_nc_u32_e32 v54, 16, v54
	v_add_nc_u32_e32 v55, 16, v55
	v_cmp_eq_u32_e32 vcc_lo, 0, v53
	s_or_b32 s72, vcc_lo, s72
	s_waitcnt vmcnt(2) lgkmcnt(0)
	v_mul_f64 v[69:70], v[58:59], v[65:66]
	v_mul_f64 v[65:66], v[56:57], v[65:66]
	s_waitcnt vmcnt(0)
	v_fma_f64 v[56:57], v[56:57], v[67:68], -v[69:70]
	v_fma_f64 v[58:59], v[58:59], v[67:68], v[65:66]
	v_add_f64 v[1:2], v[1:2], v[56:57]
	v_add_f64 v[3:4], v[3:4], v[58:59]
	s_andn2_b32 exec_lo, exec_lo, s72
	s_cbranch_execnz .LBB62_449
; %bb.450:
	s_or_b32 exec_lo, exec_lo, s72
.LBB62_451:
	s_or_b32 exec_lo, exec_lo, s4
.LBB62_452:
	s_or_b32 exec_lo, exec_lo, s8
	v_mov_b32_e32 v53, 0
	ds_read_b128 v[53:56], v53 offset:464
	s_waitcnt lgkmcnt(0)
	v_mul_f64 v[57:58], v[3:4], v[55:56]
	v_mul_f64 v[55:56], v[1:2], v[55:56]
	v_fma_f64 v[1:2], v[1:2], v[53:54], -v[57:58]
	v_fma_f64 v[3:4], v[3:4], v[53:54], v[55:56]
	buffer_store_dword v2, off, s[0:3], 0 offset:468
	buffer_store_dword v1, off, s[0:3], 0 offset:464
	;; [unrolled: 1-line block ×4, first 2 shown]
.LBB62_453:
	s_or_b32 exec_lo, exec_lo, s6
	v_mov_b32_e32 v4, s44
	v_cmp_lt_u32_e64 s4, 28, v0
	s_clause 0x3
	buffer_load_dword v1, v4, s[0:3], 0 offen
	buffer_load_dword v2, v4, s[0:3], 0 offen offset:4
	buffer_load_dword v3, v4, s[0:3], 0 offen offset:8
	;; [unrolled: 1-line block ×3, first 2 shown]
	s_waitcnt vmcnt(0)
	ds_write_b128 v48, v[1:4]
	s_waitcnt lgkmcnt(0)
	s_waitcnt_vscnt null, 0x0
	s_barrier
	buffer_gl0_inv
	s_and_saveexec_b32 s6, s4
	s_cbranch_execz .LBB62_467
; %bb.454:
	ds_read_b128 v[1:4], v48
	s_andn2_b32 vcc_lo, exec_lo, s7
	s_cbranch_vccnz .LBB62_456
; %bb.455:
	s_clause 0x3
	buffer_load_dword v53, v47, s[0:3], 0 offen offset:8
	buffer_load_dword v54, v47, s[0:3], 0 offen offset:12
	buffer_load_dword v55, v47, s[0:3], 0 offen
	buffer_load_dword v56, v47, s[0:3], 0 offen offset:4
	s_waitcnt vmcnt(2) lgkmcnt(0)
	v_mul_f64 v[57:58], v[3:4], v[53:54]
	v_mul_f64 v[53:54], v[1:2], v[53:54]
	s_waitcnt vmcnt(0)
	v_fma_f64 v[1:2], v[1:2], v[55:56], -v[57:58]
	v_fma_f64 v[3:4], v[3:4], v[55:56], v[53:54]
.LBB62_456:
	s_and_saveexec_b32 s8, s5
	s_cbranch_execz .LBB62_466
; %bb.457:
	v_subrev_nc_u32_e32 v54, 30, v0
	v_mov_b32_e32 v55, 29
	v_subrev_nc_u32_e32 v53, 29, v0
	s_mov_b32 s5, exec_lo
	v_cmpx_lt_u32_e32 6, v54
	s_cbranch_execz .LBB62_461
; %bb.458:
	v_and_b32_e32 v54, -8, v53
	s_movk_i32 s73, 0x5c0
	s_mov_b32 s72, 0
	s_mov_b32 s74, s43
	;; [unrolled: 1-line block ×3, first 2 shown]
.LBB62_459:                             ; =>This Inner Loop Header: Depth=1
	v_mov_b32_e32 v55, s74
	v_mov_b32_e32 v184, s73
	s_add_i32 s76, s75, 8
	s_add_i32 s75, s75, 37
	v_cmp_eq_u32_e32 vcc_lo, s76, v54
	s_clause 0x1f
	buffer_load_dword v59, v55, s[0:3], 0 offen offset:8
	buffer_load_dword v60, v55, s[0:3], 0 offen offset:12
	buffer_load_dword v69, v55, s[0:3], 0 offen
	buffer_load_dword v70, v55, s[0:3], 0 offen offset:4
	buffer_load_dword v71, v55, s[0:3], 0 offen offset:24
	buffer_load_dword v72, v55, s[0:3], 0 offen offset:28
	buffer_load_dword v73, v55, s[0:3], 0 offen offset:16
	buffer_load_dword v74, v55, s[0:3], 0 offen offset:20
	buffer_load_dword v75, v55, s[0:3], 0 offen offset:40
	buffer_load_dword v76, v55, s[0:3], 0 offen offset:44
	buffer_load_dword v154, v55, s[0:3], 0 offen offset:32
	buffer_load_dword v155, v55, s[0:3], 0 offen offset:36
	buffer_load_dword v156, v55, s[0:3], 0 offen offset:56
	buffer_load_dword v157, v55, s[0:3], 0 offen offset:60
	buffer_load_dword v158, v55, s[0:3], 0 offen offset:48
	buffer_load_dword v159, v55, s[0:3], 0 offen offset:52
	buffer_load_dword v161, v55, s[0:3], 0 offen offset:76
	buffer_load_dword v162, v55, s[0:3], 0 offen offset:88
	buffer_load_dword v164, v55, s[0:3], 0 offen offset:80
	buffer_load_dword v160, v55, s[0:3], 0 offen offset:72
	buffer_load_dword v165, v55, s[0:3], 0 offen offset:84
	buffer_load_dword v163, v55, s[0:3], 0 offen offset:92
	buffer_load_dword v167, v55, s[0:3], 0 offen offset:68
	buffer_load_dword v166, v55, s[0:3], 0 offen offset:64
	buffer_load_dword v169, v55, s[0:3], 0 offen offset:108
	buffer_load_dword v170, v55, s[0:3], 0 offen offset:120
	buffer_load_dword v172, v55, s[0:3], 0 offen offset:112
	buffer_load_dword v168, v55, s[0:3], 0 offen offset:104
	buffer_load_dword v173, v55, s[0:3], 0 offen offset:116
	buffer_load_dword v171, v55, s[0:3], 0 offen offset:124
	buffer_load_dword v175, v55, s[0:3], 0 offen offset:100
	buffer_load_dword v174, v55, s[0:3], 0 offen offset:96
	ds_read_b128 v[55:58], v184
	ds_read_b128 v[65:68], v184 offset:16
	s_addk_i32 s73, 0x80
	s_addk_i32 s74, 0x80
	s_or_b32 s72, vcc_lo, s72
	s_waitcnt vmcnt(30) lgkmcnt(1)
	v_mul_f64 v[176:177], v[57:58], v[59:60]
	v_mul_f64 v[59:60], v[55:56], v[59:60]
	s_waitcnt vmcnt(26) lgkmcnt(0)
	v_mul_f64 v[178:179], v[67:68], v[71:72]
	v_mul_f64 v[180:181], v[65:66], v[71:72]
	v_fma_f64 v[176:177], v[55:56], v[69:70], -v[176:177]
	v_fma_f64 v[59:60], v[57:58], v[69:70], v[59:60]
	ds_read_b128 v[55:58], v184 offset:32
	ds_read_b128 v[69:72], v184 offset:48
	s_waitcnt vmcnt(24)
	v_fma_f64 v[65:66], v[65:66], v[73:74], -v[178:179]
	v_fma_f64 v[67:68], v[67:68], v[73:74], v[180:181]
	s_waitcnt vmcnt(22) lgkmcnt(1)
	v_mul_f64 v[182:183], v[57:58], v[75:76]
	v_mul_f64 v[75:76], v[55:56], v[75:76]
	v_add_f64 v[1:2], v[1:2], v[176:177]
	v_add_f64 v[3:4], v[3:4], v[59:60]
	s_waitcnt vmcnt(18) lgkmcnt(0)
	v_mul_f64 v[59:60], v[71:72], v[156:157]
	v_mul_f64 v[73:74], v[69:70], v[156:157]
	v_fma_f64 v[156:157], v[55:56], v[154:155], -v[182:183]
	v_fma_f64 v[75:76], v[57:58], v[154:155], v[75:76]
	v_add_f64 v[65:66], v[1:2], v[65:66]
	v_add_f64 v[67:68], v[3:4], v[67:68]
	ds_read_b128 v[1:4], v184 offset:64
	ds_read_b128 v[55:58], v184 offset:80
	s_waitcnt vmcnt(16)
	v_fma_f64 v[59:60], v[69:70], v[158:159], -v[59:60]
	v_fma_f64 v[69:70], v[71:72], v[158:159], v[73:74]
	s_waitcnt vmcnt(12) lgkmcnt(1)
	v_mul_f64 v[154:155], v[3:4], v[160:161]
	v_mul_f64 v[160:161], v[1:2], v[160:161]
	v_add_f64 v[65:66], v[65:66], v[156:157]
	v_add_f64 v[67:68], v[67:68], v[75:76]
	s_waitcnt vmcnt(10) lgkmcnt(0)
	v_mul_f64 v[71:72], v[57:58], v[162:163]
	v_mul_f64 v[73:74], v[55:56], v[162:163]
	s_waitcnt vmcnt(8)
	v_fma_f64 v[75:76], v[1:2], v[166:167], -v[154:155]
	v_fma_f64 v[154:155], v[3:4], v[166:167], v[160:161]
	v_add_f64 v[59:60], v[65:66], v[59:60]
	v_add_f64 v[69:70], v[67:68], v[69:70]
	ds_read_b128 v[1:4], v184 offset:96
	ds_read_b128 v[65:68], v184 offset:112
	v_fma_f64 v[55:56], v[55:56], v[164:165], -v[71:72]
	v_fma_f64 v[57:58], v[57:58], v[164:165], v[73:74]
	s_waitcnt vmcnt(4) lgkmcnt(1)
	v_mul_f64 v[156:157], v[3:4], v[168:169]
	v_mul_f64 v[158:159], v[1:2], v[168:169]
	v_add_f64 v[59:60], v[59:60], v[75:76]
	v_add_f64 v[69:70], v[69:70], v[154:155]
	s_waitcnt vmcnt(2) lgkmcnt(0)
	v_mul_f64 v[71:72], v[67:68], v[170:171]
	v_mul_f64 v[73:74], v[65:66], v[170:171]
	s_waitcnt vmcnt(0)
	v_fma_f64 v[1:2], v[1:2], v[174:175], -v[156:157]
	v_fma_f64 v[3:4], v[3:4], v[174:175], v[158:159]
	v_add_f64 v[55:56], v[59:60], v[55:56]
	v_add_f64 v[57:58], v[69:70], v[57:58]
	v_fma_f64 v[59:60], v[65:66], v[172:173], -v[71:72]
	v_fma_f64 v[65:66], v[67:68], v[172:173], v[73:74]
	v_add_f64 v[1:2], v[55:56], v[1:2]
	v_add_f64 v[3:4], v[57:58], v[3:4]
	v_mov_b32_e32 v55, s75
	s_mov_b32 s75, s76
	v_add_f64 v[1:2], v[1:2], v[59:60]
	v_add_f64 v[3:4], v[3:4], v[65:66]
	s_andn2_b32 exec_lo, exec_lo, s72
	s_cbranch_execnz .LBB62_459
; %bb.460:
	s_or_b32 exec_lo, exec_lo, s72
.LBB62_461:
	s_or_b32 exec_lo, exec_lo, s5
	v_and_b32_e32 v53, 7, v53
	s_mov_b32 s72, 0
	s_mov_b32 s5, exec_lo
	v_cmpx_ne_u32_e32 0, v53
	s_cbranch_execz .LBB62_465
; %bb.462:
	v_lshlrev_b32_e32 v55, 4, v55
	v_add_nc_u32_e32 v54, 0x3f0, v55
	.p2align	6
.LBB62_463:                             ; =>This Inner Loop Header: Depth=1
	s_clause 0x3
	buffer_load_dword v65, v55, s[0:3], 0 offen offset:8
	buffer_load_dword v66, v55, s[0:3], 0 offen offset:12
	buffer_load_dword v67, v55, s[0:3], 0 offen
	buffer_load_dword v68, v55, s[0:3], 0 offen offset:4
	ds_read_b128 v[56:59], v54
	v_add_nc_u32_e32 v53, -1, v53
	v_add_nc_u32_e32 v54, 16, v54
	v_add_nc_u32_e32 v55, 16, v55
	v_cmp_eq_u32_e32 vcc_lo, 0, v53
	s_or_b32 s72, vcc_lo, s72
	s_waitcnt vmcnt(2) lgkmcnt(0)
	v_mul_f64 v[69:70], v[58:59], v[65:66]
	v_mul_f64 v[65:66], v[56:57], v[65:66]
	s_waitcnt vmcnt(0)
	v_fma_f64 v[56:57], v[56:57], v[67:68], -v[69:70]
	v_fma_f64 v[58:59], v[58:59], v[67:68], v[65:66]
	v_add_f64 v[1:2], v[1:2], v[56:57]
	v_add_f64 v[3:4], v[3:4], v[58:59]
	s_andn2_b32 exec_lo, exec_lo, s72
	s_cbranch_execnz .LBB62_463
; %bb.464:
	s_or_b32 exec_lo, exec_lo, s72
.LBB62_465:
	s_or_b32 exec_lo, exec_lo, s5
.LBB62_466:
	s_or_b32 exec_lo, exec_lo, s8
	v_mov_b32_e32 v53, 0
	ds_read_b128 v[53:56], v53 offset:448
	s_waitcnt lgkmcnt(0)
	v_mul_f64 v[57:58], v[3:4], v[55:56]
	v_mul_f64 v[55:56], v[1:2], v[55:56]
	v_fma_f64 v[1:2], v[1:2], v[53:54], -v[57:58]
	v_fma_f64 v[3:4], v[3:4], v[53:54], v[55:56]
	buffer_store_dword v2, off, s[0:3], 0 offset:452
	buffer_store_dword v1, off, s[0:3], 0 offset:448
	;; [unrolled: 1-line block ×4, first 2 shown]
.LBB62_467:
	s_or_b32 exec_lo, exec_lo, s6
	v_mov_b32_e32 v4, s45
	v_cmp_lt_u32_e64 s5, 27, v0
	s_clause 0x3
	buffer_load_dword v1, v4, s[0:3], 0 offen
	buffer_load_dword v2, v4, s[0:3], 0 offen offset:4
	buffer_load_dword v3, v4, s[0:3], 0 offen offset:8
	buffer_load_dword v4, v4, s[0:3], 0 offen offset:12
	s_waitcnt vmcnt(0)
	ds_write_b128 v48, v[1:4]
	s_waitcnt lgkmcnt(0)
	s_waitcnt_vscnt null, 0x0
	s_barrier
	buffer_gl0_inv
	s_and_saveexec_b32 s6, s5
	s_cbranch_execz .LBB62_481
; %bb.468:
	ds_read_b128 v[1:4], v48
	s_andn2_b32 vcc_lo, exec_lo, s7
	s_cbranch_vccnz .LBB62_470
; %bb.469:
	s_clause 0x3
	buffer_load_dword v53, v47, s[0:3], 0 offen offset:8
	buffer_load_dword v54, v47, s[0:3], 0 offen offset:12
	buffer_load_dword v55, v47, s[0:3], 0 offen
	buffer_load_dword v56, v47, s[0:3], 0 offen offset:4
	s_waitcnt vmcnt(2) lgkmcnt(0)
	v_mul_f64 v[57:58], v[3:4], v[53:54]
	v_mul_f64 v[53:54], v[1:2], v[53:54]
	s_waitcnt vmcnt(0)
	v_fma_f64 v[1:2], v[1:2], v[55:56], -v[57:58]
	v_fma_f64 v[3:4], v[3:4], v[55:56], v[53:54]
.LBB62_470:
	s_and_saveexec_b32 s8, s4
	s_cbranch_execz .LBB62_480
; %bb.471:
	v_subrev_nc_u32_e32 v54, 29, v0
	v_mov_b32_e32 v55, 28
	v_subrev_nc_u32_e32 v53, 28, v0
	s_mov_b32 s4, exec_lo
	v_cmpx_lt_u32_e32 6, v54
	s_cbranch_execz .LBB62_475
; %bb.472:
	v_and_b32_e32 v54, -8, v53
	s_movk_i32 s73, 0x5b0
	s_mov_b32 s72, 0
	s_mov_b32 s74, s44
	;; [unrolled: 1-line block ×3, first 2 shown]
.LBB62_473:                             ; =>This Inner Loop Header: Depth=1
	v_mov_b32_e32 v55, s74
	v_mov_b32_e32 v184, s73
	s_add_i32 s76, s75, 8
	s_add_i32 s75, s75, 36
	v_cmp_eq_u32_e32 vcc_lo, s76, v54
	s_clause 0x1f
	buffer_load_dword v59, v55, s[0:3], 0 offen offset:8
	buffer_load_dword v60, v55, s[0:3], 0 offen offset:12
	buffer_load_dword v69, v55, s[0:3], 0 offen
	buffer_load_dword v70, v55, s[0:3], 0 offen offset:4
	buffer_load_dword v71, v55, s[0:3], 0 offen offset:24
	;; [unrolled: 1-line block ×29, first 2 shown]
	ds_read_b128 v[55:58], v184
	ds_read_b128 v[65:68], v184 offset:16
	s_addk_i32 s73, 0x80
	s_addk_i32 s74, 0x80
	s_or_b32 s72, vcc_lo, s72
	s_waitcnt vmcnt(30) lgkmcnt(1)
	v_mul_f64 v[176:177], v[57:58], v[59:60]
	v_mul_f64 v[59:60], v[55:56], v[59:60]
	s_waitcnt vmcnt(26) lgkmcnt(0)
	v_mul_f64 v[178:179], v[67:68], v[71:72]
	v_mul_f64 v[180:181], v[65:66], v[71:72]
	v_fma_f64 v[176:177], v[55:56], v[69:70], -v[176:177]
	v_fma_f64 v[59:60], v[57:58], v[69:70], v[59:60]
	ds_read_b128 v[55:58], v184 offset:32
	ds_read_b128 v[69:72], v184 offset:48
	s_waitcnt vmcnt(24)
	v_fma_f64 v[65:66], v[65:66], v[73:74], -v[178:179]
	v_fma_f64 v[67:68], v[67:68], v[73:74], v[180:181]
	s_waitcnt vmcnt(22) lgkmcnt(1)
	v_mul_f64 v[182:183], v[57:58], v[75:76]
	v_mul_f64 v[75:76], v[55:56], v[75:76]
	v_add_f64 v[1:2], v[1:2], v[176:177]
	v_add_f64 v[3:4], v[3:4], v[59:60]
	s_waitcnt vmcnt(18) lgkmcnt(0)
	v_mul_f64 v[59:60], v[71:72], v[156:157]
	v_mul_f64 v[73:74], v[69:70], v[156:157]
	v_fma_f64 v[156:157], v[55:56], v[154:155], -v[182:183]
	v_fma_f64 v[75:76], v[57:58], v[154:155], v[75:76]
	v_add_f64 v[65:66], v[1:2], v[65:66]
	v_add_f64 v[67:68], v[3:4], v[67:68]
	ds_read_b128 v[1:4], v184 offset:64
	ds_read_b128 v[55:58], v184 offset:80
	s_waitcnt vmcnt(16)
	v_fma_f64 v[59:60], v[69:70], v[158:159], -v[59:60]
	v_fma_f64 v[69:70], v[71:72], v[158:159], v[73:74]
	s_waitcnt vmcnt(12) lgkmcnt(1)
	v_mul_f64 v[154:155], v[3:4], v[160:161]
	v_mul_f64 v[160:161], v[1:2], v[160:161]
	v_add_f64 v[65:66], v[65:66], v[156:157]
	v_add_f64 v[67:68], v[67:68], v[75:76]
	s_waitcnt vmcnt(10) lgkmcnt(0)
	v_mul_f64 v[71:72], v[57:58], v[162:163]
	v_mul_f64 v[73:74], v[55:56], v[162:163]
	s_waitcnt vmcnt(8)
	v_fma_f64 v[75:76], v[1:2], v[166:167], -v[154:155]
	v_fma_f64 v[154:155], v[3:4], v[166:167], v[160:161]
	v_add_f64 v[59:60], v[65:66], v[59:60]
	v_add_f64 v[69:70], v[67:68], v[69:70]
	ds_read_b128 v[1:4], v184 offset:96
	ds_read_b128 v[65:68], v184 offset:112
	v_fma_f64 v[55:56], v[55:56], v[164:165], -v[71:72]
	v_fma_f64 v[57:58], v[57:58], v[164:165], v[73:74]
	s_waitcnt vmcnt(4) lgkmcnt(1)
	v_mul_f64 v[156:157], v[3:4], v[168:169]
	v_mul_f64 v[158:159], v[1:2], v[168:169]
	v_add_f64 v[59:60], v[59:60], v[75:76]
	v_add_f64 v[69:70], v[69:70], v[154:155]
	s_waitcnt vmcnt(2) lgkmcnt(0)
	v_mul_f64 v[71:72], v[67:68], v[170:171]
	v_mul_f64 v[73:74], v[65:66], v[170:171]
	s_waitcnt vmcnt(0)
	v_fma_f64 v[1:2], v[1:2], v[174:175], -v[156:157]
	v_fma_f64 v[3:4], v[3:4], v[174:175], v[158:159]
	v_add_f64 v[55:56], v[59:60], v[55:56]
	v_add_f64 v[57:58], v[69:70], v[57:58]
	v_fma_f64 v[59:60], v[65:66], v[172:173], -v[71:72]
	v_fma_f64 v[65:66], v[67:68], v[172:173], v[73:74]
	v_add_f64 v[1:2], v[55:56], v[1:2]
	v_add_f64 v[3:4], v[57:58], v[3:4]
	v_mov_b32_e32 v55, s75
	s_mov_b32 s75, s76
	v_add_f64 v[1:2], v[1:2], v[59:60]
	v_add_f64 v[3:4], v[3:4], v[65:66]
	s_andn2_b32 exec_lo, exec_lo, s72
	s_cbranch_execnz .LBB62_473
; %bb.474:
	s_or_b32 exec_lo, exec_lo, s72
.LBB62_475:
	s_or_b32 exec_lo, exec_lo, s4
	v_and_b32_e32 v53, 7, v53
	s_mov_b32 s72, 0
	s_mov_b32 s4, exec_lo
	v_cmpx_ne_u32_e32 0, v53
	s_cbranch_execz .LBB62_479
; %bb.476:
	v_lshlrev_b32_e32 v55, 4, v55
	v_add_nc_u32_e32 v54, 0x3f0, v55
	.p2align	6
.LBB62_477:                             ; =>This Inner Loop Header: Depth=1
	s_clause 0x3
	buffer_load_dword v65, v55, s[0:3], 0 offen offset:8
	buffer_load_dword v66, v55, s[0:3], 0 offen offset:12
	buffer_load_dword v67, v55, s[0:3], 0 offen
	buffer_load_dword v68, v55, s[0:3], 0 offen offset:4
	ds_read_b128 v[56:59], v54
	v_add_nc_u32_e32 v53, -1, v53
	v_add_nc_u32_e32 v54, 16, v54
	v_add_nc_u32_e32 v55, 16, v55
	v_cmp_eq_u32_e32 vcc_lo, 0, v53
	s_or_b32 s72, vcc_lo, s72
	s_waitcnt vmcnt(2) lgkmcnt(0)
	v_mul_f64 v[69:70], v[58:59], v[65:66]
	v_mul_f64 v[65:66], v[56:57], v[65:66]
	s_waitcnt vmcnt(0)
	v_fma_f64 v[56:57], v[56:57], v[67:68], -v[69:70]
	v_fma_f64 v[58:59], v[58:59], v[67:68], v[65:66]
	v_add_f64 v[1:2], v[1:2], v[56:57]
	v_add_f64 v[3:4], v[3:4], v[58:59]
	s_andn2_b32 exec_lo, exec_lo, s72
	s_cbranch_execnz .LBB62_477
; %bb.478:
	s_or_b32 exec_lo, exec_lo, s72
.LBB62_479:
	s_or_b32 exec_lo, exec_lo, s4
.LBB62_480:
	s_or_b32 exec_lo, exec_lo, s8
	v_mov_b32_e32 v53, 0
	ds_read_b128 v[53:56], v53 offset:432
	s_waitcnt lgkmcnt(0)
	v_mul_f64 v[57:58], v[3:4], v[55:56]
	v_mul_f64 v[55:56], v[1:2], v[55:56]
	v_fma_f64 v[1:2], v[1:2], v[53:54], -v[57:58]
	v_fma_f64 v[3:4], v[3:4], v[53:54], v[55:56]
	buffer_store_dword v2, off, s[0:3], 0 offset:436
	buffer_store_dword v1, off, s[0:3], 0 offset:432
	;; [unrolled: 1-line block ×4, first 2 shown]
.LBB62_481:
	s_or_b32 exec_lo, exec_lo, s6
	v_mov_b32_e32 v4, s46
	v_cmp_lt_u32_e64 s4, 26, v0
	s_clause 0x3
	buffer_load_dword v1, v4, s[0:3], 0 offen
	buffer_load_dword v2, v4, s[0:3], 0 offen offset:4
	buffer_load_dword v3, v4, s[0:3], 0 offen offset:8
	;; [unrolled: 1-line block ×3, first 2 shown]
	s_waitcnt vmcnt(0)
	ds_write_b128 v48, v[1:4]
	s_waitcnt lgkmcnt(0)
	s_waitcnt_vscnt null, 0x0
	s_barrier
	buffer_gl0_inv
	s_and_saveexec_b32 s6, s4
	s_cbranch_execz .LBB62_495
; %bb.482:
	ds_read_b128 v[1:4], v48
	s_andn2_b32 vcc_lo, exec_lo, s7
	s_cbranch_vccnz .LBB62_484
; %bb.483:
	s_clause 0x3
	buffer_load_dword v53, v47, s[0:3], 0 offen offset:8
	buffer_load_dword v54, v47, s[0:3], 0 offen offset:12
	buffer_load_dword v55, v47, s[0:3], 0 offen
	buffer_load_dword v56, v47, s[0:3], 0 offen offset:4
	s_waitcnt vmcnt(2) lgkmcnt(0)
	v_mul_f64 v[57:58], v[3:4], v[53:54]
	v_mul_f64 v[53:54], v[1:2], v[53:54]
	s_waitcnt vmcnt(0)
	v_fma_f64 v[1:2], v[1:2], v[55:56], -v[57:58]
	v_fma_f64 v[3:4], v[3:4], v[55:56], v[53:54]
.LBB62_484:
	s_and_saveexec_b32 s8, s5
	s_cbranch_execz .LBB62_494
; %bb.485:
	v_subrev_nc_u32_e32 v54, 28, v0
	v_mov_b32_e32 v55, 27
	v_subrev_nc_u32_e32 v53, 27, v0
	s_mov_b32 s5, exec_lo
	v_cmpx_lt_u32_e32 6, v54
	s_cbranch_execz .LBB62_489
; %bb.486:
	v_and_b32_e32 v54, -8, v53
	s_movk_i32 s73, 0x5a0
	s_mov_b32 s72, 0
	s_mov_b32 s74, s45
	;; [unrolled: 1-line block ×3, first 2 shown]
.LBB62_487:                             ; =>This Inner Loop Header: Depth=1
	v_mov_b32_e32 v55, s74
	v_mov_b32_e32 v184, s73
	s_add_i32 s76, s75, 8
	s_add_i32 s75, s75, 35
	v_cmp_eq_u32_e32 vcc_lo, s76, v54
	s_clause 0x1f
	buffer_load_dword v59, v55, s[0:3], 0 offen offset:8
	buffer_load_dword v60, v55, s[0:3], 0 offen offset:12
	buffer_load_dword v69, v55, s[0:3], 0 offen
	buffer_load_dword v70, v55, s[0:3], 0 offen offset:4
	buffer_load_dword v71, v55, s[0:3], 0 offen offset:24
	;; [unrolled: 1-line block ×29, first 2 shown]
	ds_read_b128 v[55:58], v184
	ds_read_b128 v[65:68], v184 offset:16
	s_addk_i32 s73, 0x80
	s_addk_i32 s74, 0x80
	s_or_b32 s72, vcc_lo, s72
	s_waitcnt vmcnt(30) lgkmcnt(1)
	v_mul_f64 v[176:177], v[57:58], v[59:60]
	v_mul_f64 v[59:60], v[55:56], v[59:60]
	s_waitcnt vmcnt(26) lgkmcnt(0)
	v_mul_f64 v[178:179], v[67:68], v[71:72]
	v_mul_f64 v[180:181], v[65:66], v[71:72]
	v_fma_f64 v[176:177], v[55:56], v[69:70], -v[176:177]
	v_fma_f64 v[59:60], v[57:58], v[69:70], v[59:60]
	ds_read_b128 v[55:58], v184 offset:32
	ds_read_b128 v[69:72], v184 offset:48
	s_waitcnt vmcnt(24)
	v_fma_f64 v[65:66], v[65:66], v[73:74], -v[178:179]
	v_fma_f64 v[67:68], v[67:68], v[73:74], v[180:181]
	s_waitcnt vmcnt(22) lgkmcnt(1)
	v_mul_f64 v[182:183], v[57:58], v[75:76]
	v_mul_f64 v[75:76], v[55:56], v[75:76]
	v_add_f64 v[1:2], v[1:2], v[176:177]
	v_add_f64 v[3:4], v[3:4], v[59:60]
	s_waitcnt vmcnt(18) lgkmcnt(0)
	v_mul_f64 v[59:60], v[71:72], v[156:157]
	v_mul_f64 v[73:74], v[69:70], v[156:157]
	v_fma_f64 v[156:157], v[55:56], v[154:155], -v[182:183]
	v_fma_f64 v[75:76], v[57:58], v[154:155], v[75:76]
	v_add_f64 v[65:66], v[1:2], v[65:66]
	v_add_f64 v[67:68], v[3:4], v[67:68]
	ds_read_b128 v[1:4], v184 offset:64
	ds_read_b128 v[55:58], v184 offset:80
	s_waitcnt vmcnt(16)
	v_fma_f64 v[59:60], v[69:70], v[158:159], -v[59:60]
	v_fma_f64 v[69:70], v[71:72], v[158:159], v[73:74]
	s_waitcnt vmcnt(12) lgkmcnt(1)
	v_mul_f64 v[154:155], v[3:4], v[160:161]
	v_mul_f64 v[160:161], v[1:2], v[160:161]
	v_add_f64 v[65:66], v[65:66], v[156:157]
	v_add_f64 v[67:68], v[67:68], v[75:76]
	s_waitcnt vmcnt(10) lgkmcnt(0)
	v_mul_f64 v[71:72], v[57:58], v[162:163]
	v_mul_f64 v[73:74], v[55:56], v[162:163]
	s_waitcnt vmcnt(8)
	v_fma_f64 v[75:76], v[1:2], v[166:167], -v[154:155]
	v_fma_f64 v[154:155], v[3:4], v[166:167], v[160:161]
	v_add_f64 v[59:60], v[65:66], v[59:60]
	v_add_f64 v[69:70], v[67:68], v[69:70]
	ds_read_b128 v[1:4], v184 offset:96
	ds_read_b128 v[65:68], v184 offset:112
	v_fma_f64 v[55:56], v[55:56], v[164:165], -v[71:72]
	v_fma_f64 v[57:58], v[57:58], v[164:165], v[73:74]
	s_waitcnt vmcnt(4) lgkmcnt(1)
	v_mul_f64 v[156:157], v[3:4], v[168:169]
	v_mul_f64 v[158:159], v[1:2], v[168:169]
	v_add_f64 v[59:60], v[59:60], v[75:76]
	v_add_f64 v[69:70], v[69:70], v[154:155]
	s_waitcnt vmcnt(2) lgkmcnt(0)
	v_mul_f64 v[71:72], v[67:68], v[170:171]
	v_mul_f64 v[73:74], v[65:66], v[170:171]
	s_waitcnt vmcnt(0)
	v_fma_f64 v[1:2], v[1:2], v[174:175], -v[156:157]
	v_fma_f64 v[3:4], v[3:4], v[174:175], v[158:159]
	v_add_f64 v[55:56], v[59:60], v[55:56]
	v_add_f64 v[57:58], v[69:70], v[57:58]
	v_fma_f64 v[59:60], v[65:66], v[172:173], -v[71:72]
	v_fma_f64 v[65:66], v[67:68], v[172:173], v[73:74]
	v_add_f64 v[1:2], v[55:56], v[1:2]
	v_add_f64 v[3:4], v[57:58], v[3:4]
	v_mov_b32_e32 v55, s75
	s_mov_b32 s75, s76
	v_add_f64 v[1:2], v[1:2], v[59:60]
	v_add_f64 v[3:4], v[3:4], v[65:66]
	s_andn2_b32 exec_lo, exec_lo, s72
	s_cbranch_execnz .LBB62_487
; %bb.488:
	s_or_b32 exec_lo, exec_lo, s72
.LBB62_489:
	s_or_b32 exec_lo, exec_lo, s5
	v_and_b32_e32 v53, 7, v53
	s_mov_b32 s72, 0
	s_mov_b32 s5, exec_lo
	v_cmpx_ne_u32_e32 0, v53
	s_cbranch_execz .LBB62_493
; %bb.490:
	v_lshlrev_b32_e32 v55, 4, v55
	v_add_nc_u32_e32 v54, 0x3f0, v55
	.p2align	6
.LBB62_491:                             ; =>This Inner Loop Header: Depth=1
	s_clause 0x3
	buffer_load_dword v65, v55, s[0:3], 0 offen offset:8
	buffer_load_dword v66, v55, s[0:3], 0 offen offset:12
	buffer_load_dword v67, v55, s[0:3], 0 offen
	buffer_load_dword v68, v55, s[0:3], 0 offen offset:4
	ds_read_b128 v[56:59], v54
	v_add_nc_u32_e32 v53, -1, v53
	v_add_nc_u32_e32 v54, 16, v54
	v_add_nc_u32_e32 v55, 16, v55
	v_cmp_eq_u32_e32 vcc_lo, 0, v53
	s_or_b32 s72, vcc_lo, s72
	s_waitcnt vmcnt(2) lgkmcnt(0)
	v_mul_f64 v[69:70], v[58:59], v[65:66]
	v_mul_f64 v[65:66], v[56:57], v[65:66]
	s_waitcnt vmcnt(0)
	v_fma_f64 v[56:57], v[56:57], v[67:68], -v[69:70]
	v_fma_f64 v[58:59], v[58:59], v[67:68], v[65:66]
	v_add_f64 v[1:2], v[1:2], v[56:57]
	v_add_f64 v[3:4], v[3:4], v[58:59]
	s_andn2_b32 exec_lo, exec_lo, s72
	s_cbranch_execnz .LBB62_491
; %bb.492:
	s_or_b32 exec_lo, exec_lo, s72
.LBB62_493:
	s_or_b32 exec_lo, exec_lo, s5
.LBB62_494:
	s_or_b32 exec_lo, exec_lo, s8
	v_mov_b32_e32 v53, 0
	ds_read_b128 v[53:56], v53 offset:416
	s_waitcnt lgkmcnt(0)
	v_mul_f64 v[57:58], v[3:4], v[55:56]
	v_mul_f64 v[55:56], v[1:2], v[55:56]
	v_fma_f64 v[1:2], v[1:2], v[53:54], -v[57:58]
	v_fma_f64 v[3:4], v[3:4], v[53:54], v[55:56]
	buffer_store_dword v2, off, s[0:3], 0 offset:420
	buffer_store_dword v1, off, s[0:3], 0 offset:416
	;; [unrolled: 1-line block ×4, first 2 shown]
.LBB62_495:
	s_or_b32 exec_lo, exec_lo, s6
	v_mov_b32_e32 v4, s47
	v_cmp_lt_u32_e64 s5, 25, v0
	s_clause 0x3
	buffer_load_dword v1, v4, s[0:3], 0 offen
	buffer_load_dword v2, v4, s[0:3], 0 offen offset:4
	buffer_load_dword v3, v4, s[0:3], 0 offen offset:8
	;; [unrolled: 1-line block ×3, first 2 shown]
	s_waitcnt vmcnt(0)
	ds_write_b128 v48, v[1:4]
	s_waitcnt lgkmcnt(0)
	s_waitcnt_vscnt null, 0x0
	s_barrier
	buffer_gl0_inv
	s_and_saveexec_b32 s6, s5
	s_cbranch_execz .LBB62_509
; %bb.496:
	ds_read_b128 v[1:4], v48
	s_andn2_b32 vcc_lo, exec_lo, s7
	s_cbranch_vccnz .LBB62_498
; %bb.497:
	s_clause 0x3
	buffer_load_dword v53, v47, s[0:3], 0 offen offset:8
	buffer_load_dword v54, v47, s[0:3], 0 offen offset:12
	buffer_load_dword v55, v47, s[0:3], 0 offen
	buffer_load_dword v56, v47, s[0:3], 0 offen offset:4
	s_waitcnt vmcnt(2) lgkmcnt(0)
	v_mul_f64 v[57:58], v[3:4], v[53:54]
	v_mul_f64 v[53:54], v[1:2], v[53:54]
	s_waitcnt vmcnt(0)
	v_fma_f64 v[1:2], v[1:2], v[55:56], -v[57:58]
	v_fma_f64 v[3:4], v[3:4], v[55:56], v[53:54]
.LBB62_498:
	s_and_saveexec_b32 s8, s4
	s_cbranch_execz .LBB62_508
; %bb.499:
	v_subrev_nc_u32_e32 v54, 27, v0
	v_mov_b32_e32 v55, 26
	v_subrev_nc_u32_e32 v53, 26, v0
	s_mov_b32 s4, exec_lo
	v_cmpx_lt_u32_e32 6, v54
	s_cbranch_execz .LBB62_503
; %bb.500:
	v_and_b32_e32 v54, -8, v53
	s_movk_i32 s73, 0x590
	s_mov_b32 s72, 0
	s_mov_b32 s74, s46
	;; [unrolled: 1-line block ×3, first 2 shown]
.LBB62_501:                             ; =>This Inner Loop Header: Depth=1
	v_mov_b32_e32 v55, s74
	v_mov_b32_e32 v184, s73
	s_add_i32 s76, s75, 8
	s_add_i32 s75, s75, 34
	v_cmp_eq_u32_e32 vcc_lo, s76, v54
	s_clause 0x1f
	buffer_load_dword v59, v55, s[0:3], 0 offen offset:8
	buffer_load_dword v60, v55, s[0:3], 0 offen offset:12
	buffer_load_dword v69, v55, s[0:3], 0 offen
	buffer_load_dword v70, v55, s[0:3], 0 offen offset:4
	buffer_load_dword v71, v55, s[0:3], 0 offen offset:24
	;; [unrolled: 1-line block ×29, first 2 shown]
	ds_read_b128 v[55:58], v184
	ds_read_b128 v[65:68], v184 offset:16
	s_addk_i32 s73, 0x80
	s_addk_i32 s74, 0x80
	s_or_b32 s72, vcc_lo, s72
	s_waitcnt vmcnt(30) lgkmcnt(1)
	v_mul_f64 v[176:177], v[57:58], v[59:60]
	v_mul_f64 v[59:60], v[55:56], v[59:60]
	s_waitcnt vmcnt(26) lgkmcnt(0)
	v_mul_f64 v[178:179], v[67:68], v[71:72]
	v_mul_f64 v[180:181], v[65:66], v[71:72]
	v_fma_f64 v[176:177], v[55:56], v[69:70], -v[176:177]
	v_fma_f64 v[59:60], v[57:58], v[69:70], v[59:60]
	ds_read_b128 v[55:58], v184 offset:32
	ds_read_b128 v[69:72], v184 offset:48
	s_waitcnt vmcnt(24)
	v_fma_f64 v[65:66], v[65:66], v[73:74], -v[178:179]
	v_fma_f64 v[67:68], v[67:68], v[73:74], v[180:181]
	s_waitcnt vmcnt(22) lgkmcnt(1)
	v_mul_f64 v[182:183], v[57:58], v[75:76]
	v_mul_f64 v[75:76], v[55:56], v[75:76]
	v_add_f64 v[1:2], v[1:2], v[176:177]
	v_add_f64 v[3:4], v[3:4], v[59:60]
	s_waitcnt vmcnt(18) lgkmcnt(0)
	v_mul_f64 v[59:60], v[71:72], v[156:157]
	v_mul_f64 v[73:74], v[69:70], v[156:157]
	v_fma_f64 v[156:157], v[55:56], v[154:155], -v[182:183]
	v_fma_f64 v[75:76], v[57:58], v[154:155], v[75:76]
	v_add_f64 v[65:66], v[1:2], v[65:66]
	v_add_f64 v[67:68], v[3:4], v[67:68]
	ds_read_b128 v[1:4], v184 offset:64
	ds_read_b128 v[55:58], v184 offset:80
	s_waitcnt vmcnt(16)
	v_fma_f64 v[59:60], v[69:70], v[158:159], -v[59:60]
	v_fma_f64 v[69:70], v[71:72], v[158:159], v[73:74]
	s_waitcnt vmcnt(12) lgkmcnt(1)
	v_mul_f64 v[154:155], v[3:4], v[160:161]
	v_mul_f64 v[160:161], v[1:2], v[160:161]
	v_add_f64 v[65:66], v[65:66], v[156:157]
	v_add_f64 v[67:68], v[67:68], v[75:76]
	s_waitcnt vmcnt(10) lgkmcnt(0)
	v_mul_f64 v[71:72], v[57:58], v[162:163]
	v_mul_f64 v[73:74], v[55:56], v[162:163]
	s_waitcnt vmcnt(8)
	v_fma_f64 v[75:76], v[1:2], v[166:167], -v[154:155]
	v_fma_f64 v[154:155], v[3:4], v[166:167], v[160:161]
	v_add_f64 v[59:60], v[65:66], v[59:60]
	v_add_f64 v[69:70], v[67:68], v[69:70]
	ds_read_b128 v[1:4], v184 offset:96
	ds_read_b128 v[65:68], v184 offset:112
	v_fma_f64 v[55:56], v[55:56], v[164:165], -v[71:72]
	v_fma_f64 v[57:58], v[57:58], v[164:165], v[73:74]
	s_waitcnt vmcnt(4) lgkmcnt(1)
	v_mul_f64 v[156:157], v[3:4], v[168:169]
	v_mul_f64 v[158:159], v[1:2], v[168:169]
	v_add_f64 v[59:60], v[59:60], v[75:76]
	v_add_f64 v[69:70], v[69:70], v[154:155]
	s_waitcnt vmcnt(2) lgkmcnt(0)
	v_mul_f64 v[71:72], v[67:68], v[170:171]
	v_mul_f64 v[73:74], v[65:66], v[170:171]
	s_waitcnt vmcnt(0)
	v_fma_f64 v[1:2], v[1:2], v[174:175], -v[156:157]
	v_fma_f64 v[3:4], v[3:4], v[174:175], v[158:159]
	v_add_f64 v[55:56], v[59:60], v[55:56]
	v_add_f64 v[57:58], v[69:70], v[57:58]
	v_fma_f64 v[59:60], v[65:66], v[172:173], -v[71:72]
	v_fma_f64 v[65:66], v[67:68], v[172:173], v[73:74]
	v_add_f64 v[1:2], v[55:56], v[1:2]
	v_add_f64 v[3:4], v[57:58], v[3:4]
	v_mov_b32_e32 v55, s75
	s_mov_b32 s75, s76
	v_add_f64 v[1:2], v[1:2], v[59:60]
	v_add_f64 v[3:4], v[3:4], v[65:66]
	s_andn2_b32 exec_lo, exec_lo, s72
	s_cbranch_execnz .LBB62_501
; %bb.502:
	s_or_b32 exec_lo, exec_lo, s72
.LBB62_503:
	s_or_b32 exec_lo, exec_lo, s4
	v_and_b32_e32 v53, 7, v53
	s_mov_b32 s72, 0
	s_mov_b32 s4, exec_lo
	v_cmpx_ne_u32_e32 0, v53
	s_cbranch_execz .LBB62_507
; %bb.504:
	v_lshlrev_b32_e32 v55, 4, v55
	v_add_nc_u32_e32 v54, 0x3f0, v55
	.p2align	6
.LBB62_505:                             ; =>This Inner Loop Header: Depth=1
	s_clause 0x3
	buffer_load_dword v65, v55, s[0:3], 0 offen offset:8
	buffer_load_dword v66, v55, s[0:3], 0 offen offset:12
	buffer_load_dword v67, v55, s[0:3], 0 offen
	buffer_load_dword v68, v55, s[0:3], 0 offen offset:4
	ds_read_b128 v[56:59], v54
	v_add_nc_u32_e32 v53, -1, v53
	v_add_nc_u32_e32 v54, 16, v54
	v_add_nc_u32_e32 v55, 16, v55
	v_cmp_eq_u32_e32 vcc_lo, 0, v53
	s_or_b32 s72, vcc_lo, s72
	s_waitcnt vmcnt(2) lgkmcnt(0)
	v_mul_f64 v[69:70], v[58:59], v[65:66]
	v_mul_f64 v[65:66], v[56:57], v[65:66]
	s_waitcnt vmcnt(0)
	v_fma_f64 v[56:57], v[56:57], v[67:68], -v[69:70]
	v_fma_f64 v[58:59], v[58:59], v[67:68], v[65:66]
	v_add_f64 v[1:2], v[1:2], v[56:57]
	v_add_f64 v[3:4], v[3:4], v[58:59]
	s_andn2_b32 exec_lo, exec_lo, s72
	s_cbranch_execnz .LBB62_505
; %bb.506:
	s_or_b32 exec_lo, exec_lo, s72
.LBB62_507:
	s_or_b32 exec_lo, exec_lo, s4
.LBB62_508:
	s_or_b32 exec_lo, exec_lo, s8
	v_mov_b32_e32 v53, 0
	ds_read_b128 v[53:56], v53 offset:400
	s_waitcnt lgkmcnt(0)
	v_mul_f64 v[57:58], v[3:4], v[55:56]
	v_mul_f64 v[55:56], v[1:2], v[55:56]
	v_fma_f64 v[1:2], v[1:2], v[53:54], -v[57:58]
	v_fma_f64 v[3:4], v[3:4], v[53:54], v[55:56]
	buffer_store_dword v2, off, s[0:3], 0 offset:404
	buffer_store_dword v1, off, s[0:3], 0 offset:400
	;; [unrolled: 1-line block ×4, first 2 shown]
.LBB62_509:
	s_or_b32 exec_lo, exec_lo, s6
	v_mov_b32_e32 v4, s48
	v_cmp_lt_u32_e64 s4, 24, v0
	s_clause 0x3
	buffer_load_dword v1, v4, s[0:3], 0 offen
	buffer_load_dword v2, v4, s[0:3], 0 offen offset:4
	buffer_load_dword v3, v4, s[0:3], 0 offen offset:8
	;; [unrolled: 1-line block ×3, first 2 shown]
	s_waitcnt vmcnt(0)
	ds_write_b128 v48, v[1:4]
	s_waitcnt lgkmcnt(0)
	s_waitcnt_vscnt null, 0x0
	s_barrier
	buffer_gl0_inv
	s_and_saveexec_b32 s6, s4
	s_cbranch_execz .LBB62_523
; %bb.510:
	ds_read_b128 v[1:4], v48
	s_andn2_b32 vcc_lo, exec_lo, s7
	s_cbranch_vccnz .LBB62_512
; %bb.511:
	s_clause 0x3
	buffer_load_dword v53, v47, s[0:3], 0 offen offset:8
	buffer_load_dword v54, v47, s[0:3], 0 offen offset:12
	buffer_load_dword v55, v47, s[0:3], 0 offen
	buffer_load_dword v56, v47, s[0:3], 0 offen offset:4
	s_waitcnt vmcnt(2) lgkmcnt(0)
	v_mul_f64 v[57:58], v[3:4], v[53:54]
	v_mul_f64 v[53:54], v[1:2], v[53:54]
	s_waitcnt vmcnt(0)
	v_fma_f64 v[1:2], v[1:2], v[55:56], -v[57:58]
	v_fma_f64 v[3:4], v[3:4], v[55:56], v[53:54]
.LBB62_512:
	s_and_saveexec_b32 s8, s5
	s_cbranch_execz .LBB62_522
; %bb.513:
	v_subrev_nc_u32_e32 v54, 26, v0
	v_mov_b32_e32 v55, 25
	v_subrev_nc_u32_e32 v53, 25, v0
	s_mov_b32 s5, exec_lo
	v_cmpx_lt_u32_e32 6, v54
	s_cbranch_execz .LBB62_517
; %bb.514:
	v_and_b32_e32 v54, -8, v53
	s_movk_i32 s73, 0x580
	s_mov_b32 s72, 0
	s_mov_b32 s74, s47
	;; [unrolled: 1-line block ×3, first 2 shown]
.LBB62_515:                             ; =>This Inner Loop Header: Depth=1
	v_mov_b32_e32 v55, s74
	v_mov_b32_e32 v184, s73
	s_add_i32 s76, s75, 8
	s_add_i32 s75, s75, 33
	v_cmp_eq_u32_e32 vcc_lo, s76, v54
	s_clause 0x1f
	buffer_load_dword v59, v55, s[0:3], 0 offen offset:8
	buffer_load_dword v60, v55, s[0:3], 0 offen offset:12
	buffer_load_dword v69, v55, s[0:3], 0 offen
	buffer_load_dword v70, v55, s[0:3], 0 offen offset:4
	buffer_load_dword v71, v55, s[0:3], 0 offen offset:24
	;; [unrolled: 1-line block ×29, first 2 shown]
	ds_read_b128 v[55:58], v184
	ds_read_b128 v[65:68], v184 offset:16
	s_addk_i32 s73, 0x80
	s_addk_i32 s74, 0x80
	s_or_b32 s72, vcc_lo, s72
	s_waitcnt vmcnt(30) lgkmcnt(1)
	v_mul_f64 v[176:177], v[57:58], v[59:60]
	v_mul_f64 v[59:60], v[55:56], v[59:60]
	s_waitcnt vmcnt(26) lgkmcnt(0)
	v_mul_f64 v[178:179], v[67:68], v[71:72]
	v_mul_f64 v[180:181], v[65:66], v[71:72]
	v_fma_f64 v[176:177], v[55:56], v[69:70], -v[176:177]
	v_fma_f64 v[59:60], v[57:58], v[69:70], v[59:60]
	ds_read_b128 v[55:58], v184 offset:32
	ds_read_b128 v[69:72], v184 offset:48
	s_waitcnt vmcnt(24)
	v_fma_f64 v[65:66], v[65:66], v[73:74], -v[178:179]
	v_fma_f64 v[67:68], v[67:68], v[73:74], v[180:181]
	s_waitcnt vmcnt(22) lgkmcnt(1)
	v_mul_f64 v[182:183], v[57:58], v[75:76]
	v_mul_f64 v[75:76], v[55:56], v[75:76]
	v_add_f64 v[1:2], v[1:2], v[176:177]
	v_add_f64 v[3:4], v[3:4], v[59:60]
	s_waitcnt vmcnt(18) lgkmcnt(0)
	v_mul_f64 v[59:60], v[71:72], v[156:157]
	v_mul_f64 v[73:74], v[69:70], v[156:157]
	v_fma_f64 v[156:157], v[55:56], v[154:155], -v[182:183]
	v_fma_f64 v[75:76], v[57:58], v[154:155], v[75:76]
	v_add_f64 v[65:66], v[1:2], v[65:66]
	v_add_f64 v[67:68], v[3:4], v[67:68]
	ds_read_b128 v[1:4], v184 offset:64
	ds_read_b128 v[55:58], v184 offset:80
	s_waitcnt vmcnt(16)
	v_fma_f64 v[59:60], v[69:70], v[158:159], -v[59:60]
	v_fma_f64 v[69:70], v[71:72], v[158:159], v[73:74]
	s_waitcnt vmcnt(12) lgkmcnt(1)
	v_mul_f64 v[154:155], v[3:4], v[160:161]
	v_mul_f64 v[160:161], v[1:2], v[160:161]
	v_add_f64 v[65:66], v[65:66], v[156:157]
	v_add_f64 v[67:68], v[67:68], v[75:76]
	s_waitcnt vmcnt(10) lgkmcnt(0)
	v_mul_f64 v[71:72], v[57:58], v[162:163]
	v_mul_f64 v[73:74], v[55:56], v[162:163]
	s_waitcnt vmcnt(8)
	v_fma_f64 v[75:76], v[1:2], v[166:167], -v[154:155]
	v_fma_f64 v[154:155], v[3:4], v[166:167], v[160:161]
	v_add_f64 v[59:60], v[65:66], v[59:60]
	v_add_f64 v[69:70], v[67:68], v[69:70]
	ds_read_b128 v[1:4], v184 offset:96
	ds_read_b128 v[65:68], v184 offset:112
	v_fma_f64 v[55:56], v[55:56], v[164:165], -v[71:72]
	v_fma_f64 v[57:58], v[57:58], v[164:165], v[73:74]
	s_waitcnt vmcnt(4) lgkmcnt(1)
	v_mul_f64 v[156:157], v[3:4], v[168:169]
	v_mul_f64 v[158:159], v[1:2], v[168:169]
	v_add_f64 v[59:60], v[59:60], v[75:76]
	v_add_f64 v[69:70], v[69:70], v[154:155]
	s_waitcnt vmcnt(2) lgkmcnt(0)
	v_mul_f64 v[71:72], v[67:68], v[170:171]
	v_mul_f64 v[73:74], v[65:66], v[170:171]
	s_waitcnt vmcnt(0)
	v_fma_f64 v[1:2], v[1:2], v[174:175], -v[156:157]
	v_fma_f64 v[3:4], v[3:4], v[174:175], v[158:159]
	v_add_f64 v[55:56], v[59:60], v[55:56]
	v_add_f64 v[57:58], v[69:70], v[57:58]
	v_fma_f64 v[59:60], v[65:66], v[172:173], -v[71:72]
	v_fma_f64 v[65:66], v[67:68], v[172:173], v[73:74]
	v_add_f64 v[1:2], v[55:56], v[1:2]
	v_add_f64 v[3:4], v[57:58], v[3:4]
	v_mov_b32_e32 v55, s75
	s_mov_b32 s75, s76
	v_add_f64 v[1:2], v[1:2], v[59:60]
	v_add_f64 v[3:4], v[3:4], v[65:66]
	s_andn2_b32 exec_lo, exec_lo, s72
	s_cbranch_execnz .LBB62_515
; %bb.516:
	s_or_b32 exec_lo, exec_lo, s72
.LBB62_517:
	s_or_b32 exec_lo, exec_lo, s5
	v_and_b32_e32 v53, 7, v53
	s_mov_b32 s72, 0
	s_mov_b32 s5, exec_lo
	v_cmpx_ne_u32_e32 0, v53
	s_cbranch_execz .LBB62_521
; %bb.518:
	v_lshlrev_b32_e32 v55, 4, v55
	v_add_nc_u32_e32 v54, 0x3f0, v55
	.p2align	6
.LBB62_519:                             ; =>This Inner Loop Header: Depth=1
	s_clause 0x3
	buffer_load_dword v65, v55, s[0:3], 0 offen offset:8
	buffer_load_dword v66, v55, s[0:3], 0 offen offset:12
	buffer_load_dword v67, v55, s[0:3], 0 offen
	buffer_load_dword v68, v55, s[0:3], 0 offen offset:4
	ds_read_b128 v[56:59], v54
	v_add_nc_u32_e32 v53, -1, v53
	v_add_nc_u32_e32 v54, 16, v54
	v_add_nc_u32_e32 v55, 16, v55
	v_cmp_eq_u32_e32 vcc_lo, 0, v53
	s_or_b32 s72, vcc_lo, s72
	s_waitcnt vmcnt(2) lgkmcnt(0)
	v_mul_f64 v[69:70], v[58:59], v[65:66]
	v_mul_f64 v[65:66], v[56:57], v[65:66]
	s_waitcnt vmcnt(0)
	v_fma_f64 v[56:57], v[56:57], v[67:68], -v[69:70]
	v_fma_f64 v[58:59], v[58:59], v[67:68], v[65:66]
	v_add_f64 v[1:2], v[1:2], v[56:57]
	v_add_f64 v[3:4], v[3:4], v[58:59]
	s_andn2_b32 exec_lo, exec_lo, s72
	s_cbranch_execnz .LBB62_519
; %bb.520:
	s_or_b32 exec_lo, exec_lo, s72
.LBB62_521:
	s_or_b32 exec_lo, exec_lo, s5
.LBB62_522:
	s_or_b32 exec_lo, exec_lo, s8
	v_mov_b32_e32 v53, 0
	ds_read_b128 v[53:56], v53 offset:384
	s_waitcnt lgkmcnt(0)
	v_mul_f64 v[57:58], v[3:4], v[55:56]
	v_mul_f64 v[55:56], v[1:2], v[55:56]
	v_fma_f64 v[1:2], v[1:2], v[53:54], -v[57:58]
	v_fma_f64 v[3:4], v[3:4], v[53:54], v[55:56]
	buffer_store_dword v2, off, s[0:3], 0 offset:388
	buffer_store_dword v1, off, s[0:3], 0 offset:384
	;; [unrolled: 1-line block ×4, first 2 shown]
.LBB62_523:
	s_or_b32 exec_lo, exec_lo, s6
	v_mov_b32_e32 v4, s49
	v_cmp_lt_u32_e64 s5, 23, v0
	s_clause 0x3
	buffer_load_dword v1, v4, s[0:3], 0 offen
	buffer_load_dword v2, v4, s[0:3], 0 offen offset:4
	buffer_load_dword v3, v4, s[0:3], 0 offen offset:8
	;; [unrolled: 1-line block ×3, first 2 shown]
	s_waitcnt vmcnt(0)
	ds_write_b128 v48, v[1:4]
	s_waitcnt lgkmcnt(0)
	s_waitcnt_vscnt null, 0x0
	s_barrier
	buffer_gl0_inv
	s_and_saveexec_b32 s6, s5
	s_cbranch_execz .LBB62_537
; %bb.524:
	ds_read_b128 v[1:4], v48
	s_andn2_b32 vcc_lo, exec_lo, s7
	s_cbranch_vccnz .LBB62_526
; %bb.525:
	s_clause 0x3
	buffer_load_dword v53, v47, s[0:3], 0 offen offset:8
	buffer_load_dword v54, v47, s[0:3], 0 offen offset:12
	buffer_load_dword v55, v47, s[0:3], 0 offen
	buffer_load_dword v56, v47, s[0:3], 0 offen offset:4
	s_waitcnt vmcnt(2) lgkmcnt(0)
	v_mul_f64 v[57:58], v[3:4], v[53:54]
	v_mul_f64 v[53:54], v[1:2], v[53:54]
	s_waitcnt vmcnt(0)
	v_fma_f64 v[1:2], v[1:2], v[55:56], -v[57:58]
	v_fma_f64 v[3:4], v[3:4], v[55:56], v[53:54]
.LBB62_526:
	s_and_saveexec_b32 s8, s4
	s_cbranch_execz .LBB62_536
; %bb.527:
	v_subrev_nc_u32_e32 v53, 25, v0
	v_cmp_lt_u32_e32 vcc_lo, 6, v53
	v_mov_b32_e32 v53, 24
	s_and_saveexec_b32 s4, vcc_lo
	s_cbranch_execz .LBB62_531
; %bb.528:
	v_and_b32_e32 v53, 56, v0
	s_mov_b32 s72, 24
	s_movk_i32 s74, 0x570
	s_mov_b32 s73, 0
	s_mov_b32 s75, s48
.LBB62_529:                             ; =>This Inner Loop Header: Depth=1
	v_mov_b32_e32 v54, s75
	v_mov_b32_e32 v60, s74
	s_add_i32 s72, s72, 8
	s_addk_i32 s74, 0x80
	v_cmp_eq_u32_e32 vcc_lo, s72, v53
	s_clause 0x1f
	buffer_load_dword v58, v54, s[0:3], 0 offen offset:8
	buffer_load_dword v59, v54, s[0:3], 0 offen offset:12
	buffer_load_dword v69, v54, s[0:3], 0 offen
	buffer_load_dword v70, v54, s[0:3], 0 offen offset:4
	buffer_load_dword v71, v54, s[0:3], 0 offen offset:24
	;; [unrolled: 1-line block ×29, first 2 shown]
	ds_read_b128 v[54:57], v60
	ds_read_b128 v[65:68], v60 offset:16
	s_addk_i32 s75, 0x80
	s_or_b32 s73, vcc_lo, s73
	s_waitcnt vmcnt(30) lgkmcnt(1)
	v_mul_f64 v[176:177], v[56:57], v[58:59]
	v_mul_f64 v[58:59], v[54:55], v[58:59]
	s_waitcnt vmcnt(26) lgkmcnt(0)
	v_mul_f64 v[178:179], v[67:68], v[71:72]
	v_mul_f64 v[180:181], v[65:66], v[71:72]
	v_fma_f64 v[176:177], v[54:55], v[69:70], -v[176:177]
	v_fma_f64 v[58:59], v[56:57], v[69:70], v[58:59]
	ds_read_b128 v[54:57], v60 offset:32
	ds_read_b128 v[69:72], v60 offset:48
	s_waitcnt vmcnt(24)
	v_fma_f64 v[65:66], v[65:66], v[73:74], -v[178:179]
	v_fma_f64 v[67:68], v[67:68], v[73:74], v[180:181]
	s_waitcnt vmcnt(22) lgkmcnt(1)
	v_mul_f64 v[182:183], v[56:57], v[75:76]
	v_mul_f64 v[75:76], v[54:55], v[75:76]
	v_add_f64 v[1:2], v[1:2], v[176:177]
	v_add_f64 v[3:4], v[3:4], v[58:59]
	s_waitcnt vmcnt(18) lgkmcnt(0)
	v_mul_f64 v[58:59], v[71:72], v[156:157]
	v_mul_f64 v[73:74], v[69:70], v[156:157]
	v_fma_f64 v[156:157], v[54:55], v[154:155], -v[182:183]
	v_fma_f64 v[75:76], v[56:57], v[154:155], v[75:76]
	v_add_f64 v[65:66], v[1:2], v[65:66]
	v_add_f64 v[67:68], v[3:4], v[67:68]
	ds_read_b128 v[1:4], v60 offset:64
	ds_read_b128 v[54:57], v60 offset:80
	s_waitcnt vmcnt(16)
	v_fma_f64 v[58:59], v[69:70], v[158:159], -v[58:59]
	v_fma_f64 v[69:70], v[71:72], v[158:159], v[73:74]
	s_waitcnt vmcnt(12) lgkmcnt(1)
	v_mul_f64 v[154:155], v[3:4], v[160:161]
	v_mul_f64 v[160:161], v[1:2], v[160:161]
	v_add_f64 v[65:66], v[65:66], v[156:157]
	v_add_f64 v[67:68], v[67:68], v[75:76]
	s_waitcnt vmcnt(10) lgkmcnt(0)
	v_mul_f64 v[71:72], v[56:57], v[162:163]
	v_mul_f64 v[73:74], v[54:55], v[162:163]
	s_waitcnt vmcnt(8)
	v_fma_f64 v[75:76], v[1:2], v[166:167], -v[154:155]
	v_fma_f64 v[154:155], v[3:4], v[166:167], v[160:161]
	v_add_f64 v[58:59], v[65:66], v[58:59]
	v_add_f64 v[69:70], v[67:68], v[69:70]
	ds_read_b128 v[1:4], v60 offset:96
	ds_read_b128 v[65:68], v60 offset:112
	v_fma_f64 v[54:55], v[54:55], v[164:165], -v[71:72]
	v_fma_f64 v[56:57], v[56:57], v[164:165], v[73:74]
	s_waitcnt vmcnt(4) lgkmcnt(1)
	v_mul_f64 v[156:157], v[3:4], v[168:169]
	v_mul_f64 v[158:159], v[1:2], v[168:169]
	v_add_f64 v[58:59], v[58:59], v[75:76]
	v_add_f64 v[69:70], v[69:70], v[154:155]
	s_waitcnt vmcnt(2) lgkmcnt(0)
	v_mul_f64 v[71:72], v[67:68], v[170:171]
	v_mul_f64 v[73:74], v[65:66], v[170:171]
	s_waitcnt vmcnt(0)
	v_fma_f64 v[1:2], v[1:2], v[174:175], -v[156:157]
	v_fma_f64 v[3:4], v[3:4], v[174:175], v[158:159]
	v_add_f64 v[54:55], v[58:59], v[54:55]
	v_add_f64 v[56:57], v[69:70], v[56:57]
	v_fma_f64 v[58:59], v[65:66], v[172:173], -v[71:72]
	v_fma_f64 v[65:66], v[67:68], v[172:173], v[73:74]
	v_add_f64 v[1:2], v[54:55], v[1:2]
	v_add_f64 v[3:4], v[56:57], v[3:4]
	;; [unrolled: 1-line block ×4, first 2 shown]
	s_andn2_b32 exec_lo, exec_lo, s73
	s_cbranch_execnz .LBB62_529
; %bb.530:
	s_or_b32 exec_lo, exec_lo, s73
.LBB62_531:
	s_or_b32 exec_lo, exec_lo, s4
	v_and_b32_e32 v54, 7, v0
	s_mov_b32 s72, 0
	s_mov_b32 s4, exec_lo
	v_cmpx_ne_u32_e32 0, v54
	s_cbranch_execz .LBB62_535
; %bb.532:
	v_lshlrev_b32_e32 v55, 4, v53
	v_add_nc_u32_e32 v53, 0x3f0, v55
	.p2align	6
.LBB62_533:                             ; =>This Inner Loop Header: Depth=1
	s_clause 0x3
	buffer_load_dword v65, v55, s[0:3], 0 offen offset:8
	buffer_load_dword v66, v55, s[0:3], 0 offen offset:12
	buffer_load_dword v67, v55, s[0:3], 0 offen
	buffer_load_dword v68, v55, s[0:3], 0 offen offset:4
	ds_read_b128 v[56:59], v53
	v_add_nc_u32_e32 v54, -1, v54
	v_add_nc_u32_e32 v53, 16, v53
	v_add_nc_u32_e32 v55, 16, v55
	v_cmp_eq_u32_e32 vcc_lo, 0, v54
	s_or_b32 s72, vcc_lo, s72
	s_waitcnt vmcnt(2) lgkmcnt(0)
	v_mul_f64 v[69:70], v[58:59], v[65:66]
	v_mul_f64 v[65:66], v[56:57], v[65:66]
	s_waitcnt vmcnt(0)
	v_fma_f64 v[56:57], v[56:57], v[67:68], -v[69:70]
	v_fma_f64 v[58:59], v[58:59], v[67:68], v[65:66]
	v_add_f64 v[1:2], v[1:2], v[56:57]
	v_add_f64 v[3:4], v[3:4], v[58:59]
	s_andn2_b32 exec_lo, exec_lo, s72
	s_cbranch_execnz .LBB62_533
; %bb.534:
	s_or_b32 exec_lo, exec_lo, s72
.LBB62_535:
	s_or_b32 exec_lo, exec_lo, s4
.LBB62_536:
	s_or_b32 exec_lo, exec_lo, s8
	v_mov_b32_e32 v53, 0
	ds_read_b128 v[53:56], v53 offset:368
	s_waitcnt lgkmcnt(0)
	v_mul_f64 v[57:58], v[3:4], v[55:56]
	v_mul_f64 v[55:56], v[1:2], v[55:56]
	v_fma_f64 v[1:2], v[1:2], v[53:54], -v[57:58]
	v_fma_f64 v[3:4], v[3:4], v[53:54], v[55:56]
	buffer_store_dword v2, off, s[0:3], 0 offset:372
	buffer_store_dword v1, off, s[0:3], 0 offset:368
	buffer_store_dword v4, off, s[0:3], 0 offset:380
	buffer_store_dword v3, off, s[0:3], 0 offset:376
.LBB62_537:
	s_or_b32 exec_lo, exec_lo, s6
	v_mov_b32_e32 v4, s50
	v_cmp_lt_u32_e64 s4, 22, v0
	s_clause 0x3
	buffer_load_dword v1, v4, s[0:3], 0 offen
	buffer_load_dword v2, v4, s[0:3], 0 offen offset:4
	buffer_load_dword v3, v4, s[0:3], 0 offen offset:8
	;; [unrolled: 1-line block ×3, first 2 shown]
	s_waitcnt vmcnt(0)
	ds_write_b128 v48, v[1:4]
	s_waitcnt lgkmcnt(0)
	s_waitcnt_vscnt null, 0x0
	s_barrier
	buffer_gl0_inv
	s_and_saveexec_b32 s6, s4
	s_cbranch_execz .LBB62_551
; %bb.538:
	ds_read_b128 v[1:4], v48
	s_andn2_b32 vcc_lo, exec_lo, s7
	s_cbranch_vccnz .LBB62_540
; %bb.539:
	s_clause 0x3
	buffer_load_dword v53, v47, s[0:3], 0 offen offset:8
	buffer_load_dword v54, v47, s[0:3], 0 offen offset:12
	buffer_load_dword v55, v47, s[0:3], 0 offen
	buffer_load_dword v56, v47, s[0:3], 0 offen offset:4
	s_waitcnt vmcnt(2) lgkmcnt(0)
	v_mul_f64 v[57:58], v[3:4], v[53:54]
	v_mul_f64 v[53:54], v[1:2], v[53:54]
	s_waitcnt vmcnt(0)
	v_fma_f64 v[1:2], v[1:2], v[55:56], -v[57:58]
	v_fma_f64 v[3:4], v[3:4], v[55:56], v[53:54]
.LBB62_540:
	s_and_saveexec_b32 s8, s5
	s_cbranch_execz .LBB62_550
; %bb.541:
	v_subrev_nc_u32_e32 v54, 24, v0
	v_mov_b32_e32 v55, 23
	v_subrev_nc_u32_e32 v53, 23, v0
	s_mov_b32 s5, exec_lo
	v_cmpx_lt_u32_e32 6, v54
	s_cbranch_execz .LBB62_545
; %bb.542:
	v_and_b32_e32 v54, -8, v53
	s_movk_i32 s73, 0x560
	s_mov_b32 s72, 0
	s_mov_b32 s74, s49
	;; [unrolled: 1-line block ×3, first 2 shown]
.LBB62_543:                             ; =>This Inner Loop Header: Depth=1
	v_mov_b32_e32 v55, s74
	v_mov_b32_e32 v184, s73
	s_add_i32 s76, s75, 8
	s_add_i32 s75, s75, 31
	v_cmp_eq_u32_e32 vcc_lo, s76, v54
	s_clause 0x1f
	buffer_load_dword v59, v55, s[0:3], 0 offen offset:8
	buffer_load_dword v60, v55, s[0:3], 0 offen offset:12
	buffer_load_dword v69, v55, s[0:3], 0 offen
	buffer_load_dword v70, v55, s[0:3], 0 offen offset:4
	buffer_load_dword v71, v55, s[0:3], 0 offen offset:24
	;; [unrolled: 1-line block ×29, first 2 shown]
	ds_read_b128 v[55:58], v184
	ds_read_b128 v[65:68], v184 offset:16
	s_addk_i32 s73, 0x80
	s_addk_i32 s74, 0x80
	s_or_b32 s72, vcc_lo, s72
	s_waitcnt vmcnt(30) lgkmcnt(1)
	v_mul_f64 v[176:177], v[57:58], v[59:60]
	v_mul_f64 v[59:60], v[55:56], v[59:60]
	s_waitcnt vmcnt(26) lgkmcnt(0)
	v_mul_f64 v[178:179], v[67:68], v[71:72]
	v_mul_f64 v[180:181], v[65:66], v[71:72]
	v_fma_f64 v[176:177], v[55:56], v[69:70], -v[176:177]
	v_fma_f64 v[59:60], v[57:58], v[69:70], v[59:60]
	ds_read_b128 v[55:58], v184 offset:32
	ds_read_b128 v[69:72], v184 offset:48
	s_waitcnt vmcnt(24)
	v_fma_f64 v[65:66], v[65:66], v[73:74], -v[178:179]
	v_fma_f64 v[67:68], v[67:68], v[73:74], v[180:181]
	s_waitcnt vmcnt(22) lgkmcnt(1)
	v_mul_f64 v[182:183], v[57:58], v[75:76]
	v_mul_f64 v[75:76], v[55:56], v[75:76]
	v_add_f64 v[1:2], v[1:2], v[176:177]
	v_add_f64 v[3:4], v[3:4], v[59:60]
	s_waitcnt vmcnt(18) lgkmcnt(0)
	v_mul_f64 v[59:60], v[71:72], v[156:157]
	v_mul_f64 v[73:74], v[69:70], v[156:157]
	v_fma_f64 v[156:157], v[55:56], v[154:155], -v[182:183]
	v_fma_f64 v[75:76], v[57:58], v[154:155], v[75:76]
	v_add_f64 v[65:66], v[1:2], v[65:66]
	v_add_f64 v[67:68], v[3:4], v[67:68]
	ds_read_b128 v[1:4], v184 offset:64
	ds_read_b128 v[55:58], v184 offset:80
	s_waitcnt vmcnt(16)
	v_fma_f64 v[59:60], v[69:70], v[158:159], -v[59:60]
	v_fma_f64 v[69:70], v[71:72], v[158:159], v[73:74]
	s_waitcnt vmcnt(12) lgkmcnt(1)
	v_mul_f64 v[154:155], v[3:4], v[160:161]
	v_mul_f64 v[160:161], v[1:2], v[160:161]
	v_add_f64 v[65:66], v[65:66], v[156:157]
	v_add_f64 v[67:68], v[67:68], v[75:76]
	s_waitcnt vmcnt(10) lgkmcnt(0)
	v_mul_f64 v[71:72], v[57:58], v[162:163]
	v_mul_f64 v[73:74], v[55:56], v[162:163]
	s_waitcnt vmcnt(8)
	v_fma_f64 v[75:76], v[1:2], v[166:167], -v[154:155]
	v_fma_f64 v[154:155], v[3:4], v[166:167], v[160:161]
	v_add_f64 v[59:60], v[65:66], v[59:60]
	v_add_f64 v[69:70], v[67:68], v[69:70]
	ds_read_b128 v[1:4], v184 offset:96
	ds_read_b128 v[65:68], v184 offset:112
	v_fma_f64 v[55:56], v[55:56], v[164:165], -v[71:72]
	v_fma_f64 v[57:58], v[57:58], v[164:165], v[73:74]
	s_waitcnt vmcnt(4) lgkmcnt(1)
	v_mul_f64 v[156:157], v[3:4], v[168:169]
	v_mul_f64 v[158:159], v[1:2], v[168:169]
	v_add_f64 v[59:60], v[59:60], v[75:76]
	v_add_f64 v[69:70], v[69:70], v[154:155]
	s_waitcnt vmcnt(2) lgkmcnt(0)
	v_mul_f64 v[71:72], v[67:68], v[170:171]
	v_mul_f64 v[73:74], v[65:66], v[170:171]
	s_waitcnt vmcnt(0)
	v_fma_f64 v[1:2], v[1:2], v[174:175], -v[156:157]
	v_fma_f64 v[3:4], v[3:4], v[174:175], v[158:159]
	v_add_f64 v[55:56], v[59:60], v[55:56]
	v_add_f64 v[57:58], v[69:70], v[57:58]
	v_fma_f64 v[59:60], v[65:66], v[172:173], -v[71:72]
	v_fma_f64 v[65:66], v[67:68], v[172:173], v[73:74]
	v_add_f64 v[1:2], v[55:56], v[1:2]
	v_add_f64 v[3:4], v[57:58], v[3:4]
	v_mov_b32_e32 v55, s75
	s_mov_b32 s75, s76
	v_add_f64 v[1:2], v[1:2], v[59:60]
	v_add_f64 v[3:4], v[3:4], v[65:66]
	s_andn2_b32 exec_lo, exec_lo, s72
	s_cbranch_execnz .LBB62_543
; %bb.544:
	s_or_b32 exec_lo, exec_lo, s72
.LBB62_545:
	s_or_b32 exec_lo, exec_lo, s5
	v_and_b32_e32 v53, 7, v53
	s_mov_b32 s72, 0
	s_mov_b32 s5, exec_lo
	v_cmpx_ne_u32_e32 0, v53
	s_cbranch_execz .LBB62_549
; %bb.546:
	v_lshlrev_b32_e32 v55, 4, v55
	v_add_nc_u32_e32 v54, 0x3f0, v55
	.p2align	6
.LBB62_547:                             ; =>This Inner Loop Header: Depth=1
	s_clause 0x3
	buffer_load_dword v65, v55, s[0:3], 0 offen offset:8
	buffer_load_dword v66, v55, s[0:3], 0 offen offset:12
	buffer_load_dword v67, v55, s[0:3], 0 offen
	buffer_load_dword v68, v55, s[0:3], 0 offen offset:4
	ds_read_b128 v[56:59], v54
	v_add_nc_u32_e32 v53, -1, v53
	v_add_nc_u32_e32 v54, 16, v54
	v_add_nc_u32_e32 v55, 16, v55
	v_cmp_eq_u32_e32 vcc_lo, 0, v53
	s_or_b32 s72, vcc_lo, s72
	s_waitcnt vmcnt(2) lgkmcnt(0)
	v_mul_f64 v[69:70], v[58:59], v[65:66]
	v_mul_f64 v[65:66], v[56:57], v[65:66]
	s_waitcnt vmcnt(0)
	v_fma_f64 v[56:57], v[56:57], v[67:68], -v[69:70]
	v_fma_f64 v[58:59], v[58:59], v[67:68], v[65:66]
	v_add_f64 v[1:2], v[1:2], v[56:57]
	v_add_f64 v[3:4], v[3:4], v[58:59]
	s_andn2_b32 exec_lo, exec_lo, s72
	s_cbranch_execnz .LBB62_547
; %bb.548:
	s_or_b32 exec_lo, exec_lo, s72
.LBB62_549:
	s_or_b32 exec_lo, exec_lo, s5
.LBB62_550:
	s_or_b32 exec_lo, exec_lo, s8
	v_mov_b32_e32 v53, 0
	ds_read_b128 v[53:56], v53 offset:352
	s_waitcnt lgkmcnt(0)
	v_mul_f64 v[57:58], v[3:4], v[55:56]
	v_mul_f64 v[55:56], v[1:2], v[55:56]
	v_fma_f64 v[1:2], v[1:2], v[53:54], -v[57:58]
	v_fma_f64 v[3:4], v[3:4], v[53:54], v[55:56]
	buffer_store_dword v2, off, s[0:3], 0 offset:356
	buffer_store_dword v1, off, s[0:3], 0 offset:352
	buffer_store_dword v4, off, s[0:3], 0 offset:364
	buffer_store_dword v3, off, s[0:3], 0 offset:360
.LBB62_551:
	s_or_b32 exec_lo, exec_lo, s6
	v_mov_b32_e32 v4, s51
	v_cmp_lt_u32_e64 s5, 21, v0
	s_clause 0x3
	buffer_load_dword v1, v4, s[0:3], 0 offen
	buffer_load_dword v2, v4, s[0:3], 0 offen offset:4
	buffer_load_dword v3, v4, s[0:3], 0 offen offset:8
	;; [unrolled: 1-line block ×3, first 2 shown]
	s_waitcnt vmcnt(0)
	ds_write_b128 v48, v[1:4]
	s_waitcnt lgkmcnt(0)
	s_waitcnt_vscnt null, 0x0
	s_barrier
	buffer_gl0_inv
	s_and_saveexec_b32 s6, s5
	s_cbranch_execz .LBB62_565
; %bb.552:
	ds_read_b128 v[1:4], v48
	s_andn2_b32 vcc_lo, exec_lo, s7
	s_cbranch_vccnz .LBB62_554
; %bb.553:
	s_clause 0x3
	buffer_load_dword v53, v47, s[0:3], 0 offen offset:8
	buffer_load_dword v54, v47, s[0:3], 0 offen offset:12
	buffer_load_dword v55, v47, s[0:3], 0 offen
	buffer_load_dword v56, v47, s[0:3], 0 offen offset:4
	s_waitcnt vmcnt(2) lgkmcnt(0)
	v_mul_f64 v[57:58], v[3:4], v[53:54]
	v_mul_f64 v[53:54], v[1:2], v[53:54]
	s_waitcnt vmcnt(0)
	v_fma_f64 v[1:2], v[1:2], v[55:56], -v[57:58]
	v_fma_f64 v[3:4], v[3:4], v[55:56], v[53:54]
.LBB62_554:
	s_and_saveexec_b32 s8, s4
	s_cbranch_execz .LBB62_564
; %bb.555:
	v_subrev_nc_u32_e32 v54, 23, v0
	v_mov_b32_e32 v55, 22
	v_subrev_nc_u32_e32 v53, 22, v0
	s_mov_b32 s4, exec_lo
	v_cmpx_lt_u32_e32 6, v54
	s_cbranch_execz .LBB62_559
; %bb.556:
	v_and_b32_e32 v54, -8, v53
	s_movk_i32 s73, 0x550
	s_mov_b32 s72, 0
	s_mov_b32 s74, s50
	;; [unrolled: 1-line block ×3, first 2 shown]
.LBB62_557:                             ; =>This Inner Loop Header: Depth=1
	v_mov_b32_e32 v55, s74
	v_mov_b32_e32 v184, s73
	s_add_i32 s76, s75, 8
	s_add_i32 s75, s75, 30
	v_cmp_eq_u32_e32 vcc_lo, s76, v54
	s_clause 0x1f
	buffer_load_dword v59, v55, s[0:3], 0 offen offset:8
	buffer_load_dword v60, v55, s[0:3], 0 offen offset:12
	buffer_load_dword v69, v55, s[0:3], 0 offen
	buffer_load_dword v70, v55, s[0:3], 0 offen offset:4
	buffer_load_dword v71, v55, s[0:3], 0 offen offset:24
	;; [unrolled: 1-line block ×29, first 2 shown]
	ds_read_b128 v[55:58], v184
	ds_read_b128 v[65:68], v184 offset:16
	s_addk_i32 s73, 0x80
	s_addk_i32 s74, 0x80
	s_or_b32 s72, vcc_lo, s72
	s_waitcnt vmcnt(30) lgkmcnt(1)
	v_mul_f64 v[176:177], v[57:58], v[59:60]
	v_mul_f64 v[59:60], v[55:56], v[59:60]
	s_waitcnt vmcnt(26) lgkmcnt(0)
	v_mul_f64 v[178:179], v[67:68], v[71:72]
	v_mul_f64 v[180:181], v[65:66], v[71:72]
	v_fma_f64 v[176:177], v[55:56], v[69:70], -v[176:177]
	v_fma_f64 v[59:60], v[57:58], v[69:70], v[59:60]
	ds_read_b128 v[55:58], v184 offset:32
	ds_read_b128 v[69:72], v184 offset:48
	s_waitcnt vmcnt(24)
	v_fma_f64 v[65:66], v[65:66], v[73:74], -v[178:179]
	v_fma_f64 v[67:68], v[67:68], v[73:74], v[180:181]
	s_waitcnt vmcnt(22) lgkmcnt(1)
	v_mul_f64 v[182:183], v[57:58], v[75:76]
	v_mul_f64 v[75:76], v[55:56], v[75:76]
	v_add_f64 v[1:2], v[1:2], v[176:177]
	v_add_f64 v[3:4], v[3:4], v[59:60]
	s_waitcnt vmcnt(18) lgkmcnt(0)
	v_mul_f64 v[59:60], v[71:72], v[156:157]
	v_mul_f64 v[73:74], v[69:70], v[156:157]
	v_fma_f64 v[156:157], v[55:56], v[154:155], -v[182:183]
	v_fma_f64 v[75:76], v[57:58], v[154:155], v[75:76]
	v_add_f64 v[65:66], v[1:2], v[65:66]
	v_add_f64 v[67:68], v[3:4], v[67:68]
	ds_read_b128 v[1:4], v184 offset:64
	ds_read_b128 v[55:58], v184 offset:80
	s_waitcnt vmcnt(16)
	v_fma_f64 v[59:60], v[69:70], v[158:159], -v[59:60]
	v_fma_f64 v[69:70], v[71:72], v[158:159], v[73:74]
	s_waitcnt vmcnt(12) lgkmcnt(1)
	v_mul_f64 v[154:155], v[3:4], v[160:161]
	v_mul_f64 v[160:161], v[1:2], v[160:161]
	v_add_f64 v[65:66], v[65:66], v[156:157]
	v_add_f64 v[67:68], v[67:68], v[75:76]
	s_waitcnt vmcnt(10) lgkmcnt(0)
	v_mul_f64 v[71:72], v[57:58], v[162:163]
	v_mul_f64 v[73:74], v[55:56], v[162:163]
	s_waitcnt vmcnt(8)
	v_fma_f64 v[75:76], v[1:2], v[166:167], -v[154:155]
	v_fma_f64 v[154:155], v[3:4], v[166:167], v[160:161]
	v_add_f64 v[59:60], v[65:66], v[59:60]
	v_add_f64 v[69:70], v[67:68], v[69:70]
	ds_read_b128 v[1:4], v184 offset:96
	ds_read_b128 v[65:68], v184 offset:112
	v_fma_f64 v[55:56], v[55:56], v[164:165], -v[71:72]
	v_fma_f64 v[57:58], v[57:58], v[164:165], v[73:74]
	s_waitcnt vmcnt(4) lgkmcnt(1)
	v_mul_f64 v[156:157], v[3:4], v[168:169]
	v_mul_f64 v[158:159], v[1:2], v[168:169]
	v_add_f64 v[59:60], v[59:60], v[75:76]
	v_add_f64 v[69:70], v[69:70], v[154:155]
	s_waitcnt vmcnt(2) lgkmcnt(0)
	v_mul_f64 v[71:72], v[67:68], v[170:171]
	v_mul_f64 v[73:74], v[65:66], v[170:171]
	s_waitcnt vmcnt(0)
	v_fma_f64 v[1:2], v[1:2], v[174:175], -v[156:157]
	v_fma_f64 v[3:4], v[3:4], v[174:175], v[158:159]
	v_add_f64 v[55:56], v[59:60], v[55:56]
	v_add_f64 v[57:58], v[69:70], v[57:58]
	v_fma_f64 v[59:60], v[65:66], v[172:173], -v[71:72]
	v_fma_f64 v[65:66], v[67:68], v[172:173], v[73:74]
	v_add_f64 v[1:2], v[55:56], v[1:2]
	v_add_f64 v[3:4], v[57:58], v[3:4]
	v_mov_b32_e32 v55, s75
	s_mov_b32 s75, s76
	v_add_f64 v[1:2], v[1:2], v[59:60]
	v_add_f64 v[3:4], v[3:4], v[65:66]
	s_andn2_b32 exec_lo, exec_lo, s72
	s_cbranch_execnz .LBB62_557
; %bb.558:
	s_or_b32 exec_lo, exec_lo, s72
.LBB62_559:
	s_or_b32 exec_lo, exec_lo, s4
	v_and_b32_e32 v53, 7, v53
	s_mov_b32 s72, 0
	s_mov_b32 s4, exec_lo
	v_cmpx_ne_u32_e32 0, v53
	s_cbranch_execz .LBB62_563
; %bb.560:
	v_lshlrev_b32_e32 v55, 4, v55
	v_add_nc_u32_e32 v54, 0x3f0, v55
	.p2align	6
.LBB62_561:                             ; =>This Inner Loop Header: Depth=1
	s_clause 0x3
	buffer_load_dword v65, v55, s[0:3], 0 offen offset:8
	buffer_load_dword v66, v55, s[0:3], 0 offen offset:12
	buffer_load_dword v67, v55, s[0:3], 0 offen
	buffer_load_dword v68, v55, s[0:3], 0 offen offset:4
	ds_read_b128 v[56:59], v54
	v_add_nc_u32_e32 v53, -1, v53
	v_add_nc_u32_e32 v54, 16, v54
	v_add_nc_u32_e32 v55, 16, v55
	v_cmp_eq_u32_e32 vcc_lo, 0, v53
	s_or_b32 s72, vcc_lo, s72
	s_waitcnt vmcnt(2) lgkmcnt(0)
	v_mul_f64 v[69:70], v[58:59], v[65:66]
	v_mul_f64 v[65:66], v[56:57], v[65:66]
	s_waitcnt vmcnt(0)
	v_fma_f64 v[56:57], v[56:57], v[67:68], -v[69:70]
	v_fma_f64 v[58:59], v[58:59], v[67:68], v[65:66]
	v_add_f64 v[1:2], v[1:2], v[56:57]
	v_add_f64 v[3:4], v[3:4], v[58:59]
	s_andn2_b32 exec_lo, exec_lo, s72
	s_cbranch_execnz .LBB62_561
; %bb.562:
	s_or_b32 exec_lo, exec_lo, s72
.LBB62_563:
	s_or_b32 exec_lo, exec_lo, s4
.LBB62_564:
	s_or_b32 exec_lo, exec_lo, s8
	v_mov_b32_e32 v53, 0
	ds_read_b128 v[53:56], v53 offset:336
	s_waitcnt lgkmcnt(0)
	v_mul_f64 v[57:58], v[3:4], v[55:56]
	v_mul_f64 v[55:56], v[1:2], v[55:56]
	v_fma_f64 v[1:2], v[1:2], v[53:54], -v[57:58]
	v_fma_f64 v[3:4], v[3:4], v[53:54], v[55:56]
	buffer_store_dword v2, off, s[0:3], 0 offset:340
	buffer_store_dword v1, off, s[0:3], 0 offset:336
	buffer_store_dword v4, off, s[0:3], 0 offset:348
	buffer_store_dword v3, off, s[0:3], 0 offset:344
.LBB62_565:
	s_or_b32 exec_lo, exec_lo, s6
	v_mov_b32_e32 v4, s52
	v_cmp_lt_u32_e64 s4, 20, v0
	s_clause 0x3
	buffer_load_dword v1, v4, s[0:3], 0 offen
	buffer_load_dword v2, v4, s[0:3], 0 offen offset:4
	buffer_load_dword v3, v4, s[0:3], 0 offen offset:8
	;; [unrolled: 1-line block ×3, first 2 shown]
	s_waitcnt vmcnt(0)
	ds_write_b128 v48, v[1:4]
	s_waitcnt lgkmcnt(0)
	s_waitcnt_vscnt null, 0x0
	s_barrier
	buffer_gl0_inv
	s_and_saveexec_b32 s6, s4
	s_cbranch_execz .LBB62_579
; %bb.566:
	ds_read_b128 v[1:4], v48
	s_andn2_b32 vcc_lo, exec_lo, s7
	s_cbranch_vccnz .LBB62_568
; %bb.567:
	s_clause 0x3
	buffer_load_dword v53, v47, s[0:3], 0 offen offset:8
	buffer_load_dword v54, v47, s[0:3], 0 offen offset:12
	buffer_load_dword v55, v47, s[0:3], 0 offen
	buffer_load_dword v56, v47, s[0:3], 0 offen offset:4
	s_waitcnt vmcnt(2) lgkmcnt(0)
	v_mul_f64 v[57:58], v[3:4], v[53:54]
	v_mul_f64 v[53:54], v[1:2], v[53:54]
	s_waitcnt vmcnt(0)
	v_fma_f64 v[1:2], v[1:2], v[55:56], -v[57:58]
	v_fma_f64 v[3:4], v[3:4], v[55:56], v[53:54]
.LBB62_568:
	s_and_saveexec_b32 s8, s5
	s_cbranch_execz .LBB62_578
; %bb.569:
	v_subrev_nc_u32_e32 v54, 22, v0
	v_mov_b32_e32 v55, 21
	v_subrev_nc_u32_e32 v53, 21, v0
	s_mov_b32 s5, exec_lo
	v_cmpx_lt_u32_e32 6, v54
	s_cbranch_execz .LBB62_573
; %bb.570:
	v_and_b32_e32 v54, -8, v53
	s_movk_i32 s73, 0x540
	s_mov_b32 s72, 0
	s_mov_b32 s74, s51
	;; [unrolled: 1-line block ×3, first 2 shown]
.LBB62_571:                             ; =>This Inner Loop Header: Depth=1
	v_mov_b32_e32 v55, s74
	v_mov_b32_e32 v184, s73
	s_add_i32 s76, s75, 8
	s_add_i32 s75, s75, 29
	v_cmp_eq_u32_e32 vcc_lo, s76, v54
	s_clause 0x1f
	buffer_load_dword v59, v55, s[0:3], 0 offen offset:8
	buffer_load_dword v60, v55, s[0:3], 0 offen offset:12
	buffer_load_dword v69, v55, s[0:3], 0 offen
	buffer_load_dword v70, v55, s[0:3], 0 offen offset:4
	buffer_load_dword v71, v55, s[0:3], 0 offen offset:24
	;; [unrolled: 1-line block ×29, first 2 shown]
	ds_read_b128 v[55:58], v184
	ds_read_b128 v[65:68], v184 offset:16
	s_addk_i32 s73, 0x80
	s_addk_i32 s74, 0x80
	s_or_b32 s72, vcc_lo, s72
	s_waitcnt vmcnt(30) lgkmcnt(1)
	v_mul_f64 v[176:177], v[57:58], v[59:60]
	v_mul_f64 v[59:60], v[55:56], v[59:60]
	s_waitcnt vmcnt(26) lgkmcnt(0)
	v_mul_f64 v[178:179], v[67:68], v[71:72]
	v_mul_f64 v[180:181], v[65:66], v[71:72]
	v_fma_f64 v[176:177], v[55:56], v[69:70], -v[176:177]
	v_fma_f64 v[59:60], v[57:58], v[69:70], v[59:60]
	ds_read_b128 v[55:58], v184 offset:32
	ds_read_b128 v[69:72], v184 offset:48
	s_waitcnt vmcnt(24)
	v_fma_f64 v[65:66], v[65:66], v[73:74], -v[178:179]
	v_fma_f64 v[67:68], v[67:68], v[73:74], v[180:181]
	s_waitcnt vmcnt(22) lgkmcnt(1)
	v_mul_f64 v[182:183], v[57:58], v[75:76]
	v_mul_f64 v[75:76], v[55:56], v[75:76]
	v_add_f64 v[1:2], v[1:2], v[176:177]
	v_add_f64 v[3:4], v[3:4], v[59:60]
	s_waitcnt vmcnt(18) lgkmcnt(0)
	v_mul_f64 v[59:60], v[71:72], v[156:157]
	v_mul_f64 v[73:74], v[69:70], v[156:157]
	v_fma_f64 v[156:157], v[55:56], v[154:155], -v[182:183]
	v_fma_f64 v[75:76], v[57:58], v[154:155], v[75:76]
	v_add_f64 v[65:66], v[1:2], v[65:66]
	v_add_f64 v[67:68], v[3:4], v[67:68]
	ds_read_b128 v[1:4], v184 offset:64
	ds_read_b128 v[55:58], v184 offset:80
	s_waitcnt vmcnt(16)
	v_fma_f64 v[59:60], v[69:70], v[158:159], -v[59:60]
	v_fma_f64 v[69:70], v[71:72], v[158:159], v[73:74]
	s_waitcnt vmcnt(12) lgkmcnt(1)
	v_mul_f64 v[154:155], v[3:4], v[160:161]
	v_mul_f64 v[160:161], v[1:2], v[160:161]
	v_add_f64 v[65:66], v[65:66], v[156:157]
	v_add_f64 v[67:68], v[67:68], v[75:76]
	s_waitcnt vmcnt(10) lgkmcnt(0)
	v_mul_f64 v[71:72], v[57:58], v[162:163]
	v_mul_f64 v[73:74], v[55:56], v[162:163]
	s_waitcnt vmcnt(8)
	v_fma_f64 v[75:76], v[1:2], v[166:167], -v[154:155]
	v_fma_f64 v[154:155], v[3:4], v[166:167], v[160:161]
	v_add_f64 v[59:60], v[65:66], v[59:60]
	v_add_f64 v[69:70], v[67:68], v[69:70]
	ds_read_b128 v[1:4], v184 offset:96
	ds_read_b128 v[65:68], v184 offset:112
	v_fma_f64 v[55:56], v[55:56], v[164:165], -v[71:72]
	v_fma_f64 v[57:58], v[57:58], v[164:165], v[73:74]
	s_waitcnt vmcnt(4) lgkmcnt(1)
	v_mul_f64 v[156:157], v[3:4], v[168:169]
	v_mul_f64 v[158:159], v[1:2], v[168:169]
	v_add_f64 v[59:60], v[59:60], v[75:76]
	v_add_f64 v[69:70], v[69:70], v[154:155]
	s_waitcnt vmcnt(2) lgkmcnt(0)
	v_mul_f64 v[71:72], v[67:68], v[170:171]
	v_mul_f64 v[73:74], v[65:66], v[170:171]
	s_waitcnt vmcnt(0)
	v_fma_f64 v[1:2], v[1:2], v[174:175], -v[156:157]
	v_fma_f64 v[3:4], v[3:4], v[174:175], v[158:159]
	v_add_f64 v[55:56], v[59:60], v[55:56]
	v_add_f64 v[57:58], v[69:70], v[57:58]
	v_fma_f64 v[59:60], v[65:66], v[172:173], -v[71:72]
	v_fma_f64 v[65:66], v[67:68], v[172:173], v[73:74]
	v_add_f64 v[1:2], v[55:56], v[1:2]
	v_add_f64 v[3:4], v[57:58], v[3:4]
	v_mov_b32_e32 v55, s75
	s_mov_b32 s75, s76
	v_add_f64 v[1:2], v[1:2], v[59:60]
	v_add_f64 v[3:4], v[3:4], v[65:66]
	s_andn2_b32 exec_lo, exec_lo, s72
	s_cbranch_execnz .LBB62_571
; %bb.572:
	s_or_b32 exec_lo, exec_lo, s72
.LBB62_573:
	s_or_b32 exec_lo, exec_lo, s5
	v_and_b32_e32 v53, 7, v53
	s_mov_b32 s72, 0
	s_mov_b32 s5, exec_lo
	v_cmpx_ne_u32_e32 0, v53
	s_cbranch_execz .LBB62_577
; %bb.574:
	v_lshlrev_b32_e32 v55, 4, v55
	v_add_nc_u32_e32 v54, 0x3f0, v55
	.p2align	6
.LBB62_575:                             ; =>This Inner Loop Header: Depth=1
	s_clause 0x3
	buffer_load_dword v65, v55, s[0:3], 0 offen offset:8
	buffer_load_dword v66, v55, s[0:3], 0 offen offset:12
	buffer_load_dword v67, v55, s[0:3], 0 offen
	buffer_load_dword v68, v55, s[0:3], 0 offen offset:4
	ds_read_b128 v[56:59], v54
	v_add_nc_u32_e32 v53, -1, v53
	v_add_nc_u32_e32 v54, 16, v54
	v_add_nc_u32_e32 v55, 16, v55
	v_cmp_eq_u32_e32 vcc_lo, 0, v53
	s_or_b32 s72, vcc_lo, s72
	s_waitcnt vmcnt(2) lgkmcnt(0)
	v_mul_f64 v[69:70], v[58:59], v[65:66]
	v_mul_f64 v[65:66], v[56:57], v[65:66]
	s_waitcnt vmcnt(0)
	v_fma_f64 v[56:57], v[56:57], v[67:68], -v[69:70]
	v_fma_f64 v[58:59], v[58:59], v[67:68], v[65:66]
	v_add_f64 v[1:2], v[1:2], v[56:57]
	v_add_f64 v[3:4], v[3:4], v[58:59]
	s_andn2_b32 exec_lo, exec_lo, s72
	s_cbranch_execnz .LBB62_575
; %bb.576:
	s_or_b32 exec_lo, exec_lo, s72
.LBB62_577:
	s_or_b32 exec_lo, exec_lo, s5
.LBB62_578:
	s_or_b32 exec_lo, exec_lo, s8
	v_mov_b32_e32 v53, 0
	ds_read_b128 v[53:56], v53 offset:320
	s_waitcnt lgkmcnt(0)
	v_mul_f64 v[57:58], v[3:4], v[55:56]
	v_mul_f64 v[55:56], v[1:2], v[55:56]
	v_fma_f64 v[1:2], v[1:2], v[53:54], -v[57:58]
	v_fma_f64 v[3:4], v[3:4], v[53:54], v[55:56]
	buffer_store_dword v2, off, s[0:3], 0 offset:324
	buffer_store_dword v1, off, s[0:3], 0 offset:320
	;; [unrolled: 1-line block ×4, first 2 shown]
.LBB62_579:
	s_or_b32 exec_lo, exec_lo, s6
	v_mov_b32_e32 v4, s53
	v_cmp_lt_u32_e64 s5, 19, v0
	s_clause 0x3
	buffer_load_dword v1, v4, s[0:3], 0 offen
	buffer_load_dword v2, v4, s[0:3], 0 offen offset:4
	buffer_load_dword v3, v4, s[0:3], 0 offen offset:8
	buffer_load_dword v4, v4, s[0:3], 0 offen offset:12
	s_waitcnt vmcnt(0)
	ds_write_b128 v48, v[1:4]
	s_waitcnt lgkmcnt(0)
	s_waitcnt_vscnt null, 0x0
	s_barrier
	buffer_gl0_inv
	s_and_saveexec_b32 s6, s5
	s_cbranch_execz .LBB62_593
; %bb.580:
	ds_read_b128 v[1:4], v48
	s_andn2_b32 vcc_lo, exec_lo, s7
	s_cbranch_vccnz .LBB62_582
; %bb.581:
	s_clause 0x3
	buffer_load_dword v53, v47, s[0:3], 0 offen offset:8
	buffer_load_dword v54, v47, s[0:3], 0 offen offset:12
	buffer_load_dword v55, v47, s[0:3], 0 offen
	buffer_load_dword v56, v47, s[0:3], 0 offen offset:4
	s_waitcnt vmcnt(2) lgkmcnt(0)
	v_mul_f64 v[57:58], v[3:4], v[53:54]
	v_mul_f64 v[53:54], v[1:2], v[53:54]
	s_waitcnt vmcnt(0)
	v_fma_f64 v[1:2], v[1:2], v[55:56], -v[57:58]
	v_fma_f64 v[3:4], v[3:4], v[55:56], v[53:54]
.LBB62_582:
	s_and_saveexec_b32 s8, s4
	s_cbranch_execz .LBB62_592
; %bb.583:
	v_subrev_nc_u32_e32 v54, 21, v0
	v_mov_b32_e32 v55, 20
	v_subrev_nc_u32_e32 v53, 20, v0
	s_mov_b32 s4, exec_lo
	v_cmpx_lt_u32_e32 6, v54
	s_cbranch_execz .LBB62_587
; %bb.584:
	v_and_b32_e32 v54, -8, v53
	s_movk_i32 s73, 0x530
	s_mov_b32 s72, 0
	s_mov_b32 s74, s52
	;; [unrolled: 1-line block ×3, first 2 shown]
.LBB62_585:                             ; =>This Inner Loop Header: Depth=1
	v_mov_b32_e32 v55, s74
	v_mov_b32_e32 v184, s73
	s_add_i32 s76, s75, 8
	s_add_i32 s75, s75, 28
	v_cmp_eq_u32_e32 vcc_lo, s76, v54
	s_clause 0x1f
	buffer_load_dword v59, v55, s[0:3], 0 offen offset:8
	buffer_load_dword v60, v55, s[0:3], 0 offen offset:12
	buffer_load_dword v69, v55, s[0:3], 0 offen
	buffer_load_dword v70, v55, s[0:3], 0 offen offset:4
	buffer_load_dword v71, v55, s[0:3], 0 offen offset:24
	;; [unrolled: 1-line block ×29, first 2 shown]
	ds_read_b128 v[55:58], v184
	ds_read_b128 v[65:68], v184 offset:16
	s_addk_i32 s73, 0x80
	s_addk_i32 s74, 0x80
	s_or_b32 s72, vcc_lo, s72
	s_waitcnt vmcnt(30) lgkmcnt(1)
	v_mul_f64 v[176:177], v[57:58], v[59:60]
	v_mul_f64 v[59:60], v[55:56], v[59:60]
	s_waitcnt vmcnt(26) lgkmcnt(0)
	v_mul_f64 v[178:179], v[67:68], v[71:72]
	v_mul_f64 v[180:181], v[65:66], v[71:72]
	v_fma_f64 v[176:177], v[55:56], v[69:70], -v[176:177]
	v_fma_f64 v[59:60], v[57:58], v[69:70], v[59:60]
	ds_read_b128 v[55:58], v184 offset:32
	ds_read_b128 v[69:72], v184 offset:48
	s_waitcnt vmcnt(24)
	v_fma_f64 v[65:66], v[65:66], v[73:74], -v[178:179]
	v_fma_f64 v[67:68], v[67:68], v[73:74], v[180:181]
	s_waitcnt vmcnt(22) lgkmcnt(1)
	v_mul_f64 v[182:183], v[57:58], v[75:76]
	v_mul_f64 v[75:76], v[55:56], v[75:76]
	v_add_f64 v[1:2], v[1:2], v[176:177]
	v_add_f64 v[3:4], v[3:4], v[59:60]
	s_waitcnt vmcnt(18) lgkmcnt(0)
	v_mul_f64 v[59:60], v[71:72], v[156:157]
	v_mul_f64 v[73:74], v[69:70], v[156:157]
	v_fma_f64 v[156:157], v[55:56], v[154:155], -v[182:183]
	v_fma_f64 v[75:76], v[57:58], v[154:155], v[75:76]
	v_add_f64 v[65:66], v[1:2], v[65:66]
	v_add_f64 v[67:68], v[3:4], v[67:68]
	ds_read_b128 v[1:4], v184 offset:64
	ds_read_b128 v[55:58], v184 offset:80
	s_waitcnt vmcnt(16)
	v_fma_f64 v[59:60], v[69:70], v[158:159], -v[59:60]
	v_fma_f64 v[69:70], v[71:72], v[158:159], v[73:74]
	s_waitcnt vmcnt(12) lgkmcnt(1)
	v_mul_f64 v[154:155], v[3:4], v[160:161]
	v_mul_f64 v[160:161], v[1:2], v[160:161]
	v_add_f64 v[65:66], v[65:66], v[156:157]
	v_add_f64 v[67:68], v[67:68], v[75:76]
	s_waitcnt vmcnt(10) lgkmcnt(0)
	v_mul_f64 v[71:72], v[57:58], v[162:163]
	v_mul_f64 v[73:74], v[55:56], v[162:163]
	s_waitcnt vmcnt(8)
	v_fma_f64 v[75:76], v[1:2], v[166:167], -v[154:155]
	v_fma_f64 v[154:155], v[3:4], v[166:167], v[160:161]
	v_add_f64 v[59:60], v[65:66], v[59:60]
	v_add_f64 v[69:70], v[67:68], v[69:70]
	ds_read_b128 v[1:4], v184 offset:96
	ds_read_b128 v[65:68], v184 offset:112
	v_fma_f64 v[55:56], v[55:56], v[164:165], -v[71:72]
	v_fma_f64 v[57:58], v[57:58], v[164:165], v[73:74]
	s_waitcnt vmcnt(4) lgkmcnt(1)
	v_mul_f64 v[156:157], v[3:4], v[168:169]
	v_mul_f64 v[158:159], v[1:2], v[168:169]
	v_add_f64 v[59:60], v[59:60], v[75:76]
	v_add_f64 v[69:70], v[69:70], v[154:155]
	s_waitcnt vmcnt(2) lgkmcnt(0)
	v_mul_f64 v[71:72], v[67:68], v[170:171]
	v_mul_f64 v[73:74], v[65:66], v[170:171]
	s_waitcnt vmcnt(0)
	v_fma_f64 v[1:2], v[1:2], v[174:175], -v[156:157]
	v_fma_f64 v[3:4], v[3:4], v[174:175], v[158:159]
	v_add_f64 v[55:56], v[59:60], v[55:56]
	v_add_f64 v[57:58], v[69:70], v[57:58]
	v_fma_f64 v[59:60], v[65:66], v[172:173], -v[71:72]
	v_fma_f64 v[65:66], v[67:68], v[172:173], v[73:74]
	v_add_f64 v[1:2], v[55:56], v[1:2]
	v_add_f64 v[3:4], v[57:58], v[3:4]
	v_mov_b32_e32 v55, s75
	s_mov_b32 s75, s76
	v_add_f64 v[1:2], v[1:2], v[59:60]
	v_add_f64 v[3:4], v[3:4], v[65:66]
	s_andn2_b32 exec_lo, exec_lo, s72
	s_cbranch_execnz .LBB62_585
; %bb.586:
	s_or_b32 exec_lo, exec_lo, s72
.LBB62_587:
	s_or_b32 exec_lo, exec_lo, s4
	v_and_b32_e32 v53, 7, v53
	s_mov_b32 s72, 0
	s_mov_b32 s4, exec_lo
	v_cmpx_ne_u32_e32 0, v53
	s_cbranch_execz .LBB62_591
; %bb.588:
	v_lshlrev_b32_e32 v55, 4, v55
	v_add_nc_u32_e32 v54, 0x3f0, v55
	.p2align	6
.LBB62_589:                             ; =>This Inner Loop Header: Depth=1
	s_clause 0x3
	buffer_load_dword v65, v55, s[0:3], 0 offen offset:8
	buffer_load_dword v66, v55, s[0:3], 0 offen offset:12
	buffer_load_dword v67, v55, s[0:3], 0 offen
	buffer_load_dword v68, v55, s[0:3], 0 offen offset:4
	ds_read_b128 v[56:59], v54
	v_add_nc_u32_e32 v53, -1, v53
	v_add_nc_u32_e32 v54, 16, v54
	v_add_nc_u32_e32 v55, 16, v55
	v_cmp_eq_u32_e32 vcc_lo, 0, v53
	s_or_b32 s72, vcc_lo, s72
	s_waitcnt vmcnt(2) lgkmcnt(0)
	v_mul_f64 v[69:70], v[58:59], v[65:66]
	v_mul_f64 v[65:66], v[56:57], v[65:66]
	s_waitcnt vmcnt(0)
	v_fma_f64 v[56:57], v[56:57], v[67:68], -v[69:70]
	v_fma_f64 v[58:59], v[58:59], v[67:68], v[65:66]
	v_add_f64 v[1:2], v[1:2], v[56:57]
	v_add_f64 v[3:4], v[3:4], v[58:59]
	s_andn2_b32 exec_lo, exec_lo, s72
	s_cbranch_execnz .LBB62_589
; %bb.590:
	s_or_b32 exec_lo, exec_lo, s72
.LBB62_591:
	s_or_b32 exec_lo, exec_lo, s4
.LBB62_592:
	s_or_b32 exec_lo, exec_lo, s8
	v_mov_b32_e32 v53, 0
	ds_read_b128 v[53:56], v53 offset:304
	s_waitcnt lgkmcnt(0)
	v_mul_f64 v[57:58], v[3:4], v[55:56]
	v_mul_f64 v[55:56], v[1:2], v[55:56]
	v_fma_f64 v[1:2], v[1:2], v[53:54], -v[57:58]
	v_fma_f64 v[3:4], v[3:4], v[53:54], v[55:56]
	buffer_store_dword v2, off, s[0:3], 0 offset:308
	buffer_store_dword v1, off, s[0:3], 0 offset:304
	;; [unrolled: 1-line block ×4, first 2 shown]
.LBB62_593:
	s_or_b32 exec_lo, exec_lo, s6
	v_mov_b32_e32 v4, s54
	v_cmp_lt_u32_e64 s4, 18, v0
	s_clause 0x3
	buffer_load_dword v1, v4, s[0:3], 0 offen
	buffer_load_dword v2, v4, s[0:3], 0 offen offset:4
	buffer_load_dword v3, v4, s[0:3], 0 offen offset:8
	;; [unrolled: 1-line block ×3, first 2 shown]
	s_waitcnt vmcnt(0)
	ds_write_b128 v48, v[1:4]
	s_waitcnt lgkmcnt(0)
	s_waitcnt_vscnt null, 0x0
	s_barrier
	buffer_gl0_inv
	s_and_saveexec_b32 s6, s4
	s_cbranch_execz .LBB62_607
; %bb.594:
	ds_read_b128 v[1:4], v48
	s_andn2_b32 vcc_lo, exec_lo, s7
	s_cbranch_vccnz .LBB62_596
; %bb.595:
	s_clause 0x3
	buffer_load_dword v53, v47, s[0:3], 0 offen offset:8
	buffer_load_dword v54, v47, s[0:3], 0 offen offset:12
	buffer_load_dword v55, v47, s[0:3], 0 offen
	buffer_load_dword v56, v47, s[0:3], 0 offen offset:4
	s_waitcnt vmcnt(2) lgkmcnt(0)
	v_mul_f64 v[57:58], v[3:4], v[53:54]
	v_mul_f64 v[53:54], v[1:2], v[53:54]
	s_waitcnt vmcnt(0)
	v_fma_f64 v[1:2], v[1:2], v[55:56], -v[57:58]
	v_fma_f64 v[3:4], v[3:4], v[55:56], v[53:54]
.LBB62_596:
	s_and_saveexec_b32 s8, s5
	s_cbranch_execz .LBB62_606
; %bb.597:
	v_subrev_nc_u32_e32 v54, 20, v0
	v_mov_b32_e32 v55, 19
	v_subrev_nc_u32_e32 v53, 19, v0
	s_mov_b32 s5, exec_lo
	v_cmpx_lt_u32_e32 6, v54
	s_cbranch_execz .LBB62_601
; %bb.598:
	v_and_b32_e32 v54, -8, v53
	s_movk_i32 s73, 0x520
	s_mov_b32 s72, 0
	s_mov_b32 s74, s53
	;; [unrolled: 1-line block ×3, first 2 shown]
.LBB62_599:                             ; =>This Inner Loop Header: Depth=1
	v_mov_b32_e32 v55, s74
	v_mov_b32_e32 v184, s73
	s_add_i32 s76, s75, 8
	s_add_i32 s75, s75, 27
	v_cmp_eq_u32_e32 vcc_lo, s76, v54
	s_clause 0x1f
	buffer_load_dword v59, v55, s[0:3], 0 offen offset:8
	buffer_load_dword v60, v55, s[0:3], 0 offen offset:12
	buffer_load_dword v69, v55, s[0:3], 0 offen
	buffer_load_dword v70, v55, s[0:3], 0 offen offset:4
	buffer_load_dword v71, v55, s[0:3], 0 offen offset:24
	buffer_load_dword v72, v55, s[0:3], 0 offen offset:28
	buffer_load_dword v73, v55, s[0:3], 0 offen offset:16
	buffer_load_dword v74, v55, s[0:3], 0 offen offset:20
	buffer_load_dword v75, v55, s[0:3], 0 offen offset:40
	buffer_load_dword v76, v55, s[0:3], 0 offen offset:44
	buffer_load_dword v154, v55, s[0:3], 0 offen offset:32
	buffer_load_dword v155, v55, s[0:3], 0 offen offset:36
	buffer_load_dword v156, v55, s[0:3], 0 offen offset:56
	buffer_load_dword v157, v55, s[0:3], 0 offen offset:60
	buffer_load_dword v158, v55, s[0:3], 0 offen offset:48
	buffer_load_dword v159, v55, s[0:3], 0 offen offset:52
	buffer_load_dword v161, v55, s[0:3], 0 offen offset:76
	buffer_load_dword v162, v55, s[0:3], 0 offen offset:88
	buffer_load_dword v164, v55, s[0:3], 0 offen offset:80
	buffer_load_dword v160, v55, s[0:3], 0 offen offset:72
	buffer_load_dword v165, v55, s[0:3], 0 offen offset:84
	buffer_load_dword v163, v55, s[0:3], 0 offen offset:92
	buffer_load_dword v167, v55, s[0:3], 0 offen offset:68
	buffer_load_dword v166, v55, s[0:3], 0 offen offset:64
	buffer_load_dword v169, v55, s[0:3], 0 offen offset:108
	buffer_load_dword v170, v55, s[0:3], 0 offen offset:120
	buffer_load_dword v172, v55, s[0:3], 0 offen offset:112
	buffer_load_dword v168, v55, s[0:3], 0 offen offset:104
	buffer_load_dword v173, v55, s[0:3], 0 offen offset:116
	buffer_load_dword v171, v55, s[0:3], 0 offen offset:124
	buffer_load_dword v175, v55, s[0:3], 0 offen offset:100
	buffer_load_dword v174, v55, s[0:3], 0 offen offset:96
	ds_read_b128 v[55:58], v184
	ds_read_b128 v[65:68], v184 offset:16
	s_addk_i32 s73, 0x80
	s_addk_i32 s74, 0x80
	s_or_b32 s72, vcc_lo, s72
	s_waitcnt vmcnt(30) lgkmcnt(1)
	v_mul_f64 v[176:177], v[57:58], v[59:60]
	v_mul_f64 v[59:60], v[55:56], v[59:60]
	s_waitcnt vmcnt(26) lgkmcnt(0)
	v_mul_f64 v[178:179], v[67:68], v[71:72]
	v_mul_f64 v[180:181], v[65:66], v[71:72]
	v_fma_f64 v[176:177], v[55:56], v[69:70], -v[176:177]
	v_fma_f64 v[59:60], v[57:58], v[69:70], v[59:60]
	ds_read_b128 v[55:58], v184 offset:32
	ds_read_b128 v[69:72], v184 offset:48
	s_waitcnt vmcnt(24)
	v_fma_f64 v[65:66], v[65:66], v[73:74], -v[178:179]
	v_fma_f64 v[67:68], v[67:68], v[73:74], v[180:181]
	s_waitcnt vmcnt(22) lgkmcnt(1)
	v_mul_f64 v[182:183], v[57:58], v[75:76]
	v_mul_f64 v[75:76], v[55:56], v[75:76]
	v_add_f64 v[1:2], v[1:2], v[176:177]
	v_add_f64 v[3:4], v[3:4], v[59:60]
	s_waitcnt vmcnt(18) lgkmcnt(0)
	v_mul_f64 v[59:60], v[71:72], v[156:157]
	v_mul_f64 v[73:74], v[69:70], v[156:157]
	v_fma_f64 v[156:157], v[55:56], v[154:155], -v[182:183]
	v_fma_f64 v[75:76], v[57:58], v[154:155], v[75:76]
	v_add_f64 v[65:66], v[1:2], v[65:66]
	v_add_f64 v[67:68], v[3:4], v[67:68]
	ds_read_b128 v[1:4], v184 offset:64
	ds_read_b128 v[55:58], v184 offset:80
	s_waitcnt vmcnt(16)
	v_fma_f64 v[59:60], v[69:70], v[158:159], -v[59:60]
	v_fma_f64 v[69:70], v[71:72], v[158:159], v[73:74]
	s_waitcnt vmcnt(12) lgkmcnt(1)
	v_mul_f64 v[154:155], v[3:4], v[160:161]
	v_mul_f64 v[160:161], v[1:2], v[160:161]
	v_add_f64 v[65:66], v[65:66], v[156:157]
	v_add_f64 v[67:68], v[67:68], v[75:76]
	s_waitcnt vmcnt(10) lgkmcnt(0)
	v_mul_f64 v[71:72], v[57:58], v[162:163]
	v_mul_f64 v[73:74], v[55:56], v[162:163]
	s_waitcnt vmcnt(8)
	v_fma_f64 v[75:76], v[1:2], v[166:167], -v[154:155]
	v_fma_f64 v[154:155], v[3:4], v[166:167], v[160:161]
	v_add_f64 v[59:60], v[65:66], v[59:60]
	v_add_f64 v[69:70], v[67:68], v[69:70]
	ds_read_b128 v[1:4], v184 offset:96
	ds_read_b128 v[65:68], v184 offset:112
	v_fma_f64 v[55:56], v[55:56], v[164:165], -v[71:72]
	v_fma_f64 v[57:58], v[57:58], v[164:165], v[73:74]
	s_waitcnt vmcnt(4) lgkmcnt(1)
	v_mul_f64 v[156:157], v[3:4], v[168:169]
	v_mul_f64 v[158:159], v[1:2], v[168:169]
	v_add_f64 v[59:60], v[59:60], v[75:76]
	v_add_f64 v[69:70], v[69:70], v[154:155]
	s_waitcnt vmcnt(2) lgkmcnt(0)
	v_mul_f64 v[71:72], v[67:68], v[170:171]
	v_mul_f64 v[73:74], v[65:66], v[170:171]
	s_waitcnt vmcnt(0)
	v_fma_f64 v[1:2], v[1:2], v[174:175], -v[156:157]
	v_fma_f64 v[3:4], v[3:4], v[174:175], v[158:159]
	v_add_f64 v[55:56], v[59:60], v[55:56]
	v_add_f64 v[57:58], v[69:70], v[57:58]
	v_fma_f64 v[59:60], v[65:66], v[172:173], -v[71:72]
	v_fma_f64 v[65:66], v[67:68], v[172:173], v[73:74]
	v_add_f64 v[1:2], v[55:56], v[1:2]
	v_add_f64 v[3:4], v[57:58], v[3:4]
	v_mov_b32_e32 v55, s75
	s_mov_b32 s75, s76
	v_add_f64 v[1:2], v[1:2], v[59:60]
	v_add_f64 v[3:4], v[3:4], v[65:66]
	s_andn2_b32 exec_lo, exec_lo, s72
	s_cbranch_execnz .LBB62_599
; %bb.600:
	s_or_b32 exec_lo, exec_lo, s72
.LBB62_601:
	s_or_b32 exec_lo, exec_lo, s5
	v_and_b32_e32 v53, 7, v53
	s_mov_b32 s72, 0
	s_mov_b32 s5, exec_lo
	v_cmpx_ne_u32_e32 0, v53
	s_cbranch_execz .LBB62_605
; %bb.602:
	v_lshlrev_b32_e32 v55, 4, v55
	v_add_nc_u32_e32 v54, 0x3f0, v55
	.p2align	6
.LBB62_603:                             ; =>This Inner Loop Header: Depth=1
	s_clause 0x3
	buffer_load_dword v65, v55, s[0:3], 0 offen offset:8
	buffer_load_dword v66, v55, s[0:3], 0 offen offset:12
	buffer_load_dword v67, v55, s[0:3], 0 offen
	buffer_load_dword v68, v55, s[0:3], 0 offen offset:4
	ds_read_b128 v[56:59], v54
	v_add_nc_u32_e32 v53, -1, v53
	v_add_nc_u32_e32 v54, 16, v54
	v_add_nc_u32_e32 v55, 16, v55
	v_cmp_eq_u32_e32 vcc_lo, 0, v53
	s_or_b32 s72, vcc_lo, s72
	s_waitcnt vmcnt(2) lgkmcnt(0)
	v_mul_f64 v[69:70], v[58:59], v[65:66]
	v_mul_f64 v[65:66], v[56:57], v[65:66]
	s_waitcnt vmcnt(0)
	v_fma_f64 v[56:57], v[56:57], v[67:68], -v[69:70]
	v_fma_f64 v[58:59], v[58:59], v[67:68], v[65:66]
	v_add_f64 v[1:2], v[1:2], v[56:57]
	v_add_f64 v[3:4], v[3:4], v[58:59]
	s_andn2_b32 exec_lo, exec_lo, s72
	s_cbranch_execnz .LBB62_603
; %bb.604:
	s_or_b32 exec_lo, exec_lo, s72
.LBB62_605:
	s_or_b32 exec_lo, exec_lo, s5
.LBB62_606:
	s_or_b32 exec_lo, exec_lo, s8
	v_mov_b32_e32 v53, 0
	ds_read_b128 v[53:56], v53 offset:288
	s_waitcnt lgkmcnt(0)
	v_mul_f64 v[57:58], v[3:4], v[55:56]
	v_mul_f64 v[55:56], v[1:2], v[55:56]
	v_fma_f64 v[1:2], v[1:2], v[53:54], -v[57:58]
	v_fma_f64 v[3:4], v[3:4], v[53:54], v[55:56]
	buffer_store_dword v2, off, s[0:3], 0 offset:292
	buffer_store_dword v1, off, s[0:3], 0 offset:288
	;; [unrolled: 1-line block ×4, first 2 shown]
.LBB62_607:
	s_or_b32 exec_lo, exec_lo, s6
	v_mov_b32_e32 v4, s55
	v_cmp_lt_u32_e64 s5, 17, v0
	s_clause 0x3
	buffer_load_dword v1, v4, s[0:3], 0 offen
	buffer_load_dword v2, v4, s[0:3], 0 offen offset:4
	buffer_load_dword v3, v4, s[0:3], 0 offen offset:8
	;; [unrolled: 1-line block ×3, first 2 shown]
	s_waitcnt vmcnt(0)
	ds_write_b128 v48, v[1:4]
	s_waitcnt lgkmcnt(0)
	s_waitcnt_vscnt null, 0x0
	s_barrier
	buffer_gl0_inv
	s_and_saveexec_b32 s6, s5
	s_cbranch_execz .LBB62_621
; %bb.608:
	ds_read_b128 v[1:4], v48
	s_andn2_b32 vcc_lo, exec_lo, s7
	s_cbranch_vccnz .LBB62_610
; %bb.609:
	s_clause 0x3
	buffer_load_dword v53, v47, s[0:3], 0 offen offset:8
	buffer_load_dword v54, v47, s[0:3], 0 offen offset:12
	buffer_load_dword v55, v47, s[0:3], 0 offen
	buffer_load_dword v56, v47, s[0:3], 0 offen offset:4
	s_waitcnt vmcnt(2) lgkmcnt(0)
	v_mul_f64 v[57:58], v[3:4], v[53:54]
	v_mul_f64 v[53:54], v[1:2], v[53:54]
	s_waitcnt vmcnt(0)
	v_fma_f64 v[1:2], v[1:2], v[55:56], -v[57:58]
	v_fma_f64 v[3:4], v[3:4], v[55:56], v[53:54]
.LBB62_610:
	s_and_saveexec_b32 s8, s4
	s_cbranch_execz .LBB62_620
; %bb.611:
	v_subrev_nc_u32_e32 v54, 19, v0
	v_mov_b32_e32 v55, 18
	v_subrev_nc_u32_e32 v53, 18, v0
	s_mov_b32 s4, exec_lo
	v_cmpx_lt_u32_e32 6, v54
	s_cbranch_execz .LBB62_615
; %bb.612:
	v_and_b32_e32 v54, -8, v53
	s_movk_i32 s73, 0x510
	s_mov_b32 s72, 0
	s_mov_b32 s74, s54
	;; [unrolled: 1-line block ×3, first 2 shown]
.LBB62_613:                             ; =>This Inner Loop Header: Depth=1
	v_mov_b32_e32 v55, s74
	v_mov_b32_e32 v184, s73
	s_add_i32 s76, s75, 8
	s_add_i32 s75, s75, 26
	v_cmp_eq_u32_e32 vcc_lo, s76, v54
	s_clause 0x1f
	buffer_load_dword v59, v55, s[0:3], 0 offen offset:8
	buffer_load_dword v60, v55, s[0:3], 0 offen offset:12
	buffer_load_dword v69, v55, s[0:3], 0 offen
	buffer_load_dword v70, v55, s[0:3], 0 offen offset:4
	buffer_load_dword v71, v55, s[0:3], 0 offen offset:24
	;; [unrolled: 1-line block ×29, first 2 shown]
	ds_read_b128 v[55:58], v184
	ds_read_b128 v[65:68], v184 offset:16
	s_addk_i32 s73, 0x80
	s_addk_i32 s74, 0x80
	s_or_b32 s72, vcc_lo, s72
	s_waitcnt vmcnt(30) lgkmcnt(1)
	v_mul_f64 v[176:177], v[57:58], v[59:60]
	v_mul_f64 v[59:60], v[55:56], v[59:60]
	s_waitcnt vmcnt(26) lgkmcnt(0)
	v_mul_f64 v[178:179], v[67:68], v[71:72]
	v_mul_f64 v[180:181], v[65:66], v[71:72]
	v_fma_f64 v[176:177], v[55:56], v[69:70], -v[176:177]
	v_fma_f64 v[59:60], v[57:58], v[69:70], v[59:60]
	ds_read_b128 v[55:58], v184 offset:32
	ds_read_b128 v[69:72], v184 offset:48
	s_waitcnt vmcnt(24)
	v_fma_f64 v[65:66], v[65:66], v[73:74], -v[178:179]
	v_fma_f64 v[67:68], v[67:68], v[73:74], v[180:181]
	s_waitcnt vmcnt(22) lgkmcnt(1)
	v_mul_f64 v[182:183], v[57:58], v[75:76]
	v_mul_f64 v[75:76], v[55:56], v[75:76]
	v_add_f64 v[1:2], v[1:2], v[176:177]
	v_add_f64 v[3:4], v[3:4], v[59:60]
	s_waitcnt vmcnt(18) lgkmcnt(0)
	v_mul_f64 v[59:60], v[71:72], v[156:157]
	v_mul_f64 v[73:74], v[69:70], v[156:157]
	v_fma_f64 v[156:157], v[55:56], v[154:155], -v[182:183]
	v_fma_f64 v[75:76], v[57:58], v[154:155], v[75:76]
	v_add_f64 v[65:66], v[1:2], v[65:66]
	v_add_f64 v[67:68], v[3:4], v[67:68]
	ds_read_b128 v[1:4], v184 offset:64
	ds_read_b128 v[55:58], v184 offset:80
	s_waitcnt vmcnt(16)
	v_fma_f64 v[59:60], v[69:70], v[158:159], -v[59:60]
	v_fma_f64 v[69:70], v[71:72], v[158:159], v[73:74]
	s_waitcnt vmcnt(12) lgkmcnt(1)
	v_mul_f64 v[154:155], v[3:4], v[160:161]
	v_mul_f64 v[160:161], v[1:2], v[160:161]
	v_add_f64 v[65:66], v[65:66], v[156:157]
	v_add_f64 v[67:68], v[67:68], v[75:76]
	s_waitcnt vmcnt(10) lgkmcnt(0)
	v_mul_f64 v[71:72], v[57:58], v[162:163]
	v_mul_f64 v[73:74], v[55:56], v[162:163]
	s_waitcnt vmcnt(8)
	v_fma_f64 v[75:76], v[1:2], v[166:167], -v[154:155]
	v_fma_f64 v[154:155], v[3:4], v[166:167], v[160:161]
	v_add_f64 v[59:60], v[65:66], v[59:60]
	v_add_f64 v[69:70], v[67:68], v[69:70]
	ds_read_b128 v[1:4], v184 offset:96
	ds_read_b128 v[65:68], v184 offset:112
	v_fma_f64 v[55:56], v[55:56], v[164:165], -v[71:72]
	v_fma_f64 v[57:58], v[57:58], v[164:165], v[73:74]
	s_waitcnt vmcnt(4) lgkmcnt(1)
	v_mul_f64 v[156:157], v[3:4], v[168:169]
	v_mul_f64 v[158:159], v[1:2], v[168:169]
	v_add_f64 v[59:60], v[59:60], v[75:76]
	v_add_f64 v[69:70], v[69:70], v[154:155]
	s_waitcnt vmcnt(2) lgkmcnt(0)
	v_mul_f64 v[71:72], v[67:68], v[170:171]
	v_mul_f64 v[73:74], v[65:66], v[170:171]
	s_waitcnt vmcnt(0)
	v_fma_f64 v[1:2], v[1:2], v[174:175], -v[156:157]
	v_fma_f64 v[3:4], v[3:4], v[174:175], v[158:159]
	v_add_f64 v[55:56], v[59:60], v[55:56]
	v_add_f64 v[57:58], v[69:70], v[57:58]
	v_fma_f64 v[59:60], v[65:66], v[172:173], -v[71:72]
	v_fma_f64 v[65:66], v[67:68], v[172:173], v[73:74]
	v_add_f64 v[1:2], v[55:56], v[1:2]
	v_add_f64 v[3:4], v[57:58], v[3:4]
	v_mov_b32_e32 v55, s75
	s_mov_b32 s75, s76
	v_add_f64 v[1:2], v[1:2], v[59:60]
	v_add_f64 v[3:4], v[3:4], v[65:66]
	s_andn2_b32 exec_lo, exec_lo, s72
	s_cbranch_execnz .LBB62_613
; %bb.614:
	s_or_b32 exec_lo, exec_lo, s72
.LBB62_615:
	s_or_b32 exec_lo, exec_lo, s4
	v_and_b32_e32 v53, 7, v53
	s_mov_b32 s72, 0
	s_mov_b32 s4, exec_lo
	v_cmpx_ne_u32_e32 0, v53
	s_cbranch_execz .LBB62_619
; %bb.616:
	v_lshlrev_b32_e32 v55, 4, v55
	v_add_nc_u32_e32 v54, 0x3f0, v55
	.p2align	6
.LBB62_617:                             ; =>This Inner Loop Header: Depth=1
	s_clause 0x3
	buffer_load_dword v65, v55, s[0:3], 0 offen offset:8
	buffer_load_dword v66, v55, s[0:3], 0 offen offset:12
	buffer_load_dword v67, v55, s[0:3], 0 offen
	buffer_load_dword v68, v55, s[0:3], 0 offen offset:4
	ds_read_b128 v[56:59], v54
	v_add_nc_u32_e32 v53, -1, v53
	v_add_nc_u32_e32 v54, 16, v54
	v_add_nc_u32_e32 v55, 16, v55
	v_cmp_eq_u32_e32 vcc_lo, 0, v53
	s_or_b32 s72, vcc_lo, s72
	s_waitcnt vmcnt(2) lgkmcnt(0)
	v_mul_f64 v[69:70], v[58:59], v[65:66]
	v_mul_f64 v[65:66], v[56:57], v[65:66]
	s_waitcnt vmcnt(0)
	v_fma_f64 v[56:57], v[56:57], v[67:68], -v[69:70]
	v_fma_f64 v[58:59], v[58:59], v[67:68], v[65:66]
	v_add_f64 v[1:2], v[1:2], v[56:57]
	v_add_f64 v[3:4], v[3:4], v[58:59]
	s_andn2_b32 exec_lo, exec_lo, s72
	s_cbranch_execnz .LBB62_617
; %bb.618:
	s_or_b32 exec_lo, exec_lo, s72
.LBB62_619:
	s_or_b32 exec_lo, exec_lo, s4
.LBB62_620:
	s_or_b32 exec_lo, exec_lo, s8
	v_mov_b32_e32 v53, 0
	ds_read_b128 v[53:56], v53 offset:272
	s_waitcnt lgkmcnt(0)
	v_mul_f64 v[57:58], v[3:4], v[55:56]
	v_mul_f64 v[55:56], v[1:2], v[55:56]
	v_fma_f64 v[1:2], v[1:2], v[53:54], -v[57:58]
	v_fma_f64 v[3:4], v[3:4], v[53:54], v[55:56]
	buffer_store_dword v2, off, s[0:3], 0 offset:276
	buffer_store_dword v1, off, s[0:3], 0 offset:272
	;; [unrolled: 1-line block ×4, first 2 shown]
.LBB62_621:
	s_or_b32 exec_lo, exec_lo, s6
	v_mov_b32_e32 v4, s56
	v_cmp_lt_u32_e64 s4, 16, v0
	s_clause 0x3
	buffer_load_dword v1, v4, s[0:3], 0 offen
	buffer_load_dword v2, v4, s[0:3], 0 offen offset:4
	buffer_load_dword v3, v4, s[0:3], 0 offen offset:8
	;; [unrolled: 1-line block ×3, first 2 shown]
	s_waitcnt vmcnt(0)
	ds_write_b128 v48, v[1:4]
	s_waitcnt lgkmcnt(0)
	s_waitcnt_vscnt null, 0x0
	s_barrier
	buffer_gl0_inv
	s_and_saveexec_b32 s6, s4
	s_cbranch_execz .LBB62_635
; %bb.622:
	ds_read_b128 v[1:4], v48
	s_andn2_b32 vcc_lo, exec_lo, s7
	s_cbranch_vccnz .LBB62_624
; %bb.623:
	s_clause 0x3
	buffer_load_dword v53, v47, s[0:3], 0 offen offset:8
	buffer_load_dword v54, v47, s[0:3], 0 offen offset:12
	buffer_load_dword v55, v47, s[0:3], 0 offen
	buffer_load_dword v56, v47, s[0:3], 0 offen offset:4
	s_waitcnt vmcnt(2) lgkmcnt(0)
	v_mul_f64 v[57:58], v[3:4], v[53:54]
	v_mul_f64 v[53:54], v[1:2], v[53:54]
	s_waitcnt vmcnt(0)
	v_fma_f64 v[1:2], v[1:2], v[55:56], -v[57:58]
	v_fma_f64 v[3:4], v[3:4], v[55:56], v[53:54]
.LBB62_624:
	s_and_saveexec_b32 s8, s5
	s_cbranch_execz .LBB62_634
; %bb.625:
	v_subrev_nc_u32_e32 v54, 18, v0
	v_mov_b32_e32 v55, 17
	v_subrev_nc_u32_e32 v53, 17, v0
	s_mov_b32 s5, exec_lo
	v_cmpx_lt_u32_e32 6, v54
	s_cbranch_execz .LBB62_629
; %bb.626:
	v_and_b32_e32 v54, -8, v53
	s_movk_i32 s73, 0x500
	s_mov_b32 s72, 0
	s_mov_b32 s74, s55
	;; [unrolled: 1-line block ×3, first 2 shown]
.LBB62_627:                             ; =>This Inner Loop Header: Depth=1
	v_mov_b32_e32 v55, s74
	v_mov_b32_e32 v184, s73
	s_add_i32 s76, s75, 8
	s_add_i32 s75, s75, 25
	v_cmp_eq_u32_e32 vcc_lo, s76, v54
	s_clause 0x1f
	buffer_load_dword v59, v55, s[0:3], 0 offen offset:8
	buffer_load_dword v60, v55, s[0:3], 0 offen offset:12
	buffer_load_dword v69, v55, s[0:3], 0 offen
	buffer_load_dword v70, v55, s[0:3], 0 offen offset:4
	buffer_load_dword v71, v55, s[0:3], 0 offen offset:24
	;; [unrolled: 1-line block ×29, first 2 shown]
	ds_read_b128 v[55:58], v184
	ds_read_b128 v[65:68], v184 offset:16
	s_addk_i32 s73, 0x80
	s_addk_i32 s74, 0x80
	s_or_b32 s72, vcc_lo, s72
	s_waitcnt vmcnt(30) lgkmcnt(1)
	v_mul_f64 v[176:177], v[57:58], v[59:60]
	v_mul_f64 v[59:60], v[55:56], v[59:60]
	s_waitcnt vmcnt(26) lgkmcnt(0)
	v_mul_f64 v[178:179], v[67:68], v[71:72]
	v_mul_f64 v[180:181], v[65:66], v[71:72]
	v_fma_f64 v[176:177], v[55:56], v[69:70], -v[176:177]
	v_fma_f64 v[59:60], v[57:58], v[69:70], v[59:60]
	ds_read_b128 v[55:58], v184 offset:32
	ds_read_b128 v[69:72], v184 offset:48
	s_waitcnt vmcnt(24)
	v_fma_f64 v[65:66], v[65:66], v[73:74], -v[178:179]
	v_fma_f64 v[67:68], v[67:68], v[73:74], v[180:181]
	s_waitcnt vmcnt(22) lgkmcnt(1)
	v_mul_f64 v[182:183], v[57:58], v[75:76]
	v_mul_f64 v[75:76], v[55:56], v[75:76]
	v_add_f64 v[1:2], v[1:2], v[176:177]
	v_add_f64 v[3:4], v[3:4], v[59:60]
	s_waitcnt vmcnt(18) lgkmcnt(0)
	v_mul_f64 v[59:60], v[71:72], v[156:157]
	v_mul_f64 v[73:74], v[69:70], v[156:157]
	v_fma_f64 v[156:157], v[55:56], v[154:155], -v[182:183]
	v_fma_f64 v[75:76], v[57:58], v[154:155], v[75:76]
	v_add_f64 v[65:66], v[1:2], v[65:66]
	v_add_f64 v[67:68], v[3:4], v[67:68]
	ds_read_b128 v[1:4], v184 offset:64
	ds_read_b128 v[55:58], v184 offset:80
	s_waitcnt vmcnt(16)
	v_fma_f64 v[59:60], v[69:70], v[158:159], -v[59:60]
	v_fma_f64 v[69:70], v[71:72], v[158:159], v[73:74]
	s_waitcnt vmcnt(12) lgkmcnt(1)
	v_mul_f64 v[154:155], v[3:4], v[160:161]
	v_mul_f64 v[160:161], v[1:2], v[160:161]
	v_add_f64 v[65:66], v[65:66], v[156:157]
	v_add_f64 v[67:68], v[67:68], v[75:76]
	s_waitcnt vmcnt(10) lgkmcnt(0)
	v_mul_f64 v[71:72], v[57:58], v[162:163]
	v_mul_f64 v[73:74], v[55:56], v[162:163]
	s_waitcnt vmcnt(8)
	v_fma_f64 v[75:76], v[1:2], v[166:167], -v[154:155]
	v_fma_f64 v[154:155], v[3:4], v[166:167], v[160:161]
	v_add_f64 v[59:60], v[65:66], v[59:60]
	v_add_f64 v[69:70], v[67:68], v[69:70]
	ds_read_b128 v[1:4], v184 offset:96
	ds_read_b128 v[65:68], v184 offset:112
	v_fma_f64 v[55:56], v[55:56], v[164:165], -v[71:72]
	v_fma_f64 v[57:58], v[57:58], v[164:165], v[73:74]
	s_waitcnt vmcnt(4) lgkmcnt(1)
	v_mul_f64 v[156:157], v[3:4], v[168:169]
	v_mul_f64 v[158:159], v[1:2], v[168:169]
	v_add_f64 v[59:60], v[59:60], v[75:76]
	v_add_f64 v[69:70], v[69:70], v[154:155]
	s_waitcnt vmcnt(2) lgkmcnt(0)
	v_mul_f64 v[71:72], v[67:68], v[170:171]
	v_mul_f64 v[73:74], v[65:66], v[170:171]
	s_waitcnt vmcnt(0)
	v_fma_f64 v[1:2], v[1:2], v[174:175], -v[156:157]
	v_fma_f64 v[3:4], v[3:4], v[174:175], v[158:159]
	v_add_f64 v[55:56], v[59:60], v[55:56]
	v_add_f64 v[57:58], v[69:70], v[57:58]
	v_fma_f64 v[59:60], v[65:66], v[172:173], -v[71:72]
	v_fma_f64 v[65:66], v[67:68], v[172:173], v[73:74]
	v_add_f64 v[1:2], v[55:56], v[1:2]
	v_add_f64 v[3:4], v[57:58], v[3:4]
	v_mov_b32_e32 v55, s75
	s_mov_b32 s75, s76
	v_add_f64 v[1:2], v[1:2], v[59:60]
	v_add_f64 v[3:4], v[3:4], v[65:66]
	s_andn2_b32 exec_lo, exec_lo, s72
	s_cbranch_execnz .LBB62_627
; %bb.628:
	s_or_b32 exec_lo, exec_lo, s72
.LBB62_629:
	s_or_b32 exec_lo, exec_lo, s5
	v_and_b32_e32 v53, 7, v53
	s_mov_b32 s72, 0
	s_mov_b32 s5, exec_lo
	v_cmpx_ne_u32_e32 0, v53
	s_cbranch_execz .LBB62_633
; %bb.630:
	v_lshlrev_b32_e32 v55, 4, v55
	v_add_nc_u32_e32 v54, 0x3f0, v55
	.p2align	6
.LBB62_631:                             ; =>This Inner Loop Header: Depth=1
	s_clause 0x3
	buffer_load_dword v65, v55, s[0:3], 0 offen offset:8
	buffer_load_dword v66, v55, s[0:3], 0 offen offset:12
	buffer_load_dword v67, v55, s[0:3], 0 offen
	buffer_load_dword v68, v55, s[0:3], 0 offen offset:4
	ds_read_b128 v[56:59], v54
	v_add_nc_u32_e32 v53, -1, v53
	v_add_nc_u32_e32 v54, 16, v54
	v_add_nc_u32_e32 v55, 16, v55
	v_cmp_eq_u32_e32 vcc_lo, 0, v53
	s_or_b32 s72, vcc_lo, s72
	s_waitcnt vmcnt(2) lgkmcnt(0)
	v_mul_f64 v[69:70], v[58:59], v[65:66]
	v_mul_f64 v[65:66], v[56:57], v[65:66]
	s_waitcnt vmcnt(0)
	v_fma_f64 v[56:57], v[56:57], v[67:68], -v[69:70]
	v_fma_f64 v[58:59], v[58:59], v[67:68], v[65:66]
	v_add_f64 v[1:2], v[1:2], v[56:57]
	v_add_f64 v[3:4], v[3:4], v[58:59]
	s_andn2_b32 exec_lo, exec_lo, s72
	s_cbranch_execnz .LBB62_631
; %bb.632:
	s_or_b32 exec_lo, exec_lo, s72
.LBB62_633:
	s_or_b32 exec_lo, exec_lo, s5
.LBB62_634:
	s_or_b32 exec_lo, exec_lo, s8
	v_mov_b32_e32 v53, 0
	ds_read_b128 v[53:56], v53 offset:256
	s_waitcnt lgkmcnt(0)
	v_mul_f64 v[57:58], v[3:4], v[55:56]
	v_mul_f64 v[55:56], v[1:2], v[55:56]
	v_fma_f64 v[1:2], v[1:2], v[53:54], -v[57:58]
	v_fma_f64 v[3:4], v[3:4], v[53:54], v[55:56]
	buffer_store_dword v2, off, s[0:3], 0 offset:260
	buffer_store_dword v1, off, s[0:3], 0 offset:256
	buffer_store_dword v4, off, s[0:3], 0 offset:268
	buffer_store_dword v3, off, s[0:3], 0 offset:264
.LBB62_635:
	s_or_b32 exec_lo, exec_lo, s6
	v_mov_b32_e32 v4, s57
	v_cmp_lt_u32_e64 s5, 15, v0
	s_clause 0x3
	buffer_load_dword v1, v4, s[0:3], 0 offen
	buffer_load_dword v2, v4, s[0:3], 0 offen offset:4
	buffer_load_dword v3, v4, s[0:3], 0 offen offset:8
	;; [unrolled: 1-line block ×3, first 2 shown]
	s_waitcnt vmcnt(0)
	ds_write_b128 v48, v[1:4]
	s_waitcnt lgkmcnt(0)
	s_waitcnt_vscnt null, 0x0
	s_barrier
	buffer_gl0_inv
	s_and_saveexec_b32 s6, s5
	s_cbranch_execz .LBB62_649
; %bb.636:
	ds_read_b128 v[1:4], v48
	s_andn2_b32 vcc_lo, exec_lo, s7
	s_cbranch_vccnz .LBB62_638
; %bb.637:
	s_clause 0x3
	buffer_load_dword v53, v47, s[0:3], 0 offen offset:8
	buffer_load_dword v54, v47, s[0:3], 0 offen offset:12
	buffer_load_dword v55, v47, s[0:3], 0 offen
	buffer_load_dword v56, v47, s[0:3], 0 offen offset:4
	s_waitcnt vmcnt(2) lgkmcnt(0)
	v_mul_f64 v[57:58], v[3:4], v[53:54]
	v_mul_f64 v[53:54], v[1:2], v[53:54]
	s_waitcnt vmcnt(0)
	v_fma_f64 v[1:2], v[1:2], v[55:56], -v[57:58]
	v_fma_f64 v[3:4], v[3:4], v[55:56], v[53:54]
.LBB62_638:
	s_and_saveexec_b32 s8, s4
	s_cbranch_execz .LBB62_648
; %bb.639:
	v_subrev_nc_u32_e32 v53, 17, v0
	v_cmp_lt_u32_e32 vcc_lo, 6, v53
	v_mov_b32_e32 v53, 16
	s_and_saveexec_b32 s4, vcc_lo
	s_cbranch_execz .LBB62_643
; %bb.640:
	v_and_b32_e32 v53, 56, v0
	s_mov_b32 s72, 16
	s_movk_i32 s74, 0x4f0
	s_mov_b32 s73, 0
	s_mov_b32 s75, s56
.LBB62_641:                             ; =>This Inner Loop Header: Depth=1
	v_mov_b32_e32 v54, s75
	v_mov_b32_e32 v60, s74
	s_add_i32 s72, s72, 8
	s_addk_i32 s74, 0x80
	v_cmp_eq_u32_e32 vcc_lo, s72, v53
	s_clause 0x1f
	buffer_load_dword v58, v54, s[0:3], 0 offen offset:8
	buffer_load_dword v59, v54, s[0:3], 0 offen offset:12
	buffer_load_dword v69, v54, s[0:3], 0 offen
	buffer_load_dword v70, v54, s[0:3], 0 offen offset:4
	buffer_load_dword v71, v54, s[0:3], 0 offen offset:24
	;; [unrolled: 1-line block ×29, first 2 shown]
	ds_read_b128 v[54:57], v60
	ds_read_b128 v[65:68], v60 offset:16
	s_addk_i32 s75, 0x80
	s_or_b32 s73, vcc_lo, s73
	s_waitcnt vmcnt(30) lgkmcnt(1)
	v_mul_f64 v[176:177], v[56:57], v[58:59]
	v_mul_f64 v[58:59], v[54:55], v[58:59]
	s_waitcnt vmcnt(26) lgkmcnt(0)
	v_mul_f64 v[178:179], v[67:68], v[71:72]
	v_mul_f64 v[180:181], v[65:66], v[71:72]
	v_fma_f64 v[176:177], v[54:55], v[69:70], -v[176:177]
	v_fma_f64 v[58:59], v[56:57], v[69:70], v[58:59]
	ds_read_b128 v[54:57], v60 offset:32
	ds_read_b128 v[69:72], v60 offset:48
	s_waitcnt vmcnt(24)
	v_fma_f64 v[65:66], v[65:66], v[73:74], -v[178:179]
	v_fma_f64 v[67:68], v[67:68], v[73:74], v[180:181]
	s_waitcnt vmcnt(22) lgkmcnt(1)
	v_mul_f64 v[182:183], v[56:57], v[75:76]
	v_mul_f64 v[75:76], v[54:55], v[75:76]
	v_add_f64 v[1:2], v[1:2], v[176:177]
	v_add_f64 v[3:4], v[3:4], v[58:59]
	s_waitcnt vmcnt(18) lgkmcnt(0)
	v_mul_f64 v[58:59], v[71:72], v[156:157]
	v_mul_f64 v[73:74], v[69:70], v[156:157]
	v_fma_f64 v[156:157], v[54:55], v[154:155], -v[182:183]
	v_fma_f64 v[75:76], v[56:57], v[154:155], v[75:76]
	v_add_f64 v[65:66], v[1:2], v[65:66]
	v_add_f64 v[67:68], v[3:4], v[67:68]
	ds_read_b128 v[1:4], v60 offset:64
	ds_read_b128 v[54:57], v60 offset:80
	s_waitcnt vmcnt(16)
	v_fma_f64 v[58:59], v[69:70], v[158:159], -v[58:59]
	v_fma_f64 v[69:70], v[71:72], v[158:159], v[73:74]
	s_waitcnt vmcnt(12) lgkmcnt(1)
	v_mul_f64 v[154:155], v[3:4], v[160:161]
	v_mul_f64 v[160:161], v[1:2], v[160:161]
	v_add_f64 v[65:66], v[65:66], v[156:157]
	v_add_f64 v[67:68], v[67:68], v[75:76]
	s_waitcnt vmcnt(10) lgkmcnt(0)
	v_mul_f64 v[71:72], v[56:57], v[162:163]
	v_mul_f64 v[73:74], v[54:55], v[162:163]
	s_waitcnt vmcnt(8)
	v_fma_f64 v[75:76], v[1:2], v[166:167], -v[154:155]
	v_fma_f64 v[154:155], v[3:4], v[166:167], v[160:161]
	v_add_f64 v[58:59], v[65:66], v[58:59]
	v_add_f64 v[69:70], v[67:68], v[69:70]
	ds_read_b128 v[1:4], v60 offset:96
	ds_read_b128 v[65:68], v60 offset:112
	v_fma_f64 v[54:55], v[54:55], v[164:165], -v[71:72]
	v_fma_f64 v[56:57], v[56:57], v[164:165], v[73:74]
	s_waitcnt vmcnt(4) lgkmcnt(1)
	v_mul_f64 v[156:157], v[3:4], v[168:169]
	v_mul_f64 v[158:159], v[1:2], v[168:169]
	v_add_f64 v[58:59], v[58:59], v[75:76]
	v_add_f64 v[69:70], v[69:70], v[154:155]
	s_waitcnt vmcnt(2) lgkmcnt(0)
	v_mul_f64 v[71:72], v[67:68], v[170:171]
	v_mul_f64 v[73:74], v[65:66], v[170:171]
	s_waitcnt vmcnt(0)
	v_fma_f64 v[1:2], v[1:2], v[174:175], -v[156:157]
	v_fma_f64 v[3:4], v[3:4], v[174:175], v[158:159]
	v_add_f64 v[54:55], v[58:59], v[54:55]
	v_add_f64 v[56:57], v[69:70], v[56:57]
	v_fma_f64 v[58:59], v[65:66], v[172:173], -v[71:72]
	v_fma_f64 v[65:66], v[67:68], v[172:173], v[73:74]
	v_add_f64 v[1:2], v[54:55], v[1:2]
	v_add_f64 v[3:4], v[56:57], v[3:4]
	;; [unrolled: 1-line block ×4, first 2 shown]
	s_andn2_b32 exec_lo, exec_lo, s73
	s_cbranch_execnz .LBB62_641
; %bb.642:
	s_or_b32 exec_lo, exec_lo, s73
.LBB62_643:
	s_or_b32 exec_lo, exec_lo, s4
	v_and_b32_e32 v54, 7, v0
	s_mov_b32 s72, 0
	s_mov_b32 s4, exec_lo
	v_cmpx_ne_u32_e32 0, v54
	s_cbranch_execz .LBB62_647
; %bb.644:
	v_lshlrev_b32_e32 v55, 4, v53
	v_add_nc_u32_e32 v53, 0x3f0, v55
	.p2align	6
.LBB62_645:                             ; =>This Inner Loop Header: Depth=1
	s_clause 0x3
	buffer_load_dword v65, v55, s[0:3], 0 offen offset:8
	buffer_load_dword v66, v55, s[0:3], 0 offen offset:12
	buffer_load_dword v67, v55, s[0:3], 0 offen
	buffer_load_dword v68, v55, s[0:3], 0 offen offset:4
	ds_read_b128 v[56:59], v53
	v_add_nc_u32_e32 v54, -1, v54
	v_add_nc_u32_e32 v53, 16, v53
	v_add_nc_u32_e32 v55, 16, v55
	v_cmp_eq_u32_e32 vcc_lo, 0, v54
	s_or_b32 s72, vcc_lo, s72
	s_waitcnt vmcnt(2) lgkmcnt(0)
	v_mul_f64 v[69:70], v[58:59], v[65:66]
	v_mul_f64 v[65:66], v[56:57], v[65:66]
	s_waitcnt vmcnt(0)
	v_fma_f64 v[56:57], v[56:57], v[67:68], -v[69:70]
	v_fma_f64 v[58:59], v[58:59], v[67:68], v[65:66]
	v_add_f64 v[1:2], v[1:2], v[56:57]
	v_add_f64 v[3:4], v[3:4], v[58:59]
	s_andn2_b32 exec_lo, exec_lo, s72
	s_cbranch_execnz .LBB62_645
; %bb.646:
	s_or_b32 exec_lo, exec_lo, s72
.LBB62_647:
	s_or_b32 exec_lo, exec_lo, s4
.LBB62_648:
	s_or_b32 exec_lo, exec_lo, s8
	v_mov_b32_e32 v53, 0
	ds_read_b128 v[53:56], v53 offset:240
	s_waitcnt lgkmcnt(0)
	v_mul_f64 v[57:58], v[3:4], v[55:56]
	v_mul_f64 v[55:56], v[1:2], v[55:56]
	v_fma_f64 v[1:2], v[1:2], v[53:54], -v[57:58]
	v_fma_f64 v[3:4], v[3:4], v[53:54], v[55:56]
	buffer_store_dword v2, off, s[0:3], 0 offset:244
	buffer_store_dword v1, off, s[0:3], 0 offset:240
	;; [unrolled: 1-line block ×4, first 2 shown]
.LBB62_649:
	s_or_b32 exec_lo, exec_lo, s6
	v_mov_b32_e32 v4, s58
	v_cmp_lt_u32_e64 s4, 14, v0
	s_clause 0x3
	buffer_load_dword v1, v4, s[0:3], 0 offen
	buffer_load_dword v2, v4, s[0:3], 0 offen offset:4
	buffer_load_dword v3, v4, s[0:3], 0 offen offset:8
	;; [unrolled: 1-line block ×3, first 2 shown]
	s_waitcnt vmcnt(0)
	ds_write_b128 v48, v[1:4]
	s_waitcnt lgkmcnt(0)
	s_waitcnt_vscnt null, 0x0
	s_barrier
	buffer_gl0_inv
	s_and_saveexec_b32 s6, s4
	s_cbranch_execz .LBB62_663
; %bb.650:
	ds_read_b128 v[1:4], v48
	s_andn2_b32 vcc_lo, exec_lo, s7
	s_cbranch_vccnz .LBB62_652
; %bb.651:
	s_clause 0x3
	buffer_load_dword v53, v47, s[0:3], 0 offen offset:8
	buffer_load_dword v54, v47, s[0:3], 0 offen offset:12
	buffer_load_dword v55, v47, s[0:3], 0 offen
	buffer_load_dword v56, v47, s[0:3], 0 offen offset:4
	s_waitcnt vmcnt(2) lgkmcnt(0)
	v_mul_f64 v[57:58], v[3:4], v[53:54]
	v_mul_f64 v[53:54], v[1:2], v[53:54]
	s_waitcnt vmcnt(0)
	v_fma_f64 v[1:2], v[1:2], v[55:56], -v[57:58]
	v_fma_f64 v[3:4], v[3:4], v[55:56], v[53:54]
.LBB62_652:
	s_and_saveexec_b32 s8, s5
	s_cbranch_execz .LBB62_662
; %bb.653:
	v_add_nc_u32_e32 v54, -16, v0
	v_add_nc_u32_e32 v53, -15, v0
	v_mov_b32_e32 v55, 15
	s_mov_b32 s5, exec_lo
	v_cmpx_lt_u32_e32 6, v54
	s_cbranch_execz .LBB62_657
; %bb.654:
	v_and_b32_e32 v54, -8, v53
	s_movk_i32 s73, 0x4e0
	s_mov_b32 s72, 0
	s_mov_b32 s74, s57
	;; [unrolled: 1-line block ×3, first 2 shown]
.LBB62_655:                             ; =>This Inner Loop Header: Depth=1
	v_mov_b32_e32 v55, s74
	v_mov_b32_e32 v184, s73
	s_add_i32 s76, s75, 8
	s_add_i32 s75, s75, 23
	v_cmp_eq_u32_e32 vcc_lo, s76, v54
	s_clause 0x1f
	buffer_load_dword v59, v55, s[0:3], 0 offen offset:8
	buffer_load_dword v60, v55, s[0:3], 0 offen offset:12
	buffer_load_dword v69, v55, s[0:3], 0 offen
	buffer_load_dword v70, v55, s[0:3], 0 offen offset:4
	buffer_load_dword v71, v55, s[0:3], 0 offen offset:24
	;; [unrolled: 1-line block ×29, first 2 shown]
	ds_read_b128 v[55:58], v184
	ds_read_b128 v[65:68], v184 offset:16
	s_addk_i32 s73, 0x80
	s_addk_i32 s74, 0x80
	s_or_b32 s72, vcc_lo, s72
	s_waitcnt vmcnt(30) lgkmcnt(1)
	v_mul_f64 v[176:177], v[57:58], v[59:60]
	v_mul_f64 v[59:60], v[55:56], v[59:60]
	s_waitcnt vmcnt(26) lgkmcnt(0)
	v_mul_f64 v[178:179], v[67:68], v[71:72]
	v_mul_f64 v[180:181], v[65:66], v[71:72]
	v_fma_f64 v[176:177], v[55:56], v[69:70], -v[176:177]
	v_fma_f64 v[59:60], v[57:58], v[69:70], v[59:60]
	ds_read_b128 v[55:58], v184 offset:32
	ds_read_b128 v[69:72], v184 offset:48
	s_waitcnt vmcnt(24)
	v_fma_f64 v[65:66], v[65:66], v[73:74], -v[178:179]
	v_fma_f64 v[67:68], v[67:68], v[73:74], v[180:181]
	s_waitcnt vmcnt(22) lgkmcnt(1)
	v_mul_f64 v[182:183], v[57:58], v[75:76]
	v_mul_f64 v[75:76], v[55:56], v[75:76]
	v_add_f64 v[1:2], v[1:2], v[176:177]
	v_add_f64 v[3:4], v[3:4], v[59:60]
	s_waitcnt vmcnt(18) lgkmcnt(0)
	v_mul_f64 v[59:60], v[71:72], v[156:157]
	v_mul_f64 v[73:74], v[69:70], v[156:157]
	v_fma_f64 v[156:157], v[55:56], v[154:155], -v[182:183]
	v_fma_f64 v[75:76], v[57:58], v[154:155], v[75:76]
	v_add_f64 v[65:66], v[1:2], v[65:66]
	v_add_f64 v[67:68], v[3:4], v[67:68]
	ds_read_b128 v[1:4], v184 offset:64
	ds_read_b128 v[55:58], v184 offset:80
	s_waitcnt vmcnt(16)
	v_fma_f64 v[59:60], v[69:70], v[158:159], -v[59:60]
	v_fma_f64 v[69:70], v[71:72], v[158:159], v[73:74]
	s_waitcnt vmcnt(12) lgkmcnt(1)
	v_mul_f64 v[154:155], v[3:4], v[160:161]
	v_mul_f64 v[160:161], v[1:2], v[160:161]
	v_add_f64 v[65:66], v[65:66], v[156:157]
	v_add_f64 v[67:68], v[67:68], v[75:76]
	s_waitcnt vmcnt(10) lgkmcnt(0)
	v_mul_f64 v[71:72], v[57:58], v[162:163]
	v_mul_f64 v[73:74], v[55:56], v[162:163]
	s_waitcnt vmcnt(8)
	v_fma_f64 v[75:76], v[1:2], v[166:167], -v[154:155]
	v_fma_f64 v[154:155], v[3:4], v[166:167], v[160:161]
	v_add_f64 v[59:60], v[65:66], v[59:60]
	v_add_f64 v[69:70], v[67:68], v[69:70]
	ds_read_b128 v[1:4], v184 offset:96
	ds_read_b128 v[65:68], v184 offset:112
	v_fma_f64 v[55:56], v[55:56], v[164:165], -v[71:72]
	v_fma_f64 v[57:58], v[57:58], v[164:165], v[73:74]
	s_waitcnt vmcnt(4) lgkmcnt(1)
	v_mul_f64 v[156:157], v[3:4], v[168:169]
	v_mul_f64 v[158:159], v[1:2], v[168:169]
	v_add_f64 v[59:60], v[59:60], v[75:76]
	v_add_f64 v[69:70], v[69:70], v[154:155]
	s_waitcnt vmcnt(2) lgkmcnt(0)
	v_mul_f64 v[71:72], v[67:68], v[170:171]
	v_mul_f64 v[73:74], v[65:66], v[170:171]
	s_waitcnt vmcnt(0)
	v_fma_f64 v[1:2], v[1:2], v[174:175], -v[156:157]
	v_fma_f64 v[3:4], v[3:4], v[174:175], v[158:159]
	v_add_f64 v[55:56], v[59:60], v[55:56]
	v_add_f64 v[57:58], v[69:70], v[57:58]
	v_fma_f64 v[59:60], v[65:66], v[172:173], -v[71:72]
	v_fma_f64 v[65:66], v[67:68], v[172:173], v[73:74]
	v_add_f64 v[1:2], v[55:56], v[1:2]
	v_add_f64 v[3:4], v[57:58], v[3:4]
	v_mov_b32_e32 v55, s75
	s_mov_b32 s75, s76
	v_add_f64 v[1:2], v[1:2], v[59:60]
	v_add_f64 v[3:4], v[3:4], v[65:66]
	s_andn2_b32 exec_lo, exec_lo, s72
	s_cbranch_execnz .LBB62_655
; %bb.656:
	s_or_b32 exec_lo, exec_lo, s72
.LBB62_657:
	s_or_b32 exec_lo, exec_lo, s5
	v_and_b32_e32 v53, 7, v53
	s_mov_b32 s72, 0
	s_mov_b32 s5, exec_lo
	v_cmpx_ne_u32_e32 0, v53
	s_cbranch_execz .LBB62_661
; %bb.658:
	v_lshlrev_b32_e32 v55, 4, v55
	v_add_nc_u32_e32 v54, 0x3f0, v55
	.p2align	6
.LBB62_659:                             ; =>This Inner Loop Header: Depth=1
	s_clause 0x3
	buffer_load_dword v65, v55, s[0:3], 0 offen offset:8
	buffer_load_dword v66, v55, s[0:3], 0 offen offset:12
	buffer_load_dword v67, v55, s[0:3], 0 offen
	buffer_load_dword v68, v55, s[0:3], 0 offen offset:4
	ds_read_b128 v[56:59], v54
	v_add_nc_u32_e32 v53, -1, v53
	v_add_nc_u32_e32 v54, 16, v54
	v_add_nc_u32_e32 v55, 16, v55
	v_cmp_eq_u32_e32 vcc_lo, 0, v53
	s_or_b32 s72, vcc_lo, s72
	s_waitcnt vmcnt(2) lgkmcnt(0)
	v_mul_f64 v[69:70], v[58:59], v[65:66]
	v_mul_f64 v[65:66], v[56:57], v[65:66]
	s_waitcnt vmcnt(0)
	v_fma_f64 v[56:57], v[56:57], v[67:68], -v[69:70]
	v_fma_f64 v[58:59], v[58:59], v[67:68], v[65:66]
	v_add_f64 v[1:2], v[1:2], v[56:57]
	v_add_f64 v[3:4], v[3:4], v[58:59]
	s_andn2_b32 exec_lo, exec_lo, s72
	s_cbranch_execnz .LBB62_659
; %bb.660:
	s_or_b32 exec_lo, exec_lo, s72
.LBB62_661:
	s_or_b32 exec_lo, exec_lo, s5
.LBB62_662:
	s_or_b32 exec_lo, exec_lo, s8
	v_mov_b32_e32 v53, 0
	ds_read_b128 v[53:56], v53 offset:224
	s_waitcnt lgkmcnt(0)
	v_mul_f64 v[57:58], v[3:4], v[55:56]
	v_mul_f64 v[55:56], v[1:2], v[55:56]
	v_fma_f64 v[1:2], v[1:2], v[53:54], -v[57:58]
	v_fma_f64 v[3:4], v[3:4], v[53:54], v[55:56]
	buffer_store_dword v2, off, s[0:3], 0 offset:228
	buffer_store_dword v1, off, s[0:3], 0 offset:224
	buffer_store_dword v4, off, s[0:3], 0 offset:236
	buffer_store_dword v3, off, s[0:3], 0 offset:232
.LBB62_663:
	s_or_b32 exec_lo, exec_lo, s6
	v_mov_b32_e32 v4, s59
	v_cmp_lt_u32_e64 s5, 13, v0
	s_clause 0x3
	buffer_load_dword v1, v4, s[0:3], 0 offen
	buffer_load_dword v2, v4, s[0:3], 0 offen offset:4
	buffer_load_dword v3, v4, s[0:3], 0 offen offset:8
	buffer_load_dword v4, v4, s[0:3], 0 offen offset:12
	s_waitcnt vmcnt(0)
	ds_write_b128 v48, v[1:4]
	s_waitcnt lgkmcnt(0)
	s_waitcnt_vscnt null, 0x0
	s_barrier
	buffer_gl0_inv
	s_and_saveexec_b32 s6, s5
	s_cbranch_execz .LBB62_677
; %bb.664:
	ds_read_b128 v[1:4], v48
	s_andn2_b32 vcc_lo, exec_lo, s7
	s_cbranch_vccnz .LBB62_666
; %bb.665:
	s_clause 0x3
	buffer_load_dword v53, v47, s[0:3], 0 offen offset:8
	buffer_load_dword v54, v47, s[0:3], 0 offen offset:12
	buffer_load_dword v55, v47, s[0:3], 0 offen
	buffer_load_dword v56, v47, s[0:3], 0 offen offset:4
	s_waitcnt vmcnt(2) lgkmcnt(0)
	v_mul_f64 v[57:58], v[3:4], v[53:54]
	v_mul_f64 v[53:54], v[1:2], v[53:54]
	s_waitcnt vmcnt(0)
	v_fma_f64 v[1:2], v[1:2], v[55:56], -v[57:58]
	v_fma_f64 v[3:4], v[3:4], v[55:56], v[53:54]
.LBB62_666:
	s_and_saveexec_b32 s8, s4
	s_cbranch_execz .LBB62_676
; %bb.667:
	v_add_nc_u32_e32 v54, -15, v0
	v_add_nc_u32_e32 v53, -14, v0
	v_mov_b32_e32 v55, 14
	s_mov_b32 s4, exec_lo
	v_cmpx_lt_u32_e32 6, v54
	s_cbranch_execz .LBB62_671
; %bb.668:
	v_and_b32_e32 v54, -8, v53
	s_movk_i32 s73, 0x4d0
	s_mov_b32 s72, 0
	s_mov_b32 s74, s58
	;; [unrolled: 1-line block ×3, first 2 shown]
.LBB62_669:                             ; =>This Inner Loop Header: Depth=1
	v_mov_b32_e32 v55, s74
	v_mov_b32_e32 v184, s73
	s_add_i32 s76, s75, 8
	s_add_i32 s75, s75, 22
	v_cmp_eq_u32_e32 vcc_lo, s76, v54
	s_clause 0x1f
	buffer_load_dword v59, v55, s[0:3], 0 offen offset:8
	buffer_load_dword v60, v55, s[0:3], 0 offen offset:12
	buffer_load_dword v69, v55, s[0:3], 0 offen
	buffer_load_dword v70, v55, s[0:3], 0 offen offset:4
	buffer_load_dword v71, v55, s[0:3], 0 offen offset:24
	;; [unrolled: 1-line block ×29, first 2 shown]
	ds_read_b128 v[55:58], v184
	ds_read_b128 v[65:68], v184 offset:16
	s_addk_i32 s73, 0x80
	s_addk_i32 s74, 0x80
	s_or_b32 s72, vcc_lo, s72
	s_waitcnt vmcnt(30) lgkmcnt(1)
	v_mul_f64 v[176:177], v[57:58], v[59:60]
	v_mul_f64 v[59:60], v[55:56], v[59:60]
	s_waitcnt vmcnt(26) lgkmcnt(0)
	v_mul_f64 v[178:179], v[67:68], v[71:72]
	v_mul_f64 v[180:181], v[65:66], v[71:72]
	v_fma_f64 v[176:177], v[55:56], v[69:70], -v[176:177]
	v_fma_f64 v[59:60], v[57:58], v[69:70], v[59:60]
	ds_read_b128 v[55:58], v184 offset:32
	ds_read_b128 v[69:72], v184 offset:48
	s_waitcnt vmcnt(24)
	v_fma_f64 v[65:66], v[65:66], v[73:74], -v[178:179]
	v_fma_f64 v[67:68], v[67:68], v[73:74], v[180:181]
	s_waitcnt vmcnt(22) lgkmcnt(1)
	v_mul_f64 v[182:183], v[57:58], v[75:76]
	v_mul_f64 v[75:76], v[55:56], v[75:76]
	v_add_f64 v[1:2], v[1:2], v[176:177]
	v_add_f64 v[3:4], v[3:4], v[59:60]
	s_waitcnt vmcnt(18) lgkmcnt(0)
	v_mul_f64 v[59:60], v[71:72], v[156:157]
	v_mul_f64 v[73:74], v[69:70], v[156:157]
	v_fma_f64 v[156:157], v[55:56], v[154:155], -v[182:183]
	v_fma_f64 v[75:76], v[57:58], v[154:155], v[75:76]
	v_add_f64 v[65:66], v[1:2], v[65:66]
	v_add_f64 v[67:68], v[3:4], v[67:68]
	ds_read_b128 v[1:4], v184 offset:64
	ds_read_b128 v[55:58], v184 offset:80
	s_waitcnt vmcnt(16)
	v_fma_f64 v[59:60], v[69:70], v[158:159], -v[59:60]
	v_fma_f64 v[69:70], v[71:72], v[158:159], v[73:74]
	s_waitcnt vmcnt(12) lgkmcnt(1)
	v_mul_f64 v[154:155], v[3:4], v[160:161]
	v_mul_f64 v[160:161], v[1:2], v[160:161]
	v_add_f64 v[65:66], v[65:66], v[156:157]
	v_add_f64 v[67:68], v[67:68], v[75:76]
	s_waitcnt vmcnt(10) lgkmcnt(0)
	v_mul_f64 v[71:72], v[57:58], v[162:163]
	v_mul_f64 v[73:74], v[55:56], v[162:163]
	s_waitcnt vmcnt(8)
	v_fma_f64 v[75:76], v[1:2], v[166:167], -v[154:155]
	v_fma_f64 v[154:155], v[3:4], v[166:167], v[160:161]
	v_add_f64 v[59:60], v[65:66], v[59:60]
	v_add_f64 v[69:70], v[67:68], v[69:70]
	ds_read_b128 v[1:4], v184 offset:96
	ds_read_b128 v[65:68], v184 offset:112
	v_fma_f64 v[55:56], v[55:56], v[164:165], -v[71:72]
	v_fma_f64 v[57:58], v[57:58], v[164:165], v[73:74]
	s_waitcnt vmcnt(4) lgkmcnt(1)
	v_mul_f64 v[156:157], v[3:4], v[168:169]
	v_mul_f64 v[158:159], v[1:2], v[168:169]
	v_add_f64 v[59:60], v[59:60], v[75:76]
	v_add_f64 v[69:70], v[69:70], v[154:155]
	s_waitcnt vmcnt(2) lgkmcnt(0)
	v_mul_f64 v[71:72], v[67:68], v[170:171]
	v_mul_f64 v[73:74], v[65:66], v[170:171]
	s_waitcnt vmcnt(0)
	v_fma_f64 v[1:2], v[1:2], v[174:175], -v[156:157]
	v_fma_f64 v[3:4], v[3:4], v[174:175], v[158:159]
	v_add_f64 v[55:56], v[59:60], v[55:56]
	v_add_f64 v[57:58], v[69:70], v[57:58]
	v_fma_f64 v[59:60], v[65:66], v[172:173], -v[71:72]
	v_fma_f64 v[65:66], v[67:68], v[172:173], v[73:74]
	v_add_f64 v[1:2], v[55:56], v[1:2]
	v_add_f64 v[3:4], v[57:58], v[3:4]
	v_mov_b32_e32 v55, s75
	s_mov_b32 s75, s76
	v_add_f64 v[1:2], v[1:2], v[59:60]
	v_add_f64 v[3:4], v[3:4], v[65:66]
	s_andn2_b32 exec_lo, exec_lo, s72
	s_cbranch_execnz .LBB62_669
; %bb.670:
	s_or_b32 exec_lo, exec_lo, s72
.LBB62_671:
	s_or_b32 exec_lo, exec_lo, s4
	v_and_b32_e32 v53, 7, v53
	s_mov_b32 s72, 0
	s_mov_b32 s4, exec_lo
	v_cmpx_ne_u32_e32 0, v53
	s_cbranch_execz .LBB62_675
; %bb.672:
	v_lshlrev_b32_e32 v55, 4, v55
	v_add_nc_u32_e32 v54, 0x3f0, v55
	.p2align	6
.LBB62_673:                             ; =>This Inner Loop Header: Depth=1
	s_clause 0x3
	buffer_load_dword v65, v55, s[0:3], 0 offen offset:8
	buffer_load_dword v66, v55, s[0:3], 0 offen offset:12
	buffer_load_dword v67, v55, s[0:3], 0 offen
	buffer_load_dword v68, v55, s[0:3], 0 offen offset:4
	ds_read_b128 v[56:59], v54
	v_add_nc_u32_e32 v53, -1, v53
	v_add_nc_u32_e32 v54, 16, v54
	v_add_nc_u32_e32 v55, 16, v55
	v_cmp_eq_u32_e32 vcc_lo, 0, v53
	s_or_b32 s72, vcc_lo, s72
	s_waitcnt vmcnt(2) lgkmcnt(0)
	v_mul_f64 v[69:70], v[58:59], v[65:66]
	v_mul_f64 v[65:66], v[56:57], v[65:66]
	s_waitcnt vmcnt(0)
	v_fma_f64 v[56:57], v[56:57], v[67:68], -v[69:70]
	v_fma_f64 v[58:59], v[58:59], v[67:68], v[65:66]
	v_add_f64 v[1:2], v[1:2], v[56:57]
	v_add_f64 v[3:4], v[3:4], v[58:59]
	s_andn2_b32 exec_lo, exec_lo, s72
	s_cbranch_execnz .LBB62_673
; %bb.674:
	s_or_b32 exec_lo, exec_lo, s72
.LBB62_675:
	s_or_b32 exec_lo, exec_lo, s4
.LBB62_676:
	s_or_b32 exec_lo, exec_lo, s8
	v_mov_b32_e32 v53, 0
	ds_read_b128 v[53:56], v53 offset:208
	s_waitcnt lgkmcnt(0)
	v_mul_f64 v[57:58], v[3:4], v[55:56]
	v_mul_f64 v[55:56], v[1:2], v[55:56]
	v_fma_f64 v[1:2], v[1:2], v[53:54], -v[57:58]
	v_fma_f64 v[3:4], v[3:4], v[53:54], v[55:56]
	buffer_store_dword v2, off, s[0:3], 0 offset:212
	buffer_store_dword v1, off, s[0:3], 0 offset:208
	;; [unrolled: 1-line block ×4, first 2 shown]
.LBB62_677:
	s_or_b32 exec_lo, exec_lo, s6
	v_mov_b32_e32 v4, s60
	v_cmp_lt_u32_e64 s4, 12, v0
	s_clause 0x3
	buffer_load_dword v1, v4, s[0:3], 0 offen
	buffer_load_dword v2, v4, s[0:3], 0 offen offset:4
	buffer_load_dword v3, v4, s[0:3], 0 offen offset:8
	buffer_load_dword v4, v4, s[0:3], 0 offen offset:12
	s_waitcnt vmcnt(0)
	ds_write_b128 v48, v[1:4]
	s_waitcnt lgkmcnt(0)
	s_waitcnt_vscnt null, 0x0
	s_barrier
	buffer_gl0_inv
	s_and_saveexec_b32 s6, s4
	s_cbranch_execz .LBB62_691
; %bb.678:
	ds_read_b128 v[1:4], v48
	s_andn2_b32 vcc_lo, exec_lo, s7
	s_cbranch_vccnz .LBB62_680
; %bb.679:
	s_clause 0x3
	buffer_load_dword v53, v47, s[0:3], 0 offen offset:8
	buffer_load_dword v54, v47, s[0:3], 0 offen offset:12
	buffer_load_dword v55, v47, s[0:3], 0 offen
	buffer_load_dword v56, v47, s[0:3], 0 offen offset:4
	s_waitcnt vmcnt(2) lgkmcnt(0)
	v_mul_f64 v[57:58], v[3:4], v[53:54]
	v_mul_f64 v[53:54], v[1:2], v[53:54]
	s_waitcnt vmcnt(0)
	v_fma_f64 v[1:2], v[1:2], v[55:56], -v[57:58]
	v_fma_f64 v[3:4], v[3:4], v[55:56], v[53:54]
.LBB62_680:
	s_and_saveexec_b32 s8, s5
	s_cbranch_execz .LBB62_690
; %bb.681:
	v_add_nc_u32_e32 v54, -14, v0
	v_add_nc_u32_e32 v53, -13, v0
	v_mov_b32_e32 v55, 13
	s_mov_b32 s5, exec_lo
	v_cmpx_lt_u32_e32 6, v54
	s_cbranch_execz .LBB62_685
; %bb.682:
	v_and_b32_e32 v54, -8, v53
	s_movk_i32 s73, 0x4c0
	s_mov_b32 s72, 0
	s_mov_b32 s74, s59
	;; [unrolled: 1-line block ×3, first 2 shown]
.LBB62_683:                             ; =>This Inner Loop Header: Depth=1
	v_mov_b32_e32 v55, s74
	v_mov_b32_e32 v184, s73
	s_add_i32 s76, s75, 8
	s_add_i32 s75, s75, 21
	v_cmp_eq_u32_e32 vcc_lo, s76, v54
	s_clause 0x1f
	buffer_load_dword v59, v55, s[0:3], 0 offen offset:8
	buffer_load_dword v60, v55, s[0:3], 0 offen offset:12
	buffer_load_dword v69, v55, s[0:3], 0 offen
	buffer_load_dword v70, v55, s[0:3], 0 offen offset:4
	buffer_load_dword v71, v55, s[0:3], 0 offen offset:24
	;; [unrolled: 1-line block ×29, first 2 shown]
	ds_read_b128 v[55:58], v184
	ds_read_b128 v[65:68], v184 offset:16
	s_addk_i32 s73, 0x80
	s_addk_i32 s74, 0x80
	s_or_b32 s72, vcc_lo, s72
	s_waitcnt vmcnt(30) lgkmcnt(1)
	v_mul_f64 v[176:177], v[57:58], v[59:60]
	v_mul_f64 v[59:60], v[55:56], v[59:60]
	s_waitcnt vmcnt(26) lgkmcnt(0)
	v_mul_f64 v[178:179], v[67:68], v[71:72]
	v_mul_f64 v[180:181], v[65:66], v[71:72]
	v_fma_f64 v[176:177], v[55:56], v[69:70], -v[176:177]
	v_fma_f64 v[59:60], v[57:58], v[69:70], v[59:60]
	ds_read_b128 v[55:58], v184 offset:32
	ds_read_b128 v[69:72], v184 offset:48
	s_waitcnt vmcnt(24)
	v_fma_f64 v[65:66], v[65:66], v[73:74], -v[178:179]
	v_fma_f64 v[67:68], v[67:68], v[73:74], v[180:181]
	s_waitcnt vmcnt(22) lgkmcnt(1)
	v_mul_f64 v[182:183], v[57:58], v[75:76]
	v_mul_f64 v[75:76], v[55:56], v[75:76]
	v_add_f64 v[1:2], v[1:2], v[176:177]
	v_add_f64 v[3:4], v[3:4], v[59:60]
	s_waitcnt vmcnt(18) lgkmcnt(0)
	v_mul_f64 v[59:60], v[71:72], v[156:157]
	v_mul_f64 v[73:74], v[69:70], v[156:157]
	v_fma_f64 v[156:157], v[55:56], v[154:155], -v[182:183]
	v_fma_f64 v[75:76], v[57:58], v[154:155], v[75:76]
	v_add_f64 v[65:66], v[1:2], v[65:66]
	v_add_f64 v[67:68], v[3:4], v[67:68]
	ds_read_b128 v[1:4], v184 offset:64
	ds_read_b128 v[55:58], v184 offset:80
	s_waitcnt vmcnt(16)
	v_fma_f64 v[59:60], v[69:70], v[158:159], -v[59:60]
	v_fma_f64 v[69:70], v[71:72], v[158:159], v[73:74]
	s_waitcnt vmcnt(12) lgkmcnt(1)
	v_mul_f64 v[154:155], v[3:4], v[160:161]
	v_mul_f64 v[160:161], v[1:2], v[160:161]
	v_add_f64 v[65:66], v[65:66], v[156:157]
	v_add_f64 v[67:68], v[67:68], v[75:76]
	s_waitcnt vmcnt(10) lgkmcnt(0)
	v_mul_f64 v[71:72], v[57:58], v[162:163]
	v_mul_f64 v[73:74], v[55:56], v[162:163]
	s_waitcnt vmcnt(8)
	v_fma_f64 v[75:76], v[1:2], v[166:167], -v[154:155]
	v_fma_f64 v[154:155], v[3:4], v[166:167], v[160:161]
	v_add_f64 v[59:60], v[65:66], v[59:60]
	v_add_f64 v[69:70], v[67:68], v[69:70]
	ds_read_b128 v[1:4], v184 offset:96
	ds_read_b128 v[65:68], v184 offset:112
	v_fma_f64 v[55:56], v[55:56], v[164:165], -v[71:72]
	v_fma_f64 v[57:58], v[57:58], v[164:165], v[73:74]
	s_waitcnt vmcnt(4) lgkmcnt(1)
	v_mul_f64 v[156:157], v[3:4], v[168:169]
	v_mul_f64 v[158:159], v[1:2], v[168:169]
	v_add_f64 v[59:60], v[59:60], v[75:76]
	v_add_f64 v[69:70], v[69:70], v[154:155]
	s_waitcnt vmcnt(2) lgkmcnt(0)
	v_mul_f64 v[71:72], v[67:68], v[170:171]
	v_mul_f64 v[73:74], v[65:66], v[170:171]
	s_waitcnt vmcnt(0)
	v_fma_f64 v[1:2], v[1:2], v[174:175], -v[156:157]
	v_fma_f64 v[3:4], v[3:4], v[174:175], v[158:159]
	v_add_f64 v[55:56], v[59:60], v[55:56]
	v_add_f64 v[57:58], v[69:70], v[57:58]
	v_fma_f64 v[59:60], v[65:66], v[172:173], -v[71:72]
	v_fma_f64 v[65:66], v[67:68], v[172:173], v[73:74]
	v_add_f64 v[1:2], v[55:56], v[1:2]
	v_add_f64 v[3:4], v[57:58], v[3:4]
	v_mov_b32_e32 v55, s75
	s_mov_b32 s75, s76
	v_add_f64 v[1:2], v[1:2], v[59:60]
	v_add_f64 v[3:4], v[3:4], v[65:66]
	s_andn2_b32 exec_lo, exec_lo, s72
	s_cbranch_execnz .LBB62_683
; %bb.684:
	s_or_b32 exec_lo, exec_lo, s72
.LBB62_685:
	s_or_b32 exec_lo, exec_lo, s5
	v_and_b32_e32 v53, 7, v53
	s_mov_b32 s72, 0
	s_mov_b32 s5, exec_lo
	v_cmpx_ne_u32_e32 0, v53
	s_cbranch_execz .LBB62_689
; %bb.686:
	v_lshlrev_b32_e32 v55, 4, v55
	v_add_nc_u32_e32 v54, 0x3f0, v55
	.p2align	6
.LBB62_687:                             ; =>This Inner Loop Header: Depth=1
	s_clause 0x3
	buffer_load_dword v65, v55, s[0:3], 0 offen offset:8
	buffer_load_dword v66, v55, s[0:3], 0 offen offset:12
	buffer_load_dword v67, v55, s[0:3], 0 offen
	buffer_load_dword v68, v55, s[0:3], 0 offen offset:4
	ds_read_b128 v[56:59], v54
	v_add_nc_u32_e32 v53, -1, v53
	v_add_nc_u32_e32 v54, 16, v54
	v_add_nc_u32_e32 v55, 16, v55
	v_cmp_eq_u32_e32 vcc_lo, 0, v53
	s_or_b32 s72, vcc_lo, s72
	s_waitcnt vmcnt(2) lgkmcnt(0)
	v_mul_f64 v[69:70], v[58:59], v[65:66]
	v_mul_f64 v[65:66], v[56:57], v[65:66]
	s_waitcnt vmcnt(0)
	v_fma_f64 v[56:57], v[56:57], v[67:68], -v[69:70]
	v_fma_f64 v[58:59], v[58:59], v[67:68], v[65:66]
	v_add_f64 v[1:2], v[1:2], v[56:57]
	v_add_f64 v[3:4], v[3:4], v[58:59]
	s_andn2_b32 exec_lo, exec_lo, s72
	s_cbranch_execnz .LBB62_687
; %bb.688:
	s_or_b32 exec_lo, exec_lo, s72
.LBB62_689:
	s_or_b32 exec_lo, exec_lo, s5
.LBB62_690:
	s_or_b32 exec_lo, exec_lo, s8
	v_mov_b32_e32 v53, 0
	ds_read_b128 v[53:56], v53 offset:192
	s_waitcnt lgkmcnt(0)
	v_mul_f64 v[57:58], v[3:4], v[55:56]
	v_mul_f64 v[55:56], v[1:2], v[55:56]
	v_fma_f64 v[1:2], v[1:2], v[53:54], -v[57:58]
	v_fma_f64 v[3:4], v[3:4], v[53:54], v[55:56]
	buffer_store_dword v2, off, s[0:3], 0 offset:196
	buffer_store_dword v1, off, s[0:3], 0 offset:192
	;; [unrolled: 1-line block ×4, first 2 shown]
.LBB62_691:
	s_or_b32 exec_lo, exec_lo, s6
	v_mov_b32_e32 v4, s61
	v_cmp_lt_u32_e64 s5, 11, v0
	s_clause 0x3
	buffer_load_dword v1, v4, s[0:3], 0 offen
	buffer_load_dword v2, v4, s[0:3], 0 offen offset:4
	buffer_load_dword v3, v4, s[0:3], 0 offen offset:8
	;; [unrolled: 1-line block ×3, first 2 shown]
	s_waitcnt vmcnt(0)
	ds_write_b128 v48, v[1:4]
	s_waitcnt lgkmcnt(0)
	s_waitcnt_vscnt null, 0x0
	s_barrier
	buffer_gl0_inv
	s_and_saveexec_b32 s6, s5
	s_cbranch_execz .LBB62_705
; %bb.692:
	ds_read_b128 v[1:4], v48
	s_andn2_b32 vcc_lo, exec_lo, s7
	s_cbranch_vccnz .LBB62_694
; %bb.693:
	s_clause 0x3
	buffer_load_dword v53, v47, s[0:3], 0 offen offset:8
	buffer_load_dword v54, v47, s[0:3], 0 offen offset:12
	buffer_load_dword v55, v47, s[0:3], 0 offen
	buffer_load_dword v56, v47, s[0:3], 0 offen offset:4
	s_waitcnt vmcnt(2) lgkmcnt(0)
	v_mul_f64 v[57:58], v[3:4], v[53:54]
	v_mul_f64 v[53:54], v[1:2], v[53:54]
	s_waitcnt vmcnt(0)
	v_fma_f64 v[1:2], v[1:2], v[55:56], -v[57:58]
	v_fma_f64 v[3:4], v[3:4], v[55:56], v[53:54]
.LBB62_694:
	s_and_saveexec_b32 s8, s4
	s_cbranch_execz .LBB62_704
; %bb.695:
	v_add_nc_u32_e32 v54, -13, v0
	v_add_nc_u32_e32 v53, -12, v0
	v_mov_b32_e32 v55, 12
	s_mov_b32 s4, exec_lo
	v_cmpx_lt_u32_e32 6, v54
	s_cbranch_execz .LBB62_699
; %bb.696:
	v_and_b32_e32 v54, -8, v53
	s_movk_i32 s73, 0x4b0
	s_mov_b32 s72, 0
	s_mov_b32 s74, s60
	;; [unrolled: 1-line block ×3, first 2 shown]
.LBB62_697:                             ; =>This Inner Loop Header: Depth=1
	v_mov_b32_e32 v55, s74
	v_mov_b32_e32 v184, s73
	s_add_i32 s76, s75, 8
	s_add_i32 s75, s75, 20
	v_cmp_eq_u32_e32 vcc_lo, s76, v54
	s_clause 0x1f
	buffer_load_dword v59, v55, s[0:3], 0 offen offset:8
	buffer_load_dword v60, v55, s[0:3], 0 offen offset:12
	buffer_load_dword v69, v55, s[0:3], 0 offen
	buffer_load_dword v70, v55, s[0:3], 0 offen offset:4
	buffer_load_dword v71, v55, s[0:3], 0 offen offset:24
	;; [unrolled: 1-line block ×29, first 2 shown]
	ds_read_b128 v[55:58], v184
	ds_read_b128 v[65:68], v184 offset:16
	s_addk_i32 s73, 0x80
	s_addk_i32 s74, 0x80
	s_or_b32 s72, vcc_lo, s72
	s_waitcnt vmcnt(30) lgkmcnt(1)
	v_mul_f64 v[176:177], v[57:58], v[59:60]
	v_mul_f64 v[59:60], v[55:56], v[59:60]
	s_waitcnt vmcnt(26) lgkmcnt(0)
	v_mul_f64 v[178:179], v[67:68], v[71:72]
	v_mul_f64 v[180:181], v[65:66], v[71:72]
	v_fma_f64 v[176:177], v[55:56], v[69:70], -v[176:177]
	v_fma_f64 v[59:60], v[57:58], v[69:70], v[59:60]
	ds_read_b128 v[55:58], v184 offset:32
	ds_read_b128 v[69:72], v184 offset:48
	s_waitcnt vmcnt(24)
	v_fma_f64 v[65:66], v[65:66], v[73:74], -v[178:179]
	v_fma_f64 v[67:68], v[67:68], v[73:74], v[180:181]
	s_waitcnt vmcnt(22) lgkmcnt(1)
	v_mul_f64 v[182:183], v[57:58], v[75:76]
	v_mul_f64 v[75:76], v[55:56], v[75:76]
	v_add_f64 v[1:2], v[1:2], v[176:177]
	v_add_f64 v[3:4], v[3:4], v[59:60]
	s_waitcnt vmcnt(18) lgkmcnt(0)
	v_mul_f64 v[59:60], v[71:72], v[156:157]
	v_mul_f64 v[73:74], v[69:70], v[156:157]
	v_fma_f64 v[156:157], v[55:56], v[154:155], -v[182:183]
	v_fma_f64 v[75:76], v[57:58], v[154:155], v[75:76]
	v_add_f64 v[65:66], v[1:2], v[65:66]
	v_add_f64 v[67:68], v[3:4], v[67:68]
	ds_read_b128 v[1:4], v184 offset:64
	ds_read_b128 v[55:58], v184 offset:80
	s_waitcnt vmcnt(16)
	v_fma_f64 v[59:60], v[69:70], v[158:159], -v[59:60]
	v_fma_f64 v[69:70], v[71:72], v[158:159], v[73:74]
	s_waitcnt vmcnt(12) lgkmcnt(1)
	v_mul_f64 v[154:155], v[3:4], v[160:161]
	v_mul_f64 v[160:161], v[1:2], v[160:161]
	v_add_f64 v[65:66], v[65:66], v[156:157]
	v_add_f64 v[67:68], v[67:68], v[75:76]
	s_waitcnt vmcnt(10) lgkmcnt(0)
	v_mul_f64 v[71:72], v[57:58], v[162:163]
	v_mul_f64 v[73:74], v[55:56], v[162:163]
	s_waitcnt vmcnt(8)
	v_fma_f64 v[75:76], v[1:2], v[166:167], -v[154:155]
	v_fma_f64 v[154:155], v[3:4], v[166:167], v[160:161]
	v_add_f64 v[59:60], v[65:66], v[59:60]
	v_add_f64 v[69:70], v[67:68], v[69:70]
	ds_read_b128 v[1:4], v184 offset:96
	ds_read_b128 v[65:68], v184 offset:112
	v_fma_f64 v[55:56], v[55:56], v[164:165], -v[71:72]
	v_fma_f64 v[57:58], v[57:58], v[164:165], v[73:74]
	s_waitcnt vmcnt(4) lgkmcnt(1)
	v_mul_f64 v[156:157], v[3:4], v[168:169]
	v_mul_f64 v[158:159], v[1:2], v[168:169]
	v_add_f64 v[59:60], v[59:60], v[75:76]
	v_add_f64 v[69:70], v[69:70], v[154:155]
	s_waitcnt vmcnt(2) lgkmcnt(0)
	v_mul_f64 v[71:72], v[67:68], v[170:171]
	v_mul_f64 v[73:74], v[65:66], v[170:171]
	s_waitcnt vmcnt(0)
	v_fma_f64 v[1:2], v[1:2], v[174:175], -v[156:157]
	v_fma_f64 v[3:4], v[3:4], v[174:175], v[158:159]
	v_add_f64 v[55:56], v[59:60], v[55:56]
	v_add_f64 v[57:58], v[69:70], v[57:58]
	v_fma_f64 v[59:60], v[65:66], v[172:173], -v[71:72]
	v_fma_f64 v[65:66], v[67:68], v[172:173], v[73:74]
	v_add_f64 v[1:2], v[55:56], v[1:2]
	v_add_f64 v[3:4], v[57:58], v[3:4]
	v_mov_b32_e32 v55, s75
	s_mov_b32 s75, s76
	v_add_f64 v[1:2], v[1:2], v[59:60]
	v_add_f64 v[3:4], v[3:4], v[65:66]
	s_andn2_b32 exec_lo, exec_lo, s72
	s_cbranch_execnz .LBB62_697
; %bb.698:
	s_or_b32 exec_lo, exec_lo, s72
.LBB62_699:
	s_or_b32 exec_lo, exec_lo, s4
	v_and_b32_e32 v53, 7, v53
	s_mov_b32 s72, 0
	s_mov_b32 s4, exec_lo
	v_cmpx_ne_u32_e32 0, v53
	s_cbranch_execz .LBB62_703
; %bb.700:
	v_lshlrev_b32_e32 v55, 4, v55
	v_add_nc_u32_e32 v54, 0x3f0, v55
	.p2align	6
.LBB62_701:                             ; =>This Inner Loop Header: Depth=1
	s_clause 0x3
	buffer_load_dword v65, v55, s[0:3], 0 offen offset:8
	buffer_load_dword v66, v55, s[0:3], 0 offen offset:12
	buffer_load_dword v67, v55, s[0:3], 0 offen
	buffer_load_dword v68, v55, s[0:3], 0 offen offset:4
	ds_read_b128 v[56:59], v54
	v_add_nc_u32_e32 v53, -1, v53
	v_add_nc_u32_e32 v54, 16, v54
	v_add_nc_u32_e32 v55, 16, v55
	v_cmp_eq_u32_e32 vcc_lo, 0, v53
	s_or_b32 s72, vcc_lo, s72
	s_waitcnt vmcnt(2) lgkmcnt(0)
	v_mul_f64 v[69:70], v[58:59], v[65:66]
	v_mul_f64 v[65:66], v[56:57], v[65:66]
	s_waitcnt vmcnt(0)
	v_fma_f64 v[56:57], v[56:57], v[67:68], -v[69:70]
	v_fma_f64 v[58:59], v[58:59], v[67:68], v[65:66]
	v_add_f64 v[1:2], v[1:2], v[56:57]
	v_add_f64 v[3:4], v[3:4], v[58:59]
	s_andn2_b32 exec_lo, exec_lo, s72
	s_cbranch_execnz .LBB62_701
; %bb.702:
	s_or_b32 exec_lo, exec_lo, s72
.LBB62_703:
	s_or_b32 exec_lo, exec_lo, s4
.LBB62_704:
	s_or_b32 exec_lo, exec_lo, s8
	v_mov_b32_e32 v53, 0
	ds_read_b128 v[53:56], v53 offset:176
	s_waitcnt lgkmcnt(0)
	v_mul_f64 v[57:58], v[3:4], v[55:56]
	v_mul_f64 v[55:56], v[1:2], v[55:56]
	v_fma_f64 v[1:2], v[1:2], v[53:54], -v[57:58]
	v_fma_f64 v[3:4], v[3:4], v[53:54], v[55:56]
	buffer_store_dword v2, off, s[0:3], 0 offset:180
	buffer_store_dword v1, off, s[0:3], 0 offset:176
	;; [unrolled: 1-line block ×4, first 2 shown]
.LBB62_705:
	s_or_b32 exec_lo, exec_lo, s6
	v_mov_b32_e32 v4, s62
	v_cmp_lt_u32_e64 s4, 10, v0
	s_clause 0x3
	buffer_load_dword v1, v4, s[0:3], 0 offen
	buffer_load_dword v2, v4, s[0:3], 0 offen offset:4
	buffer_load_dword v3, v4, s[0:3], 0 offen offset:8
	;; [unrolled: 1-line block ×3, first 2 shown]
	s_waitcnt vmcnt(0)
	ds_write_b128 v48, v[1:4]
	s_waitcnt lgkmcnt(0)
	s_waitcnt_vscnt null, 0x0
	s_barrier
	buffer_gl0_inv
	s_and_saveexec_b32 s6, s4
	s_cbranch_execz .LBB62_719
; %bb.706:
	ds_read_b128 v[1:4], v48
	s_andn2_b32 vcc_lo, exec_lo, s7
	s_cbranch_vccnz .LBB62_708
; %bb.707:
	s_clause 0x3
	buffer_load_dword v53, v47, s[0:3], 0 offen offset:8
	buffer_load_dword v54, v47, s[0:3], 0 offen offset:12
	buffer_load_dword v55, v47, s[0:3], 0 offen
	buffer_load_dword v56, v47, s[0:3], 0 offen offset:4
	s_waitcnt vmcnt(2) lgkmcnt(0)
	v_mul_f64 v[57:58], v[3:4], v[53:54]
	v_mul_f64 v[53:54], v[1:2], v[53:54]
	s_waitcnt vmcnt(0)
	v_fma_f64 v[1:2], v[1:2], v[55:56], -v[57:58]
	v_fma_f64 v[3:4], v[3:4], v[55:56], v[53:54]
.LBB62_708:
	s_and_saveexec_b32 s8, s5
	s_cbranch_execz .LBB62_718
; %bb.709:
	v_add_nc_u32_e32 v54, -12, v0
	v_add_nc_u32_e32 v53, -11, v0
	v_mov_b32_e32 v55, 11
	s_mov_b32 s5, exec_lo
	v_cmpx_lt_u32_e32 6, v54
	s_cbranch_execz .LBB62_713
; %bb.710:
	v_and_b32_e32 v54, -8, v53
	s_movk_i32 s73, 0x4a0
	s_mov_b32 s72, 0
	s_mov_b32 s74, s61
	;; [unrolled: 1-line block ×3, first 2 shown]
.LBB62_711:                             ; =>This Inner Loop Header: Depth=1
	v_mov_b32_e32 v55, s74
	v_mov_b32_e32 v184, s73
	s_add_i32 s76, s75, 8
	s_add_i32 s75, s75, 19
	v_cmp_eq_u32_e32 vcc_lo, s76, v54
	s_clause 0x1f
	buffer_load_dword v59, v55, s[0:3], 0 offen offset:8
	buffer_load_dword v60, v55, s[0:3], 0 offen offset:12
	buffer_load_dword v69, v55, s[0:3], 0 offen
	buffer_load_dword v70, v55, s[0:3], 0 offen offset:4
	buffer_load_dword v71, v55, s[0:3], 0 offen offset:24
	;; [unrolled: 1-line block ×29, first 2 shown]
	ds_read_b128 v[55:58], v184
	ds_read_b128 v[65:68], v184 offset:16
	s_addk_i32 s73, 0x80
	s_addk_i32 s74, 0x80
	s_or_b32 s72, vcc_lo, s72
	s_waitcnt vmcnt(30) lgkmcnt(1)
	v_mul_f64 v[176:177], v[57:58], v[59:60]
	v_mul_f64 v[59:60], v[55:56], v[59:60]
	s_waitcnt vmcnt(26) lgkmcnt(0)
	v_mul_f64 v[178:179], v[67:68], v[71:72]
	v_mul_f64 v[180:181], v[65:66], v[71:72]
	v_fma_f64 v[176:177], v[55:56], v[69:70], -v[176:177]
	v_fma_f64 v[59:60], v[57:58], v[69:70], v[59:60]
	ds_read_b128 v[55:58], v184 offset:32
	ds_read_b128 v[69:72], v184 offset:48
	s_waitcnt vmcnt(24)
	v_fma_f64 v[65:66], v[65:66], v[73:74], -v[178:179]
	v_fma_f64 v[67:68], v[67:68], v[73:74], v[180:181]
	s_waitcnt vmcnt(22) lgkmcnt(1)
	v_mul_f64 v[182:183], v[57:58], v[75:76]
	v_mul_f64 v[75:76], v[55:56], v[75:76]
	v_add_f64 v[1:2], v[1:2], v[176:177]
	v_add_f64 v[3:4], v[3:4], v[59:60]
	s_waitcnt vmcnt(18) lgkmcnt(0)
	v_mul_f64 v[59:60], v[71:72], v[156:157]
	v_mul_f64 v[73:74], v[69:70], v[156:157]
	v_fma_f64 v[156:157], v[55:56], v[154:155], -v[182:183]
	v_fma_f64 v[75:76], v[57:58], v[154:155], v[75:76]
	v_add_f64 v[65:66], v[1:2], v[65:66]
	v_add_f64 v[67:68], v[3:4], v[67:68]
	ds_read_b128 v[1:4], v184 offset:64
	ds_read_b128 v[55:58], v184 offset:80
	s_waitcnt vmcnt(16)
	v_fma_f64 v[59:60], v[69:70], v[158:159], -v[59:60]
	v_fma_f64 v[69:70], v[71:72], v[158:159], v[73:74]
	s_waitcnt vmcnt(12) lgkmcnt(1)
	v_mul_f64 v[154:155], v[3:4], v[160:161]
	v_mul_f64 v[160:161], v[1:2], v[160:161]
	v_add_f64 v[65:66], v[65:66], v[156:157]
	v_add_f64 v[67:68], v[67:68], v[75:76]
	s_waitcnt vmcnt(10) lgkmcnt(0)
	v_mul_f64 v[71:72], v[57:58], v[162:163]
	v_mul_f64 v[73:74], v[55:56], v[162:163]
	s_waitcnt vmcnt(8)
	v_fma_f64 v[75:76], v[1:2], v[166:167], -v[154:155]
	v_fma_f64 v[154:155], v[3:4], v[166:167], v[160:161]
	v_add_f64 v[59:60], v[65:66], v[59:60]
	v_add_f64 v[69:70], v[67:68], v[69:70]
	ds_read_b128 v[1:4], v184 offset:96
	ds_read_b128 v[65:68], v184 offset:112
	v_fma_f64 v[55:56], v[55:56], v[164:165], -v[71:72]
	v_fma_f64 v[57:58], v[57:58], v[164:165], v[73:74]
	s_waitcnt vmcnt(4) lgkmcnt(1)
	v_mul_f64 v[156:157], v[3:4], v[168:169]
	v_mul_f64 v[158:159], v[1:2], v[168:169]
	v_add_f64 v[59:60], v[59:60], v[75:76]
	v_add_f64 v[69:70], v[69:70], v[154:155]
	s_waitcnt vmcnt(2) lgkmcnt(0)
	v_mul_f64 v[71:72], v[67:68], v[170:171]
	v_mul_f64 v[73:74], v[65:66], v[170:171]
	s_waitcnt vmcnt(0)
	v_fma_f64 v[1:2], v[1:2], v[174:175], -v[156:157]
	v_fma_f64 v[3:4], v[3:4], v[174:175], v[158:159]
	v_add_f64 v[55:56], v[59:60], v[55:56]
	v_add_f64 v[57:58], v[69:70], v[57:58]
	v_fma_f64 v[59:60], v[65:66], v[172:173], -v[71:72]
	v_fma_f64 v[65:66], v[67:68], v[172:173], v[73:74]
	v_add_f64 v[1:2], v[55:56], v[1:2]
	v_add_f64 v[3:4], v[57:58], v[3:4]
	v_mov_b32_e32 v55, s75
	s_mov_b32 s75, s76
	v_add_f64 v[1:2], v[1:2], v[59:60]
	v_add_f64 v[3:4], v[3:4], v[65:66]
	s_andn2_b32 exec_lo, exec_lo, s72
	s_cbranch_execnz .LBB62_711
; %bb.712:
	s_or_b32 exec_lo, exec_lo, s72
.LBB62_713:
	s_or_b32 exec_lo, exec_lo, s5
	v_and_b32_e32 v53, 7, v53
	s_mov_b32 s72, 0
	s_mov_b32 s5, exec_lo
	v_cmpx_ne_u32_e32 0, v53
	s_cbranch_execz .LBB62_717
; %bb.714:
	v_lshlrev_b32_e32 v55, 4, v55
	v_add_nc_u32_e32 v54, 0x3f0, v55
	.p2align	6
.LBB62_715:                             ; =>This Inner Loop Header: Depth=1
	s_clause 0x3
	buffer_load_dword v65, v55, s[0:3], 0 offen offset:8
	buffer_load_dword v66, v55, s[0:3], 0 offen offset:12
	buffer_load_dword v67, v55, s[0:3], 0 offen
	buffer_load_dword v68, v55, s[0:3], 0 offen offset:4
	ds_read_b128 v[56:59], v54
	v_add_nc_u32_e32 v53, -1, v53
	v_add_nc_u32_e32 v54, 16, v54
	v_add_nc_u32_e32 v55, 16, v55
	v_cmp_eq_u32_e32 vcc_lo, 0, v53
	s_or_b32 s72, vcc_lo, s72
	s_waitcnt vmcnt(2) lgkmcnt(0)
	v_mul_f64 v[69:70], v[58:59], v[65:66]
	v_mul_f64 v[65:66], v[56:57], v[65:66]
	s_waitcnt vmcnt(0)
	v_fma_f64 v[56:57], v[56:57], v[67:68], -v[69:70]
	v_fma_f64 v[58:59], v[58:59], v[67:68], v[65:66]
	v_add_f64 v[1:2], v[1:2], v[56:57]
	v_add_f64 v[3:4], v[3:4], v[58:59]
	s_andn2_b32 exec_lo, exec_lo, s72
	s_cbranch_execnz .LBB62_715
; %bb.716:
	s_or_b32 exec_lo, exec_lo, s72
.LBB62_717:
	s_or_b32 exec_lo, exec_lo, s5
.LBB62_718:
	s_or_b32 exec_lo, exec_lo, s8
	v_mov_b32_e32 v53, 0
	ds_read_b128 v[53:56], v53 offset:160
	s_waitcnt lgkmcnt(0)
	v_mul_f64 v[57:58], v[3:4], v[55:56]
	v_mul_f64 v[55:56], v[1:2], v[55:56]
	v_fma_f64 v[1:2], v[1:2], v[53:54], -v[57:58]
	v_fma_f64 v[3:4], v[3:4], v[53:54], v[55:56]
	buffer_store_dword v2, off, s[0:3], 0 offset:164
	buffer_store_dword v1, off, s[0:3], 0 offset:160
	;; [unrolled: 1-line block ×4, first 2 shown]
.LBB62_719:
	s_or_b32 exec_lo, exec_lo, s6
	v_mov_b32_e32 v4, s63
	v_cmp_lt_u32_e64 s5, 9, v0
	s_clause 0x3
	buffer_load_dword v1, v4, s[0:3], 0 offen
	buffer_load_dword v2, v4, s[0:3], 0 offen offset:4
	buffer_load_dword v3, v4, s[0:3], 0 offen offset:8
	;; [unrolled: 1-line block ×3, first 2 shown]
	s_waitcnt vmcnt(0)
	ds_write_b128 v48, v[1:4]
	s_waitcnt lgkmcnt(0)
	s_waitcnt_vscnt null, 0x0
	s_barrier
	buffer_gl0_inv
	s_and_saveexec_b32 s6, s5
	s_cbranch_execz .LBB62_733
; %bb.720:
	ds_read_b128 v[1:4], v48
	s_andn2_b32 vcc_lo, exec_lo, s7
	s_cbranch_vccnz .LBB62_722
; %bb.721:
	s_clause 0x3
	buffer_load_dword v53, v47, s[0:3], 0 offen offset:8
	buffer_load_dword v54, v47, s[0:3], 0 offen offset:12
	buffer_load_dword v55, v47, s[0:3], 0 offen
	buffer_load_dword v56, v47, s[0:3], 0 offen offset:4
	s_waitcnt vmcnt(2) lgkmcnt(0)
	v_mul_f64 v[57:58], v[3:4], v[53:54]
	v_mul_f64 v[53:54], v[1:2], v[53:54]
	s_waitcnt vmcnt(0)
	v_fma_f64 v[1:2], v[1:2], v[55:56], -v[57:58]
	v_fma_f64 v[3:4], v[3:4], v[55:56], v[53:54]
.LBB62_722:
	s_and_saveexec_b32 s8, s4
	s_cbranch_execz .LBB62_732
; %bb.723:
	v_add_nc_u32_e32 v54, -11, v0
	v_add_nc_u32_e32 v53, -10, v0
	v_mov_b32_e32 v55, 10
	s_mov_b32 s4, exec_lo
	v_cmpx_lt_u32_e32 6, v54
	s_cbranch_execz .LBB62_727
; %bb.724:
	v_and_b32_e32 v54, -8, v53
	s_movk_i32 s73, 0x490
	s_mov_b32 s72, 0
	s_mov_b32 s74, s62
	;; [unrolled: 1-line block ×3, first 2 shown]
.LBB62_725:                             ; =>This Inner Loop Header: Depth=1
	v_mov_b32_e32 v55, s74
	v_mov_b32_e32 v184, s73
	s_add_i32 s76, s75, 8
	s_add_i32 s75, s75, 18
	v_cmp_eq_u32_e32 vcc_lo, s76, v54
	s_clause 0x1f
	buffer_load_dword v59, v55, s[0:3], 0 offen offset:8
	buffer_load_dword v60, v55, s[0:3], 0 offen offset:12
	buffer_load_dword v69, v55, s[0:3], 0 offen
	buffer_load_dword v70, v55, s[0:3], 0 offen offset:4
	buffer_load_dword v71, v55, s[0:3], 0 offen offset:24
	;; [unrolled: 1-line block ×29, first 2 shown]
	ds_read_b128 v[55:58], v184
	ds_read_b128 v[65:68], v184 offset:16
	s_addk_i32 s73, 0x80
	s_addk_i32 s74, 0x80
	s_or_b32 s72, vcc_lo, s72
	s_waitcnt vmcnt(30) lgkmcnt(1)
	v_mul_f64 v[176:177], v[57:58], v[59:60]
	v_mul_f64 v[59:60], v[55:56], v[59:60]
	s_waitcnt vmcnt(26) lgkmcnt(0)
	v_mul_f64 v[178:179], v[67:68], v[71:72]
	v_mul_f64 v[180:181], v[65:66], v[71:72]
	v_fma_f64 v[176:177], v[55:56], v[69:70], -v[176:177]
	v_fma_f64 v[59:60], v[57:58], v[69:70], v[59:60]
	ds_read_b128 v[55:58], v184 offset:32
	ds_read_b128 v[69:72], v184 offset:48
	s_waitcnt vmcnt(24)
	v_fma_f64 v[65:66], v[65:66], v[73:74], -v[178:179]
	v_fma_f64 v[67:68], v[67:68], v[73:74], v[180:181]
	s_waitcnt vmcnt(22) lgkmcnt(1)
	v_mul_f64 v[182:183], v[57:58], v[75:76]
	v_mul_f64 v[75:76], v[55:56], v[75:76]
	v_add_f64 v[1:2], v[1:2], v[176:177]
	v_add_f64 v[3:4], v[3:4], v[59:60]
	s_waitcnt vmcnt(18) lgkmcnt(0)
	v_mul_f64 v[59:60], v[71:72], v[156:157]
	v_mul_f64 v[73:74], v[69:70], v[156:157]
	v_fma_f64 v[156:157], v[55:56], v[154:155], -v[182:183]
	v_fma_f64 v[75:76], v[57:58], v[154:155], v[75:76]
	v_add_f64 v[65:66], v[1:2], v[65:66]
	v_add_f64 v[67:68], v[3:4], v[67:68]
	ds_read_b128 v[1:4], v184 offset:64
	ds_read_b128 v[55:58], v184 offset:80
	s_waitcnt vmcnt(16)
	v_fma_f64 v[59:60], v[69:70], v[158:159], -v[59:60]
	v_fma_f64 v[69:70], v[71:72], v[158:159], v[73:74]
	s_waitcnt vmcnt(12) lgkmcnt(1)
	v_mul_f64 v[154:155], v[3:4], v[160:161]
	v_mul_f64 v[160:161], v[1:2], v[160:161]
	v_add_f64 v[65:66], v[65:66], v[156:157]
	v_add_f64 v[67:68], v[67:68], v[75:76]
	s_waitcnt vmcnt(10) lgkmcnt(0)
	v_mul_f64 v[71:72], v[57:58], v[162:163]
	v_mul_f64 v[73:74], v[55:56], v[162:163]
	s_waitcnt vmcnt(8)
	v_fma_f64 v[75:76], v[1:2], v[166:167], -v[154:155]
	v_fma_f64 v[154:155], v[3:4], v[166:167], v[160:161]
	v_add_f64 v[59:60], v[65:66], v[59:60]
	v_add_f64 v[69:70], v[67:68], v[69:70]
	ds_read_b128 v[1:4], v184 offset:96
	ds_read_b128 v[65:68], v184 offset:112
	v_fma_f64 v[55:56], v[55:56], v[164:165], -v[71:72]
	v_fma_f64 v[57:58], v[57:58], v[164:165], v[73:74]
	s_waitcnt vmcnt(4) lgkmcnt(1)
	v_mul_f64 v[156:157], v[3:4], v[168:169]
	v_mul_f64 v[158:159], v[1:2], v[168:169]
	v_add_f64 v[59:60], v[59:60], v[75:76]
	v_add_f64 v[69:70], v[69:70], v[154:155]
	s_waitcnt vmcnt(2) lgkmcnt(0)
	v_mul_f64 v[71:72], v[67:68], v[170:171]
	v_mul_f64 v[73:74], v[65:66], v[170:171]
	s_waitcnt vmcnt(0)
	v_fma_f64 v[1:2], v[1:2], v[174:175], -v[156:157]
	v_fma_f64 v[3:4], v[3:4], v[174:175], v[158:159]
	v_add_f64 v[55:56], v[59:60], v[55:56]
	v_add_f64 v[57:58], v[69:70], v[57:58]
	v_fma_f64 v[59:60], v[65:66], v[172:173], -v[71:72]
	v_fma_f64 v[65:66], v[67:68], v[172:173], v[73:74]
	v_add_f64 v[1:2], v[55:56], v[1:2]
	v_add_f64 v[3:4], v[57:58], v[3:4]
	v_mov_b32_e32 v55, s75
	s_mov_b32 s75, s76
	v_add_f64 v[1:2], v[1:2], v[59:60]
	v_add_f64 v[3:4], v[3:4], v[65:66]
	s_andn2_b32 exec_lo, exec_lo, s72
	s_cbranch_execnz .LBB62_725
; %bb.726:
	s_or_b32 exec_lo, exec_lo, s72
.LBB62_727:
	s_or_b32 exec_lo, exec_lo, s4
	v_and_b32_e32 v53, 7, v53
	s_mov_b32 s72, 0
	s_mov_b32 s4, exec_lo
	v_cmpx_ne_u32_e32 0, v53
	s_cbranch_execz .LBB62_731
; %bb.728:
	v_lshlrev_b32_e32 v55, 4, v55
	v_add_nc_u32_e32 v54, 0x3f0, v55
	.p2align	6
.LBB62_729:                             ; =>This Inner Loop Header: Depth=1
	s_clause 0x3
	buffer_load_dword v65, v55, s[0:3], 0 offen offset:8
	buffer_load_dword v66, v55, s[0:3], 0 offen offset:12
	buffer_load_dword v67, v55, s[0:3], 0 offen
	buffer_load_dword v68, v55, s[0:3], 0 offen offset:4
	ds_read_b128 v[56:59], v54
	v_add_nc_u32_e32 v53, -1, v53
	v_add_nc_u32_e32 v54, 16, v54
	v_add_nc_u32_e32 v55, 16, v55
	v_cmp_eq_u32_e32 vcc_lo, 0, v53
	s_or_b32 s72, vcc_lo, s72
	s_waitcnt vmcnt(2) lgkmcnt(0)
	v_mul_f64 v[69:70], v[58:59], v[65:66]
	v_mul_f64 v[65:66], v[56:57], v[65:66]
	s_waitcnt vmcnt(0)
	v_fma_f64 v[56:57], v[56:57], v[67:68], -v[69:70]
	v_fma_f64 v[58:59], v[58:59], v[67:68], v[65:66]
	v_add_f64 v[1:2], v[1:2], v[56:57]
	v_add_f64 v[3:4], v[3:4], v[58:59]
	s_andn2_b32 exec_lo, exec_lo, s72
	s_cbranch_execnz .LBB62_729
; %bb.730:
	s_or_b32 exec_lo, exec_lo, s72
.LBB62_731:
	s_or_b32 exec_lo, exec_lo, s4
.LBB62_732:
	s_or_b32 exec_lo, exec_lo, s8
	v_mov_b32_e32 v53, 0
	ds_read_b128 v[53:56], v53 offset:144
	s_waitcnt lgkmcnt(0)
	v_mul_f64 v[57:58], v[3:4], v[55:56]
	v_mul_f64 v[55:56], v[1:2], v[55:56]
	v_fma_f64 v[1:2], v[1:2], v[53:54], -v[57:58]
	v_fma_f64 v[3:4], v[3:4], v[53:54], v[55:56]
	buffer_store_dword v2, off, s[0:3], 0 offset:148
	buffer_store_dword v1, off, s[0:3], 0 offset:144
	;; [unrolled: 1-line block ×4, first 2 shown]
.LBB62_733:
	s_or_b32 exec_lo, exec_lo, s6
	v_mov_b32_e32 v4, s64
	v_cmp_lt_u32_e64 s4, 8, v0
	s_clause 0x3
	buffer_load_dword v1, v4, s[0:3], 0 offen
	buffer_load_dword v2, v4, s[0:3], 0 offen offset:4
	buffer_load_dword v3, v4, s[0:3], 0 offen offset:8
	;; [unrolled: 1-line block ×3, first 2 shown]
	s_waitcnt vmcnt(0)
	ds_write_b128 v48, v[1:4]
	s_waitcnt lgkmcnt(0)
	s_waitcnt_vscnt null, 0x0
	s_barrier
	buffer_gl0_inv
	s_and_saveexec_b32 s6, s4
	s_cbranch_execz .LBB62_747
; %bb.734:
	ds_read_b128 v[1:4], v48
	s_andn2_b32 vcc_lo, exec_lo, s7
	s_cbranch_vccnz .LBB62_736
; %bb.735:
	s_clause 0x3
	buffer_load_dword v53, v47, s[0:3], 0 offen offset:8
	buffer_load_dword v54, v47, s[0:3], 0 offen offset:12
	buffer_load_dword v55, v47, s[0:3], 0 offen
	buffer_load_dword v56, v47, s[0:3], 0 offen offset:4
	s_waitcnt vmcnt(2) lgkmcnt(0)
	v_mul_f64 v[57:58], v[3:4], v[53:54]
	v_mul_f64 v[53:54], v[1:2], v[53:54]
	s_waitcnt vmcnt(0)
	v_fma_f64 v[1:2], v[1:2], v[55:56], -v[57:58]
	v_fma_f64 v[3:4], v[3:4], v[55:56], v[53:54]
.LBB62_736:
	s_and_saveexec_b32 s8, s5
	s_cbranch_execz .LBB62_746
; %bb.737:
	v_add_nc_u32_e32 v54, -10, v0
	v_add_nc_u32_e32 v53, -9, v0
	v_mov_b32_e32 v55, 9
	s_mov_b32 s5, exec_lo
	v_cmpx_lt_u32_e32 6, v54
	s_cbranch_execz .LBB62_741
; %bb.738:
	v_and_b32_e32 v54, -8, v53
	s_movk_i32 s73, 0x480
	s_mov_b32 s72, 0
	s_mov_b32 s74, s63
	;; [unrolled: 1-line block ×3, first 2 shown]
.LBB62_739:                             ; =>This Inner Loop Header: Depth=1
	v_mov_b32_e32 v55, s74
	v_mov_b32_e32 v184, s73
	s_add_i32 s76, s75, 8
	s_add_i32 s75, s75, 17
	v_cmp_eq_u32_e32 vcc_lo, s76, v54
	s_clause 0x1f
	buffer_load_dword v59, v55, s[0:3], 0 offen offset:8
	buffer_load_dword v60, v55, s[0:3], 0 offen offset:12
	buffer_load_dword v69, v55, s[0:3], 0 offen
	buffer_load_dword v70, v55, s[0:3], 0 offen offset:4
	buffer_load_dword v71, v55, s[0:3], 0 offen offset:24
	;; [unrolled: 1-line block ×29, first 2 shown]
	ds_read_b128 v[55:58], v184
	ds_read_b128 v[65:68], v184 offset:16
	s_addk_i32 s73, 0x80
	s_addk_i32 s74, 0x80
	s_or_b32 s72, vcc_lo, s72
	s_waitcnt vmcnt(30) lgkmcnt(1)
	v_mul_f64 v[176:177], v[57:58], v[59:60]
	v_mul_f64 v[59:60], v[55:56], v[59:60]
	s_waitcnt vmcnt(26) lgkmcnt(0)
	v_mul_f64 v[178:179], v[67:68], v[71:72]
	v_mul_f64 v[180:181], v[65:66], v[71:72]
	v_fma_f64 v[176:177], v[55:56], v[69:70], -v[176:177]
	v_fma_f64 v[59:60], v[57:58], v[69:70], v[59:60]
	ds_read_b128 v[55:58], v184 offset:32
	ds_read_b128 v[69:72], v184 offset:48
	s_waitcnt vmcnt(24)
	v_fma_f64 v[65:66], v[65:66], v[73:74], -v[178:179]
	v_fma_f64 v[67:68], v[67:68], v[73:74], v[180:181]
	s_waitcnt vmcnt(22) lgkmcnt(1)
	v_mul_f64 v[182:183], v[57:58], v[75:76]
	v_mul_f64 v[75:76], v[55:56], v[75:76]
	v_add_f64 v[1:2], v[1:2], v[176:177]
	v_add_f64 v[3:4], v[3:4], v[59:60]
	s_waitcnt vmcnt(18) lgkmcnt(0)
	v_mul_f64 v[59:60], v[71:72], v[156:157]
	v_mul_f64 v[73:74], v[69:70], v[156:157]
	v_fma_f64 v[156:157], v[55:56], v[154:155], -v[182:183]
	v_fma_f64 v[75:76], v[57:58], v[154:155], v[75:76]
	v_add_f64 v[65:66], v[1:2], v[65:66]
	v_add_f64 v[67:68], v[3:4], v[67:68]
	ds_read_b128 v[1:4], v184 offset:64
	ds_read_b128 v[55:58], v184 offset:80
	s_waitcnt vmcnt(16)
	v_fma_f64 v[59:60], v[69:70], v[158:159], -v[59:60]
	v_fma_f64 v[69:70], v[71:72], v[158:159], v[73:74]
	s_waitcnt vmcnt(12) lgkmcnt(1)
	v_mul_f64 v[154:155], v[3:4], v[160:161]
	v_mul_f64 v[160:161], v[1:2], v[160:161]
	v_add_f64 v[65:66], v[65:66], v[156:157]
	v_add_f64 v[67:68], v[67:68], v[75:76]
	s_waitcnt vmcnt(10) lgkmcnt(0)
	v_mul_f64 v[71:72], v[57:58], v[162:163]
	v_mul_f64 v[73:74], v[55:56], v[162:163]
	s_waitcnt vmcnt(8)
	v_fma_f64 v[75:76], v[1:2], v[166:167], -v[154:155]
	v_fma_f64 v[154:155], v[3:4], v[166:167], v[160:161]
	v_add_f64 v[59:60], v[65:66], v[59:60]
	v_add_f64 v[69:70], v[67:68], v[69:70]
	ds_read_b128 v[1:4], v184 offset:96
	ds_read_b128 v[65:68], v184 offset:112
	v_fma_f64 v[55:56], v[55:56], v[164:165], -v[71:72]
	v_fma_f64 v[57:58], v[57:58], v[164:165], v[73:74]
	s_waitcnt vmcnt(4) lgkmcnt(1)
	v_mul_f64 v[156:157], v[3:4], v[168:169]
	v_mul_f64 v[158:159], v[1:2], v[168:169]
	v_add_f64 v[59:60], v[59:60], v[75:76]
	v_add_f64 v[69:70], v[69:70], v[154:155]
	s_waitcnt vmcnt(2) lgkmcnt(0)
	v_mul_f64 v[71:72], v[67:68], v[170:171]
	v_mul_f64 v[73:74], v[65:66], v[170:171]
	s_waitcnt vmcnt(0)
	v_fma_f64 v[1:2], v[1:2], v[174:175], -v[156:157]
	v_fma_f64 v[3:4], v[3:4], v[174:175], v[158:159]
	v_add_f64 v[55:56], v[59:60], v[55:56]
	v_add_f64 v[57:58], v[69:70], v[57:58]
	v_fma_f64 v[59:60], v[65:66], v[172:173], -v[71:72]
	v_fma_f64 v[65:66], v[67:68], v[172:173], v[73:74]
	v_add_f64 v[1:2], v[55:56], v[1:2]
	v_add_f64 v[3:4], v[57:58], v[3:4]
	v_mov_b32_e32 v55, s75
	s_mov_b32 s75, s76
	v_add_f64 v[1:2], v[1:2], v[59:60]
	v_add_f64 v[3:4], v[3:4], v[65:66]
	s_andn2_b32 exec_lo, exec_lo, s72
	s_cbranch_execnz .LBB62_739
; %bb.740:
	s_or_b32 exec_lo, exec_lo, s72
.LBB62_741:
	s_or_b32 exec_lo, exec_lo, s5
	v_and_b32_e32 v53, 7, v53
	s_mov_b32 s72, 0
	s_mov_b32 s5, exec_lo
	v_cmpx_ne_u32_e32 0, v53
	s_cbranch_execz .LBB62_745
; %bb.742:
	v_lshlrev_b32_e32 v55, 4, v55
	v_add_nc_u32_e32 v54, 0x3f0, v55
	.p2align	6
.LBB62_743:                             ; =>This Inner Loop Header: Depth=1
	s_clause 0x3
	buffer_load_dword v65, v55, s[0:3], 0 offen offset:8
	buffer_load_dword v66, v55, s[0:3], 0 offen offset:12
	buffer_load_dword v67, v55, s[0:3], 0 offen
	buffer_load_dword v68, v55, s[0:3], 0 offen offset:4
	ds_read_b128 v[56:59], v54
	v_add_nc_u32_e32 v53, -1, v53
	v_add_nc_u32_e32 v54, 16, v54
	v_add_nc_u32_e32 v55, 16, v55
	v_cmp_eq_u32_e32 vcc_lo, 0, v53
	s_or_b32 s72, vcc_lo, s72
	s_waitcnt vmcnt(2) lgkmcnt(0)
	v_mul_f64 v[69:70], v[58:59], v[65:66]
	v_mul_f64 v[65:66], v[56:57], v[65:66]
	s_waitcnt vmcnt(0)
	v_fma_f64 v[56:57], v[56:57], v[67:68], -v[69:70]
	v_fma_f64 v[58:59], v[58:59], v[67:68], v[65:66]
	v_add_f64 v[1:2], v[1:2], v[56:57]
	v_add_f64 v[3:4], v[3:4], v[58:59]
	s_andn2_b32 exec_lo, exec_lo, s72
	s_cbranch_execnz .LBB62_743
; %bb.744:
	s_or_b32 exec_lo, exec_lo, s72
.LBB62_745:
	s_or_b32 exec_lo, exec_lo, s5
.LBB62_746:
	s_or_b32 exec_lo, exec_lo, s8
	v_mov_b32_e32 v53, 0
	ds_read_b128 v[53:56], v53 offset:128
	s_waitcnt lgkmcnt(0)
	v_mul_f64 v[57:58], v[3:4], v[55:56]
	v_mul_f64 v[55:56], v[1:2], v[55:56]
	v_fma_f64 v[1:2], v[1:2], v[53:54], -v[57:58]
	v_fma_f64 v[3:4], v[3:4], v[53:54], v[55:56]
	buffer_store_dword v2, off, s[0:3], 0 offset:132
	buffer_store_dword v1, off, s[0:3], 0 offset:128
	;; [unrolled: 1-line block ×4, first 2 shown]
.LBB62_747:
	s_or_b32 exec_lo, exec_lo, s6
	v_mov_b32_e32 v4, s65
	v_cmp_lt_u32_e64 s5, 7, v0
	s_clause 0x3
	buffer_load_dword v1, v4, s[0:3], 0 offen
	buffer_load_dword v2, v4, s[0:3], 0 offen offset:4
	buffer_load_dword v3, v4, s[0:3], 0 offen offset:8
	;; [unrolled: 1-line block ×3, first 2 shown]
	s_waitcnt vmcnt(0)
	ds_write_b128 v48, v[1:4]
	s_waitcnt lgkmcnt(0)
	s_waitcnt_vscnt null, 0x0
	s_barrier
	buffer_gl0_inv
	s_and_saveexec_b32 s6, s5
	s_cbranch_execz .LBB62_761
; %bb.748:
	ds_read_b128 v[1:4], v48
	s_andn2_b32 vcc_lo, exec_lo, s7
	s_cbranch_vccnz .LBB62_750
; %bb.749:
	s_clause 0x3
	buffer_load_dword v53, v47, s[0:3], 0 offen offset:8
	buffer_load_dword v54, v47, s[0:3], 0 offen offset:12
	buffer_load_dword v55, v47, s[0:3], 0 offen
	buffer_load_dword v56, v47, s[0:3], 0 offen offset:4
	s_waitcnt vmcnt(2) lgkmcnt(0)
	v_mul_f64 v[57:58], v[3:4], v[53:54]
	v_mul_f64 v[53:54], v[1:2], v[53:54]
	s_waitcnt vmcnt(0)
	v_fma_f64 v[1:2], v[1:2], v[55:56], -v[57:58]
	v_fma_f64 v[3:4], v[3:4], v[55:56], v[53:54]
.LBB62_750:
	s_and_saveexec_b32 s8, s4
	s_cbranch_execz .LBB62_760
; %bb.751:
	v_add_nc_u32_e32 v53, -9, v0
	v_cmp_lt_u32_e32 vcc_lo, 6, v53
	v_mov_b32_e32 v53, 8
	s_and_saveexec_b32 s4, vcc_lo
	s_cbranch_execz .LBB62_755
; %bb.752:
	v_and_b32_e32 v53, 56, v0
	s_mov_b32 s72, 8
	s_movk_i32 s74, 0x470
	s_mov_b32 s73, 0
	s_mov_b32 s75, s64
.LBB62_753:                             ; =>This Inner Loop Header: Depth=1
	v_mov_b32_e32 v54, s75
	v_mov_b32_e32 v60, s74
	s_add_i32 s72, s72, 8
	s_addk_i32 s74, 0x80
	v_cmp_eq_u32_e32 vcc_lo, s72, v53
	s_clause 0x1f
	buffer_load_dword v58, v54, s[0:3], 0 offen offset:8
	buffer_load_dword v59, v54, s[0:3], 0 offen offset:12
	buffer_load_dword v69, v54, s[0:3], 0 offen
	buffer_load_dword v70, v54, s[0:3], 0 offen offset:4
	buffer_load_dword v71, v54, s[0:3], 0 offen offset:24
	;; [unrolled: 1-line block ×29, first 2 shown]
	ds_read_b128 v[54:57], v60
	ds_read_b128 v[65:68], v60 offset:16
	s_addk_i32 s75, 0x80
	s_or_b32 s73, vcc_lo, s73
	s_waitcnt vmcnt(30) lgkmcnt(1)
	v_mul_f64 v[176:177], v[56:57], v[58:59]
	v_mul_f64 v[58:59], v[54:55], v[58:59]
	s_waitcnt vmcnt(26) lgkmcnt(0)
	v_mul_f64 v[178:179], v[67:68], v[71:72]
	v_mul_f64 v[180:181], v[65:66], v[71:72]
	v_fma_f64 v[176:177], v[54:55], v[69:70], -v[176:177]
	v_fma_f64 v[58:59], v[56:57], v[69:70], v[58:59]
	ds_read_b128 v[54:57], v60 offset:32
	ds_read_b128 v[69:72], v60 offset:48
	s_waitcnt vmcnt(24)
	v_fma_f64 v[65:66], v[65:66], v[73:74], -v[178:179]
	v_fma_f64 v[67:68], v[67:68], v[73:74], v[180:181]
	s_waitcnt vmcnt(22) lgkmcnt(1)
	v_mul_f64 v[182:183], v[56:57], v[75:76]
	v_mul_f64 v[75:76], v[54:55], v[75:76]
	v_add_f64 v[1:2], v[1:2], v[176:177]
	v_add_f64 v[3:4], v[3:4], v[58:59]
	s_waitcnt vmcnt(18) lgkmcnt(0)
	v_mul_f64 v[58:59], v[71:72], v[156:157]
	v_mul_f64 v[73:74], v[69:70], v[156:157]
	v_fma_f64 v[156:157], v[54:55], v[154:155], -v[182:183]
	v_fma_f64 v[75:76], v[56:57], v[154:155], v[75:76]
	v_add_f64 v[65:66], v[1:2], v[65:66]
	v_add_f64 v[67:68], v[3:4], v[67:68]
	ds_read_b128 v[1:4], v60 offset:64
	ds_read_b128 v[54:57], v60 offset:80
	s_waitcnt vmcnt(16)
	v_fma_f64 v[58:59], v[69:70], v[158:159], -v[58:59]
	v_fma_f64 v[69:70], v[71:72], v[158:159], v[73:74]
	s_waitcnt vmcnt(12) lgkmcnt(1)
	v_mul_f64 v[154:155], v[3:4], v[160:161]
	v_mul_f64 v[160:161], v[1:2], v[160:161]
	v_add_f64 v[65:66], v[65:66], v[156:157]
	v_add_f64 v[67:68], v[67:68], v[75:76]
	s_waitcnt vmcnt(10) lgkmcnt(0)
	v_mul_f64 v[71:72], v[56:57], v[162:163]
	v_mul_f64 v[73:74], v[54:55], v[162:163]
	s_waitcnt vmcnt(8)
	v_fma_f64 v[75:76], v[1:2], v[166:167], -v[154:155]
	v_fma_f64 v[154:155], v[3:4], v[166:167], v[160:161]
	v_add_f64 v[58:59], v[65:66], v[58:59]
	v_add_f64 v[69:70], v[67:68], v[69:70]
	ds_read_b128 v[1:4], v60 offset:96
	ds_read_b128 v[65:68], v60 offset:112
	v_fma_f64 v[54:55], v[54:55], v[164:165], -v[71:72]
	v_fma_f64 v[56:57], v[56:57], v[164:165], v[73:74]
	s_waitcnt vmcnt(4) lgkmcnt(1)
	v_mul_f64 v[156:157], v[3:4], v[168:169]
	v_mul_f64 v[158:159], v[1:2], v[168:169]
	v_add_f64 v[58:59], v[58:59], v[75:76]
	v_add_f64 v[69:70], v[69:70], v[154:155]
	s_waitcnt vmcnt(2) lgkmcnt(0)
	v_mul_f64 v[71:72], v[67:68], v[170:171]
	v_mul_f64 v[73:74], v[65:66], v[170:171]
	s_waitcnt vmcnt(0)
	v_fma_f64 v[1:2], v[1:2], v[174:175], -v[156:157]
	v_fma_f64 v[3:4], v[3:4], v[174:175], v[158:159]
	v_add_f64 v[54:55], v[58:59], v[54:55]
	v_add_f64 v[56:57], v[69:70], v[56:57]
	v_fma_f64 v[58:59], v[65:66], v[172:173], -v[71:72]
	v_fma_f64 v[65:66], v[67:68], v[172:173], v[73:74]
	v_add_f64 v[1:2], v[54:55], v[1:2]
	v_add_f64 v[3:4], v[56:57], v[3:4]
	;; [unrolled: 1-line block ×4, first 2 shown]
	s_andn2_b32 exec_lo, exec_lo, s73
	s_cbranch_execnz .LBB62_753
; %bb.754:
	s_or_b32 exec_lo, exec_lo, s73
.LBB62_755:
	s_or_b32 exec_lo, exec_lo, s4
	v_and_b32_e32 v54, 7, v0
	s_mov_b32 s72, 0
	s_mov_b32 s4, exec_lo
	v_cmpx_ne_u32_e32 0, v54
	s_cbranch_execz .LBB62_759
; %bb.756:
	v_lshlrev_b32_e32 v55, 4, v53
	v_add_nc_u32_e32 v53, 0x3f0, v55
	.p2align	6
.LBB62_757:                             ; =>This Inner Loop Header: Depth=1
	s_clause 0x3
	buffer_load_dword v65, v55, s[0:3], 0 offen offset:8
	buffer_load_dword v66, v55, s[0:3], 0 offen offset:12
	buffer_load_dword v67, v55, s[0:3], 0 offen
	buffer_load_dword v68, v55, s[0:3], 0 offen offset:4
	ds_read_b128 v[56:59], v53
	v_add_nc_u32_e32 v54, -1, v54
	v_add_nc_u32_e32 v53, 16, v53
	v_add_nc_u32_e32 v55, 16, v55
	v_cmp_eq_u32_e32 vcc_lo, 0, v54
	s_or_b32 s72, vcc_lo, s72
	s_waitcnt vmcnt(2) lgkmcnt(0)
	v_mul_f64 v[69:70], v[58:59], v[65:66]
	v_mul_f64 v[65:66], v[56:57], v[65:66]
	s_waitcnt vmcnt(0)
	v_fma_f64 v[56:57], v[56:57], v[67:68], -v[69:70]
	v_fma_f64 v[58:59], v[58:59], v[67:68], v[65:66]
	v_add_f64 v[1:2], v[1:2], v[56:57]
	v_add_f64 v[3:4], v[3:4], v[58:59]
	s_andn2_b32 exec_lo, exec_lo, s72
	s_cbranch_execnz .LBB62_757
; %bb.758:
	s_or_b32 exec_lo, exec_lo, s72
.LBB62_759:
	s_or_b32 exec_lo, exec_lo, s4
.LBB62_760:
	s_or_b32 exec_lo, exec_lo, s8
	v_mov_b32_e32 v53, 0
	ds_read_b128 v[53:56], v53 offset:112
	s_waitcnt lgkmcnt(0)
	v_mul_f64 v[57:58], v[3:4], v[55:56]
	v_mul_f64 v[55:56], v[1:2], v[55:56]
	v_fma_f64 v[1:2], v[1:2], v[53:54], -v[57:58]
	v_fma_f64 v[3:4], v[3:4], v[53:54], v[55:56]
	buffer_store_dword v2, off, s[0:3], 0 offset:116
	buffer_store_dword v1, off, s[0:3], 0 offset:112
	buffer_store_dword v4, off, s[0:3], 0 offset:124
	buffer_store_dword v3, off, s[0:3], 0 offset:120
.LBB62_761:
	s_or_b32 exec_lo, exec_lo, s6
	v_mov_b32_e32 v4, s66
	v_cmp_lt_u32_e64 s4, 6, v0
	s_clause 0x3
	buffer_load_dword v1, v4, s[0:3], 0 offen
	buffer_load_dword v2, v4, s[0:3], 0 offen offset:4
	buffer_load_dword v3, v4, s[0:3], 0 offen offset:8
	buffer_load_dword v4, v4, s[0:3], 0 offen offset:12
	s_waitcnt vmcnt(0)
	ds_write_b128 v48, v[1:4]
	s_waitcnt lgkmcnt(0)
	s_waitcnt_vscnt null, 0x0
	s_barrier
	buffer_gl0_inv
	s_and_saveexec_b32 s6, s4
	s_cbranch_execz .LBB62_775
; %bb.762:
	ds_read_b128 v[1:4], v48
	s_andn2_b32 vcc_lo, exec_lo, s7
	s_cbranch_vccnz .LBB62_764
; %bb.763:
	s_clause 0x3
	buffer_load_dword v53, v47, s[0:3], 0 offen offset:8
	buffer_load_dword v54, v47, s[0:3], 0 offen offset:12
	buffer_load_dword v55, v47, s[0:3], 0 offen
	buffer_load_dword v56, v47, s[0:3], 0 offen offset:4
	s_waitcnt vmcnt(2) lgkmcnt(0)
	v_mul_f64 v[57:58], v[3:4], v[53:54]
	v_mul_f64 v[53:54], v[1:2], v[53:54]
	s_waitcnt vmcnt(0)
	v_fma_f64 v[1:2], v[1:2], v[55:56], -v[57:58]
	v_fma_f64 v[3:4], v[3:4], v[55:56], v[53:54]
.LBB62_764:
	s_and_saveexec_b32 s8, s5
	s_cbranch_execz .LBB62_774
; %bb.765:
	v_add_nc_u32_e32 v54, -8, v0
	v_add_nc_u32_e32 v53, -7, v0
	v_mov_b32_e32 v55, 7
	s_mov_b32 s5, exec_lo
	v_cmpx_lt_u32_e32 6, v54
	s_cbranch_execz .LBB62_769
; %bb.766:
	v_and_b32_e32 v54, -8, v53
	s_movk_i32 s73, 0x460
	s_mov_b32 s72, 0
	s_mov_b32 s74, s65
	;; [unrolled: 1-line block ×3, first 2 shown]
.LBB62_767:                             ; =>This Inner Loop Header: Depth=1
	v_mov_b32_e32 v55, s74
	v_mov_b32_e32 v184, s73
	s_add_i32 s76, s75, 8
	s_add_i32 s75, s75, 15
	v_cmp_eq_u32_e32 vcc_lo, s76, v54
	s_clause 0x1f
	buffer_load_dword v59, v55, s[0:3], 0 offen offset:8
	buffer_load_dword v60, v55, s[0:3], 0 offen offset:12
	buffer_load_dword v69, v55, s[0:3], 0 offen
	buffer_load_dword v70, v55, s[0:3], 0 offen offset:4
	buffer_load_dword v71, v55, s[0:3], 0 offen offset:24
	;; [unrolled: 1-line block ×29, first 2 shown]
	ds_read_b128 v[55:58], v184
	ds_read_b128 v[65:68], v184 offset:16
	s_addk_i32 s73, 0x80
	s_addk_i32 s74, 0x80
	s_or_b32 s72, vcc_lo, s72
	s_waitcnt vmcnt(30) lgkmcnt(1)
	v_mul_f64 v[176:177], v[57:58], v[59:60]
	v_mul_f64 v[59:60], v[55:56], v[59:60]
	s_waitcnt vmcnt(26) lgkmcnt(0)
	v_mul_f64 v[178:179], v[67:68], v[71:72]
	v_mul_f64 v[180:181], v[65:66], v[71:72]
	v_fma_f64 v[176:177], v[55:56], v[69:70], -v[176:177]
	v_fma_f64 v[59:60], v[57:58], v[69:70], v[59:60]
	ds_read_b128 v[55:58], v184 offset:32
	ds_read_b128 v[69:72], v184 offset:48
	s_waitcnt vmcnt(24)
	v_fma_f64 v[65:66], v[65:66], v[73:74], -v[178:179]
	v_fma_f64 v[67:68], v[67:68], v[73:74], v[180:181]
	s_waitcnt vmcnt(22) lgkmcnt(1)
	v_mul_f64 v[182:183], v[57:58], v[75:76]
	v_mul_f64 v[75:76], v[55:56], v[75:76]
	v_add_f64 v[1:2], v[1:2], v[176:177]
	v_add_f64 v[3:4], v[3:4], v[59:60]
	s_waitcnt vmcnt(18) lgkmcnt(0)
	v_mul_f64 v[59:60], v[71:72], v[156:157]
	v_mul_f64 v[73:74], v[69:70], v[156:157]
	v_fma_f64 v[156:157], v[55:56], v[154:155], -v[182:183]
	v_fma_f64 v[75:76], v[57:58], v[154:155], v[75:76]
	v_add_f64 v[65:66], v[1:2], v[65:66]
	v_add_f64 v[67:68], v[3:4], v[67:68]
	ds_read_b128 v[1:4], v184 offset:64
	ds_read_b128 v[55:58], v184 offset:80
	s_waitcnt vmcnt(16)
	v_fma_f64 v[59:60], v[69:70], v[158:159], -v[59:60]
	v_fma_f64 v[69:70], v[71:72], v[158:159], v[73:74]
	s_waitcnt vmcnt(12) lgkmcnt(1)
	v_mul_f64 v[154:155], v[3:4], v[160:161]
	v_mul_f64 v[160:161], v[1:2], v[160:161]
	v_add_f64 v[65:66], v[65:66], v[156:157]
	v_add_f64 v[67:68], v[67:68], v[75:76]
	s_waitcnt vmcnt(10) lgkmcnt(0)
	v_mul_f64 v[71:72], v[57:58], v[162:163]
	v_mul_f64 v[73:74], v[55:56], v[162:163]
	s_waitcnt vmcnt(8)
	v_fma_f64 v[75:76], v[1:2], v[166:167], -v[154:155]
	v_fma_f64 v[154:155], v[3:4], v[166:167], v[160:161]
	v_add_f64 v[59:60], v[65:66], v[59:60]
	v_add_f64 v[69:70], v[67:68], v[69:70]
	ds_read_b128 v[1:4], v184 offset:96
	ds_read_b128 v[65:68], v184 offset:112
	v_fma_f64 v[55:56], v[55:56], v[164:165], -v[71:72]
	v_fma_f64 v[57:58], v[57:58], v[164:165], v[73:74]
	s_waitcnt vmcnt(4) lgkmcnt(1)
	v_mul_f64 v[156:157], v[3:4], v[168:169]
	v_mul_f64 v[158:159], v[1:2], v[168:169]
	v_add_f64 v[59:60], v[59:60], v[75:76]
	v_add_f64 v[69:70], v[69:70], v[154:155]
	s_waitcnt vmcnt(2) lgkmcnt(0)
	v_mul_f64 v[71:72], v[67:68], v[170:171]
	v_mul_f64 v[73:74], v[65:66], v[170:171]
	s_waitcnt vmcnt(0)
	v_fma_f64 v[1:2], v[1:2], v[174:175], -v[156:157]
	v_fma_f64 v[3:4], v[3:4], v[174:175], v[158:159]
	v_add_f64 v[55:56], v[59:60], v[55:56]
	v_add_f64 v[57:58], v[69:70], v[57:58]
	v_fma_f64 v[59:60], v[65:66], v[172:173], -v[71:72]
	v_fma_f64 v[65:66], v[67:68], v[172:173], v[73:74]
	v_add_f64 v[1:2], v[55:56], v[1:2]
	v_add_f64 v[3:4], v[57:58], v[3:4]
	v_mov_b32_e32 v55, s75
	s_mov_b32 s75, s76
	v_add_f64 v[1:2], v[1:2], v[59:60]
	v_add_f64 v[3:4], v[3:4], v[65:66]
	s_andn2_b32 exec_lo, exec_lo, s72
	s_cbranch_execnz .LBB62_767
; %bb.768:
	s_or_b32 exec_lo, exec_lo, s72
.LBB62_769:
	s_or_b32 exec_lo, exec_lo, s5
	v_and_b32_e32 v53, 7, v53
	s_mov_b32 s72, 0
	s_mov_b32 s5, exec_lo
	v_cmpx_ne_u32_e32 0, v53
	s_cbranch_execz .LBB62_773
; %bb.770:
	v_lshlrev_b32_e32 v55, 4, v55
	v_add_nc_u32_e32 v54, 0x3f0, v55
	.p2align	6
.LBB62_771:                             ; =>This Inner Loop Header: Depth=1
	s_clause 0x3
	buffer_load_dword v65, v55, s[0:3], 0 offen offset:8
	buffer_load_dword v66, v55, s[0:3], 0 offen offset:12
	buffer_load_dword v67, v55, s[0:3], 0 offen
	buffer_load_dword v68, v55, s[0:3], 0 offen offset:4
	ds_read_b128 v[56:59], v54
	v_add_nc_u32_e32 v53, -1, v53
	v_add_nc_u32_e32 v54, 16, v54
	v_add_nc_u32_e32 v55, 16, v55
	v_cmp_eq_u32_e32 vcc_lo, 0, v53
	s_or_b32 s72, vcc_lo, s72
	s_waitcnt vmcnt(2) lgkmcnt(0)
	v_mul_f64 v[69:70], v[58:59], v[65:66]
	v_mul_f64 v[65:66], v[56:57], v[65:66]
	s_waitcnt vmcnt(0)
	v_fma_f64 v[56:57], v[56:57], v[67:68], -v[69:70]
	v_fma_f64 v[58:59], v[58:59], v[67:68], v[65:66]
	v_add_f64 v[1:2], v[1:2], v[56:57]
	v_add_f64 v[3:4], v[3:4], v[58:59]
	s_andn2_b32 exec_lo, exec_lo, s72
	s_cbranch_execnz .LBB62_771
; %bb.772:
	s_or_b32 exec_lo, exec_lo, s72
.LBB62_773:
	s_or_b32 exec_lo, exec_lo, s5
.LBB62_774:
	s_or_b32 exec_lo, exec_lo, s8
	v_mov_b32_e32 v53, 0
	ds_read_b128 v[53:56], v53 offset:96
	s_waitcnt lgkmcnt(0)
	v_mul_f64 v[57:58], v[3:4], v[55:56]
	v_mul_f64 v[55:56], v[1:2], v[55:56]
	v_fma_f64 v[1:2], v[1:2], v[53:54], -v[57:58]
	v_fma_f64 v[3:4], v[3:4], v[53:54], v[55:56]
	buffer_store_dword v2, off, s[0:3], 0 offset:100
	buffer_store_dword v1, off, s[0:3], 0 offset:96
	;; [unrolled: 1-line block ×4, first 2 shown]
.LBB62_775:
	s_or_b32 exec_lo, exec_lo, s6
	v_mov_b32_e32 v4, s67
	v_cmp_lt_u32_e64 s5, 5, v0
	s_clause 0x3
	buffer_load_dword v1, v4, s[0:3], 0 offen
	buffer_load_dword v2, v4, s[0:3], 0 offen offset:4
	buffer_load_dword v3, v4, s[0:3], 0 offen offset:8
	;; [unrolled: 1-line block ×3, first 2 shown]
	s_waitcnt vmcnt(0)
	ds_write_b128 v48, v[1:4]
	s_waitcnt lgkmcnt(0)
	s_waitcnt_vscnt null, 0x0
	s_barrier
	buffer_gl0_inv
	s_and_saveexec_b32 s6, s5
	s_cbranch_execz .LBB62_789
; %bb.776:
	ds_read_b128 v[1:4], v48
	s_andn2_b32 vcc_lo, exec_lo, s7
	s_cbranch_vccnz .LBB62_778
; %bb.777:
	s_clause 0x3
	buffer_load_dword v53, v47, s[0:3], 0 offen offset:8
	buffer_load_dword v54, v47, s[0:3], 0 offen offset:12
	buffer_load_dword v55, v47, s[0:3], 0 offen
	buffer_load_dword v56, v47, s[0:3], 0 offen offset:4
	s_waitcnt vmcnt(2) lgkmcnt(0)
	v_mul_f64 v[57:58], v[3:4], v[53:54]
	v_mul_f64 v[53:54], v[1:2], v[53:54]
	s_waitcnt vmcnt(0)
	v_fma_f64 v[1:2], v[1:2], v[55:56], -v[57:58]
	v_fma_f64 v[3:4], v[3:4], v[55:56], v[53:54]
.LBB62_778:
	s_and_saveexec_b32 s8, s4
	s_cbranch_execz .LBB62_788
; %bb.779:
	v_add_nc_u32_e32 v54, -7, v0
	v_add_nc_u32_e32 v53, -6, v0
	v_mov_b32_e32 v55, 6
	s_mov_b32 s4, exec_lo
	v_cmpx_lt_u32_e32 6, v54
	s_cbranch_execz .LBB62_783
; %bb.780:
	v_and_b32_e32 v54, -8, v53
	s_movk_i32 s73, 0x450
	s_mov_b32 s72, 0
	s_mov_b32 s74, s66
	;; [unrolled: 1-line block ×3, first 2 shown]
.LBB62_781:                             ; =>This Inner Loop Header: Depth=1
	v_mov_b32_e32 v55, s74
	v_mov_b32_e32 v184, s73
	s_add_i32 s76, s75, 8
	s_add_i32 s75, s75, 14
	v_cmp_eq_u32_e32 vcc_lo, s76, v54
	s_clause 0x1f
	buffer_load_dword v59, v55, s[0:3], 0 offen offset:8
	buffer_load_dword v60, v55, s[0:3], 0 offen offset:12
	buffer_load_dword v69, v55, s[0:3], 0 offen
	buffer_load_dword v70, v55, s[0:3], 0 offen offset:4
	buffer_load_dword v71, v55, s[0:3], 0 offen offset:24
	buffer_load_dword v72, v55, s[0:3], 0 offen offset:28
	buffer_load_dword v73, v55, s[0:3], 0 offen offset:16
	buffer_load_dword v74, v55, s[0:3], 0 offen offset:20
	buffer_load_dword v75, v55, s[0:3], 0 offen offset:40
	buffer_load_dword v76, v55, s[0:3], 0 offen offset:44
	buffer_load_dword v154, v55, s[0:3], 0 offen offset:32
	buffer_load_dword v155, v55, s[0:3], 0 offen offset:36
	buffer_load_dword v156, v55, s[0:3], 0 offen offset:56
	buffer_load_dword v157, v55, s[0:3], 0 offen offset:60
	buffer_load_dword v158, v55, s[0:3], 0 offen offset:48
	buffer_load_dword v159, v55, s[0:3], 0 offen offset:52
	buffer_load_dword v161, v55, s[0:3], 0 offen offset:76
	buffer_load_dword v162, v55, s[0:3], 0 offen offset:88
	buffer_load_dword v164, v55, s[0:3], 0 offen offset:80
	buffer_load_dword v160, v55, s[0:3], 0 offen offset:72
	buffer_load_dword v165, v55, s[0:3], 0 offen offset:84
	buffer_load_dword v163, v55, s[0:3], 0 offen offset:92
	buffer_load_dword v167, v55, s[0:3], 0 offen offset:68
	buffer_load_dword v166, v55, s[0:3], 0 offen offset:64
	buffer_load_dword v169, v55, s[0:3], 0 offen offset:108
	buffer_load_dword v170, v55, s[0:3], 0 offen offset:120
	buffer_load_dword v172, v55, s[0:3], 0 offen offset:112
	buffer_load_dword v168, v55, s[0:3], 0 offen offset:104
	buffer_load_dword v173, v55, s[0:3], 0 offen offset:116
	buffer_load_dword v171, v55, s[0:3], 0 offen offset:124
	buffer_load_dword v175, v55, s[0:3], 0 offen offset:100
	buffer_load_dword v174, v55, s[0:3], 0 offen offset:96
	ds_read_b128 v[55:58], v184
	ds_read_b128 v[65:68], v184 offset:16
	s_addk_i32 s73, 0x80
	s_addk_i32 s74, 0x80
	s_or_b32 s72, vcc_lo, s72
	s_waitcnt vmcnt(30) lgkmcnt(1)
	v_mul_f64 v[176:177], v[57:58], v[59:60]
	v_mul_f64 v[59:60], v[55:56], v[59:60]
	s_waitcnt vmcnt(26) lgkmcnt(0)
	v_mul_f64 v[178:179], v[67:68], v[71:72]
	v_mul_f64 v[180:181], v[65:66], v[71:72]
	v_fma_f64 v[176:177], v[55:56], v[69:70], -v[176:177]
	v_fma_f64 v[59:60], v[57:58], v[69:70], v[59:60]
	ds_read_b128 v[55:58], v184 offset:32
	ds_read_b128 v[69:72], v184 offset:48
	s_waitcnt vmcnt(24)
	v_fma_f64 v[65:66], v[65:66], v[73:74], -v[178:179]
	v_fma_f64 v[67:68], v[67:68], v[73:74], v[180:181]
	s_waitcnt vmcnt(22) lgkmcnt(1)
	v_mul_f64 v[182:183], v[57:58], v[75:76]
	v_mul_f64 v[75:76], v[55:56], v[75:76]
	v_add_f64 v[1:2], v[1:2], v[176:177]
	v_add_f64 v[3:4], v[3:4], v[59:60]
	s_waitcnt vmcnt(18) lgkmcnt(0)
	v_mul_f64 v[59:60], v[71:72], v[156:157]
	v_mul_f64 v[73:74], v[69:70], v[156:157]
	v_fma_f64 v[156:157], v[55:56], v[154:155], -v[182:183]
	v_fma_f64 v[75:76], v[57:58], v[154:155], v[75:76]
	v_add_f64 v[65:66], v[1:2], v[65:66]
	v_add_f64 v[67:68], v[3:4], v[67:68]
	ds_read_b128 v[1:4], v184 offset:64
	ds_read_b128 v[55:58], v184 offset:80
	s_waitcnt vmcnt(16)
	v_fma_f64 v[59:60], v[69:70], v[158:159], -v[59:60]
	v_fma_f64 v[69:70], v[71:72], v[158:159], v[73:74]
	s_waitcnt vmcnt(12) lgkmcnt(1)
	v_mul_f64 v[154:155], v[3:4], v[160:161]
	v_mul_f64 v[160:161], v[1:2], v[160:161]
	v_add_f64 v[65:66], v[65:66], v[156:157]
	v_add_f64 v[67:68], v[67:68], v[75:76]
	s_waitcnt vmcnt(10) lgkmcnt(0)
	v_mul_f64 v[71:72], v[57:58], v[162:163]
	v_mul_f64 v[73:74], v[55:56], v[162:163]
	s_waitcnt vmcnt(8)
	v_fma_f64 v[75:76], v[1:2], v[166:167], -v[154:155]
	v_fma_f64 v[154:155], v[3:4], v[166:167], v[160:161]
	v_add_f64 v[59:60], v[65:66], v[59:60]
	v_add_f64 v[69:70], v[67:68], v[69:70]
	ds_read_b128 v[1:4], v184 offset:96
	ds_read_b128 v[65:68], v184 offset:112
	v_fma_f64 v[55:56], v[55:56], v[164:165], -v[71:72]
	v_fma_f64 v[57:58], v[57:58], v[164:165], v[73:74]
	s_waitcnt vmcnt(4) lgkmcnt(1)
	v_mul_f64 v[156:157], v[3:4], v[168:169]
	v_mul_f64 v[158:159], v[1:2], v[168:169]
	v_add_f64 v[59:60], v[59:60], v[75:76]
	v_add_f64 v[69:70], v[69:70], v[154:155]
	s_waitcnt vmcnt(2) lgkmcnt(0)
	v_mul_f64 v[71:72], v[67:68], v[170:171]
	v_mul_f64 v[73:74], v[65:66], v[170:171]
	s_waitcnt vmcnt(0)
	v_fma_f64 v[1:2], v[1:2], v[174:175], -v[156:157]
	v_fma_f64 v[3:4], v[3:4], v[174:175], v[158:159]
	v_add_f64 v[55:56], v[59:60], v[55:56]
	v_add_f64 v[57:58], v[69:70], v[57:58]
	v_fma_f64 v[59:60], v[65:66], v[172:173], -v[71:72]
	v_fma_f64 v[65:66], v[67:68], v[172:173], v[73:74]
	v_add_f64 v[1:2], v[55:56], v[1:2]
	v_add_f64 v[3:4], v[57:58], v[3:4]
	v_mov_b32_e32 v55, s75
	s_mov_b32 s75, s76
	v_add_f64 v[1:2], v[1:2], v[59:60]
	v_add_f64 v[3:4], v[3:4], v[65:66]
	s_andn2_b32 exec_lo, exec_lo, s72
	s_cbranch_execnz .LBB62_781
; %bb.782:
	s_or_b32 exec_lo, exec_lo, s72
.LBB62_783:
	s_or_b32 exec_lo, exec_lo, s4
	v_and_b32_e32 v53, 7, v53
	s_mov_b32 s72, 0
	s_mov_b32 s4, exec_lo
	v_cmpx_ne_u32_e32 0, v53
	s_cbranch_execz .LBB62_787
; %bb.784:
	v_lshlrev_b32_e32 v55, 4, v55
	v_add_nc_u32_e32 v54, 0x3f0, v55
	.p2align	6
.LBB62_785:                             ; =>This Inner Loop Header: Depth=1
	s_clause 0x3
	buffer_load_dword v65, v55, s[0:3], 0 offen offset:8
	buffer_load_dword v66, v55, s[0:3], 0 offen offset:12
	buffer_load_dword v67, v55, s[0:3], 0 offen
	buffer_load_dword v68, v55, s[0:3], 0 offen offset:4
	ds_read_b128 v[56:59], v54
	v_add_nc_u32_e32 v53, -1, v53
	v_add_nc_u32_e32 v54, 16, v54
	v_add_nc_u32_e32 v55, 16, v55
	v_cmp_eq_u32_e32 vcc_lo, 0, v53
	s_or_b32 s72, vcc_lo, s72
	s_waitcnt vmcnt(2) lgkmcnt(0)
	v_mul_f64 v[69:70], v[58:59], v[65:66]
	v_mul_f64 v[65:66], v[56:57], v[65:66]
	s_waitcnt vmcnt(0)
	v_fma_f64 v[56:57], v[56:57], v[67:68], -v[69:70]
	v_fma_f64 v[58:59], v[58:59], v[67:68], v[65:66]
	v_add_f64 v[1:2], v[1:2], v[56:57]
	v_add_f64 v[3:4], v[3:4], v[58:59]
	s_andn2_b32 exec_lo, exec_lo, s72
	s_cbranch_execnz .LBB62_785
; %bb.786:
	s_or_b32 exec_lo, exec_lo, s72
.LBB62_787:
	s_or_b32 exec_lo, exec_lo, s4
.LBB62_788:
	s_or_b32 exec_lo, exec_lo, s8
	v_mov_b32_e32 v53, 0
	ds_read_b128 v[53:56], v53 offset:80
	s_waitcnt lgkmcnt(0)
	v_mul_f64 v[57:58], v[3:4], v[55:56]
	v_mul_f64 v[55:56], v[1:2], v[55:56]
	v_fma_f64 v[1:2], v[1:2], v[53:54], -v[57:58]
	v_fma_f64 v[3:4], v[3:4], v[53:54], v[55:56]
	buffer_store_dword v2, off, s[0:3], 0 offset:84
	buffer_store_dword v1, off, s[0:3], 0 offset:80
	;; [unrolled: 1-line block ×4, first 2 shown]
.LBB62_789:
	s_or_b32 exec_lo, exec_lo, s6
	v_mov_b32_e32 v4, s68
	v_cmp_lt_u32_e64 s4, 4, v0
	s_clause 0x3
	buffer_load_dword v1, v4, s[0:3], 0 offen
	buffer_load_dword v2, v4, s[0:3], 0 offen offset:4
	buffer_load_dword v3, v4, s[0:3], 0 offen offset:8
	;; [unrolled: 1-line block ×3, first 2 shown]
	s_waitcnt vmcnt(0)
	ds_write_b128 v48, v[1:4]
	s_waitcnt lgkmcnt(0)
	s_waitcnt_vscnt null, 0x0
	s_barrier
	buffer_gl0_inv
	s_and_saveexec_b32 s6, s4
	s_cbranch_execz .LBB62_803
; %bb.790:
	ds_read_b128 v[1:4], v48
	s_andn2_b32 vcc_lo, exec_lo, s7
	s_cbranch_vccnz .LBB62_792
; %bb.791:
	s_clause 0x3
	buffer_load_dword v53, v47, s[0:3], 0 offen offset:8
	buffer_load_dword v54, v47, s[0:3], 0 offen offset:12
	buffer_load_dword v55, v47, s[0:3], 0 offen
	buffer_load_dword v56, v47, s[0:3], 0 offen offset:4
	s_waitcnt vmcnt(2) lgkmcnt(0)
	v_mul_f64 v[57:58], v[3:4], v[53:54]
	v_mul_f64 v[53:54], v[1:2], v[53:54]
	s_waitcnt vmcnt(0)
	v_fma_f64 v[1:2], v[1:2], v[55:56], -v[57:58]
	v_fma_f64 v[3:4], v[3:4], v[55:56], v[53:54]
.LBB62_792:
	s_and_saveexec_b32 s8, s5
	s_cbranch_execz .LBB62_802
; %bb.793:
	v_add_nc_u32_e32 v54, -6, v0
	v_add_nc_u32_e32 v53, -5, v0
	v_mov_b32_e32 v55, 5
	s_mov_b32 s5, exec_lo
	v_cmpx_lt_u32_e32 6, v54
	s_cbranch_execz .LBB62_797
; %bb.794:
	v_and_b32_e32 v54, -8, v53
	s_movk_i32 s73, 0x440
	s_mov_b32 s72, 0
	s_mov_b32 s74, s67
	;; [unrolled: 1-line block ×3, first 2 shown]
.LBB62_795:                             ; =>This Inner Loop Header: Depth=1
	v_mov_b32_e32 v55, s74
	v_mov_b32_e32 v184, s73
	s_add_i32 s76, s75, 8
	s_add_i32 s75, s75, 13
	v_cmp_eq_u32_e32 vcc_lo, s76, v54
	s_clause 0x1f
	buffer_load_dword v59, v55, s[0:3], 0 offen offset:8
	buffer_load_dword v60, v55, s[0:3], 0 offen offset:12
	buffer_load_dword v69, v55, s[0:3], 0 offen
	buffer_load_dword v70, v55, s[0:3], 0 offen offset:4
	buffer_load_dword v71, v55, s[0:3], 0 offen offset:24
	;; [unrolled: 1-line block ×29, first 2 shown]
	ds_read_b128 v[55:58], v184
	ds_read_b128 v[65:68], v184 offset:16
	s_addk_i32 s73, 0x80
	s_addk_i32 s74, 0x80
	s_or_b32 s72, vcc_lo, s72
	s_waitcnt vmcnt(30) lgkmcnt(1)
	v_mul_f64 v[176:177], v[57:58], v[59:60]
	v_mul_f64 v[59:60], v[55:56], v[59:60]
	s_waitcnt vmcnt(26) lgkmcnt(0)
	v_mul_f64 v[178:179], v[67:68], v[71:72]
	v_mul_f64 v[180:181], v[65:66], v[71:72]
	v_fma_f64 v[176:177], v[55:56], v[69:70], -v[176:177]
	v_fma_f64 v[59:60], v[57:58], v[69:70], v[59:60]
	ds_read_b128 v[55:58], v184 offset:32
	ds_read_b128 v[69:72], v184 offset:48
	s_waitcnt vmcnt(24)
	v_fma_f64 v[65:66], v[65:66], v[73:74], -v[178:179]
	v_fma_f64 v[67:68], v[67:68], v[73:74], v[180:181]
	s_waitcnt vmcnt(22) lgkmcnt(1)
	v_mul_f64 v[182:183], v[57:58], v[75:76]
	v_mul_f64 v[75:76], v[55:56], v[75:76]
	v_add_f64 v[1:2], v[1:2], v[176:177]
	v_add_f64 v[3:4], v[3:4], v[59:60]
	s_waitcnt vmcnt(18) lgkmcnt(0)
	v_mul_f64 v[59:60], v[71:72], v[156:157]
	v_mul_f64 v[73:74], v[69:70], v[156:157]
	v_fma_f64 v[156:157], v[55:56], v[154:155], -v[182:183]
	v_fma_f64 v[75:76], v[57:58], v[154:155], v[75:76]
	v_add_f64 v[65:66], v[1:2], v[65:66]
	v_add_f64 v[67:68], v[3:4], v[67:68]
	ds_read_b128 v[1:4], v184 offset:64
	ds_read_b128 v[55:58], v184 offset:80
	s_waitcnt vmcnt(16)
	v_fma_f64 v[59:60], v[69:70], v[158:159], -v[59:60]
	v_fma_f64 v[69:70], v[71:72], v[158:159], v[73:74]
	s_waitcnt vmcnt(12) lgkmcnt(1)
	v_mul_f64 v[154:155], v[3:4], v[160:161]
	v_mul_f64 v[160:161], v[1:2], v[160:161]
	v_add_f64 v[65:66], v[65:66], v[156:157]
	v_add_f64 v[67:68], v[67:68], v[75:76]
	s_waitcnt vmcnt(10) lgkmcnt(0)
	v_mul_f64 v[71:72], v[57:58], v[162:163]
	v_mul_f64 v[73:74], v[55:56], v[162:163]
	s_waitcnt vmcnt(8)
	v_fma_f64 v[75:76], v[1:2], v[166:167], -v[154:155]
	v_fma_f64 v[154:155], v[3:4], v[166:167], v[160:161]
	v_add_f64 v[59:60], v[65:66], v[59:60]
	v_add_f64 v[69:70], v[67:68], v[69:70]
	ds_read_b128 v[1:4], v184 offset:96
	ds_read_b128 v[65:68], v184 offset:112
	v_fma_f64 v[55:56], v[55:56], v[164:165], -v[71:72]
	v_fma_f64 v[57:58], v[57:58], v[164:165], v[73:74]
	s_waitcnt vmcnt(4) lgkmcnt(1)
	v_mul_f64 v[156:157], v[3:4], v[168:169]
	v_mul_f64 v[158:159], v[1:2], v[168:169]
	v_add_f64 v[59:60], v[59:60], v[75:76]
	v_add_f64 v[69:70], v[69:70], v[154:155]
	s_waitcnt vmcnt(2) lgkmcnt(0)
	v_mul_f64 v[71:72], v[67:68], v[170:171]
	v_mul_f64 v[73:74], v[65:66], v[170:171]
	s_waitcnt vmcnt(0)
	v_fma_f64 v[1:2], v[1:2], v[174:175], -v[156:157]
	v_fma_f64 v[3:4], v[3:4], v[174:175], v[158:159]
	v_add_f64 v[55:56], v[59:60], v[55:56]
	v_add_f64 v[57:58], v[69:70], v[57:58]
	v_fma_f64 v[59:60], v[65:66], v[172:173], -v[71:72]
	v_fma_f64 v[65:66], v[67:68], v[172:173], v[73:74]
	v_add_f64 v[1:2], v[55:56], v[1:2]
	v_add_f64 v[3:4], v[57:58], v[3:4]
	v_mov_b32_e32 v55, s75
	s_mov_b32 s75, s76
	v_add_f64 v[1:2], v[1:2], v[59:60]
	v_add_f64 v[3:4], v[3:4], v[65:66]
	s_andn2_b32 exec_lo, exec_lo, s72
	s_cbranch_execnz .LBB62_795
; %bb.796:
	s_or_b32 exec_lo, exec_lo, s72
.LBB62_797:
	s_or_b32 exec_lo, exec_lo, s5
	v_and_b32_e32 v53, 7, v53
	s_mov_b32 s72, 0
	s_mov_b32 s5, exec_lo
	v_cmpx_ne_u32_e32 0, v53
	s_cbranch_execz .LBB62_801
; %bb.798:
	v_lshlrev_b32_e32 v55, 4, v55
	v_add_nc_u32_e32 v54, 0x3f0, v55
	.p2align	6
.LBB62_799:                             ; =>This Inner Loop Header: Depth=1
	s_clause 0x3
	buffer_load_dword v65, v55, s[0:3], 0 offen offset:8
	buffer_load_dword v66, v55, s[0:3], 0 offen offset:12
	buffer_load_dword v67, v55, s[0:3], 0 offen
	buffer_load_dword v68, v55, s[0:3], 0 offen offset:4
	ds_read_b128 v[56:59], v54
	v_add_nc_u32_e32 v53, -1, v53
	v_add_nc_u32_e32 v54, 16, v54
	v_add_nc_u32_e32 v55, 16, v55
	v_cmp_eq_u32_e32 vcc_lo, 0, v53
	s_or_b32 s72, vcc_lo, s72
	s_waitcnt vmcnt(2) lgkmcnt(0)
	v_mul_f64 v[69:70], v[58:59], v[65:66]
	v_mul_f64 v[65:66], v[56:57], v[65:66]
	s_waitcnt vmcnt(0)
	v_fma_f64 v[56:57], v[56:57], v[67:68], -v[69:70]
	v_fma_f64 v[58:59], v[58:59], v[67:68], v[65:66]
	v_add_f64 v[1:2], v[1:2], v[56:57]
	v_add_f64 v[3:4], v[3:4], v[58:59]
	s_andn2_b32 exec_lo, exec_lo, s72
	s_cbranch_execnz .LBB62_799
; %bb.800:
	s_or_b32 exec_lo, exec_lo, s72
.LBB62_801:
	s_or_b32 exec_lo, exec_lo, s5
.LBB62_802:
	s_or_b32 exec_lo, exec_lo, s8
	v_mov_b32_e32 v53, 0
	ds_read_b128 v[53:56], v53 offset:64
	s_waitcnt lgkmcnt(0)
	v_mul_f64 v[57:58], v[3:4], v[55:56]
	v_mul_f64 v[55:56], v[1:2], v[55:56]
	v_fma_f64 v[1:2], v[1:2], v[53:54], -v[57:58]
	v_fma_f64 v[3:4], v[3:4], v[53:54], v[55:56]
	buffer_store_dword v2, off, s[0:3], 0 offset:68
	buffer_store_dword v1, off, s[0:3], 0 offset:64
	;; [unrolled: 1-line block ×4, first 2 shown]
.LBB62_803:
	s_or_b32 exec_lo, exec_lo, s6
	v_mov_b32_e32 v4, s69
	v_cmp_lt_u32_e64 s5, 3, v0
	s_clause 0x3
	buffer_load_dword v1, v4, s[0:3], 0 offen
	buffer_load_dword v2, v4, s[0:3], 0 offen offset:4
	buffer_load_dword v3, v4, s[0:3], 0 offen offset:8
	buffer_load_dword v4, v4, s[0:3], 0 offen offset:12
	s_waitcnt vmcnt(0)
	ds_write_b128 v48, v[1:4]
	s_waitcnt lgkmcnt(0)
	s_waitcnt_vscnt null, 0x0
	s_barrier
	buffer_gl0_inv
	s_and_saveexec_b32 s6, s5
	s_cbranch_execz .LBB62_817
; %bb.804:
	ds_read_b128 v[1:4], v48
	s_andn2_b32 vcc_lo, exec_lo, s7
	s_cbranch_vccnz .LBB62_806
; %bb.805:
	s_clause 0x3
	buffer_load_dword v53, v47, s[0:3], 0 offen offset:8
	buffer_load_dword v54, v47, s[0:3], 0 offen offset:12
	buffer_load_dword v55, v47, s[0:3], 0 offen
	buffer_load_dword v56, v47, s[0:3], 0 offen offset:4
	s_waitcnt vmcnt(2) lgkmcnt(0)
	v_mul_f64 v[57:58], v[3:4], v[53:54]
	v_mul_f64 v[53:54], v[1:2], v[53:54]
	s_waitcnt vmcnt(0)
	v_fma_f64 v[1:2], v[1:2], v[55:56], -v[57:58]
	v_fma_f64 v[3:4], v[3:4], v[55:56], v[53:54]
.LBB62_806:
	s_and_saveexec_b32 s8, s4
	s_cbranch_execz .LBB62_816
; %bb.807:
	v_add_nc_u32_e32 v54, -5, v0
	v_add_nc_u32_e32 v53, -4, v0
	v_mov_b32_e32 v55, 4
	s_mov_b32 s4, exec_lo
	v_cmpx_lt_u32_e32 6, v54
	s_cbranch_execz .LBB62_811
; %bb.808:
	v_and_b32_e32 v54, -8, v53
	s_movk_i32 s73, 0x430
	s_mov_b32 s72, 0
	s_mov_b32 s74, s68
	;; [unrolled: 1-line block ×3, first 2 shown]
.LBB62_809:                             ; =>This Inner Loop Header: Depth=1
	v_mov_b32_e32 v55, s74
	v_mov_b32_e32 v184, s73
	s_add_i32 s76, s75, 8
	s_add_i32 s75, s75, 12
	v_cmp_eq_u32_e32 vcc_lo, s76, v54
	s_clause 0x1f
	buffer_load_dword v59, v55, s[0:3], 0 offen offset:8
	buffer_load_dword v60, v55, s[0:3], 0 offen offset:12
	buffer_load_dword v69, v55, s[0:3], 0 offen
	buffer_load_dword v70, v55, s[0:3], 0 offen offset:4
	buffer_load_dword v71, v55, s[0:3], 0 offen offset:24
	;; [unrolled: 1-line block ×29, first 2 shown]
	ds_read_b128 v[55:58], v184
	ds_read_b128 v[65:68], v184 offset:16
	s_addk_i32 s73, 0x80
	s_addk_i32 s74, 0x80
	s_or_b32 s72, vcc_lo, s72
	s_waitcnt vmcnt(30) lgkmcnt(1)
	v_mul_f64 v[176:177], v[57:58], v[59:60]
	v_mul_f64 v[59:60], v[55:56], v[59:60]
	s_waitcnt vmcnt(26) lgkmcnt(0)
	v_mul_f64 v[178:179], v[67:68], v[71:72]
	v_mul_f64 v[180:181], v[65:66], v[71:72]
	v_fma_f64 v[176:177], v[55:56], v[69:70], -v[176:177]
	v_fma_f64 v[59:60], v[57:58], v[69:70], v[59:60]
	ds_read_b128 v[55:58], v184 offset:32
	ds_read_b128 v[69:72], v184 offset:48
	s_waitcnt vmcnt(24)
	v_fma_f64 v[65:66], v[65:66], v[73:74], -v[178:179]
	v_fma_f64 v[67:68], v[67:68], v[73:74], v[180:181]
	s_waitcnt vmcnt(22) lgkmcnt(1)
	v_mul_f64 v[182:183], v[57:58], v[75:76]
	v_mul_f64 v[75:76], v[55:56], v[75:76]
	v_add_f64 v[1:2], v[1:2], v[176:177]
	v_add_f64 v[3:4], v[3:4], v[59:60]
	s_waitcnt vmcnt(18) lgkmcnt(0)
	v_mul_f64 v[59:60], v[71:72], v[156:157]
	v_mul_f64 v[73:74], v[69:70], v[156:157]
	v_fma_f64 v[156:157], v[55:56], v[154:155], -v[182:183]
	v_fma_f64 v[75:76], v[57:58], v[154:155], v[75:76]
	v_add_f64 v[65:66], v[1:2], v[65:66]
	v_add_f64 v[67:68], v[3:4], v[67:68]
	ds_read_b128 v[1:4], v184 offset:64
	ds_read_b128 v[55:58], v184 offset:80
	s_waitcnt vmcnt(16)
	v_fma_f64 v[59:60], v[69:70], v[158:159], -v[59:60]
	v_fma_f64 v[69:70], v[71:72], v[158:159], v[73:74]
	s_waitcnt vmcnt(12) lgkmcnt(1)
	v_mul_f64 v[154:155], v[3:4], v[160:161]
	v_mul_f64 v[160:161], v[1:2], v[160:161]
	v_add_f64 v[65:66], v[65:66], v[156:157]
	v_add_f64 v[67:68], v[67:68], v[75:76]
	s_waitcnt vmcnt(10) lgkmcnt(0)
	v_mul_f64 v[71:72], v[57:58], v[162:163]
	v_mul_f64 v[73:74], v[55:56], v[162:163]
	s_waitcnt vmcnt(8)
	v_fma_f64 v[75:76], v[1:2], v[166:167], -v[154:155]
	v_fma_f64 v[154:155], v[3:4], v[166:167], v[160:161]
	v_add_f64 v[59:60], v[65:66], v[59:60]
	v_add_f64 v[69:70], v[67:68], v[69:70]
	ds_read_b128 v[1:4], v184 offset:96
	ds_read_b128 v[65:68], v184 offset:112
	v_fma_f64 v[55:56], v[55:56], v[164:165], -v[71:72]
	v_fma_f64 v[57:58], v[57:58], v[164:165], v[73:74]
	s_waitcnt vmcnt(4) lgkmcnt(1)
	v_mul_f64 v[156:157], v[3:4], v[168:169]
	v_mul_f64 v[158:159], v[1:2], v[168:169]
	v_add_f64 v[59:60], v[59:60], v[75:76]
	v_add_f64 v[69:70], v[69:70], v[154:155]
	s_waitcnt vmcnt(2) lgkmcnt(0)
	v_mul_f64 v[71:72], v[67:68], v[170:171]
	v_mul_f64 v[73:74], v[65:66], v[170:171]
	s_waitcnt vmcnt(0)
	v_fma_f64 v[1:2], v[1:2], v[174:175], -v[156:157]
	v_fma_f64 v[3:4], v[3:4], v[174:175], v[158:159]
	v_add_f64 v[55:56], v[59:60], v[55:56]
	v_add_f64 v[57:58], v[69:70], v[57:58]
	v_fma_f64 v[59:60], v[65:66], v[172:173], -v[71:72]
	v_fma_f64 v[65:66], v[67:68], v[172:173], v[73:74]
	v_add_f64 v[1:2], v[55:56], v[1:2]
	v_add_f64 v[3:4], v[57:58], v[3:4]
	v_mov_b32_e32 v55, s75
	s_mov_b32 s75, s76
	v_add_f64 v[1:2], v[1:2], v[59:60]
	v_add_f64 v[3:4], v[3:4], v[65:66]
	s_andn2_b32 exec_lo, exec_lo, s72
	s_cbranch_execnz .LBB62_809
; %bb.810:
	s_or_b32 exec_lo, exec_lo, s72
.LBB62_811:
	s_or_b32 exec_lo, exec_lo, s4
	v_and_b32_e32 v53, 7, v53
	s_mov_b32 s72, 0
	s_mov_b32 s4, exec_lo
	v_cmpx_ne_u32_e32 0, v53
	s_cbranch_execz .LBB62_815
; %bb.812:
	v_lshlrev_b32_e32 v55, 4, v55
	v_add_nc_u32_e32 v54, 0x3f0, v55
	.p2align	6
.LBB62_813:                             ; =>This Inner Loop Header: Depth=1
	s_clause 0x3
	buffer_load_dword v65, v55, s[0:3], 0 offen offset:8
	buffer_load_dword v66, v55, s[0:3], 0 offen offset:12
	buffer_load_dword v67, v55, s[0:3], 0 offen
	buffer_load_dword v68, v55, s[0:3], 0 offen offset:4
	ds_read_b128 v[56:59], v54
	v_add_nc_u32_e32 v53, -1, v53
	v_add_nc_u32_e32 v54, 16, v54
	v_add_nc_u32_e32 v55, 16, v55
	v_cmp_eq_u32_e32 vcc_lo, 0, v53
	s_or_b32 s72, vcc_lo, s72
	s_waitcnt vmcnt(2) lgkmcnt(0)
	v_mul_f64 v[69:70], v[58:59], v[65:66]
	v_mul_f64 v[65:66], v[56:57], v[65:66]
	s_waitcnt vmcnt(0)
	v_fma_f64 v[56:57], v[56:57], v[67:68], -v[69:70]
	v_fma_f64 v[58:59], v[58:59], v[67:68], v[65:66]
	v_add_f64 v[1:2], v[1:2], v[56:57]
	v_add_f64 v[3:4], v[3:4], v[58:59]
	s_andn2_b32 exec_lo, exec_lo, s72
	s_cbranch_execnz .LBB62_813
; %bb.814:
	s_or_b32 exec_lo, exec_lo, s72
.LBB62_815:
	s_or_b32 exec_lo, exec_lo, s4
.LBB62_816:
	s_or_b32 exec_lo, exec_lo, s8
	v_mov_b32_e32 v53, 0
	ds_read_b128 v[53:56], v53 offset:48
	s_waitcnt lgkmcnt(0)
	v_mul_f64 v[57:58], v[3:4], v[55:56]
	v_mul_f64 v[55:56], v[1:2], v[55:56]
	v_fma_f64 v[1:2], v[1:2], v[53:54], -v[57:58]
	v_fma_f64 v[3:4], v[3:4], v[53:54], v[55:56]
	buffer_store_dword v2, off, s[0:3], 0 offset:52
	buffer_store_dword v1, off, s[0:3], 0 offset:48
	;; [unrolled: 1-line block ×4, first 2 shown]
.LBB62_817:
	s_or_b32 exec_lo, exec_lo, s6
	v_mov_b32_e32 v4, s70
	v_cmp_lt_u32_e64 s6, 2, v0
	s_clause 0x3
	buffer_load_dword v1, v4, s[0:3], 0 offen
	buffer_load_dword v2, v4, s[0:3], 0 offen offset:4
	buffer_load_dword v3, v4, s[0:3], 0 offen offset:8
	;; [unrolled: 1-line block ×3, first 2 shown]
	s_waitcnt vmcnt(0)
	ds_write_b128 v48, v[1:4]
	s_waitcnt lgkmcnt(0)
	s_waitcnt_vscnt null, 0x0
	s_barrier
	buffer_gl0_inv
	s_and_saveexec_b32 s4, s6
	s_cbranch_execz .LBB62_831
; %bb.818:
	ds_read_b128 v[1:4], v48
	s_andn2_b32 vcc_lo, exec_lo, s7
	s_cbranch_vccnz .LBB62_820
; %bb.819:
	s_clause 0x3
	buffer_load_dword v53, v47, s[0:3], 0 offen offset:8
	buffer_load_dword v54, v47, s[0:3], 0 offen offset:12
	buffer_load_dword v55, v47, s[0:3], 0 offen
	buffer_load_dword v56, v47, s[0:3], 0 offen offset:4
	s_waitcnt vmcnt(2) lgkmcnt(0)
	v_mul_f64 v[57:58], v[3:4], v[53:54]
	v_mul_f64 v[53:54], v[1:2], v[53:54]
	s_waitcnt vmcnt(0)
	v_fma_f64 v[1:2], v[1:2], v[55:56], -v[57:58]
	v_fma_f64 v[3:4], v[3:4], v[55:56], v[53:54]
.LBB62_820:
	s_and_saveexec_b32 s8, s5
	s_cbranch_execz .LBB62_830
; %bb.821:
	v_add_nc_u32_e32 v54, -4, v0
	v_add_nc_u32_e32 v53, -3, v0
	v_mov_b32_e32 v55, 3
	s_mov_b32 s5, exec_lo
	v_cmpx_lt_u32_e32 6, v54
	s_cbranch_execz .LBB62_825
; %bb.822:
	v_and_b32_e32 v54, -8, v53
	s_movk_i32 s73, 0x420
	s_mov_b32 s72, 0
	s_mov_b32 s74, s69
	;; [unrolled: 1-line block ×3, first 2 shown]
.LBB62_823:                             ; =>This Inner Loop Header: Depth=1
	v_mov_b32_e32 v55, s74
	v_mov_b32_e32 v184, s73
	s_add_i32 s76, s75, 8
	s_add_i32 s75, s75, 11
	v_cmp_eq_u32_e32 vcc_lo, s76, v54
	s_clause 0x1f
	buffer_load_dword v59, v55, s[0:3], 0 offen offset:8
	buffer_load_dword v60, v55, s[0:3], 0 offen offset:12
	buffer_load_dword v69, v55, s[0:3], 0 offen
	buffer_load_dword v70, v55, s[0:3], 0 offen offset:4
	buffer_load_dword v71, v55, s[0:3], 0 offen offset:24
	;; [unrolled: 1-line block ×29, first 2 shown]
	ds_read_b128 v[55:58], v184
	ds_read_b128 v[65:68], v184 offset:16
	s_addk_i32 s73, 0x80
	s_addk_i32 s74, 0x80
	s_or_b32 s72, vcc_lo, s72
	s_waitcnt vmcnt(30) lgkmcnt(1)
	v_mul_f64 v[176:177], v[57:58], v[59:60]
	v_mul_f64 v[59:60], v[55:56], v[59:60]
	s_waitcnt vmcnt(26) lgkmcnt(0)
	v_mul_f64 v[178:179], v[67:68], v[71:72]
	v_mul_f64 v[180:181], v[65:66], v[71:72]
	v_fma_f64 v[176:177], v[55:56], v[69:70], -v[176:177]
	v_fma_f64 v[59:60], v[57:58], v[69:70], v[59:60]
	ds_read_b128 v[55:58], v184 offset:32
	ds_read_b128 v[69:72], v184 offset:48
	s_waitcnt vmcnt(24)
	v_fma_f64 v[65:66], v[65:66], v[73:74], -v[178:179]
	v_fma_f64 v[67:68], v[67:68], v[73:74], v[180:181]
	s_waitcnt vmcnt(22) lgkmcnt(1)
	v_mul_f64 v[182:183], v[57:58], v[75:76]
	v_mul_f64 v[75:76], v[55:56], v[75:76]
	v_add_f64 v[1:2], v[1:2], v[176:177]
	v_add_f64 v[3:4], v[3:4], v[59:60]
	s_waitcnt vmcnt(18) lgkmcnt(0)
	v_mul_f64 v[59:60], v[71:72], v[156:157]
	v_mul_f64 v[73:74], v[69:70], v[156:157]
	v_fma_f64 v[156:157], v[55:56], v[154:155], -v[182:183]
	v_fma_f64 v[75:76], v[57:58], v[154:155], v[75:76]
	v_add_f64 v[65:66], v[1:2], v[65:66]
	v_add_f64 v[67:68], v[3:4], v[67:68]
	ds_read_b128 v[1:4], v184 offset:64
	ds_read_b128 v[55:58], v184 offset:80
	s_waitcnt vmcnt(16)
	v_fma_f64 v[59:60], v[69:70], v[158:159], -v[59:60]
	v_fma_f64 v[69:70], v[71:72], v[158:159], v[73:74]
	s_waitcnt vmcnt(12) lgkmcnt(1)
	v_mul_f64 v[154:155], v[3:4], v[160:161]
	v_mul_f64 v[160:161], v[1:2], v[160:161]
	v_add_f64 v[65:66], v[65:66], v[156:157]
	v_add_f64 v[67:68], v[67:68], v[75:76]
	s_waitcnt vmcnt(10) lgkmcnt(0)
	v_mul_f64 v[71:72], v[57:58], v[162:163]
	v_mul_f64 v[73:74], v[55:56], v[162:163]
	s_waitcnt vmcnt(8)
	v_fma_f64 v[75:76], v[1:2], v[166:167], -v[154:155]
	v_fma_f64 v[154:155], v[3:4], v[166:167], v[160:161]
	v_add_f64 v[59:60], v[65:66], v[59:60]
	v_add_f64 v[69:70], v[67:68], v[69:70]
	ds_read_b128 v[1:4], v184 offset:96
	ds_read_b128 v[65:68], v184 offset:112
	v_fma_f64 v[55:56], v[55:56], v[164:165], -v[71:72]
	v_fma_f64 v[57:58], v[57:58], v[164:165], v[73:74]
	s_waitcnt vmcnt(4) lgkmcnt(1)
	v_mul_f64 v[156:157], v[3:4], v[168:169]
	v_mul_f64 v[158:159], v[1:2], v[168:169]
	v_add_f64 v[59:60], v[59:60], v[75:76]
	v_add_f64 v[69:70], v[69:70], v[154:155]
	s_waitcnt vmcnt(2) lgkmcnt(0)
	v_mul_f64 v[71:72], v[67:68], v[170:171]
	v_mul_f64 v[73:74], v[65:66], v[170:171]
	s_waitcnt vmcnt(0)
	v_fma_f64 v[1:2], v[1:2], v[174:175], -v[156:157]
	v_fma_f64 v[3:4], v[3:4], v[174:175], v[158:159]
	v_add_f64 v[55:56], v[59:60], v[55:56]
	v_add_f64 v[57:58], v[69:70], v[57:58]
	v_fma_f64 v[59:60], v[65:66], v[172:173], -v[71:72]
	v_fma_f64 v[65:66], v[67:68], v[172:173], v[73:74]
	v_add_f64 v[1:2], v[55:56], v[1:2]
	v_add_f64 v[3:4], v[57:58], v[3:4]
	v_mov_b32_e32 v55, s75
	s_mov_b32 s75, s76
	v_add_f64 v[1:2], v[1:2], v[59:60]
	v_add_f64 v[3:4], v[3:4], v[65:66]
	s_andn2_b32 exec_lo, exec_lo, s72
	s_cbranch_execnz .LBB62_823
; %bb.824:
	s_or_b32 exec_lo, exec_lo, s72
.LBB62_825:
	s_or_b32 exec_lo, exec_lo, s5
	v_and_b32_e32 v53, 7, v53
	s_mov_b32 s72, 0
	s_mov_b32 s5, exec_lo
	v_cmpx_ne_u32_e32 0, v53
	s_cbranch_execz .LBB62_829
; %bb.826:
	v_lshlrev_b32_e32 v55, 4, v55
	v_add_nc_u32_e32 v54, 0x3f0, v55
	.p2align	6
.LBB62_827:                             ; =>This Inner Loop Header: Depth=1
	s_clause 0x3
	buffer_load_dword v65, v55, s[0:3], 0 offen offset:8
	buffer_load_dword v66, v55, s[0:3], 0 offen offset:12
	buffer_load_dword v67, v55, s[0:3], 0 offen
	buffer_load_dword v68, v55, s[0:3], 0 offen offset:4
	ds_read_b128 v[56:59], v54
	v_add_nc_u32_e32 v53, -1, v53
	v_add_nc_u32_e32 v54, 16, v54
	v_add_nc_u32_e32 v55, 16, v55
	v_cmp_eq_u32_e32 vcc_lo, 0, v53
	s_or_b32 s72, vcc_lo, s72
	s_waitcnt vmcnt(2) lgkmcnt(0)
	v_mul_f64 v[69:70], v[58:59], v[65:66]
	v_mul_f64 v[65:66], v[56:57], v[65:66]
	s_waitcnt vmcnt(0)
	v_fma_f64 v[56:57], v[56:57], v[67:68], -v[69:70]
	v_fma_f64 v[58:59], v[58:59], v[67:68], v[65:66]
	v_add_f64 v[1:2], v[1:2], v[56:57]
	v_add_f64 v[3:4], v[3:4], v[58:59]
	s_andn2_b32 exec_lo, exec_lo, s72
	s_cbranch_execnz .LBB62_827
; %bb.828:
	s_or_b32 exec_lo, exec_lo, s72
.LBB62_829:
	s_or_b32 exec_lo, exec_lo, s5
.LBB62_830:
	s_or_b32 exec_lo, exec_lo, s8
	v_mov_b32_e32 v53, 0
	ds_read_b128 v[53:56], v53 offset:32
	s_waitcnt lgkmcnt(0)
	v_mul_f64 v[57:58], v[3:4], v[55:56]
	v_mul_f64 v[55:56], v[1:2], v[55:56]
	v_fma_f64 v[1:2], v[1:2], v[53:54], -v[57:58]
	v_fma_f64 v[3:4], v[3:4], v[53:54], v[55:56]
	buffer_store_dword v2, off, s[0:3], 0 offset:36
	buffer_store_dword v1, off, s[0:3], 0 offset:32
	;; [unrolled: 1-line block ×4, first 2 shown]
.LBB62_831:
	s_or_b32 exec_lo, exec_lo, s4
	v_mov_b32_e32 v4, s71
	v_cmp_lt_u32_e64 s4, 1, v0
	s_clause 0x3
	buffer_load_dword v1, v4, s[0:3], 0 offen
	buffer_load_dword v2, v4, s[0:3], 0 offen offset:4
	buffer_load_dword v3, v4, s[0:3], 0 offen offset:8
	buffer_load_dword v4, v4, s[0:3], 0 offen offset:12
	s_waitcnt vmcnt(0)
	ds_write_b128 v48, v[1:4]
	s_waitcnt lgkmcnt(0)
	s_waitcnt_vscnt null, 0x0
	s_barrier
	buffer_gl0_inv
	s_and_saveexec_b32 s5, s4
	s_cbranch_execz .LBB62_845
; %bb.832:
	ds_read_b128 v[1:4], v48
	s_andn2_b32 vcc_lo, exec_lo, s7
	s_cbranch_vccnz .LBB62_834
; %bb.833:
	s_clause 0x3
	buffer_load_dword v53, v47, s[0:3], 0 offen offset:8
	buffer_load_dword v54, v47, s[0:3], 0 offen offset:12
	buffer_load_dword v55, v47, s[0:3], 0 offen
	buffer_load_dword v56, v47, s[0:3], 0 offen offset:4
	s_waitcnt vmcnt(2) lgkmcnt(0)
	v_mul_f64 v[57:58], v[3:4], v[53:54]
	v_mul_f64 v[53:54], v[1:2], v[53:54]
	s_waitcnt vmcnt(0)
	v_fma_f64 v[1:2], v[1:2], v[55:56], -v[57:58]
	v_fma_f64 v[3:4], v[3:4], v[55:56], v[53:54]
.LBB62_834:
	s_and_saveexec_b32 s8, s6
	s_cbranch_execz .LBB62_844
; %bb.835:
	v_add_nc_u32_e32 v54, -3, v0
	v_add_nc_u32_e32 v53, -2, v0
	v_mov_b32_e32 v55, 2
	s_mov_b32 s6, exec_lo
	v_cmpx_lt_u32_e32 6, v54
	s_cbranch_execz .LBB62_839
; %bb.836:
	v_and_b32_e32 v54, -8, v53
	s_movk_i32 s73, 0x410
	s_mov_b32 s72, 0
	s_mov_b32 s74, s70
	;; [unrolled: 1-line block ×3, first 2 shown]
.LBB62_837:                             ; =>This Inner Loop Header: Depth=1
	v_mov_b32_e32 v55, s74
	v_mov_b32_e32 v184, s73
	s_add_i32 s76, s75, 8
	s_add_i32 s75, s75, 10
	v_cmp_eq_u32_e32 vcc_lo, s76, v54
	s_clause 0x1f
	buffer_load_dword v59, v55, s[0:3], 0 offen offset:8
	buffer_load_dword v60, v55, s[0:3], 0 offen offset:12
	buffer_load_dword v69, v55, s[0:3], 0 offen
	buffer_load_dword v70, v55, s[0:3], 0 offen offset:4
	buffer_load_dword v71, v55, s[0:3], 0 offen offset:24
	;; [unrolled: 1-line block ×29, first 2 shown]
	ds_read_b128 v[55:58], v184
	ds_read_b128 v[65:68], v184 offset:16
	s_addk_i32 s73, 0x80
	s_addk_i32 s74, 0x80
	s_or_b32 s72, vcc_lo, s72
	s_waitcnt vmcnt(30) lgkmcnt(1)
	v_mul_f64 v[176:177], v[57:58], v[59:60]
	v_mul_f64 v[59:60], v[55:56], v[59:60]
	s_waitcnt vmcnt(26) lgkmcnt(0)
	v_mul_f64 v[178:179], v[67:68], v[71:72]
	v_mul_f64 v[180:181], v[65:66], v[71:72]
	v_fma_f64 v[176:177], v[55:56], v[69:70], -v[176:177]
	v_fma_f64 v[59:60], v[57:58], v[69:70], v[59:60]
	ds_read_b128 v[55:58], v184 offset:32
	ds_read_b128 v[69:72], v184 offset:48
	s_waitcnt vmcnt(24)
	v_fma_f64 v[65:66], v[65:66], v[73:74], -v[178:179]
	v_fma_f64 v[67:68], v[67:68], v[73:74], v[180:181]
	s_waitcnt vmcnt(22) lgkmcnt(1)
	v_mul_f64 v[182:183], v[57:58], v[75:76]
	v_mul_f64 v[75:76], v[55:56], v[75:76]
	v_add_f64 v[1:2], v[1:2], v[176:177]
	v_add_f64 v[3:4], v[3:4], v[59:60]
	s_waitcnt vmcnt(18) lgkmcnt(0)
	v_mul_f64 v[59:60], v[71:72], v[156:157]
	v_mul_f64 v[73:74], v[69:70], v[156:157]
	v_fma_f64 v[156:157], v[55:56], v[154:155], -v[182:183]
	v_fma_f64 v[75:76], v[57:58], v[154:155], v[75:76]
	v_add_f64 v[65:66], v[1:2], v[65:66]
	v_add_f64 v[67:68], v[3:4], v[67:68]
	ds_read_b128 v[1:4], v184 offset:64
	ds_read_b128 v[55:58], v184 offset:80
	s_waitcnt vmcnt(16)
	v_fma_f64 v[59:60], v[69:70], v[158:159], -v[59:60]
	v_fma_f64 v[69:70], v[71:72], v[158:159], v[73:74]
	s_waitcnt vmcnt(12) lgkmcnt(1)
	v_mul_f64 v[154:155], v[3:4], v[160:161]
	v_mul_f64 v[160:161], v[1:2], v[160:161]
	v_add_f64 v[65:66], v[65:66], v[156:157]
	v_add_f64 v[67:68], v[67:68], v[75:76]
	s_waitcnt vmcnt(10) lgkmcnt(0)
	v_mul_f64 v[71:72], v[57:58], v[162:163]
	v_mul_f64 v[73:74], v[55:56], v[162:163]
	s_waitcnt vmcnt(8)
	v_fma_f64 v[75:76], v[1:2], v[166:167], -v[154:155]
	v_fma_f64 v[154:155], v[3:4], v[166:167], v[160:161]
	v_add_f64 v[59:60], v[65:66], v[59:60]
	v_add_f64 v[69:70], v[67:68], v[69:70]
	ds_read_b128 v[1:4], v184 offset:96
	ds_read_b128 v[65:68], v184 offset:112
	v_fma_f64 v[55:56], v[55:56], v[164:165], -v[71:72]
	v_fma_f64 v[57:58], v[57:58], v[164:165], v[73:74]
	s_waitcnt vmcnt(4) lgkmcnt(1)
	v_mul_f64 v[156:157], v[3:4], v[168:169]
	v_mul_f64 v[158:159], v[1:2], v[168:169]
	v_add_f64 v[59:60], v[59:60], v[75:76]
	v_add_f64 v[69:70], v[69:70], v[154:155]
	s_waitcnt vmcnt(2) lgkmcnt(0)
	v_mul_f64 v[71:72], v[67:68], v[170:171]
	v_mul_f64 v[73:74], v[65:66], v[170:171]
	s_waitcnt vmcnt(0)
	v_fma_f64 v[1:2], v[1:2], v[174:175], -v[156:157]
	v_fma_f64 v[3:4], v[3:4], v[174:175], v[158:159]
	v_add_f64 v[55:56], v[59:60], v[55:56]
	v_add_f64 v[57:58], v[69:70], v[57:58]
	v_fma_f64 v[59:60], v[65:66], v[172:173], -v[71:72]
	v_fma_f64 v[65:66], v[67:68], v[172:173], v[73:74]
	v_add_f64 v[1:2], v[55:56], v[1:2]
	v_add_f64 v[3:4], v[57:58], v[3:4]
	v_mov_b32_e32 v55, s75
	s_mov_b32 s75, s76
	v_add_f64 v[1:2], v[1:2], v[59:60]
	v_add_f64 v[3:4], v[3:4], v[65:66]
	s_andn2_b32 exec_lo, exec_lo, s72
	s_cbranch_execnz .LBB62_837
; %bb.838:
	s_or_b32 exec_lo, exec_lo, s72
.LBB62_839:
	s_or_b32 exec_lo, exec_lo, s6
	v_and_b32_e32 v53, 7, v53
	s_mov_b32 s72, 0
	s_mov_b32 s6, exec_lo
	v_cmpx_ne_u32_e32 0, v53
	s_cbranch_execz .LBB62_843
; %bb.840:
	v_lshlrev_b32_e32 v55, 4, v55
	v_add_nc_u32_e32 v54, 0x3f0, v55
	.p2align	6
.LBB62_841:                             ; =>This Inner Loop Header: Depth=1
	s_clause 0x3
	buffer_load_dword v65, v55, s[0:3], 0 offen offset:8
	buffer_load_dword v66, v55, s[0:3], 0 offen offset:12
	buffer_load_dword v67, v55, s[0:3], 0 offen
	buffer_load_dword v68, v55, s[0:3], 0 offen offset:4
	ds_read_b128 v[56:59], v54
	v_add_nc_u32_e32 v53, -1, v53
	v_add_nc_u32_e32 v54, 16, v54
	v_add_nc_u32_e32 v55, 16, v55
	v_cmp_eq_u32_e32 vcc_lo, 0, v53
	s_or_b32 s72, vcc_lo, s72
	s_waitcnt vmcnt(2) lgkmcnt(0)
	v_mul_f64 v[69:70], v[58:59], v[65:66]
	v_mul_f64 v[65:66], v[56:57], v[65:66]
	s_waitcnt vmcnt(0)
	v_fma_f64 v[56:57], v[56:57], v[67:68], -v[69:70]
	v_fma_f64 v[58:59], v[58:59], v[67:68], v[65:66]
	v_add_f64 v[1:2], v[1:2], v[56:57]
	v_add_f64 v[3:4], v[3:4], v[58:59]
	s_andn2_b32 exec_lo, exec_lo, s72
	s_cbranch_execnz .LBB62_841
; %bb.842:
	s_or_b32 exec_lo, exec_lo, s72
.LBB62_843:
	s_or_b32 exec_lo, exec_lo, s6
.LBB62_844:
	s_or_b32 exec_lo, exec_lo, s8
	v_mov_b32_e32 v53, 0
	ds_read_b128 v[53:56], v53 offset:16
	s_waitcnt lgkmcnt(0)
	v_mul_f64 v[57:58], v[3:4], v[55:56]
	v_mul_f64 v[55:56], v[1:2], v[55:56]
	v_fma_f64 v[1:2], v[1:2], v[53:54], -v[57:58]
	v_fma_f64 v[3:4], v[3:4], v[53:54], v[55:56]
	buffer_store_dword v2, off, s[0:3], 0 offset:20
	buffer_store_dword v1, off, s[0:3], 0 offset:16
	buffer_store_dword v4, off, s[0:3], 0 offset:28
	buffer_store_dword v3, off, s[0:3], 0 offset:24
.LBB62_845:
	s_or_b32 exec_lo, exec_lo, s5
	s_clause 0x3
	buffer_load_dword v1, off, s[0:3], 0
	buffer_load_dword v2, off, s[0:3], 0 offset:4
	buffer_load_dword v3, off, s[0:3], 0 offset:8
	buffer_load_dword v4, off, s[0:3], 0 offset:12
	s_mov_b32 s5, 0
	s_mov_b32 s8, 0
	s_mov_b32 s6, exec_lo
                                        ; implicit-def: $sgpr72
	s_waitcnt vmcnt(0)
	ds_write_b128 v48, v[1:4]
	s_waitcnt lgkmcnt(0)
	s_waitcnt_vscnt null, 0x0
	s_barrier
	buffer_gl0_inv
                                        ; implicit-def: $vgpr1_vgpr2
	v_cmpx_ne_u32_e32 0, v0
	s_cbranch_execz .LBB62_859
; %bb.846:
	ds_read_b128 v[1:4], v48
	s_andn2_b32 vcc_lo, exec_lo, s7
	s_cbranch_vccnz .LBB62_848
; %bb.847:
	s_clause 0x3
	buffer_load_dword v53, v47, s[0:3], 0 offen offset:8
	buffer_load_dword v54, v47, s[0:3], 0 offen offset:12
	buffer_load_dword v55, v47, s[0:3], 0 offen
	buffer_load_dword v56, v47, s[0:3], 0 offen offset:4
	s_waitcnt vmcnt(2) lgkmcnt(0)
	v_mul_f64 v[57:58], v[3:4], v[53:54]
	v_mul_f64 v[53:54], v[1:2], v[53:54]
	s_waitcnt vmcnt(0)
	v_fma_f64 v[1:2], v[1:2], v[55:56], -v[57:58]
	v_fma_f64 v[3:4], v[3:4], v[55:56], v[53:54]
.LBB62_848:
	s_and_saveexec_b32 s8, s4
	s_cbranch_execz .LBB62_858
; %bb.849:
	v_add_nc_u32_e32 v54, -2, v0
	v_add_nc_u32_e32 v53, -1, v0
	v_mov_b32_e32 v55, 1
	s_mov_b32 s4, exec_lo
	v_cmpx_lt_u32_e32 6, v54
	s_cbranch_execz .LBB62_853
; %bb.850:
	v_and_b32_e32 v54, -8, v53
	s_movk_i32 s73, 0x400
	s_mov_b32 s72, 0
	s_mov_b32 s74, s71
	;; [unrolled: 1-line block ×3, first 2 shown]
.LBB62_851:                             ; =>This Inner Loop Header: Depth=1
	v_mov_b32_e32 v55, s74
	v_mov_b32_e32 v184, s73
	s_add_i32 s76, s75, 8
	s_add_i32 s75, s75, 9
	v_cmp_eq_u32_e32 vcc_lo, s76, v54
	s_clause 0x1f
	buffer_load_dword v59, v55, s[0:3], 0 offen offset:8
	buffer_load_dword v60, v55, s[0:3], 0 offen offset:12
	buffer_load_dword v69, v55, s[0:3], 0 offen
	buffer_load_dword v70, v55, s[0:3], 0 offen offset:4
	buffer_load_dword v71, v55, s[0:3], 0 offen offset:24
	;; [unrolled: 1-line block ×29, first 2 shown]
	ds_read_b128 v[55:58], v184
	ds_read_b128 v[65:68], v184 offset:16
	s_addk_i32 s73, 0x80
	s_addk_i32 s74, 0x80
	s_or_b32 s72, vcc_lo, s72
	s_waitcnt vmcnt(30) lgkmcnt(1)
	v_mul_f64 v[176:177], v[57:58], v[59:60]
	v_mul_f64 v[59:60], v[55:56], v[59:60]
	s_waitcnt vmcnt(26) lgkmcnt(0)
	v_mul_f64 v[178:179], v[67:68], v[71:72]
	v_mul_f64 v[180:181], v[65:66], v[71:72]
	v_fma_f64 v[176:177], v[55:56], v[69:70], -v[176:177]
	v_fma_f64 v[59:60], v[57:58], v[69:70], v[59:60]
	ds_read_b128 v[55:58], v184 offset:32
	ds_read_b128 v[69:72], v184 offset:48
	s_waitcnt vmcnt(24)
	v_fma_f64 v[65:66], v[65:66], v[73:74], -v[178:179]
	v_fma_f64 v[67:68], v[67:68], v[73:74], v[180:181]
	s_waitcnt vmcnt(22) lgkmcnt(1)
	v_mul_f64 v[182:183], v[57:58], v[75:76]
	v_mul_f64 v[75:76], v[55:56], v[75:76]
	v_add_f64 v[1:2], v[1:2], v[176:177]
	v_add_f64 v[3:4], v[3:4], v[59:60]
	s_waitcnt vmcnt(18) lgkmcnt(0)
	v_mul_f64 v[59:60], v[71:72], v[156:157]
	v_mul_f64 v[73:74], v[69:70], v[156:157]
	v_fma_f64 v[156:157], v[55:56], v[154:155], -v[182:183]
	v_fma_f64 v[75:76], v[57:58], v[154:155], v[75:76]
	v_add_f64 v[65:66], v[1:2], v[65:66]
	v_add_f64 v[67:68], v[3:4], v[67:68]
	ds_read_b128 v[1:4], v184 offset:64
	ds_read_b128 v[55:58], v184 offset:80
	s_waitcnt vmcnt(16)
	v_fma_f64 v[59:60], v[69:70], v[158:159], -v[59:60]
	v_fma_f64 v[69:70], v[71:72], v[158:159], v[73:74]
	s_waitcnt vmcnt(12) lgkmcnt(1)
	v_mul_f64 v[154:155], v[3:4], v[160:161]
	v_mul_f64 v[160:161], v[1:2], v[160:161]
	v_add_f64 v[65:66], v[65:66], v[156:157]
	v_add_f64 v[67:68], v[67:68], v[75:76]
	s_waitcnt vmcnt(10) lgkmcnt(0)
	v_mul_f64 v[71:72], v[57:58], v[162:163]
	v_mul_f64 v[73:74], v[55:56], v[162:163]
	s_waitcnt vmcnt(8)
	v_fma_f64 v[75:76], v[1:2], v[166:167], -v[154:155]
	v_fma_f64 v[154:155], v[3:4], v[166:167], v[160:161]
	v_add_f64 v[59:60], v[65:66], v[59:60]
	v_add_f64 v[69:70], v[67:68], v[69:70]
	ds_read_b128 v[1:4], v184 offset:96
	ds_read_b128 v[65:68], v184 offset:112
	v_fma_f64 v[55:56], v[55:56], v[164:165], -v[71:72]
	v_fma_f64 v[57:58], v[57:58], v[164:165], v[73:74]
	s_waitcnt vmcnt(4) lgkmcnt(1)
	v_mul_f64 v[156:157], v[3:4], v[168:169]
	v_mul_f64 v[158:159], v[1:2], v[168:169]
	v_add_f64 v[59:60], v[59:60], v[75:76]
	v_add_f64 v[69:70], v[69:70], v[154:155]
	s_waitcnt vmcnt(2) lgkmcnt(0)
	v_mul_f64 v[71:72], v[67:68], v[170:171]
	v_mul_f64 v[73:74], v[65:66], v[170:171]
	s_waitcnt vmcnt(0)
	v_fma_f64 v[1:2], v[1:2], v[174:175], -v[156:157]
	v_fma_f64 v[3:4], v[3:4], v[174:175], v[158:159]
	v_add_f64 v[55:56], v[59:60], v[55:56]
	v_add_f64 v[57:58], v[69:70], v[57:58]
	v_fma_f64 v[59:60], v[65:66], v[172:173], -v[71:72]
	v_fma_f64 v[65:66], v[67:68], v[172:173], v[73:74]
	v_add_f64 v[1:2], v[55:56], v[1:2]
	v_add_f64 v[3:4], v[57:58], v[3:4]
	v_mov_b32_e32 v55, s75
	s_mov_b32 s75, s76
	v_add_f64 v[1:2], v[1:2], v[59:60]
	v_add_f64 v[3:4], v[3:4], v[65:66]
	s_andn2_b32 exec_lo, exec_lo, s72
	s_cbranch_execnz .LBB62_851
; %bb.852:
	s_or_b32 exec_lo, exec_lo, s72
.LBB62_853:
	s_or_b32 exec_lo, exec_lo, s4
	v_and_b32_e32 v53, 7, v53
	s_mov_b32 s72, 0
	s_mov_b32 s4, exec_lo
	v_cmpx_ne_u32_e32 0, v53
	s_cbranch_execz .LBB62_857
; %bb.854:
	v_lshlrev_b32_e32 v55, 4, v55
	v_add_nc_u32_e32 v54, 0x3f0, v55
	.p2align	6
.LBB62_855:                             ; =>This Inner Loop Header: Depth=1
	s_clause 0x3
	buffer_load_dword v65, v55, s[0:3], 0 offen offset:8
	buffer_load_dword v66, v55, s[0:3], 0 offen offset:12
	buffer_load_dword v67, v55, s[0:3], 0 offen
	buffer_load_dword v68, v55, s[0:3], 0 offen offset:4
	ds_read_b128 v[56:59], v54
	v_add_nc_u32_e32 v53, -1, v53
	v_add_nc_u32_e32 v54, 16, v54
	v_add_nc_u32_e32 v55, 16, v55
	v_cmp_eq_u32_e32 vcc_lo, 0, v53
	s_or_b32 s72, vcc_lo, s72
	s_waitcnt vmcnt(2) lgkmcnt(0)
	v_mul_f64 v[69:70], v[58:59], v[65:66]
	v_mul_f64 v[65:66], v[56:57], v[65:66]
	s_waitcnt vmcnt(0)
	v_fma_f64 v[56:57], v[56:57], v[67:68], -v[69:70]
	v_fma_f64 v[58:59], v[58:59], v[67:68], v[65:66]
	v_add_f64 v[1:2], v[1:2], v[56:57]
	v_add_f64 v[3:4], v[3:4], v[58:59]
	s_andn2_b32 exec_lo, exec_lo, s72
	s_cbranch_execnz .LBB62_855
; %bb.856:
	s_or_b32 exec_lo, exec_lo, s72
.LBB62_857:
	s_or_b32 exec_lo, exec_lo, s4
.LBB62_858:
	s_or_b32 exec_lo, exec_lo, s8
	v_mov_b32_e32 v53, 0
	s_mov_b32 s8, exec_lo
	s_or_b32 s72, 0, 8
	ds_read_b128 v[53:56], v53
	s_waitcnt lgkmcnt(0)
	v_mul_f64 v[57:58], v[3:4], v[55:56]
	v_mul_f64 v[55:56], v[1:2], v[55:56]
	v_fma_f64 v[57:58], v[1:2], v[53:54], -v[57:58]
	v_fma_f64 v[1:2], v[3:4], v[53:54], v[55:56]
	buffer_store_dword v58, off, s[0:3], 0 offset:4
	buffer_store_dword v57, off, s[0:3], 0
.LBB62_859:
	s_or_b32 exec_lo, exec_lo, s6
	s_and_b32 vcc_lo, exec_lo, s5
	s_cbranch_vccnz .LBB62_861
	s_branch .LBB62_1364
.LBB62_860:
	s_mov_b32 s8, 0
                                        ; implicit-def: $vgpr1_vgpr2
                                        ; implicit-def: $sgpr72
	s_cbranch_execz .LBB62_1364
.LBB62_861:
	v_mov_b32_e32 v4, s71
	v_cmp_eq_u32_e64 s4, 0, v0
	v_cndmask_b32_e64 v53, 0, 1, s7
	s_clause 0x3
	buffer_load_dword v1, v4, s[0:3], 0 offen
	buffer_load_dword v2, v4, s[0:3], 0 offen offset:4
	buffer_load_dword v3, v4, s[0:3], 0 offen offset:8
	;; [unrolled: 1-line block ×3, first 2 shown]
	s_waitcnt vmcnt(0)
	ds_write_b128 v48, v[1:4]
	s_waitcnt lgkmcnt(0)
	s_waitcnt_vscnt null, 0x0
	s_barrier
	buffer_gl0_inv
	s_and_saveexec_b32 s5, s4
	s_cbranch_execz .LBB62_865
; %bb.862:
	ds_read_b128 v[1:4], v48
	s_andn2_b32 vcc_lo, exec_lo, s7
	s_cbranch_vccnz .LBB62_864
; %bb.863:
	s_clause 0x3
	buffer_load_dword v54, v47, s[0:3], 0 offen offset:8
	buffer_load_dword v55, v47, s[0:3], 0 offen offset:12
	buffer_load_dword v56, v47, s[0:3], 0 offen
	buffer_load_dword v57, v47, s[0:3], 0 offen offset:4
	s_waitcnt vmcnt(2) lgkmcnt(0)
	v_mul_f64 v[58:59], v[3:4], v[54:55]
	v_mul_f64 v[54:55], v[1:2], v[54:55]
	s_waitcnt vmcnt(0)
	v_fma_f64 v[1:2], v[1:2], v[56:57], -v[58:59]
	v_fma_f64 v[3:4], v[3:4], v[56:57], v[54:55]
.LBB62_864:
	v_mov_b32_e32 v54, 0
	ds_read_b128 v[54:57], v54 offset:16
	s_waitcnt lgkmcnt(0)
	v_mul_f64 v[58:59], v[3:4], v[56:57]
	v_mul_f64 v[56:57], v[1:2], v[56:57]
	v_fma_f64 v[1:2], v[1:2], v[54:55], -v[58:59]
	v_fma_f64 v[3:4], v[3:4], v[54:55], v[56:57]
	buffer_store_dword v2, off, s[0:3], 0 offset:20
	buffer_store_dword v1, off, s[0:3], 0 offset:16
	buffer_store_dword v4, off, s[0:3], 0 offset:28
	buffer_store_dword v3, off, s[0:3], 0 offset:24
.LBB62_865:
	s_or_b32 exec_lo, exec_lo, s5
	v_mov_b32_e32 v4, s70
	s_mov_b32 s5, exec_lo
	s_clause 0x3
	buffer_load_dword v1, v4, s[0:3], 0 offen
	buffer_load_dword v2, v4, s[0:3], 0 offen offset:4
	buffer_load_dword v3, v4, s[0:3], 0 offen offset:8
	buffer_load_dword v4, v4, s[0:3], 0 offen offset:12
	s_waitcnt vmcnt(0)
	ds_write_b128 v48, v[1:4]
	s_waitcnt lgkmcnt(0)
	s_waitcnt_vscnt null, 0x0
	s_barrier
	buffer_gl0_inv
	v_cmpx_gt_u32_e32 2, v0
	s_cbranch_execz .LBB62_871
; %bb.866:
	ds_read_b128 v[1:4], v48
	v_cmp_ne_u32_e32 vcc_lo, 1, v53
	s_cbranch_vccnz .LBB62_868
; %bb.867:
	s_clause 0x3
	buffer_load_dword v54, v47, s[0:3], 0 offen offset:8
	buffer_load_dword v55, v47, s[0:3], 0 offen offset:12
	buffer_load_dword v56, v47, s[0:3], 0 offen
	buffer_load_dword v57, v47, s[0:3], 0 offen offset:4
	s_waitcnt vmcnt(2) lgkmcnt(0)
	v_mul_f64 v[58:59], v[3:4], v[54:55]
	v_mul_f64 v[54:55], v[1:2], v[54:55]
	s_waitcnt vmcnt(0)
	v_fma_f64 v[1:2], v[1:2], v[56:57], -v[58:59]
	v_fma_f64 v[3:4], v[3:4], v[56:57], v[54:55]
.LBB62_868:
	s_and_saveexec_b32 s6, s4
	s_cbranch_execz .LBB62_870
; %bb.869:
	s_clause 0x3
	buffer_load_dword v58, off, s[0:3], 0 offset:24
	buffer_load_dword v59, off, s[0:3], 0 offset:28
	;; [unrolled: 1-line block ×4, first 2 shown]
	v_mov_b32_e32 v54, 0
	ds_read_b128 v[54:57], v54 offset:1024
	s_waitcnt vmcnt(2) lgkmcnt(0)
	v_mul_f64 v[67:68], v[56:57], v[58:59]
	v_mul_f64 v[58:59], v[54:55], v[58:59]
	s_waitcnt vmcnt(0)
	v_fma_f64 v[54:55], v[54:55], v[65:66], -v[67:68]
	v_fma_f64 v[56:57], v[56:57], v[65:66], v[58:59]
	v_add_f64 v[1:2], v[1:2], v[54:55]
	v_add_f64 v[3:4], v[3:4], v[56:57]
.LBB62_870:
	s_or_b32 exec_lo, exec_lo, s6
	v_mov_b32_e32 v54, 0
	ds_read_b128 v[54:57], v54 offset:32
	s_waitcnt lgkmcnt(0)
	v_mul_f64 v[58:59], v[3:4], v[56:57]
	v_mul_f64 v[56:57], v[1:2], v[56:57]
	v_fma_f64 v[1:2], v[1:2], v[54:55], -v[58:59]
	v_fma_f64 v[3:4], v[3:4], v[54:55], v[56:57]
	buffer_store_dword v2, off, s[0:3], 0 offset:36
	buffer_store_dword v1, off, s[0:3], 0 offset:32
	;; [unrolled: 1-line block ×4, first 2 shown]
.LBB62_871:
	s_or_b32 exec_lo, exec_lo, s5
	v_mov_b32_e32 v4, s69
	v_cmp_gt_u32_e64 s5, 3, v0
	s_clause 0x3
	buffer_load_dword v1, v4, s[0:3], 0 offen
	buffer_load_dword v2, v4, s[0:3], 0 offen offset:4
	buffer_load_dword v3, v4, s[0:3], 0 offen offset:8
	;; [unrolled: 1-line block ×3, first 2 shown]
	s_waitcnt vmcnt(0)
	ds_write_b128 v48, v[1:4]
	s_waitcnt lgkmcnt(0)
	s_waitcnt_vscnt null, 0x0
	s_barrier
	buffer_gl0_inv
	s_and_saveexec_b32 s6, s5
	s_cbranch_execz .LBB62_879
; %bb.872:
	ds_read_b128 v[1:4], v48
	v_cmp_ne_u32_e32 vcc_lo, 1, v53
	s_cbranch_vccnz .LBB62_874
; %bb.873:
	s_clause 0x3
	buffer_load_dword v54, v47, s[0:3], 0 offen offset:8
	buffer_load_dword v55, v47, s[0:3], 0 offen offset:12
	buffer_load_dword v56, v47, s[0:3], 0 offen
	buffer_load_dword v57, v47, s[0:3], 0 offen offset:4
	s_waitcnt vmcnt(2) lgkmcnt(0)
	v_mul_f64 v[58:59], v[3:4], v[54:55]
	v_mul_f64 v[54:55], v[1:2], v[54:55]
	s_waitcnt vmcnt(0)
	v_fma_f64 v[1:2], v[1:2], v[56:57], -v[58:59]
	v_fma_f64 v[3:4], v[3:4], v[56:57], v[54:55]
.LBB62_874:
	s_mov_b32 s7, exec_lo
	v_cmpx_ne_u32_e32 2, v0
	s_cbranch_execz .LBB62_878
; %bb.875:
	s_clause 0x3
	buffer_load_dword v58, v47, s[0:3], 0 offen offset:24
	buffer_load_dword v59, v47, s[0:3], 0 offen offset:28
	;; [unrolled: 1-line block ×4, first 2 shown]
	ds_read_b128 v[54:57], v48 offset:16
	s_waitcnt vmcnt(2) lgkmcnt(0)
	v_mul_f64 v[67:68], v[56:57], v[58:59]
	v_mul_f64 v[58:59], v[54:55], v[58:59]
	s_waitcnt vmcnt(0)
	v_fma_f64 v[54:55], v[54:55], v[65:66], -v[67:68]
	v_fma_f64 v[56:57], v[56:57], v[65:66], v[58:59]
	v_add_f64 v[1:2], v[1:2], v[54:55]
	v_add_f64 v[3:4], v[3:4], v[56:57]
	s_and_saveexec_b32 s72, s4
	s_cbranch_execz .LBB62_877
; %bb.876:
	s_clause 0x3
	buffer_load_dword v58, off, s[0:3], 0 offset:40
	buffer_load_dword v59, off, s[0:3], 0 offset:44
	;; [unrolled: 1-line block ×4, first 2 shown]
	v_mov_b32_e32 v54, 0
	ds_read_b128 v[54:57], v54 offset:1040
	s_waitcnt vmcnt(2) lgkmcnt(0)
	v_mul_f64 v[67:68], v[54:55], v[58:59]
	v_mul_f64 v[58:59], v[56:57], v[58:59]
	s_waitcnt vmcnt(0)
	v_fma_f64 v[56:57], v[56:57], v[65:66], v[67:68]
	v_fma_f64 v[54:55], v[54:55], v[65:66], -v[58:59]
	v_add_f64 v[3:4], v[3:4], v[56:57]
	v_add_f64 v[1:2], v[1:2], v[54:55]
.LBB62_877:
	s_or_b32 exec_lo, exec_lo, s72
.LBB62_878:
	s_or_b32 exec_lo, exec_lo, s7
	v_mov_b32_e32 v54, 0
	ds_read_b128 v[54:57], v54 offset:48
	s_waitcnt lgkmcnt(0)
	v_mul_f64 v[58:59], v[3:4], v[56:57]
	v_mul_f64 v[56:57], v[1:2], v[56:57]
	v_fma_f64 v[1:2], v[1:2], v[54:55], -v[58:59]
	v_fma_f64 v[3:4], v[3:4], v[54:55], v[56:57]
	buffer_store_dword v2, off, s[0:3], 0 offset:52
	buffer_store_dword v1, off, s[0:3], 0 offset:48
	;; [unrolled: 1-line block ×4, first 2 shown]
.LBB62_879:
	s_or_b32 exec_lo, exec_lo, s6
	v_mov_b32_e32 v4, s68
	s_mov_b32 s6, exec_lo
	s_clause 0x3
	buffer_load_dword v1, v4, s[0:3], 0 offen
	buffer_load_dword v2, v4, s[0:3], 0 offen offset:4
	buffer_load_dword v3, v4, s[0:3], 0 offen offset:8
	;; [unrolled: 1-line block ×3, first 2 shown]
	s_waitcnt vmcnt(0)
	ds_write_b128 v48, v[1:4]
	s_waitcnt lgkmcnt(0)
	s_waitcnt_vscnt null, 0x0
	s_barrier
	buffer_gl0_inv
	v_cmpx_gt_u32_e32 4, v0
	s_cbranch_execz .LBB62_887
; %bb.880:
	ds_read_b128 v[1:4], v48
	v_cmp_ne_u32_e32 vcc_lo, 1, v53
	s_cbranch_vccnz .LBB62_882
; %bb.881:
	s_clause 0x3
	buffer_load_dword v54, v47, s[0:3], 0 offen offset:8
	buffer_load_dword v55, v47, s[0:3], 0 offen offset:12
	buffer_load_dword v56, v47, s[0:3], 0 offen
	buffer_load_dword v57, v47, s[0:3], 0 offen offset:4
	s_waitcnt vmcnt(2) lgkmcnt(0)
	v_mul_f64 v[58:59], v[3:4], v[54:55]
	v_mul_f64 v[54:55], v[1:2], v[54:55]
	s_waitcnt vmcnt(0)
	v_fma_f64 v[1:2], v[1:2], v[56:57], -v[58:59]
	v_fma_f64 v[3:4], v[3:4], v[56:57], v[54:55]
.LBB62_882:
	s_mov_b32 s7, exec_lo
	v_cmpx_ne_u32_e32 3, v0
	s_cbranch_execz .LBB62_886
; %bb.883:
	v_or_b32_e32 v54, 0x400, v153
	v_add3_u32 v55, 0, v153, 16
	v_mov_b32_e32 v56, v0
	s_mov_b32 s72, 0
	.p2align	6
.LBB62_884:                             ; =>This Inner Loop Header: Depth=1
	s_clause 0x3
	buffer_load_dword v65, v55, s[0:3], 0 offen offset:8
	buffer_load_dword v66, v55, s[0:3], 0 offen offset:12
	buffer_load_dword v67, v55, s[0:3], 0 offen
	buffer_load_dword v68, v55, s[0:3], 0 offen offset:4
	ds_read_b128 v[57:60], v54
	v_add_nc_u32_e32 v56, 1, v56
	v_add_nc_u32_e32 v54, 16, v54
	;; [unrolled: 1-line block ×3, first 2 shown]
	v_cmp_lt_u32_e32 vcc_lo, 2, v56
	s_or_b32 s72, vcc_lo, s72
	s_waitcnt vmcnt(2) lgkmcnt(0)
	v_mul_f64 v[69:70], v[59:60], v[65:66]
	v_mul_f64 v[65:66], v[57:58], v[65:66]
	s_waitcnt vmcnt(0)
	v_fma_f64 v[57:58], v[57:58], v[67:68], -v[69:70]
	v_fma_f64 v[59:60], v[59:60], v[67:68], v[65:66]
	v_add_f64 v[1:2], v[1:2], v[57:58]
	v_add_f64 v[3:4], v[3:4], v[59:60]
	s_andn2_b32 exec_lo, exec_lo, s72
	s_cbranch_execnz .LBB62_884
; %bb.885:
	s_or_b32 exec_lo, exec_lo, s72
.LBB62_886:
	s_or_b32 exec_lo, exec_lo, s7
	v_mov_b32_e32 v54, 0
	ds_read_b128 v[54:57], v54 offset:64
	s_waitcnt lgkmcnt(0)
	v_mul_f64 v[58:59], v[3:4], v[56:57]
	v_mul_f64 v[56:57], v[1:2], v[56:57]
	v_fma_f64 v[1:2], v[1:2], v[54:55], -v[58:59]
	v_fma_f64 v[3:4], v[3:4], v[54:55], v[56:57]
	buffer_store_dword v2, off, s[0:3], 0 offset:68
	buffer_store_dword v1, off, s[0:3], 0 offset:64
	;; [unrolled: 1-line block ×4, first 2 shown]
.LBB62_887:
	s_or_b32 exec_lo, exec_lo, s6
	v_mov_b32_e32 v4, s67
	v_cmp_gt_u32_e64 s6, 5, v0
	s_clause 0x3
	buffer_load_dword v1, v4, s[0:3], 0 offen
	buffer_load_dword v2, v4, s[0:3], 0 offen offset:4
	buffer_load_dword v3, v4, s[0:3], 0 offen offset:8
	;; [unrolled: 1-line block ×3, first 2 shown]
	s_waitcnt vmcnt(0)
	ds_write_b128 v48, v[1:4]
	s_waitcnt lgkmcnt(0)
	s_waitcnt_vscnt null, 0x0
	s_barrier
	buffer_gl0_inv
	s_and_saveexec_b32 s7, s6
	s_cbranch_execz .LBB62_895
; %bb.888:
	ds_read_b128 v[1:4], v48
	v_cmp_ne_u32_e32 vcc_lo, 1, v53
	s_cbranch_vccnz .LBB62_890
; %bb.889:
	s_clause 0x3
	buffer_load_dword v54, v47, s[0:3], 0 offen offset:8
	buffer_load_dword v55, v47, s[0:3], 0 offen offset:12
	buffer_load_dword v56, v47, s[0:3], 0 offen
	buffer_load_dword v57, v47, s[0:3], 0 offen offset:4
	s_waitcnt vmcnt(2) lgkmcnt(0)
	v_mul_f64 v[58:59], v[3:4], v[54:55]
	v_mul_f64 v[54:55], v[1:2], v[54:55]
	s_waitcnt vmcnt(0)
	v_fma_f64 v[1:2], v[1:2], v[56:57], -v[58:59]
	v_fma_f64 v[3:4], v[3:4], v[56:57], v[54:55]
.LBB62_890:
	s_mov_b32 s72, exec_lo
	v_cmpx_ne_u32_e32 4, v0
	s_cbranch_execz .LBB62_894
; %bb.891:
	v_or_b32_e32 v54, 0x400, v153
	v_add3_u32 v55, 0, v153, 16
	v_mov_b32_e32 v56, v0
	s_mov_b32 s73, 0
	.p2align	6
.LBB62_892:                             ; =>This Inner Loop Header: Depth=1
	s_clause 0x3
	buffer_load_dword v65, v55, s[0:3], 0 offen offset:8
	buffer_load_dword v66, v55, s[0:3], 0 offen offset:12
	buffer_load_dword v67, v55, s[0:3], 0 offen
	buffer_load_dword v68, v55, s[0:3], 0 offen offset:4
	ds_read_b128 v[57:60], v54
	v_add_nc_u32_e32 v56, 1, v56
	v_add_nc_u32_e32 v54, 16, v54
	v_add_nc_u32_e32 v55, 16, v55
	v_cmp_lt_u32_e32 vcc_lo, 3, v56
	s_or_b32 s73, vcc_lo, s73
	s_waitcnt vmcnt(2) lgkmcnt(0)
	v_mul_f64 v[69:70], v[59:60], v[65:66]
	v_mul_f64 v[65:66], v[57:58], v[65:66]
	s_waitcnt vmcnt(0)
	v_fma_f64 v[57:58], v[57:58], v[67:68], -v[69:70]
	v_fma_f64 v[59:60], v[59:60], v[67:68], v[65:66]
	v_add_f64 v[1:2], v[1:2], v[57:58]
	v_add_f64 v[3:4], v[3:4], v[59:60]
	s_andn2_b32 exec_lo, exec_lo, s73
	s_cbranch_execnz .LBB62_892
; %bb.893:
	s_or_b32 exec_lo, exec_lo, s73
.LBB62_894:
	s_or_b32 exec_lo, exec_lo, s72
	v_mov_b32_e32 v54, 0
	ds_read_b128 v[54:57], v54 offset:80
	s_waitcnt lgkmcnt(0)
	v_mul_f64 v[58:59], v[3:4], v[56:57]
	v_mul_f64 v[56:57], v[1:2], v[56:57]
	v_fma_f64 v[1:2], v[1:2], v[54:55], -v[58:59]
	v_fma_f64 v[3:4], v[3:4], v[54:55], v[56:57]
	buffer_store_dword v2, off, s[0:3], 0 offset:84
	buffer_store_dword v1, off, s[0:3], 0 offset:80
	;; [unrolled: 1-line block ×4, first 2 shown]
.LBB62_895:
	s_or_b32 exec_lo, exec_lo, s7
	v_mov_b32_e32 v4, s66
	s_mov_b32 s7, exec_lo
	s_clause 0x3
	buffer_load_dword v1, v4, s[0:3], 0 offen
	buffer_load_dword v2, v4, s[0:3], 0 offen offset:4
	buffer_load_dword v3, v4, s[0:3], 0 offen offset:8
	buffer_load_dword v4, v4, s[0:3], 0 offen offset:12
	s_waitcnt vmcnt(0)
	ds_write_b128 v48, v[1:4]
	s_waitcnt lgkmcnt(0)
	s_waitcnt_vscnt null, 0x0
	s_barrier
	buffer_gl0_inv
	v_cmpx_gt_u32_e32 6, v0
	s_cbranch_execz .LBB62_903
; %bb.896:
	ds_read_b128 v[1:4], v48
	v_cmp_ne_u32_e32 vcc_lo, 1, v53
	s_cbranch_vccnz .LBB62_898
; %bb.897:
	s_clause 0x3
	buffer_load_dword v54, v47, s[0:3], 0 offen offset:8
	buffer_load_dword v55, v47, s[0:3], 0 offen offset:12
	buffer_load_dword v56, v47, s[0:3], 0 offen
	buffer_load_dword v57, v47, s[0:3], 0 offen offset:4
	s_waitcnt vmcnt(2) lgkmcnt(0)
	v_mul_f64 v[58:59], v[3:4], v[54:55]
	v_mul_f64 v[54:55], v[1:2], v[54:55]
	s_waitcnt vmcnt(0)
	v_fma_f64 v[1:2], v[1:2], v[56:57], -v[58:59]
	v_fma_f64 v[3:4], v[3:4], v[56:57], v[54:55]
.LBB62_898:
	s_mov_b32 s72, exec_lo
	v_cmpx_ne_u32_e32 5, v0
	s_cbranch_execz .LBB62_902
; %bb.899:
	v_or_b32_e32 v54, 0x400, v153
	v_add3_u32 v55, 0, v153, 16
	v_mov_b32_e32 v56, v0
	s_mov_b32 s73, 0
	.p2align	6
.LBB62_900:                             ; =>This Inner Loop Header: Depth=1
	s_clause 0x3
	buffer_load_dword v65, v55, s[0:3], 0 offen offset:8
	buffer_load_dword v66, v55, s[0:3], 0 offen offset:12
	buffer_load_dword v67, v55, s[0:3], 0 offen
	buffer_load_dword v68, v55, s[0:3], 0 offen offset:4
	ds_read_b128 v[57:60], v54
	v_add_nc_u32_e32 v56, 1, v56
	v_add_nc_u32_e32 v54, 16, v54
	v_add_nc_u32_e32 v55, 16, v55
	v_cmp_lt_u32_e32 vcc_lo, 4, v56
	s_or_b32 s73, vcc_lo, s73
	s_waitcnt vmcnt(2) lgkmcnt(0)
	v_mul_f64 v[69:70], v[59:60], v[65:66]
	v_mul_f64 v[65:66], v[57:58], v[65:66]
	s_waitcnt vmcnt(0)
	v_fma_f64 v[57:58], v[57:58], v[67:68], -v[69:70]
	v_fma_f64 v[59:60], v[59:60], v[67:68], v[65:66]
	v_add_f64 v[1:2], v[1:2], v[57:58]
	v_add_f64 v[3:4], v[3:4], v[59:60]
	s_andn2_b32 exec_lo, exec_lo, s73
	s_cbranch_execnz .LBB62_900
; %bb.901:
	s_or_b32 exec_lo, exec_lo, s73
.LBB62_902:
	s_or_b32 exec_lo, exec_lo, s72
	v_mov_b32_e32 v54, 0
	ds_read_b128 v[54:57], v54 offset:96
	s_waitcnt lgkmcnt(0)
	v_mul_f64 v[58:59], v[3:4], v[56:57]
	v_mul_f64 v[56:57], v[1:2], v[56:57]
	v_fma_f64 v[1:2], v[1:2], v[54:55], -v[58:59]
	v_fma_f64 v[3:4], v[3:4], v[54:55], v[56:57]
	buffer_store_dword v2, off, s[0:3], 0 offset:100
	buffer_store_dword v1, off, s[0:3], 0 offset:96
	;; [unrolled: 1-line block ×4, first 2 shown]
.LBB62_903:
	s_or_b32 exec_lo, exec_lo, s7
	v_mov_b32_e32 v4, s65
	v_cmp_gt_u32_e64 s7, 7, v0
	s_clause 0x3
	buffer_load_dword v1, v4, s[0:3], 0 offen
	buffer_load_dword v2, v4, s[0:3], 0 offen offset:4
	buffer_load_dword v3, v4, s[0:3], 0 offen offset:8
	;; [unrolled: 1-line block ×3, first 2 shown]
	s_waitcnt vmcnt(0)
	ds_write_b128 v48, v[1:4]
	s_waitcnt lgkmcnt(0)
	s_waitcnt_vscnt null, 0x0
	s_barrier
	buffer_gl0_inv
	s_and_saveexec_b32 s72, s7
	s_cbranch_execz .LBB62_911
; %bb.904:
	ds_read_b128 v[1:4], v48
	v_cmp_ne_u32_e32 vcc_lo, 1, v53
	s_cbranch_vccnz .LBB62_906
; %bb.905:
	s_clause 0x3
	buffer_load_dword v54, v47, s[0:3], 0 offen offset:8
	buffer_load_dword v55, v47, s[0:3], 0 offen offset:12
	buffer_load_dword v56, v47, s[0:3], 0 offen
	buffer_load_dword v57, v47, s[0:3], 0 offen offset:4
	s_waitcnt vmcnt(2) lgkmcnt(0)
	v_mul_f64 v[58:59], v[3:4], v[54:55]
	v_mul_f64 v[54:55], v[1:2], v[54:55]
	s_waitcnt vmcnt(0)
	v_fma_f64 v[1:2], v[1:2], v[56:57], -v[58:59]
	v_fma_f64 v[3:4], v[3:4], v[56:57], v[54:55]
.LBB62_906:
	s_mov_b32 s73, exec_lo
	v_cmpx_ne_u32_e32 6, v0
	s_cbranch_execz .LBB62_910
; %bb.907:
	v_or_b32_e32 v54, 0x400, v153
	v_add3_u32 v55, 0, v153, 16
	v_mov_b32_e32 v56, v0
	s_mov_b32 s74, 0
	.p2align	6
.LBB62_908:                             ; =>This Inner Loop Header: Depth=1
	s_clause 0x3
	buffer_load_dword v65, v55, s[0:3], 0 offen offset:8
	buffer_load_dword v66, v55, s[0:3], 0 offen offset:12
	buffer_load_dword v67, v55, s[0:3], 0 offen
	buffer_load_dword v68, v55, s[0:3], 0 offen offset:4
	ds_read_b128 v[57:60], v54
	v_add_nc_u32_e32 v56, 1, v56
	v_add_nc_u32_e32 v54, 16, v54
	v_add_nc_u32_e32 v55, 16, v55
	v_cmp_lt_u32_e32 vcc_lo, 5, v56
	s_or_b32 s74, vcc_lo, s74
	s_waitcnt vmcnt(2) lgkmcnt(0)
	v_mul_f64 v[69:70], v[59:60], v[65:66]
	v_mul_f64 v[65:66], v[57:58], v[65:66]
	s_waitcnt vmcnt(0)
	v_fma_f64 v[57:58], v[57:58], v[67:68], -v[69:70]
	v_fma_f64 v[59:60], v[59:60], v[67:68], v[65:66]
	v_add_f64 v[1:2], v[1:2], v[57:58]
	v_add_f64 v[3:4], v[3:4], v[59:60]
	s_andn2_b32 exec_lo, exec_lo, s74
	s_cbranch_execnz .LBB62_908
; %bb.909:
	s_or_b32 exec_lo, exec_lo, s74
.LBB62_910:
	s_or_b32 exec_lo, exec_lo, s73
	v_mov_b32_e32 v54, 0
	ds_read_b128 v[54:57], v54 offset:112
	s_waitcnt lgkmcnt(0)
	v_mul_f64 v[58:59], v[3:4], v[56:57]
	v_mul_f64 v[56:57], v[1:2], v[56:57]
	v_fma_f64 v[1:2], v[1:2], v[54:55], -v[58:59]
	v_fma_f64 v[3:4], v[3:4], v[54:55], v[56:57]
	buffer_store_dword v2, off, s[0:3], 0 offset:116
	buffer_store_dword v1, off, s[0:3], 0 offset:112
	;; [unrolled: 1-line block ×4, first 2 shown]
.LBB62_911:
	s_or_b32 exec_lo, exec_lo, s72
	v_mov_b32_e32 v4, s64
	s_mov_b32 s72, exec_lo
	s_clause 0x3
	buffer_load_dword v1, v4, s[0:3], 0 offen
	buffer_load_dword v2, v4, s[0:3], 0 offen offset:4
	buffer_load_dword v3, v4, s[0:3], 0 offen offset:8
	;; [unrolled: 1-line block ×3, first 2 shown]
	s_waitcnt vmcnt(0)
	ds_write_b128 v48, v[1:4]
	s_waitcnt lgkmcnt(0)
	s_waitcnt_vscnt null, 0x0
	s_barrier
	buffer_gl0_inv
	v_cmpx_gt_u32_e32 8, v0
	s_cbranch_execz .LBB62_919
; %bb.912:
	ds_read_b128 v[1:4], v48
	v_cmp_ne_u32_e32 vcc_lo, 1, v53
	s_cbranch_vccnz .LBB62_914
; %bb.913:
	s_clause 0x3
	buffer_load_dword v54, v47, s[0:3], 0 offen offset:8
	buffer_load_dword v55, v47, s[0:3], 0 offen offset:12
	buffer_load_dword v56, v47, s[0:3], 0 offen
	buffer_load_dword v57, v47, s[0:3], 0 offen offset:4
	s_waitcnt vmcnt(2) lgkmcnt(0)
	v_mul_f64 v[58:59], v[3:4], v[54:55]
	v_mul_f64 v[54:55], v[1:2], v[54:55]
	s_waitcnt vmcnt(0)
	v_fma_f64 v[1:2], v[1:2], v[56:57], -v[58:59]
	v_fma_f64 v[3:4], v[3:4], v[56:57], v[54:55]
.LBB62_914:
	s_mov_b32 s73, exec_lo
	v_cmpx_ne_u32_e32 7, v0
	s_cbranch_execz .LBB62_918
; %bb.915:
	v_or_b32_e32 v54, 0x400, v153
	v_add3_u32 v55, 0, v153, 16
	v_mov_b32_e32 v56, v0
	s_mov_b32 s74, 0
	.p2align	6
.LBB62_916:                             ; =>This Inner Loop Header: Depth=1
	s_clause 0x3
	buffer_load_dword v65, v55, s[0:3], 0 offen offset:8
	buffer_load_dword v66, v55, s[0:3], 0 offen offset:12
	buffer_load_dword v67, v55, s[0:3], 0 offen
	buffer_load_dword v68, v55, s[0:3], 0 offen offset:4
	ds_read_b128 v[57:60], v54
	v_add_nc_u32_e32 v56, 1, v56
	v_add_nc_u32_e32 v54, 16, v54
	;; [unrolled: 1-line block ×3, first 2 shown]
	v_cmp_lt_u32_e32 vcc_lo, 6, v56
	s_or_b32 s74, vcc_lo, s74
	s_waitcnt vmcnt(2) lgkmcnt(0)
	v_mul_f64 v[69:70], v[59:60], v[65:66]
	v_mul_f64 v[65:66], v[57:58], v[65:66]
	s_waitcnt vmcnt(0)
	v_fma_f64 v[57:58], v[57:58], v[67:68], -v[69:70]
	v_fma_f64 v[59:60], v[59:60], v[67:68], v[65:66]
	v_add_f64 v[1:2], v[1:2], v[57:58]
	v_add_f64 v[3:4], v[3:4], v[59:60]
	s_andn2_b32 exec_lo, exec_lo, s74
	s_cbranch_execnz .LBB62_916
; %bb.917:
	s_or_b32 exec_lo, exec_lo, s74
.LBB62_918:
	s_or_b32 exec_lo, exec_lo, s73
	v_mov_b32_e32 v54, 0
	ds_read_b128 v[54:57], v54 offset:128
	s_waitcnt lgkmcnt(0)
	v_mul_f64 v[58:59], v[3:4], v[56:57]
	v_mul_f64 v[56:57], v[1:2], v[56:57]
	v_fma_f64 v[1:2], v[1:2], v[54:55], -v[58:59]
	v_fma_f64 v[3:4], v[3:4], v[54:55], v[56:57]
	buffer_store_dword v2, off, s[0:3], 0 offset:132
	buffer_store_dword v1, off, s[0:3], 0 offset:128
	;; [unrolled: 1-line block ×4, first 2 shown]
.LBB62_919:
	s_or_b32 exec_lo, exec_lo, s72
	v_mov_b32_e32 v4, s63
	s_mov_b32 s72, exec_lo
	s_clause 0x3
	buffer_load_dword v1, v4, s[0:3], 0 offen
	buffer_load_dword v2, v4, s[0:3], 0 offen offset:4
	buffer_load_dword v3, v4, s[0:3], 0 offen offset:8
	;; [unrolled: 1-line block ×3, first 2 shown]
	s_waitcnt vmcnt(0)
	ds_write_b128 v48, v[1:4]
	s_waitcnt lgkmcnt(0)
	s_waitcnt_vscnt null, 0x0
	s_barrier
	buffer_gl0_inv
	v_cmpx_gt_u32_e32 9, v0
	s_cbranch_execz .LBB62_939
; %bb.920:
	ds_read_b128 v[1:4], v48
	v_cmp_ne_u32_e32 vcc_lo, 1, v53
	s_cbranch_vccnz .LBB62_922
; %bb.921:
	s_clause 0x3
	buffer_load_dword v54, v47, s[0:3], 0 offen offset:8
	buffer_load_dword v55, v47, s[0:3], 0 offen offset:12
	buffer_load_dword v56, v47, s[0:3], 0 offen
	buffer_load_dword v57, v47, s[0:3], 0 offen offset:4
	s_waitcnt vmcnt(2) lgkmcnt(0)
	v_mul_f64 v[58:59], v[3:4], v[54:55]
	v_mul_f64 v[54:55], v[1:2], v[54:55]
	s_waitcnt vmcnt(0)
	v_fma_f64 v[1:2], v[1:2], v[56:57], -v[58:59]
	v_fma_f64 v[3:4], v[3:4], v[56:57], v[54:55]
.LBB62_922:
	s_mov_b32 s73, exec_lo
	v_cmpx_ne_u32_e32 8, v0
	s_cbranch_execz .LBB62_938
; %bb.923:
	s_clause 0x3
	buffer_load_dword v58, v47, s[0:3], 0 offen offset:24
	buffer_load_dword v59, v47, s[0:3], 0 offen offset:28
	buffer_load_dword v65, v47, s[0:3], 0 offen offset:16
	buffer_load_dword v66, v47, s[0:3], 0 offen offset:20
	ds_read_b128 v[54:57], v48 offset:16
	s_waitcnt vmcnt(2) lgkmcnt(0)
	v_mul_f64 v[67:68], v[56:57], v[58:59]
	v_mul_f64 v[58:59], v[54:55], v[58:59]
	s_waitcnt vmcnt(0)
	v_fma_f64 v[54:55], v[54:55], v[65:66], -v[67:68]
	v_fma_f64 v[56:57], v[56:57], v[65:66], v[58:59]
	v_add_f64 v[1:2], v[1:2], v[54:55]
	v_add_f64 v[3:4], v[3:4], v[56:57]
	s_and_saveexec_b32 s74, s7
	s_cbranch_execz .LBB62_937
; %bb.924:
	s_clause 0x3
	buffer_load_dword v58, v47, s[0:3], 0 offen offset:40
	buffer_load_dword v59, v47, s[0:3], 0 offen offset:44
	buffer_load_dword v65, v47, s[0:3], 0 offen offset:32
	buffer_load_dword v66, v47, s[0:3], 0 offen offset:36
	ds_read_b128 v[54:57], v48 offset:32
	s_mov_b32 s7, exec_lo
	s_waitcnt vmcnt(2) lgkmcnt(0)
	v_mul_f64 v[67:68], v[56:57], v[58:59]
	v_mul_f64 v[58:59], v[54:55], v[58:59]
	s_waitcnt vmcnt(0)
	v_fma_f64 v[54:55], v[54:55], v[65:66], -v[67:68]
	v_fma_f64 v[56:57], v[56:57], v[65:66], v[58:59]
	v_add_f64 v[1:2], v[1:2], v[54:55]
	v_add_f64 v[3:4], v[3:4], v[56:57]
	v_cmpx_ne_u32_e32 6, v0
	s_cbranch_execz .LBB62_936
; %bb.925:
	s_clause 0x3
	buffer_load_dword v58, v47, s[0:3], 0 offen offset:56
	buffer_load_dword v59, v47, s[0:3], 0 offen offset:60
	buffer_load_dword v65, v47, s[0:3], 0 offen offset:48
	buffer_load_dword v66, v47, s[0:3], 0 offen offset:52
	ds_read_b128 v[54:57], v48 offset:48
	s_waitcnt vmcnt(2) lgkmcnt(0)
	v_mul_f64 v[67:68], v[56:57], v[58:59]
	v_mul_f64 v[58:59], v[54:55], v[58:59]
	s_waitcnt vmcnt(0)
	v_fma_f64 v[54:55], v[54:55], v[65:66], -v[67:68]
	v_fma_f64 v[56:57], v[56:57], v[65:66], v[58:59]
	v_add_f64 v[1:2], v[1:2], v[54:55]
	v_add_f64 v[3:4], v[3:4], v[56:57]
	s_and_saveexec_b32 s75, s6
	s_cbranch_execz .LBB62_935
; %bb.926:
	s_clause 0x3
	buffer_load_dword v58, v47, s[0:3], 0 offen offset:72
	buffer_load_dword v59, v47, s[0:3], 0 offen offset:76
	buffer_load_dword v65, v47, s[0:3], 0 offen offset:64
	buffer_load_dword v66, v47, s[0:3], 0 offen offset:68
	ds_read_b128 v[54:57], v48 offset:64
	s_mov_b32 s6, exec_lo
	s_waitcnt vmcnt(2) lgkmcnt(0)
	v_mul_f64 v[67:68], v[56:57], v[58:59]
	v_mul_f64 v[58:59], v[54:55], v[58:59]
	s_waitcnt vmcnt(0)
	v_fma_f64 v[54:55], v[54:55], v[65:66], -v[67:68]
	v_fma_f64 v[56:57], v[56:57], v[65:66], v[58:59]
	v_add_f64 v[1:2], v[1:2], v[54:55]
	v_add_f64 v[3:4], v[3:4], v[56:57]
	v_cmpx_ne_u32_e32 4, v0
	s_cbranch_execz .LBB62_934
; %bb.927:
	s_clause 0x3
	buffer_load_dword v58, v47, s[0:3], 0 offen offset:88
	buffer_load_dword v59, v47, s[0:3], 0 offen offset:92
	buffer_load_dword v65, v47, s[0:3], 0 offen offset:80
	buffer_load_dword v66, v47, s[0:3], 0 offen offset:84
	ds_read_b128 v[54:57], v48 offset:80
	s_waitcnt vmcnt(2) lgkmcnt(0)
	v_mul_f64 v[67:68], v[56:57], v[58:59]
	v_mul_f64 v[58:59], v[54:55], v[58:59]
	s_waitcnt vmcnt(0)
	v_fma_f64 v[54:55], v[54:55], v[65:66], -v[67:68]
	v_fma_f64 v[56:57], v[56:57], v[65:66], v[58:59]
	v_add_f64 v[1:2], v[1:2], v[54:55]
	v_add_f64 v[3:4], v[3:4], v[56:57]
	s_and_saveexec_b32 s76, s5
	s_cbranch_execz .LBB62_933
; %bb.928:
	s_clause 0x3
	buffer_load_dword v58, v47, s[0:3], 0 offen offset:104
	buffer_load_dword v59, v47, s[0:3], 0 offen offset:108
	buffer_load_dword v65, v47, s[0:3], 0 offen offset:96
	buffer_load_dword v66, v47, s[0:3], 0 offen offset:100
	ds_read_b128 v[54:57], v48 offset:96
	s_mov_b32 s5, exec_lo
	s_waitcnt vmcnt(2) lgkmcnt(0)
	v_mul_f64 v[67:68], v[56:57], v[58:59]
	v_mul_f64 v[58:59], v[54:55], v[58:59]
	s_waitcnt vmcnt(0)
	v_fma_f64 v[54:55], v[54:55], v[65:66], -v[67:68]
	v_fma_f64 v[56:57], v[56:57], v[65:66], v[58:59]
	v_add_f64 v[1:2], v[1:2], v[54:55]
	v_add_f64 v[3:4], v[3:4], v[56:57]
	v_cmpx_ne_u32_e32 2, v0
	s_cbranch_execz .LBB62_932
; %bb.929:
	s_clause 0x3
	buffer_load_dword v58, v47, s[0:3], 0 offen offset:120
	buffer_load_dword v59, v47, s[0:3], 0 offen offset:124
	;; [unrolled: 1-line block ×4, first 2 shown]
	ds_read_b128 v[54:57], v48 offset:112
	s_waitcnt vmcnt(2) lgkmcnt(0)
	v_mul_f64 v[67:68], v[56:57], v[58:59]
	v_mul_f64 v[58:59], v[54:55], v[58:59]
	s_waitcnt vmcnt(0)
	v_fma_f64 v[54:55], v[54:55], v[65:66], -v[67:68]
	v_fma_f64 v[56:57], v[56:57], v[65:66], v[58:59]
	v_add_f64 v[1:2], v[1:2], v[54:55]
	v_add_f64 v[3:4], v[3:4], v[56:57]
	s_and_saveexec_b32 s77, s4
	s_cbranch_execz .LBB62_931
; %bb.930:
	s_clause 0x3
	buffer_load_dword v58, v47, s[0:3], 0 offen offset:136
	buffer_load_dword v59, v47, s[0:3], 0 offen offset:140
	;; [unrolled: 1-line block ×4, first 2 shown]
	ds_read_b128 v[54:57], v48 offset:128
	s_waitcnt vmcnt(2) lgkmcnt(0)
	v_mul_f64 v[67:68], v[56:57], v[58:59]
	v_mul_f64 v[58:59], v[54:55], v[58:59]
	s_waitcnt vmcnt(0)
	v_fma_f64 v[54:55], v[54:55], v[65:66], -v[67:68]
	v_fma_f64 v[56:57], v[56:57], v[65:66], v[58:59]
	v_add_f64 v[1:2], v[1:2], v[54:55]
	v_add_f64 v[3:4], v[3:4], v[56:57]
.LBB62_931:
	s_or_b32 exec_lo, exec_lo, s77
.LBB62_932:
	s_or_b32 exec_lo, exec_lo, s5
.LBB62_933:
	s_or_b32 exec_lo, exec_lo, s76
.LBB62_934:
	s_or_b32 exec_lo, exec_lo, s6
.LBB62_935:
	s_or_b32 exec_lo, exec_lo, s75
.LBB62_936:
	s_or_b32 exec_lo, exec_lo, s7
.LBB62_937:
	s_or_b32 exec_lo, exec_lo, s74
.LBB62_938:
	s_or_b32 exec_lo, exec_lo, s73
	v_mov_b32_e32 v54, 0
	ds_read_b128 v[54:57], v54 offset:144
	s_waitcnt lgkmcnt(0)
	v_mul_f64 v[58:59], v[3:4], v[56:57]
	v_mul_f64 v[56:57], v[1:2], v[56:57]
	v_fma_f64 v[1:2], v[1:2], v[54:55], -v[58:59]
	v_fma_f64 v[3:4], v[3:4], v[54:55], v[56:57]
	buffer_store_dword v2, off, s[0:3], 0 offset:148
	buffer_store_dword v1, off, s[0:3], 0 offset:144
	;; [unrolled: 1-line block ×4, first 2 shown]
.LBB62_939:
	s_or_b32 exec_lo, exec_lo, s72
	v_mov_b32_e32 v4, s62
	s_mov_b32 s4, exec_lo
	s_clause 0x3
	buffer_load_dword v1, v4, s[0:3], 0 offen
	buffer_load_dword v2, v4, s[0:3], 0 offen offset:4
	buffer_load_dword v3, v4, s[0:3], 0 offen offset:8
	;; [unrolled: 1-line block ×3, first 2 shown]
	s_waitcnt vmcnt(0)
	ds_write_b128 v48, v[1:4]
	s_waitcnt lgkmcnt(0)
	s_waitcnt_vscnt null, 0x0
	s_barrier
	buffer_gl0_inv
	v_cmpx_gt_u32_e32 10, v0
	s_cbranch_execz .LBB62_947
; %bb.940:
	ds_read_b128 v[1:4], v48
	v_cmp_ne_u32_e32 vcc_lo, 1, v53
	s_cbranch_vccnz .LBB62_942
; %bb.941:
	s_clause 0x3
	buffer_load_dword v54, v47, s[0:3], 0 offen offset:8
	buffer_load_dword v55, v47, s[0:3], 0 offen offset:12
	buffer_load_dword v56, v47, s[0:3], 0 offen
	buffer_load_dword v57, v47, s[0:3], 0 offen offset:4
	s_waitcnt vmcnt(2) lgkmcnt(0)
	v_mul_f64 v[58:59], v[3:4], v[54:55]
	v_mul_f64 v[54:55], v[1:2], v[54:55]
	s_waitcnt vmcnt(0)
	v_fma_f64 v[1:2], v[1:2], v[56:57], -v[58:59]
	v_fma_f64 v[3:4], v[3:4], v[56:57], v[54:55]
.LBB62_942:
	s_mov_b32 s5, exec_lo
	v_cmpx_ne_u32_e32 9, v0
	s_cbranch_execz .LBB62_946
; %bb.943:
	v_or_b32_e32 v54, 0x400, v153
	v_add3_u32 v55, 0, v153, 16
	v_mov_b32_e32 v56, v0
	s_mov_b32 s6, 0
	.p2align	6
.LBB62_944:                             ; =>This Inner Loop Header: Depth=1
	s_clause 0x3
	buffer_load_dword v65, v55, s[0:3], 0 offen offset:8
	buffer_load_dword v66, v55, s[0:3], 0 offen offset:12
	buffer_load_dword v67, v55, s[0:3], 0 offen
	buffer_load_dword v68, v55, s[0:3], 0 offen offset:4
	ds_read_b128 v[57:60], v54
	v_add_nc_u32_e32 v56, 1, v56
	v_add_nc_u32_e32 v54, 16, v54
	;; [unrolled: 1-line block ×3, first 2 shown]
	v_cmp_lt_u32_e32 vcc_lo, 8, v56
	s_or_b32 s6, vcc_lo, s6
	s_waitcnt vmcnt(2) lgkmcnt(0)
	v_mul_f64 v[69:70], v[59:60], v[65:66]
	v_mul_f64 v[65:66], v[57:58], v[65:66]
	s_waitcnt vmcnt(0)
	v_fma_f64 v[57:58], v[57:58], v[67:68], -v[69:70]
	v_fma_f64 v[59:60], v[59:60], v[67:68], v[65:66]
	v_add_f64 v[1:2], v[1:2], v[57:58]
	v_add_f64 v[3:4], v[3:4], v[59:60]
	s_andn2_b32 exec_lo, exec_lo, s6
	s_cbranch_execnz .LBB62_944
; %bb.945:
	s_or_b32 exec_lo, exec_lo, s6
.LBB62_946:
	s_or_b32 exec_lo, exec_lo, s5
	v_mov_b32_e32 v54, 0
	ds_read_b128 v[54:57], v54 offset:160
	s_waitcnt lgkmcnt(0)
	v_mul_f64 v[58:59], v[3:4], v[56:57]
	v_mul_f64 v[56:57], v[1:2], v[56:57]
	v_fma_f64 v[1:2], v[1:2], v[54:55], -v[58:59]
	v_fma_f64 v[3:4], v[3:4], v[54:55], v[56:57]
	buffer_store_dword v2, off, s[0:3], 0 offset:164
	buffer_store_dword v1, off, s[0:3], 0 offset:160
	;; [unrolled: 1-line block ×4, first 2 shown]
.LBB62_947:
	s_or_b32 exec_lo, exec_lo, s4
	v_mov_b32_e32 v4, s61
	s_mov_b32 s4, exec_lo
	s_clause 0x3
	buffer_load_dword v1, v4, s[0:3], 0 offen
	buffer_load_dword v2, v4, s[0:3], 0 offen offset:4
	buffer_load_dword v3, v4, s[0:3], 0 offen offset:8
	;; [unrolled: 1-line block ×3, first 2 shown]
	s_waitcnt vmcnt(0)
	ds_write_b128 v48, v[1:4]
	s_waitcnt lgkmcnt(0)
	s_waitcnt_vscnt null, 0x0
	s_barrier
	buffer_gl0_inv
	v_cmpx_gt_u32_e32 11, v0
	s_cbranch_execz .LBB62_955
; %bb.948:
	ds_read_b128 v[1:4], v48
	v_cmp_ne_u32_e32 vcc_lo, 1, v53
	s_cbranch_vccnz .LBB62_950
; %bb.949:
	s_clause 0x3
	buffer_load_dword v54, v47, s[0:3], 0 offen offset:8
	buffer_load_dword v55, v47, s[0:3], 0 offen offset:12
	buffer_load_dword v56, v47, s[0:3], 0 offen
	buffer_load_dword v57, v47, s[0:3], 0 offen offset:4
	s_waitcnt vmcnt(2) lgkmcnt(0)
	v_mul_f64 v[58:59], v[3:4], v[54:55]
	v_mul_f64 v[54:55], v[1:2], v[54:55]
	s_waitcnt vmcnt(0)
	v_fma_f64 v[1:2], v[1:2], v[56:57], -v[58:59]
	v_fma_f64 v[3:4], v[3:4], v[56:57], v[54:55]
.LBB62_950:
	s_mov_b32 s5, exec_lo
	v_cmpx_ne_u32_e32 10, v0
	s_cbranch_execz .LBB62_954
; %bb.951:
	v_or_b32_e32 v54, 0x400, v153
	v_add3_u32 v55, 0, v153, 16
	v_mov_b32_e32 v56, v0
	s_mov_b32 s6, 0
	.p2align	6
.LBB62_952:                             ; =>This Inner Loop Header: Depth=1
	s_clause 0x3
	buffer_load_dword v65, v55, s[0:3], 0 offen offset:8
	buffer_load_dword v66, v55, s[0:3], 0 offen offset:12
	buffer_load_dword v67, v55, s[0:3], 0 offen
	buffer_load_dword v68, v55, s[0:3], 0 offen offset:4
	ds_read_b128 v[57:60], v54
	v_add_nc_u32_e32 v56, 1, v56
	v_add_nc_u32_e32 v54, 16, v54
	;; [unrolled: 1-line block ×3, first 2 shown]
	v_cmp_lt_u32_e32 vcc_lo, 9, v56
	s_or_b32 s6, vcc_lo, s6
	s_waitcnt vmcnt(2) lgkmcnt(0)
	v_mul_f64 v[69:70], v[59:60], v[65:66]
	v_mul_f64 v[65:66], v[57:58], v[65:66]
	s_waitcnt vmcnt(0)
	v_fma_f64 v[57:58], v[57:58], v[67:68], -v[69:70]
	v_fma_f64 v[59:60], v[59:60], v[67:68], v[65:66]
	v_add_f64 v[1:2], v[1:2], v[57:58]
	v_add_f64 v[3:4], v[3:4], v[59:60]
	s_andn2_b32 exec_lo, exec_lo, s6
	s_cbranch_execnz .LBB62_952
; %bb.953:
	s_or_b32 exec_lo, exec_lo, s6
.LBB62_954:
	s_or_b32 exec_lo, exec_lo, s5
	v_mov_b32_e32 v54, 0
	ds_read_b128 v[54:57], v54 offset:176
	s_waitcnt lgkmcnt(0)
	v_mul_f64 v[58:59], v[3:4], v[56:57]
	v_mul_f64 v[56:57], v[1:2], v[56:57]
	v_fma_f64 v[1:2], v[1:2], v[54:55], -v[58:59]
	v_fma_f64 v[3:4], v[3:4], v[54:55], v[56:57]
	buffer_store_dword v2, off, s[0:3], 0 offset:180
	buffer_store_dword v1, off, s[0:3], 0 offset:176
	;; [unrolled: 1-line block ×4, first 2 shown]
.LBB62_955:
	s_or_b32 exec_lo, exec_lo, s4
	v_mov_b32_e32 v4, s60
	s_mov_b32 s4, exec_lo
	s_clause 0x3
	buffer_load_dword v1, v4, s[0:3], 0 offen
	buffer_load_dword v2, v4, s[0:3], 0 offen offset:4
	buffer_load_dword v3, v4, s[0:3], 0 offen offset:8
	;; [unrolled: 1-line block ×3, first 2 shown]
	s_waitcnt vmcnt(0)
	ds_write_b128 v48, v[1:4]
	s_waitcnt lgkmcnt(0)
	s_waitcnt_vscnt null, 0x0
	s_barrier
	buffer_gl0_inv
	v_cmpx_gt_u32_e32 12, v0
	s_cbranch_execz .LBB62_963
; %bb.956:
	ds_read_b128 v[1:4], v48
	v_cmp_ne_u32_e32 vcc_lo, 1, v53
	s_cbranch_vccnz .LBB62_958
; %bb.957:
	s_clause 0x3
	buffer_load_dword v54, v47, s[0:3], 0 offen offset:8
	buffer_load_dword v55, v47, s[0:3], 0 offen offset:12
	buffer_load_dword v56, v47, s[0:3], 0 offen
	buffer_load_dword v57, v47, s[0:3], 0 offen offset:4
	s_waitcnt vmcnt(2) lgkmcnt(0)
	v_mul_f64 v[58:59], v[3:4], v[54:55]
	v_mul_f64 v[54:55], v[1:2], v[54:55]
	s_waitcnt vmcnt(0)
	v_fma_f64 v[1:2], v[1:2], v[56:57], -v[58:59]
	v_fma_f64 v[3:4], v[3:4], v[56:57], v[54:55]
.LBB62_958:
	s_mov_b32 s5, exec_lo
	v_cmpx_ne_u32_e32 11, v0
	s_cbranch_execz .LBB62_962
; %bb.959:
	v_or_b32_e32 v54, 0x400, v153
	v_add3_u32 v55, 0, v153, 16
	v_mov_b32_e32 v56, v0
	s_mov_b32 s6, 0
	.p2align	6
.LBB62_960:                             ; =>This Inner Loop Header: Depth=1
	s_clause 0x3
	buffer_load_dword v65, v55, s[0:3], 0 offen offset:8
	buffer_load_dword v66, v55, s[0:3], 0 offen offset:12
	buffer_load_dword v67, v55, s[0:3], 0 offen
	buffer_load_dword v68, v55, s[0:3], 0 offen offset:4
	ds_read_b128 v[57:60], v54
	v_add_nc_u32_e32 v56, 1, v56
	v_add_nc_u32_e32 v54, 16, v54
	;; [unrolled: 1-line block ×3, first 2 shown]
	v_cmp_lt_u32_e32 vcc_lo, 10, v56
	s_or_b32 s6, vcc_lo, s6
	s_waitcnt vmcnt(2) lgkmcnt(0)
	v_mul_f64 v[69:70], v[59:60], v[65:66]
	v_mul_f64 v[65:66], v[57:58], v[65:66]
	s_waitcnt vmcnt(0)
	v_fma_f64 v[57:58], v[57:58], v[67:68], -v[69:70]
	v_fma_f64 v[59:60], v[59:60], v[67:68], v[65:66]
	v_add_f64 v[1:2], v[1:2], v[57:58]
	v_add_f64 v[3:4], v[3:4], v[59:60]
	s_andn2_b32 exec_lo, exec_lo, s6
	s_cbranch_execnz .LBB62_960
; %bb.961:
	s_or_b32 exec_lo, exec_lo, s6
.LBB62_962:
	s_or_b32 exec_lo, exec_lo, s5
	v_mov_b32_e32 v54, 0
	ds_read_b128 v[54:57], v54 offset:192
	s_waitcnt lgkmcnt(0)
	v_mul_f64 v[58:59], v[3:4], v[56:57]
	v_mul_f64 v[56:57], v[1:2], v[56:57]
	v_fma_f64 v[1:2], v[1:2], v[54:55], -v[58:59]
	v_fma_f64 v[3:4], v[3:4], v[54:55], v[56:57]
	buffer_store_dword v2, off, s[0:3], 0 offset:196
	buffer_store_dword v1, off, s[0:3], 0 offset:192
	;; [unrolled: 1-line block ×4, first 2 shown]
.LBB62_963:
	s_or_b32 exec_lo, exec_lo, s4
	v_mov_b32_e32 v4, s59
	s_mov_b32 s4, exec_lo
	s_clause 0x3
	buffer_load_dword v1, v4, s[0:3], 0 offen
	buffer_load_dword v2, v4, s[0:3], 0 offen offset:4
	buffer_load_dword v3, v4, s[0:3], 0 offen offset:8
	;; [unrolled: 1-line block ×3, first 2 shown]
	s_waitcnt vmcnt(0)
	ds_write_b128 v48, v[1:4]
	s_waitcnt lgkmcnt(0)
	s_waitcnt_vscnt null, 0x0
	s_barrier
	buffer_gl0_inv
	v_cmpx_gt_u32_e32 13, v0
	s_cbranch_execz .LBB62_971
; %bb.964:
	ds_read_b128 v[1:4], v48
	v_cmp_ne_u32_e32 vcc_lo, 1, v53
	s_cbranch_vccnz .LBB62_966
; %bb.965:
	s_clause 0x3
	buffer_load_dword v54, v47, s[0:3], 0 offen offset:8
	buffer_load_dword v55, v47, s[0:3], 0 offen offset:12
	buffer_load_dword v56, v47, s[0:3], 0 offen
	buffer_load_dword v57, v47, s[0:3], 0 offen offset:4
	s_waitcnt vmcnt(2) lgkmcnt(0)
	v_mul_f64 v[58:59], v[3:4], v[54:55]
	v_mul_f64 v[54:55], v[1:2], v[54:55]
	s_waitcnt vmcnt(0)
	v_fma_f64 v[1:2], v[1:2], v[56:57], -v[58:59]
	v_fma_f64 v[3:4], v[3:4], v[56:57], v[54:55]
.LBB62_966:
	s_mov_b32 s5, exec_lo
	v_cmpx_ne_u32_e32 12, v0
	s_cbranch_execz .LBB62_970
; %bb.967:
	v_or_b32_e32 v54, 0x400, v153
	v_add3_u32 v55, 0, v153, 16
	v_mov_b32_e32 v56, v0
	s_mov_b32 s6, 0
	.p2align	6
.LBB62_968:                             ; =>This Inner Loop Header: Depth=1
	s_clause 0x3
	buffer_load_dword v65, v55, s[0:3], 0 offen offset:8
	buffer_load_dword v66, v55, s[0:3], 0 offen offset:12
	buffer_load_dword v67, v55, s[0:3], 0 offen
	buffer_load_dword v68, v55, s[0:3], 0 offen offset:4
	ds_read_b128 v[57:60], v54
	v_add_nc_u32_e32 v56, 1, v56
	v_add_nc_u32_e32 v54, 16, v54
	;; [unrolled: 1-line block ×3, first 2 shown]
	v_cmp_lt_u32_e32 vcc_lo, 11, v56
	s_or_b32 s6, vcc_lo, s6
	s_waitcnt vmcnt(2) lgkmcnt(0)
	v_mul_f64 v[69:70], v[59:60], v[65:66]
	v_mul_f64 v[65:66], v[57:58], v[65:66]
	s_waitcnt vmcnt(0)
	v_fma_f64 v[57:58], v[57:58], v[67:68], -v[69:70]
	v_fma_f64 v[59:60], v[59:60], v[67:68], v[65:66]
	v_add_f64 v[1:2], v[1:2], v[57:58]
	v_add_f64 v[3:4], v[3:4], v[59:60]
	s_andn2_b32 exec_lo, exec_lo, s6
	s_cbranch_execnz .LBB62_968
; %bb.969:
	s_or_b32 exec_lo, exec_lo, s6
.LBB62_970:
	s_or_b32 exec_lo, exec_lo, s5
	v_mov_b32_e32 v54, 0
	ds_read_b128 v[54:57], v54 offset:208
	s_waitcnt lgkmcnt(0)
	v_mul_f64 v[58:59], v[3:4], v[56:57]
	v_mul_f64 v[56:57], v[1:2], v[56:57]
	v_fma_f64 v[1:2], v[1:2], v[54:55], -v[58:59]
	v_fma_f64 v[3:4], v[3:4], v[54:55], v[56:57]
	buffer_store_dword v2, off, s[0:3], 0 offset:212
	buffer_store_dword v1, off, s[0:3], 0 offset:208
	;; [unrolled: 1-line block ×4, first 2 shown]
.LBB62_971:
	s_or_b32 exec_lo, exec_lo, s4
	v_mov_b32_e32 v4, s58
	s_mov_b32 s4, exec_lo
	s_clause 0x3
	buffer_load_dword v1, v4, s[0:3], 0 offen
	buffer_load_dword v2, v4, s[0:3], 0 offen offset:4
	buffer_load_dword v3, v4, s[0:3], 0 offen offset:8
	buffer_load_dword v4, v4, s[0:3], 0 offen offset:12
	s_waitcnt vmcnt(0)
	ds_write_b128 v48, v[1:4]
	s_waitcnt lgkmcnt(0)
	s_waitcnt_vscnt null, 0x0
	s_barrier
	buffer_gl0_inv
	v_cmpx_gt_u32_e32 14, v0
	s_cbranch_execz .LBB62_979
; %bb.972:
	ds_read_b128 v[1:4], v48
	v_cmp_ne_u32_e32 vcc_lo, 1, v53
	s_cbranch_vccnz .LBB62_974
; %bb.973:
	s_clause 0x3
	buffer_load_dword v54, v47, s[0:3], 0 offen offset:8
	buffer_load_dword v55, v47, s[0:3], 0 offen offset:12
	buffer_load_dword v56, v47, s[0:3], 0 offen
	buffer_load_dword v57, v47, s[0:3], 0 offen offset:4
	s_waitcnt vmcnt(2) lgkmcnt(0)
	v_mul_f64 v[58:59], v[3:4], v[54:55]
	v_mul_f64 v[54:55], v[1:2], v[54:55]
	s_waitcnt vmcnt(0)
	v_fma_f64 v[1:2], v[1:2], v[56:57], -v[58:59]
	v_fma_f64 v[3:4], v[3:4], v[56:57], v[54:55]
.LBB62_974:
	s_mov_b32 s5, exec_lo
	v_cmpx_ne_u32_e32 13, v0
	s_cbranch_execz .LBB62_978
; %bb.975:
	v_or_b32_e32 v54, 0x400, v153
	v_add3_u32 v55, 0, v153, 16
	v_mov_b32_e32 v56, v0
	s_mov_b32 s6, 0
	.p2align	6
.LBB62_976:                             ; =>This Inner Loop Header: Depth=1
	s_clause 0x3
	buffer_load_dword v65, v55, s[0:3], 0 offen offset:8
	buffer_load_dword v66, v55, s[0:3], 0 offen offset:12
	buffer_load_dword v67, v55, s[0:3], 0 offen
	buffer_load_dword v68, v55, s[0:3], 0 offen offset:4
	ds_read_b128 v[57:60], v54
	v_add_nc_u32_e32 v56, 1, v56
	v_add_nc_u32_e32 v54, 16, v54
	;; [unrolled: 1-line block ×3, first 2 shown]
	v_cmp_lt_u32_e32 vcc_lo, 12, v56
	s_or_b32 s6, vcc_lo, s6
	s_waitcnt vmcnt(2) lgkmcnt(0)
	v_mul_f64 v[69:70], v[59:60], v[65:66]
	v_mul_f64 v[65:66], v[57:58], v[65:66]
	s_waitcnt vmcnt(0)
	v_fma_f64 v[57:58], v[57:58], v[67:68], -v[69:70]
	v_fma_f64 v[59:60], v[59:60], v[67:68], v[65:66]
	v_add_f64 v[1:2], v[1:2], v[57:58]
	v_add_f64 v[3:4], v[3:4], v[59:60]
	s_andn2_b32 exec_lo, exec_lo, s6
	s_cbranch_execnz .LBB62_976
; %bb.977:
	s_or_b32 exec_lo, exec_lo, s6
.LBB62_978:
	s_or_b32 exec_lo, exec_lo, s5
	v_mov_b32_e32 v54, 0
	ds_read_b128 v[54:57], v54 offset:224
	s_waitcnt lgkmcnt(0)
	v_mul_f64 v[58:59], v[3:4], v[56:57]
	v_mul_f64 v[56:57], v[1:2], v[56:57]
	v_fma_f64 v[1:2], v[1:2], v[54:55], -v[58:59]
	v_fma_f64 v[3:4], v[3:4], v[54:55], v[56:57]
	buffer_store_dword v2, off, s[0:3], 0 offset:228
	buffer_store_dword v1, off, s[0:3], 0 offset:224
	;; [unrolled: 1-line block ×4, first 2 shown]
.LBB62_979:
	s_or_b32 exec_lo, exec_lo, s4
	v_mov_b32_e32 v4, s57
	s_mov_b32 s4, exec_lo
	s_clause 0x3
	buffer_load_dword v1, v4, s[0:3], 0 offen
	buffer_load_dword v2, v4, s[0:3], 0 offen offset:4
	buffer_load_dword v3, v4, s[0:3], 0 offen offset:8
	;; [unrolled: 1-line block ×3, first 2 shown]
	s_waitcnt vmcnt(0)
	ds_write_b128 v48, v[1:4]
	s_waitcnt lgkmcnt(0)
	s_waitcnt_vscnt null, 0x0
	s_barrier
	buffer_gl0_inv
	v_cmpx_gt_u32_e32 15, v0
	s_cbranch_execz .LBB62_987
; %bb.980:
	ds_read_b128 v[1:4], v48
	v_cmp_ne_u32_e32 vcc_lo, 1, v53
	s_cbranch_vccnz .LBB62_982
; %bb.981:
	s_clause 0x3
	buffer_load_dword v54, v47, s[0:3], 0 offen offset:8
	buffer_load_dword v55, v47, s[0:3], 0 offen offset:12
	buffer_load_dword v56, v47, s[0:3], 0 offen
	buffer_load_dword v57, v47, s[0:3], 0 offen offset:4
	s_waitcnt vmcnt(2) lgkmcnt(0)
	v_mul_f64 v[58:59], v[3:4], v[54:55]
	v_mul_f64 v[54:55], v[1:2], v[54:55]
	s_waitcnt vmcnt(0)
	v_fma_f64 v[1:2], v[1:2], v[56:57], -v[58:59]
	v_fma_f64 v[3:4], v[3:4], v[56:57], v[54:55]
.LBB62_982:
	s_mov_b32 s5, exec_lo
	v_cmpx_ne_u32_e32 14, v0
	s_cbranch_execz .LBB62_986
; %bb.983:
	v_or_b32_e32 v54, 0x400, v153
	v_add3_u32 v55, 0, v153, 16
	v_mov_b32_e32 v56, v0
	s_mov_b32 s6, 0
	.p2align	6
.LBB62_984:                             ; =>This Inner Loop Header: Depth=1
	s_clause 0x3
	buffer_load_dword v65, v55, s[0:3], 0 offen offset:8
	buffer_load_dword v66, v55, s[0:3], 0 offen offset:12
	buffer_load_dword v67, v55, s[0:3], 0 offen
	buffer_load_dword v68, v55, s[0:3], 0 offen offset:4
	ds_read_b128 v[57:60], v54
	v_add_nc_u32_e32 v56, 1, v56
	v_add_nc_u32_e32 v54, 16, v54
	;; [unrolled: 1-line block ×3, first 2 shown]
	v_cmp_lt_u32_e32 vcc_lo, 13, v56
	s_or_b32 s6, vcc_lo, s6
	s_waitcnt vmcnt(2) lgkmcnt(0)
	v_mul_f64 v[69:70], v[59:60], v[65:66]
	v_mul_f64 v[65:66], v[57:58], v[65:66]
	s_waitcnt vmcnt(0)
	v_fma_f64 v[57:58], v[57:58], v[67:68], -v[69:70]
	v_fma_f64 v[59:60], v[59:60], v[67:68], v[65:66]
	v_add_f64 v[1:2], v[1:2], v[57:58]
	v_add_f64 v[3:4], v[3:4], v[59:60]
	s_andn2_b32 exec_lo, exec_lo, s6
	s_cbranch_execnz .LBB62_984
; %bb.985:
	s_or_b32 exec_lo, exec_lo, s6
.LBB62_986:
	s_or_b32 exec_lo, exec_lo, s5
	v_mov_b32_e32 v54, 0
	ds_read_b128 v[54:57], v54 offset:240
	s_waitcnt lgkmcnt(0)
	v_mul_f64 v[58:59], v[3:4], v[56:57]
	v_mul_f64 v[56:57], v[1:2], v[56:57]
	v_fma_f64 v[1:2], v[1:2], v[54:55], -v[58:59]
	v_fma_f64 v[3:4], v[3:4], v[54:55], v[56:57]
	buffer_store_dword v2, off, s[0:3], 0 offset:244
	buffer_store_dword v1, off, s[0:3], 0 offset:240
	;; [unrolled: 1-line block ×4, first 2 shown]
.LBB62_987:
	s_or_b32 exec_lo, exec_lo, s4
	v_mov_b32_e32 v4, s56
	s_mov_b32 s4, exec_lo
	s_clause 0x3
	buffer_load_dword v1, v4, s[0:3], 0 offen
	buffer_load_dword v2, v4, s[0:3], 0 offen offset:4
	buffer_load_dword v3, v4, s[0:3], 0 offen offset:8
	;; [unrolled: 1-line block ×3, first 2 shown]
	s_waitcnt vmcnt(0)
	ds_write_b128 v48, v[1:4]
	s_waitcnt lgkmcnt(0)
	s_waitcnt_vscnt null, 0x0
	s_barrier
	buffer_gl0_inv
	v_cmpx_gt_u32_e32 16, v0
	s_cbranch_execz .LBB62_995
; %bb.988:
	ds_read_b128 v[1:4], v48
	v_cmp_ne_u32_e32 vcc_lo, 1, v53
	s_cbranch_vccnz .LBB62_990
; %bb.989:
	s_clause 0x3
	buffer_load_dword v54, v47, s[0:3], 0 offen offset:8
	buffer_load_dword v55, v47, s[0:3], 0 offen offset:12
	buffer_load_dword v56, v47, s[0:3], 0 offen
	buffer_load_dword v57, v47, s[0:3], 0 offen offset:4
	s_waitcnt vmcnt(2) lgkmcnt(0)
	v_mul_f64 v[58:59], v[3:4], v[54:55]
	v_mul_f64 v[54:55], v[1:2], v[54:55]
	s_waitcnt vmcnt(0)
	v_fma_f64 v[1:2], v[1:2], v[56:57], -v[58:59]
	v_fma_f64 v[3:4], v[3:4], v[56:57], v[54:55]
.LBB62_990:
	s_mov_b32 s5, exec_lo
	v_cmpx_ne_u32_e32 15, v0
	s_cbranch_execz .LBB62_994
; %bb.991:
	v_or_b32_e32 v54, 0x400, v153
	v_add3_u32 v55, 0, v153, 16
	v_mov_b32_e32 v56, v0
	s_mov_b32 s6, 0
	.p2align	6
.LBB62_992:                             ; =>This Inner Loop Header: Depth=1
	s_clause 0x3
	buffer_load_dword v65, v55, s[0:3], 0 offen offset:8
	buffer_load_dword v66, v55, s[0:3], 0 offen offset:12
	buffer_load_dword v67, v55, s[0:3], 0 offen
	buffer_load_dword v68, v55, s[0:3], 0 offen offset:4
	ds_read_b128 v[57:60], v54
	v_add_nc_u32_e32 v56, 1, v56
	v_add_nc_u32_e32 v54, 16, v54
	;; [unrolled: 1-line block ×3, first 2 shown]
	v_cmp_lt_u32_e32 vcc_lo, 14, v56
	s_or_b32 s6, vcc_lo, s6
	s_waitcnt vmcnt(2) lgkmcnt(0)
	v_mul_f64 v[69:70], v[59:60], v[65:66]
	v_mul_f64 v[65:66], v[57:58], v[65:66]
	s_waitcnt vmcnt(0)
	v_fma_f64 v[57:58], v[57:58], v[67:68], -v[69:70]
	v_fma_f64 v[59:60], v[59:60], v[67:68], v[65:66]
	v_add_f64 v[1:2], v[1:2], v[57:58]
	v_add_f64 v[3:4], v[3:4], v[59:60]
	s_andn2_b32 exec_lo, exec_lo, s6
	s_cbranch_execnz .LBB62_992
; %bb.993:
	s_or_b32 exec_lo, exec_lo, s6
.LBB62_994:
	s_or_b32 exec_lo, exec_lo, s5
	v_mov_b32_e32 v54, 0
	ds_read_b128 v[54:57], v54 offset:256
	s_waitcnt lgkmcnt(0)
	v_mul_f64 v[58:59], v[3:4], v[56:57]
	v_mul_f64 v[56:57], v[1:2], v[56:57]
	v_fma_f64 v[1:2], v[1:2], v[54:55], -v[58:59]
	v_fma_f64 v[3:4], v[3:4], v[54:55], v[56:57]
	buffer_store_dword v2, off, s[0:3], 0 offset:260
	buffer_store_dword v1, off, s[0:3], 0 offset:256
	;; [unrolled: 1-line block ×4, first 2 shown]
.LBB62_995:
	s_or_b32 exec_lo, exec_lo, s4
	v_mov_b32_e32 v4, s55
	s_mov_b32 s4, exec_lo
	s_clause 0x3
	buffer_load_dword v1, v4, s[0:3], 0 offen
	buffer_load_dword v2, v4, s[0:3], 0 offen offset:4
	buffer_load_dword v3, v4, s[0:3], 0 offen offset:8
	;; [unrolled: 1-line block ×3, first 2 shown]
	s_waitcnt vmcnt(0)
	ds_write_b128 v48, v[1:4]
	s_waitcnt lgkmcnt(0)
	s_waitcnt_vscnt null, 0x0
	s_barrier
	buffer_gl0_inv
	v_cmpx_gt_u32_e32 17, v0
	s_cbranch_execz .LBB62_1003
; %bb.996:
	ds_read_b128 v[1:4], v48
	v_cmp_ne_u32_e32 vcc_lo, 1, v53
	s_cbranch_vccnz .LBB62_998
; %bb.997:
	s_clause 0x3
	buffer_load_dword v54, v47, s[0:3], 0 offen offset:8
	buffer_load_dword v55, v47, s[0:3], 0 offen offset:12
	buffer_load_dword v56, v47, s[0:3], 0 offen
	buffer_load_dword v57, v47, s[0:3], 0 offen offset:4
	s_waitcnt vmcnt(2) lgkmcnt(0)
	v_mul_f64 v[58:59], v[3:4], v[54:55]
	v_mul_f64 v[54:55], v[1:2], v[54:55]
	s_waitcnt vmcnt(0)
	v_fma_f64 v[1:2], v[1:2], v[56:57], -v[58:59]
	v_fma_f64 v[3:4], v[3:4], v[56:57], v[54:55]
.LBB62_998:
	s_mov_b32 s5, exec_lo
	v_cmpx_ne_u32_e32 16, v0
	s_cbranch_execz .LBB62_1002
; %bb.999:
	v_or_b32_e32 v54, 0x400, v153
	v_add3_u32 v55, 0, v153, 16
	v_mov_b32_e32 v56, v0
	s_mov_b32 s6, 0
	.p2align	6
.LBB62_1000:                            ; =>This Inner Loop Header: Depth=1
	s_clause 0x3
	buffer_load_dword v65, v55, s[0:3], 0 offen offset:8
	buffer_load_dword v66, v55, s[0:3], 0 offen offset:12
	buffer_load_dword v67, v55, s[0:3], 0 offen
	buffer_load_dword v68, v55, s[0:3], 0 offen offset:4
	ds_read_b128 v[57:60], v54
	v_add_nc_u32_e32 v56, 1, v56
	v_add_nc_u32_e32 v54, 16, v54
	;; [unrolled: 1-line block ×3, first 2 shown]
	v_cmp_lt_u32_e32 vcc_lo, 15, v56
	s_or_b32 s6, vcc_lo, s6
	s_waitcnt vmcnt(2) lgkmcnt(0)
	v_mul_f64 v[69:70], v[59:60], v[65:66]
	v_mul_f64 v[65:66], v[57:58], v[65:66]
	s_waitcnt vmcnt(0)
	v_fma_f64 v[57:58], v[57:58], v[67:68], -v[69:70]
	v_fma_f64 v[59:60], v[59:60], v[67:68], v[65:66]
	v_add_f64 v[1:2], v[1:2], v[57:58]
	v_add_f64 v[3:4], v[3:4], v[59:60]
	s_andn2_b32 exec_lo, exec_lo, s6
	s_cbranch_execnz .LBB62_1000
; %bb.1001:
	s_or_b32 exec_lo, exec_lo, s6
.LBB62_1002:
	s_or_b32 exec_lo, exec_lo, s5
	v_mov_b32_e32 v54, 0
	ds_read_b128 v[54:57], v54 offset:272
	s_waitcnt lgkmcnt(0)
	v_mul_f64 v[58:59], v[3:4], v[56:57]
	v_mul_f64 v[56:57], v[1:2], v[56:57]
	v_fma_f64 v[1:2], v[1:2], v[54:55], -v[58:59]
	v_fma_f64 v[3:4], v[3:4], v[54:55], v[56:57]
	buffer_store_dword v2, off, s[0:3], 0 offset:276
	buffer_store_dword v1, off, s[0:3], 0 offset:272
	;; [unrolled: 1-line block ×4, first 2 shown]
.LBB62_1003:
	s_or_b32 exec_lo, exec_lo, s4
	v_mov_b32_e32 v4, s54
	s_mov_b32 s4, exec_lo
	s_clause 0x3
	buffer_load_dword v1, v4, s[0:3], 0 offen
	buffer_load_dword v2, v4, s[0:3], 0 offen offset:4
	buffer_load_dword v3, v4, s[0:3], 0 offen offset:8
	;; [unrolled: 1-line block ×3, first 2 shown]
	s_waitcnt vmcnt(0)
	ds_write_b128 v48, v[1:4]
	s_waitcnt lgkmcnt(0)
	s_waitcnt_vscnt null, 0x0
	s_barrier
	buffer_gl0_inv
	v_cmpx_gt_u32_e32 18, v0
	s_cbranch_execz .LBB62_1011
; %bb.1004:
	ds_read_b128 v[1:4], v48
	v_cmp_ne_u32_e32 vcc_lo, 1, v53
	s_cbranch_vccnz .LBB62_1006
; %bb.1005:
	s_clause 0x3
	buffer_load_dword v54, v47, s[0:3], 0 offen offset:8
	buffer_load_dword v55, v47, s[0:3], 0 offen offset:12
	buffer_load_dword v56, v47, s[0:3], 0 offen
	buffer_load_dword v57, v47, s[0:3], 0 offen offset:4
	s_waitcnt vmcnt(2) lgkmcnt(0)
	v_mul_f64 v[58:59], v[3:4], v[54:55]
	v_mul_f64 v[54:55], v[1:2], v[54:55]
	s_waitcnt vmcnt(0)
	v_fma_f64 v[1:2], v[1:2], v[56:57], -v[58:59]
	v_fma_f64 v[3:4], v[3:4], v[56:57], v[54:55]
.LBB62_1006:
	s_mov_b32 s5, exec_lo
	v_cmpx_ne_u32_e32 17, v0
	s_cbranch_execz .LBB62_1010
; %bb.1007:
	v_or_b32_e32 v54, 0x400, v153
	v_add3_u32 v55, 0, v153, 16
	v_mov_b32_e32 v56, v0
	s_mov_b32 s6, 0
	.p2align	6
.LBB62_1008:                            ; =>This Inner Loop Header: Depth=1
	s_clause 0x3
	buffer_load_dword v65, v55, s[0:3], 0 offen offset:8
	buffer_load_dword v66, v55, s[0:3], 0 offen offset:12
	buffer_load_dword v67, v55, s[0:3], 0 offen
	buffer_load_dword v68, v55, s[0:3], 0 offen offset:4
	ds_read_b128 v[57:60], v54
	v_add_nc_u32_e32 v56, 1, v56
	v_add_nc_u32_e32 v54, 16, v54
	;; [unrolled: 1-line block ×3, first 2 shown]
	v_cmp_lt_u32_e32 vcc_lo, 16, v56
	s_or_b32 s6, vcc_lo, s6
	s_waitcnt vmcnt(2) lgkmcnt(0)
	v_mul_f64 v[69:70], v[59:60], v[65:66]
	v_mul_f64 v[65:66], v[57:58], v[65:66]
	s_waitcnt vmcnt(0)
	v_fma_f64 v[57:58], v[57:58], v[67:68], -v[69:70]
	v_fma_f64 v[59:60], v[59:60], v[67:68], v[65:66]
	v_add_f64 v[1:2], v[1:2], v[57:58]
	v_add_f64 v[3:4], v[3:4], v[59:60]
	s_andn2_b32 exec_lo, exec_lo, s6
	s_cbranch_execnz .LBB62_1008
; %bb.1009:
	s_or_b32 exec_lo, exec_lo, s6
.LBB62_1010:
	s_or_b32 exec_lo, exec_lo, s5
	v_mov_b32_e32 v54, 0
	ds_read_b128 v[54:57], v54 offset:288
	s_waitcnt lgkmcnt(0)
	v_mul_f64 v[58:59], v[3:4], v[56:57]
	v_mul_f64 v[56:57], v[1:2], v[56:57]
	v_fma_f64 v[1:2], v[1:2], v[54:55], -v[58:59]
	v_fma_f64 v[3:4], v[3:4], v[54:55], v[56:57]
	buffer_store_dword v2, off, s[0:3], 0 offset:292
	buffer_store_dword v1, off, s[0:3], 0 offset:288
	;; [unrolled: 1-line block ×4, first 2 shown]
.LBB62_1011:
	s_or_b32 exec_lo, exec_lo, s4
	v_mov_b32_e32 v4, s53
	s_mov_b32 s4, exec_lo
	s_clause 0x3
	buffer_load_dword v1, v4, s[0:3], 0 offen
	buffer_load_dword v2, v4, s[0:3], 0 offen offset:4
	buffer_load_dword v3, v4, s[0:3], 0 offen offset:8
	;; [unrolled: 1-line block ×3, first 2 shown]
	s_waitcnt vmcnt(0)
	ds_write_b128 v48, v[1:4]
	s_waitcnt lgkmcnt(0)
	s_waitcnt_vscnt null, 0x0
	s_barrier
	buffer_gl0_inv
	v_cmpx_gt_u32_e32 19, v0
	s_cbranch_execz .LBB62_1019
; %bb.1012:
	ds_read_b128 v[1:4], v48
	v_cmp_ne_u32_e32 vcc_lo, 1, v53
	s_cbranch_vccnz .LBB62_1014
; %bb.1013:
	s_clause 0x3
	buffer_load_dword v54, v47, s[0:3], 0 offen offset:8
	buffer_load_dword v55, v47, s[0:3], 0 offen offset:12
	buffer_load_dword v56, v47, s[0:3], 0 offen
	buffer_load_dword v57, v47, s[0:3], 0 offen offset:4
	s_waitcnt vmcnt(2) lgkmcnt(0)
	v_mul_f64 v[58:59], v[3:4], v[54:55]
	v_mul_f64 v[54:55], v[1:2], v[54:55]
	s_waitcnt vmcnt(0)
	v_fma_f64 v[1:2], v[1:2], v[56:57], -v[58:59]
	v_fma_f64 v[3:4], v[3:4], v[56:57], v[54:55]
.LBB62_1014:
	s_mov_b32 s5, exec_lo
	v_cmpx_ne_u32_e32 18, v0
	s_cbranch_execz .LBB62_1018
; %bb.1015:
	v_or_b32_e32 v54, 0x400, v153
	v_add3_u32 v55, 0, v153, 16
	v_mov_b32_e32 v56, v0
	s_mov_b32 s6, 0
	.p2align	6
.LBB62_1016:                            ; =>This Inner Loop Header: Depth=1
	s_clause 0x3
	buffer_load_dword v65, v55, s[0:3], 0 offen offset:8
	buffer_load_dword v66, v55, s[0:3], 0 offen offset:12
	buffer_load_dword v67, v55, s[0:3], 0 offen
	buffer_load_dword v68, v55, s[0:3], 0 offen offset:4
	ds_read_b128 v[57:60], v54
	v_add_nc_u32_e32 v56, 1, v56
	v_add_nc_u32_e32 v54, 16, v54
	;; [unrolled: 1-line block ×3, first 2 shown]
	v_cmp_lt_u32_e32 vcc_lo, 17, v56
	s_or_b32 s6, vcc_lo, s6
	s_waitcnt vmcnt(2) lgkmcnt(0)
	v_mul_f64 v[69:70], v[59:60], v[65:66]
	v_mul_f64 v[65:66], v[57:58], v[65:66]
	s_waitcnt vmcnt(0)
	v_fma_f64 v[57:58], v[57:58], v[67:68], -v[69:70]
	v_fma_f64 v[59:60], v[59:60], v[67:68], v[65:66]
	v_add_f64 v[1:2], v[1:2], v[57:58]
	v_add_f64 v[3:4], v[3:4], v[59:60]
	s_andn2_b32 exec_lo, exec_lo, s6
	s_cbranch_execnz .LBB62_1016
; %bb.1017:
	s_or_b32 exec_lo, exec_lo, s6
.LBB62_1018:
	s_or_b32 exec_lo, exec_lo, s5
	v_mov_b32_e32 v54, 0
	ds_read_b128 v[54:57], v54 offset:304
	s_waitcnt lgkmcnt(0)
	v_mul_f64 v[58:59], v[3:4], v[56:57]
	v_mul_f64 v[56:57], v[1:2], v[56:57]
	v_fma_f64 v[1:2], v[1:2], v[54:55], -v[58:59]
	v_fma_f64 v[3:4], v[3:4], v[54:55], v[56:57]
	buffer_store_dword v2, off, s[0:3], 0 offset:308
	buffer_store_dword v1, off, s[0:3], 0 offset:304
	;; [unrolled: 1-line block ×4, first 2 shown]
.LBB62_1019:
	s_or_b32 exec_lo, exec_lo, s4
	v_mov_b32_e32 v4, s52
	s_mov_b32 s4, exec_lo
	s_clause 0x3
	buffer_load_dword v1, v4, s[0:3], 0 offen
	buffer_load_dword v2, v4, s[0:3], 0 offen offset:4
	buffer_load_dword v3, v4, s[0:3], 0 offen offset:8
	;; [unrolled: 1-line block ×3, first 2 shown]
	s_waitcnt vmcnt(0)
	ds_write_b128 v48, v[1:4]
	s_waitcnt lgkmcnt(0)
	s_waitcnt_vscnt null, 0x0
	s_barrier
	buffer_gl0_inv
	v_cmpx_gt_u32_e32 20, v0
	s_cbranch_execz .LBB62_1027
; %bb.1020:
	ds_read_b128 v[1:4], v48
	v_cmp_ne_u32_e32 vcc_lo, 1, v53
	s_cbranch_vccnz .LBB62_1022
; %bb.1021:
	s_clause 0x3
	buffer_load_dword v54, v47, s[0:3], 0 offen offset:8
	buffer_load_dword v55, v47, s[0:3], 0 offen offset:12
	buffer_load_dword v56, v47, s[0:3], 0 offen
	buffer_load_dword v57, v47, s[0:3], 0 offen offset:4
	s_waitcnt vmcnt(2) lgkmcnt(0)
	v_mul_f64 v[58:59], v[3:4], v[54:55]
	v_mul_f64 v[54:55], v[1:2], v[54:55]
	s_waitcnt vmcnt(0)
	v_fma_f64 v[1:2], v[1:2], v[56:57], -v[58:59]
	v_fma_f64 v[3:4], v[3:4], v[56:57], v[54:55]
.LBB62_1022:
	s_mov_b32 s5, exec_lo
	v_cmpx_ne_u32_e32 19, v0
	s_cbranch_execz .LBB62_1026
; %bb.1023:
	v_or_b32_e32 v54, 0x400, v153
	v_add3_u32 v55, 0, v153, 16
	v_mov_b32_e32 v56, v0
	s_mov_b32 s6, 0
	.p2align	6
.LBB62_1024:                            ; =>This Inner Loop Header: Depth=1
	s_clause 0x3
	buffer_load_dword v65, v55, s[0:3], 0 offen offset:8
	buffer_load_dword v66, v55, s[0:3], 0 offen offset:12
	buffer_load_dword v67, v55, s[0:3], 0 offen
	buffer_load_dword v68, v55, s[0:3], 0 offen offset:4
	ds_read_b128 v[57:60], v54
	v_add_nc_u32_e32 v56, 1, v56
	v_add_nc_u32_e32 v54, 16, v54
	;; [unrolled: 1-line block ×3, first 2 shown]
	v_cmp_lt_u32_e32 vcc_lo, 18, v56
	s_or_b32 s6, vcc_lo, s6
	s_waitcnt vmcnt(2) lgkmcnt(0)
	v_mul_f64 v[69:70], v[59:60], v[65:66]
	v_mul_f64 v[65:66], v[57:58], v[65:66]
	s_waitcnt vmcnt(0)
	v_fma_f64 v[57:58], v[57:58], v[67:68], -v[69:70]
	v_fma_f64 v[59:60], v[59:60], v[67:68], v[65:66]
	v_add_f64 v[1:2], v[1:2], v[57:58]
	v_add_f64 v[3:4], v[3:4], v[59:60]
	s_andn2_b32 exec_lo, exec_lo, s6
	s_cbranch_execnz .LBB62_1024
; %bb.1025:
	s_or_b32 exec_lo, exec_lo, s6
.LBB62_1026:
	s_or_b32 exec_lo, exec_lo, s5
	v_mov_b32_e32 v54, 0
	ds_read_b128 v[54:57], v54 offset:320
	s_waitcnt lgkmcnt(0)
	v_mul_f64 v[58:59], v[3:4], v[56:57]
	v_mul_f64 v[56:57], v[1:2], v[56:57]
	v_fma_f64 v[1:2], v[1:2], v[54:55], -v[58:59]
	v_fma_f64 v[3:4], v[3:4], v[54:55], v[56:57]
	buffer_store_dword v2, off, s[0:3], 0 offset:324
	buffer_store_dword v1, off, s[0:3], 0 offset:320
	;; [unrolled: 1-line block ×4, first 2 shown]
.LBB62_1027:
	s_or_b32 exec_lo, exec_lo, s4
	v_mov_b32_e32 v4, s51
	s_mov_b32 s4, exec_lo
	s_clause 0x3
	buffer_load_dword v1, v4, s[0:3], 0 offen
	buffer_load_dword v2, v4, s[0:3], 0 offen offset:4
	buffer_load_dword v3, v4, s[0:3], 0 offen offset:8
	;; [unrolled: 1-line block ×3, first 2 shown]
	s_waitcnt vmcnt(0)
	ds_write_b128 v48, v[1:4]
	s_waitcnt lgkmcnt(0)
	s_waitcnt_vscnt null, 0x0
	s_barrier
	buffer_gl0_inv
	v_cmpx_gt_u32_e32 21, v0
	s_cbranch_execz .LBB62_1035
; %bb.1028:
	ds_read_b128 v[1:4], v48
	v_cmp_ne_u32_e32 vcc_lo, 1, v53
	s_cbranch_vccnz .LBB62_1030
; %bb.1029:
	s_clause 0x3
	buffer_load_dword v54, v47, s[0:3], 0 offen offset:8
	buffer_load_dword v55, v47, s[0:3], 0 offen offset:12
	buffer_load_dword v56, v47, s[0:3], 0 offen
	buffer_load_dword v57, v47, s[0:3], 0 offen offset:4
	s_waitcnt vmcnt(2) lgkmcnt(0)
	v_mul_f64 v[58:59], v[3:4], v[54:55]
	v_mul_f64 v[54:55], v[1:2], v[54:55]
	s_waitcnt vmcnt(0)
	v_fma_f64 v[1:2], v[1:2], v[56:57], -v[58:59]
	v_fma_f64 v[3:4], v[3:4], v[56:57], v[54:55]
.LBB62_1030:
	s_mov_b32 s5, exec_lo
	v_cmpx_ne_u32_e32 20, v0
	s_cbranch_execz .LBB62_1034
; %bb.1031:
	v_or_b32_e32 v54, 0x400, v153
	v_add3_u32 v55, 0, v153, 16
	v_mov_b32_e32 v56, v0
	s_mov_b32 s6, 0
	.p2align	6
.LBB62_1032:                            ; =>This Inner Loop Header: Depth=1
	s_clause 0x3
	buffer_load_dword v65, v55, s[0:3], 0 offen offset:8
	buffer_load_dword v66, v55, s[0:3], 0 offen offset:12
	buffer_load_dword v67, v55, s[0:3], 0 offen
	buffer_load_dword v68, v55, s[0:3], 0 offen offset:4
	ds_read_b128 v[57:60], v54
	v_add_nc_u32_e32 v56, 1, v56
	v_add_nc_u32_e32 v54, 16, v54
	;; [unrolled: 1-line block ×3, first 2 shown]
	v_cmp_lt_u32_e32 vcc_lo, 19, v56
	s_or_b32 s6, vcc_lo, s6
	s_waitcnt vmcnt(2) lgkmcnt(0)
	v_mul_f64 v[69:70], v[59:60], v[65:66]
	v_mul_f64 v[65:66], v[57:58], v[65:66]
	s_waitcnt vmcnt(0)
	v_fma_f64 v[57:58], v[57:58], v[67:68], -v[69:70]
	v_fma_f64 v[59:60], v[59:60], v[67:68], v[65:66]
	v_add_f64 v[1:2], v[1:2], v[57:58]
	v_add_f64 v[3:4], v[3:4], v[59:60]
	s_andn2_b32 exec_lo, exec_lo, s6
	s_cbranch_execnz .LBB62_1032
; %bb.1033:
	s_or_b32 exec_lo, exec_lo, s6
.LBB62_1034:
	s_or_b32 exec_lo, exec_lo, s5
	v_mov_b32_e32 v54, 0
	ds_read_b128 v[54:57], v54 offset:336
	s_waitcnt lgkmcnt(0)
	v_mul_f64 v[58:59], v[3:4], v[56:57]
	v_mul_f64 v[56:57], v[1:2], v[56:57]
	v_fma_f64 v[1:2], v[1:2], v[54:55], -v[58:59]
	v_fma_f64 v[3:4], v[3:4], v[54:55], v[56:57]
	buffer_store_dword v2, off, s[0:3], 0 offset:340
	buffer_store_dword v1, off, s[0:3], 0 offset:336
	;; [unrolled: 1-line block ×4, first 2 shown]
.LBB62_1035:
	s_or_b32 exec_lo, exec_lo, s4
	v_mov_b32_e32 v4, s50
	s_mov_b32 s4, exec_lo
	s_clause 0x3
	buffer_load_dword v1, v4, s[0:3], 0 offen
	buffer_load_dword v2, v4, s[0:3], 0 offen offset:4
	buffer_load_dword v3, v4, s[0:3], 0 offen offset:8
	buffer_load_dword v4, v4, s[0:3], 0 offen offset:12
	s_waitcnt vmcnt(0)
	ds_write_b128 v48, v[1:4]
	s_waitcnt lgkmcnt(0)
	s_waitcnt_vscnt null, 0x0
	s_barrier
	buffer_gl0_inv
	v_cmpx_gt_u32_e32 22, v0
	s_cbranch_execz .LBB62_1043
; %bb.1036:
	ds_read_b128 v[1:4], v48
	v_cmp_ne_u32_e32 vcc_lo, 1, v53
	s_cbranch_vccnz .LBB62_1038
; %bb.1037:
	s_clause 0x3
	buffer_load_dword v54, v47, s[0:3], 0 offen offset:8
	buffer_load_dword v55, v47, s[0:3], 0 offen offset:12
	buffer_load_dword v56, v47, s[0:3], 0 offen
	buffer_load_dword v57, v47, s[0:3], 0 offen offset:4
	s_waitcnt vmcnt(2) lgkmcnt(0)
	v_mul_f64 v[58:59], v[3:4], v[54:55]
	v_mul_f64 v[54:55], v[1:2], v[54:55]
	s_waitcnt vmcnt(0)
	v_fma_f64 v[1:2], v[1:2], v[56:57], -v[58:59]
	v_fma_f64 v[3:4], v[3:4], v[56:57], v[54:55]
.LBB62_1038:
	s_mov_b32 s5, exec_lo
	v_cmpx_ne_u32_e32 21, v0
	s_cbranch_execz .LBB62_1042
; %bb.1039:
	v_or_b32_e32 v54, 0x400, v153
	v_add3_u32 v55, 0, v153, 16
	v_mov_b32_e32 v56, v0
	s_mov_b32 s6, 0
	.p2align	6
.LBB62_1040:                            ; =>This Inner Loop Header: Depth=1
	s_clause 0x3
	buffer_load_dword v65, v55, s[0:3], 0 offen offset:8
	buffer_load_dword v66, v55, s[0:3], 0 offen offset:12
	buffer_load_dword v67, v55, s[0:3], 0 offen
	buffer_load_dword v68, v55, s[0:3], 0 offen offset:4
	ds_read_b128 v[57:60], v54
	v_add_nc_u32_e32 v56, 1, v56
	v_add_nc_u32_e32 v54, 16, v54
	;; [unrolled: 1-line block ×3, first 2 shown]
	v_cmp_lt_u32_e32 vcc_lo, 20, v56
	s_or_b32 s6, vcc_lo, s6
	s_waitcnt vmcnt(2) lgkmcnt(0)
	v_mul_f64 v[69:70], v[59:60], v[65:66]
	v_mul_f64 v[65:66], v[57:58], v[65:66]
	s_waitcnt vmcnt(0)
	v_fma_f64 v[57:58], v[57:58], v[67:68], -v[69:70]
	v_fma_f64 v[59:60], v[59:60], v[67:68], v[65:66]
	v_add_f64 v[1:2], v[1:2], v[57:58]
	v_add_f64 v[3:4], v[3:4], v[59:60]
	s_andn2_b32 exec_lo, exec_lo, s6
	s_cbranch_execnz .LBB62_1040
; %bb.1041:
	s_or_b32 exec_lo, exec_lo, s6
.LBB62_1042:
	s_or_b32 exec_lo, exec_lo, s5
	v_mov_b32_e32 v54, 0
	ds_read_b128 v[54:57], v54 offset:352
	s_waitcnt lgkmcnt(0)
	v_mul_f64 v[58:59], v[3:4], v[56:57]
	v_mul_f64 v[56:57], v[1:2], v[56:57]
	v_fma_f64 v[1:2], v[1:2], v[54:55], -v[58:59]
	v_fma_f64 v[3:4], v[3:4], v[54:55], v[56:57]
	buffer_store_dword v2, off, s[0:3], 0 offset:356
	buffer_store_dword v1, off, s[0:3], 0 offset:352
	;; [unrolled: 1-line block ×4, first 2 shown]
.LBB62_1043:
	s_or_b32 exec_lo, exec_lo, s4
	v_mov_b32_e32 v4, s49
	s_mov_b32 s4, exec_lo
	s_clause 0x3
	buffer_load_dword v1, v4, s[0:3], 0 offen
	buffer_load_dword v2, v4, s[0:3], 0 offen offset:4
	buffer_load_dword v3, v4, s[0:3], 0 offen offset:8
	buffer_load_dword v4, v4, s[0:3], 0 offen offset:12
	s_waitcnt vmcnt(0)
	ds_write_b128 v48, v[1:4]
	s_waitcnt lgkmcnt(0)
	s_waitcnt_vscnt null, 0x0
	s_barrier
	buffer_gl0_inv
	v_cmpx_gt_u32_e32 23, v0
	s_cbranch_execz .LBB62_1051
; %bb.1044:
	ds_read_b128 v[1:4], v48
	v_cmp_ne_u32_e32 vcc_lo, 1, v53
	s_cbranch_vccnz .LBB62_1046
; %bb.1045:
	s_clause 0x3
	buffer_load_dword v54, v47, s[0:3], 0 offen offset:8
	buffer_load_dword v55, v47, s[0:3], 0 offen offset:12
	buffer_load_dword v56, v47, s[0:3], 0 offen
	buffer_load_dword v57, v47, s[0:3], 0 offen offset:4
	s_waitcnt vmcnt(2) lgkmcnt(0)
	v_mul_f64 v[58:59], v[3:4], v[54:55]
	v_mul_f64 v[54:55], v[1:2], v[54:55]
	s_waitcnt vmcnt(0)
	v_fma_f64 v[1:2], v[1:2], v[56:57], -v[58:59]
	v_fma_f64 v[3:4], v[3:4], v[56:57], v[54:55]
.LBB62_1046:
	s_mov_b32 s5, exec_lo
	v_cmpx_ne_u32_e32 22, v0
	s_cbranch_execz .LBB62_1050
; %bb.1047:
	v_or_b32_e32 v54, 0x400, v153
	v_add3_u32 v55, 0, v153, 16
	v_mov_b32_e32 v56, v0
	s_mov_b32 s6, 0
	.p2align	6
.LBB62_1048:                            ; =>This Inner Loop Header: Depth=1
	s_clause 0x3
	buffer_load_dword v65, v55, s[0:3], 0 offen offset:8
	buffer_load_dword v66, v55, s[0:3], 0 offen offset:12
	buffer_load_dword v67, v55, s[0:3], 0 offen
	buffer_load_dword v68, v55, s[0:3], 0 offen offset:4
	ds_read_b128 v[57:60], v54
	v_add_nc_u32_e32 v56, 1, v56
	v_add_nc_u32_e32 v54, 16, v54
	;; [unrolled: 1-line block ×3, first 2 shown]
	v_cmp_lt_u32_e32 vcc_lo, 21, v56
	s_or_b32 s6, vcc_lo, s6
	s_waitcnt vmcnt(2) lgkmcnt(0)
	v_mul_f64 v[69:70], v[59:60], v[65:66]
	v_mul_f64 v[65:66], v[57:58], v[65:66]
	s_waitcnt vmcnt(0)
	v_fma_f64 v[57:58], v[57:58], v[67:68], -v[69:70]
	v_fma_f64 v[59:60], v[59:60], v[67:68], v[65:66]
	v_add_f64 v[1:2], v[1:2], v[57:58]
	v_add_f64 v[3:4], v[3:4], v[59:60]
	s_andn2_b32 exec_lo, exec_lo, s6
	s_cbranch_execnz .LBB62_1048
; %bb.1049:
	s_or_b32 exec_lo, exec_lo, s6
.LBB62_1050:
	s_or_b32 exec_lo, exec_lo, s5
	v_mov_b32_e32 v54, 0
	ds_read_b128 v[54:57], v54 offset:368
	s_waitcnt lgkmcnt(0)
	v_mul_f64 v[58:59], v[3:4], v[56:57]
	v_mul_f64 v[56:57], v[1:2], v[56:57]
	v_fma_f64 v[1:2], v[1:2], v[54:55], -v[58:59]
	v_fma_f64 v[3:4], v[3:4], v[54:55], v[56:57]
	buffer_store_dword v2, off, s[0:3], 0 offset:372
	buffer_store_dword v1, off, s[0:3], 0 offset:368
	;; [unrolled: 1-line block ×4, first 2 shown]
.LBB62_1051:
	s_or_b32 exec_lo, exec_lo, s4
	v_mov_b32_e32 v4, s48
	s_mov_b32 s4, exec_lo
	s_clause 0x3
	buffer_load_dword v1, v4, s[0:3], 0 offen
	buffer_load_dword v2, v4, s[0:3], 0 offen offset:4
	buffer_load_dword v3, v4, s[0:3], 0 offen offset:8
	;; [unrolled: 1-line block ×3, first 2 shown]
	s_waitcnt vmcnt(0)
	ds_write_b128 v48, v[1:4]
	s_waitcnt lgkmcnt(0)
	s_waitcnt_vscnt null, 0x0
	s_barrier
	buffer_gl0_inv
	v_cmpx_gt_u32_e32 24, v0
	s_cbranch_execz .LBB62_1059
; %bb.1052:
	ds_read_b128 v[1:4], v48
	v_cmp_ne_u32_e32 vcc_lo, 1, v53
	s_cbranch_vccnz .LBB62_1054
; %bb.1053:
	s_clause 0x3
	buffer_load_dword v54, v47, s[0:3], 0 offen offset:8
	buffer_load_dword v55, v47, s[0:3], 0 offen offset:12
	buffer_load_dword v56, v47, s[0:3], 0 offen
	buffer_load_dword v57, v47, s[0:3], 0 offen offset:4
	s_waitcnt vmcnt(2) lgkmcnt(0)
	v_mul_f64 v[58:59], v[3:4], v[54:55]
	v_mul_f64 v[54:55], v[1:2], v[54:55]
	s_waitcnt vmcnt(0)
	v_fma_f64 v[1:2], v[1:2], v[56:57], -v[58:59]
	v_fma_f64 v[3:4], v[3:4], v[56:57], v[54:55]
.LBB62_1054:
	s_mov_b32 s5, exec_lo
	v_cmpx_ne_u32_e32 23, v0
	s_cbranch_execz .LBB62_1058
; %bb.1055:
	v_or_b32_e32 v54, 0x400, v153
	v_add3_u32 v55, 0, v153, 16
	v_mov_b32_e32 v56, v0
	s_mov_b32 s6, 0
	.p2align	6
.LBB62_1056:                            ; =>This Inner Loop Header: Depth=1
	s_clause 0x3
	buffer_load_dword v65, v55, s[0:3], 0 offen offset:8
	buffer_load_dword v66, v55, s[0:3], 0 offen offset:12
	buffer_load_dword v67, v55, s[0:3], 0 offen
	buffer_load_dword v68, v55, s[0:3], 0 offen offset:4
	ds_read_b128 v[57:60], v54
	v_add_nc_u32_e32 v56, 1, v56
	v_add_nc_u32_e32 v54, 16, v54
	;; [unrolled: 1-line block ×3, first 2 shown]
	v_cmp_lt_u32_e32 vcc_lo, 22, v56
	s_or_b32 s6, vcc_lo, s6
	s_waitcnt vmcnt(2) lgkmcnt(0)
	v_mul_f64 v[69:70], v[59:60], v[65:66]
	v_mul_f64 v[65:66], v[57:58], v[65:66]
	s_waitcnt vmcnt(0)
	v_fma_f64 v[57:58], v[57:58], v[67:68], -v[69:70]
	v_fma_f64 v[59:60], v[59:60], v[67:68], v[65:66]
	v_add_f64 v[1:2], v[1:2], v[57:58]
	v_add_f64 v[3:4], v[3:4], v[59:60]
	s_andn2_b32 exec_lo, exec_lo, s6
	s_cbranch_execnz .LBB62_1056
; %bb.1057:
	s_or_b32 exec_lo, exec_lo, s6
.LBB62_1058:
	s_or_b32 exec_lo, exec_lo, s5
	v_mov_b32_e32 v54, 0
	ds_read_b128 v[54:57], v54 offset:384
	s_waitcnt lgkmcnt(0)
	v_mul_f64 v[58:59], v[3:4], v[56:57]
	v_mul_f64 v[56:57], v[1:2], v[56:57]
	v_fma_f64 v[1:2], v[1:2], v[54:55], -v[58:59]
	v_fma_f64 v[3:4], v[3:4], v[54:55], v[56:57]
	buffer_store_dword v2, off, s[0:3], 0 offset:388
	buffer_store_dword v1, off, s[0:3], 0 offset:384
	;; [unrolled: 1-line block ×4, first 2 shown]
.LBB62_1059:
	s_or_b32 exec_lo, exec_lo, s4
	v_mov_b32_e32 v4, s47
	s_mov_b32 s4, exec_lo
	s_clause 0x3
	buffer_load_dword v1, v4, s[0:3], 0 offen
	buffer_load_dword v2, v4, s[0:3], 0 offen offset:4
	buffer_load_dword v3, v4, s[0:3], 0 offen offset:8
	;; [unrolled: 1-line block ×3, first 2 shown]
	s_waitcnt vmcnt(0)
	ds_write_b128 v48, v[1:4]
	s_waitcnt lgkmcnt(0)
	s_waitcnt_vscnt null, 0x0
	s_barrier
	buffer_gl0_inv
	v_cmpx_gt_u32_e32 25, v0
	s_cbranch_execz .LBB62_1067
; %bb.1060:
	ds_read_b128 v[1:4], v48
	v_cmp_ne_u32_e32 vcc_lo, 1, v53
	s_cbranch_vccnz .LBB62_1062
; %bb.1061:
	s_clause 0x3
	buffer_load_dword v54, v47, s[0:3], 0 offen offset:8
	buffer_load_dword v55, v47, s[0:3], 0 offen offset:12
	buffer_load_dword v56, v47, s[0:3], 0 offen
	buffer_load_dword v57, v47, s[0:3], 0 offen offset:4
	s_waitcnt vmcnt(2) lgkmcnt(0)
	v_mul_f64 v[58:59], v[3:4], v[54:55]
	v_mul_f64 v[54:55], v[1:2], v[54:55]
	s_waitcnt vmcnt(0)
	v_fma_f64 v[1:2], v[1:2], v[56:57], -v[58:59]
	v_fma_f64 v[3:4], v[3:4], v[56:57], v[54:55]
.LBB62_1062:
	s_mov_b32 s5, exec_lo
	v_cmpx_ne_u32_e32 24, v0
	s_cbranch_execz .LBB62_1066
; %bb.1063:
	v_or_b32_e32 v54, 0x400, v153
	v_add3_u32 v55, 0, v153, 16
	v_mov_b32_e32 v56, v0
	s_mov_b32 s6, 0
	.p2align	6
.LBB62_1064:                            ; =>This Inner Loop Header: Depth=1
	s_clause 0x3
	buffer_load_dword v65, v55, s[0:3], 0 offen offset:8
	buffer_load_dword v66, v55, s[0:3], 0 offen offset:12
	buffer_load_dword v67, v55, s[0:3], 0 offen
	buffer_load_dword v68, v55, s[0:3], 0 offen offset:4
	ds_read_b128 v[57:60], v54
	v_add_nc_u32_e32 v56, 1, v56
	v_add_nc_u32_e32 v54, 16, v54
	;; [unrolled: 1-line block ×3, first 2 shown]
	v_cmp_lt_u32_e32 vcc_lo, 23, v56
	s_or_b32 s6, vcc_lo, s6
	s_waitcnt vmcnt(2) lgkmcnt(0)
	v_mul_f64 v[69:70], v[59:60], v[65:66]
	v_mul_f64 v[65:66], v[57:58], v[65:66]
	s_waitcnt vmcnt(0)
	v_fma_f64 v[57:58], v[57:58], v[67:68], -v[69:70]
	v_fma_f64 v[59:60], v[59:60], v[67:68], v[65:66]
	v_add_f64 v[1:2], v[1:2], v[57:58]
	v_add_f64 v[3:4], v[3:4], v[59:60]
	s_andn2_b32 exec_lo, exec_lo, s6
	s_cbranch_execnz .LBB62_1064
; %bb.1065:
	s_or_b32 exec_lo, exec_lo, s6
.LBB62_1066:
	s_or_b32 exec_lo, exec_lo, s5
	v_mov_b32_e32 v54, 0
	ds_read_b128 v[54:57], v54 offset:400
	s_waitcnt lgkmcnt(0)
	v_mul_f64 v[58:59], v[3:4], v[56:57]
	v_mul_f64 v[56:57], v[1:2], v[56:57]
	v_fma_f64 v[1:2], v[1:2], v[54:55], -v[58:59]
	v_fma_f64 v[3:4], v[3:4], v[54:55], v[56:57]
	buffer_store_dword v2, off, s[0:3], 0 offset:404
	buffer_store_dword v1, off, s[0:3], 0 offset:400
	;; [unrolled: 1-line block ×4, first 2 shown]
.LBB62_1067:
	s_or_b32 exec_lo, exec_lo, s4
	v_mov_b32_e32 v4, s46
	s_mov_b32 s4, exec_lo
	s_clause 0x3
	buffer_load_dword v1, v4, s[0:3], 0 offen
	buffer_load_dword v2, v4, s[0:3], 0 offen offset:4
	buffer_load_dword v3, v4, s[0:3], 0 offen offset:8
	;; [unrolled: 1-line block ×3, first 2 shown]
	s_waitcnt vmcnt(0)
	ds_write_b128 v48, v[1:4]
	s_waitcnt lgkmcnt(0)
	s_waitcnt_vscnt null, 0x0
	s_barrier
	buffer_gl0_inv
	v_cmpx_gt_u32_e32 26, v0
	s_cbranch_execz .LBB62_1075
; %bb.1068:
	ds_read_b128 v[1:4], v48
	v_cmp_ne_u32_e32 vcc_lo, 1, v53
	s_cbranch_vccnz .LBB62_1070
; %bb.1069:
	s_clause 0x3
	buffer_load_dword v54, v47, s[0:3], 0 offen offset:8
	buffer_load_dword v55, v47, s[0:3], 0 offen offset:12
	buffer_load_dword v56, v47, s[0:3], 0 offen
	buffer_load_dword v57, v47, s[0:3], 0 offen offset:4
	s_waitcnt vmcnt(2) lgkmcnt(0)
	v_mul_f64 v[58:59], v[3:4], v[54:55]
	v_mul_f64 v[54:55], v[1:2], v[54:55]
	s_waitcnt vmcnt(0)
	v_fma_f64 v[1:2], v[1:2], v[56:57], -v[58:59]
	v_fma_f64 v[3:4], v[3:4], v[56:57], v[54:55]
.LBB62_1070:
	s_mov_b32 s5, exec_lo
	v_cmpx_ne_u32_e32 25, v0
	s_cbranch_execz .LBB62_1074
; %bb.1071:
	v_or_b32_e32 v54, 0x400, v153
	v_add3_u32 v55, 0, v153, 16
	v_mov_b32_e32 v56, v0
	s_mov_b32 s6, 0
	.p2align	6
.LBB62_1072:                            ; =>This Inner Loop Header: Depth=1
	s_clause 0x3
	buffer_load_dword v65, v55, s[0:3], 0 offen offset:8
	buffer_load_dword v66, v55, s[0:3], 0 offen offset:12
	buffer_load_dword v67, v55, s[0:3], 0 offen
	buffer_load_dword v68, v55, s[0:3], 0 offen offset:4
	ds_read_b128 v[57:60], v54
	v_add_nc_u32_e32 v56, 1, v56
	v_add_nc_u32_e32 v54, 16, v54
	;; [unrolled: 1-line block ×3, first 2 shown]
	v_cmp_lt_u32_e32 vcc_lo, 24, v56
	s_or_b32 s6, vcc_lo, s6
	s_waitcnt vmcnt(2) lgkmcnt(0)
	v_mul_f64 v[69:70], v[59:60], v[65:66]
	v_mul_f64 v[65:66], v[57:58], v[65:66]
	s_waitcnt vmcnt(0)
	v_fma_f64 v[57:58], v[57:58], v[67:68], -v[69:70]
	v_fma_f64 v[59:60], v[59:60], v[67:68], v[65:66]
	v_add_f64 v[1:2], v[1:2], v[57:58]
	v_add_f64 v[3:4], v[3:4], v[59:60]
	s_andn2_b32 exec_lo, exec_lo, s6
	s_cbranch_execnz .LBB62_1072
; %bb.1073:
	s_or_b32 exec_lo, exec_lo, s6
.LBB62_1074:
	s_or_b32 exec_lo, exec_lo, s5
	v_mov_b32_e32 v54, 0
	ds_read_b128 v[54:57], v54 offset:416
	s_waitcnt lgkmcnt(0)
	v_mul_f64 v[58:59], v[3:4], v[56:57]
	v_mul_f64 v[56:57], v[1:2], v[56:57]
	v_fma_f64 v[1:2], v[1:2], v[54:55], -v[58:59]
	v_fma_f64 v[3:4], v[3:4], v[54:55], v[56:57]
	buffer_store_dword v2, off, s[0:3], 0 offset:420
	buffer_store_dword v1, off, s[0:3], 0 offset:416
	;; [unrolled: 1-line block ×4, first 2 shown]
.LBB62_1075:
	s_or_b32 exec_lo, exec_lo, s4
	v_mov_b32_e32 v4, s45
	s_mov_b32 s4, exec_lo
	s_clause 0x3
	buffer_load_dword v1, v4, s[0:3], 0 offen
	buffer_load_dword v2, v4, s[0:3], 0 offen offset:4
	buffer_load_dword v3, v4, s[0:3], 0 offen offset:8
	;; [unrolled: 1-line block ×3, first 2 shown]
	s_waitcnt vmcnt(0)
	ds_write_b128 v48, v[1:4]
	s_waitcnt lgkmcnt(0)
	s_waitcnt_vscnt null, 0x0
	s_barrier
	buffer_gl0_inv
	v_cmpx_gt_u32_e32 27, v0
	s_cbranch_execz .LBB62_1083
; %bb.1076:
	ds_read_b128 v[1:4], v48
	v_cmp_ne_u32_e32 vcc_lo, 1, v53
	s_cbranch_vccnz .LBB62_1078
; %bb.1077:
	s_clause 0x3
	buffer_load_dword v54, v47, s[0:3], 0 offen offset:8
	buffer_load_dword v55, v47, s[0:3], 0 offen offset:12
	buffer_load_dword v56, v47, s[0:3], 0 offen
	buffer_load_dword v57, v47, s[0:3], 0 offen offset:4
	s_waitcnt vmcnt(2) lgkmcnt(0)
	v_mul_f64 v[58:59], v[3:4], v[54:55]
	v_mul_f64 v[54:55], v[1:2], v[54:55]
	s_waitcnt vmcnt(0)
	v_fma_f64 v[1:2], v[1:2], v[56:57], -v[58:59]
	v_fma_f64 v[3:4], v[3:4], v[56:57], v[54:55]
.LBB62_1078:
	s_mov_b32 s5, exec_lo
	v_cmpx_ne_u32_e32 26, v0
	s_cbranch_execz .LBB62_1082
; %bb.1079:
	v_or_b32_e32 v54, 0x400, v153
	v_add3_u32 v55, 0, v153, 16
	v_mov_b32_e32 v56, v0
	s_mov_b32 s6, 0
	.p2align	6
.LBB62_1080:                            ; =>This Inner Loop Header: Depth=1
	s_clause 0x3
	buffer_load_dword v65, v55, s[0:3], 0 offen offset:8
	buffer_load_dword v66, v55, s[0:3], 0 offen offset:12
	buffer_load_dword v67, v55, s[0:3], 0 offen
	buffer_load_dword v68, v55, s[0:3], 0 offen offset:4
	ds_read_b128 v[57:60], v54
	v_add_nc_u32_e32 v56, 1, v56
	v_add_nc_u32_e32 v54, 16, v54
	;; [unrolled: 1-line block ×3, first 2 shown]
	v_cmp_lt_u32_e32 vcc_lo, 25, v56
	s_or_b32 s6, vcc_lo, s6
	s_waitcnt vmcnt(2) lgkmcnt(0)
	v_mul_f64 v[69:70], v[59:60], v[65:66]
	v_mul_f64 v[65:66], v[57:58], v[65:66]
	s_waitcnt vmcnt(0)
	v_fma_f64 v[57:58], v[57:58], v[67:68], -v[69:70]
	v_fma_f64 v[59:60], v[59:60], v[67:68], v[65:66]
	v_add_f64 v[1:2], v[1:2], v[57:58]
	v_add_f64 v[3:4], v[3:4], v[59:60]
	s_andn2_b32 exec_lo, exec_lo, s6
	s_cbranch_execnz .LBB62_1080
; %bb.1081:
	s_or_b32 exec_lo, exec_lo, s6
.LBB62_1082:
	s_or_b32 exec_lo, exec_lo, s5
	v_mov_b32_e32 v54, 0
	ds_read_b128 v[54:57], v54 offset:432
	s_waitcnt lgkmcnt(0)
	v_mul_f64 v[58:59], v[3:4], v[56:57]
	v_mul_f64 v[56:57], v[1:2], v[56:57]
	v_fma_f64 v[1:2], v[1:2], v[54:55], -v[58:59]
	v_fma_f64 v[3:4], v[3:4], v[54:55], v[56:57]
	buffer_store_dword v2, off, s[0:3], 0 offset:436
	buffer_store_dword v1, off, s[0:3], 0 offset:432
	;; [unrolled: 1-line block ×4, first 2 shown]
.LBB62_1083:
	s_or_b32 exec_lo, exec_lo, s4
	v_mov_b32_e32 v4, s44
	s_mov_b32 s4, exec_lo
	s_clause 0x3
	buffer_load_dword v1, v4, s[0:3], 0 offen
	buffer_load_dword v2, v4, s[0:3], 0 offen offset:4
	buffer_load_dword v3, v4, s[0:3], 0 offen offset:8
	;; [unrolled: 1-line block ×3, first 2 shown]
	s_waitcnt vmcnt(0)
	ds_write_b128 v48, v[1:4]
	s_waitcnt lgkmcnt(0)
	s_waitcnt_vscnt null, 0x0
	s_barrier
	buffer_gl0_inv
	v_cmpx_gt_u32_e32 28, v0
	s_cbranch_execz .LBB62_1091
; %bb.1084:
	ds_read_b128 v[1:4], v48
	v_cmp_ne_u32_e32 vcc_lo, 1, v53
	s_cbranch_vccnz .LBB62_1086
; %bb.1085:
	s_clause 0x3
	buffer_load_dword v54, v47, s[0:3], 0 offen offset:8
	buffer_load_dword v55, v47, s[0:3], 0 offen offset:12
	buffer_load_dword v56, v47, s[0:3], 0 offen
	buffer_load_dword v57, v47, s[0:3], 0 offen offset:4
	s_waitcnt vmcnt(2) lgkmcnt(0)
	v_mul_f64 v[58:59], v[3:4], v[54:55]
	v_mul_f64 v[54:55], v[1:2], v[54:55]
	s_waitcnt vmcnt(0)
	v_fma_f64 v[1:2], v[1:2], v[56:57], -v[58:59]
	v_fma_f64 v[3:4], v[3:4], v[56:57], v[54:55]
.LBB62_1086:
	s_mov_b32 s5, exec_lo
	v_cmpx_ne_u32_e32 27, v0
	s_cbranch_execz .LBB62_1090
; %bb.1087:
	v_or_b32_e32 v54, 0x400, v153
	v_add3_u32 v55, 0, v153, 16
	v_mov_b32_e32 v56, v0
	s_mov_b32 s6, 0
	.p2align	6
.LBB62_1088:                            ; =>This Inner Loop Header: Depth=1
	s_clause 0x3
	buffer_load_dword v65, v55, s[0:3], 0 offen offset:8
	buffer_load_dword v66, v55, s[0:3], 0 offen offset:12
	buffer_load_dword v67, v55, s[0:3], 0 offen
	buffer_load_dword v68, v55, s[0:3], 0 offen offset:4
	ds_read_b128 v[57:60], v54
	v_add_nc_u32_e32 v56, 1, v56
	v_add_nc_u32_e32 v54, 16, v54
	;; [unrolled: 1-line block ×3, first 2 shown]
	v_cmp_lt_u32_e32 vcc_lo, 26, v56
	s_or_b32 s6, vcc_lo, s6
	s_waitcnt vmcnt(2) lgkmcnt(0)
	v_mul_f64 v[69:70], v[59:60], v[65:66]
	v_mul_f64 v[65:66], v[57:58], v[65:66]
	s_waitcnt vmcnt(0)
	v_fma_f64 v[57:58], v[57:58], v[67:68], -v[69:70]
	v_fma_f64 v[59:60], v[59:60], v[67:68], v[65:66]
	v_add_f64 v[1:2], v[1:2], v[57:58]
	v_add_f64 v[3:4], v[3:4], v[59:60]
	s_andn2_b32 exec_lo, exec_lo, s6
	s_cbranch_execnz .LBB62_1088
; %bb.1089:
	s_or_b32 exec_lo, exec_lo, s6
.LBB62_1090:
	s_or_b32 exec_lo, exec_lo, s5
	v_mov_b32_e32 v54, 0
	ds_read_b128 v[54:57], v54 offset:448
	s_waitcnt lgkmcnt(0)
	v_mul_f64 v[58:59], v[3:4], v[56:57]
	v_mul_f64 v[56:57], v[1:2], v[56:57]
	v_fma_f64 v[1:2], v[1:2], v[54:55], -v[58:59]
	v_fma_f64 v[3:4], v[3:4], v[54:55], v[56:57]
	buffer_store_dword v2, off, s[0:3], 0 offset:452
	buffer_store_dword v1, off, s[0:3], 0 offset:448
	;; [unrolled: 1-line block ×4, first 2 shown]
.LBB62_1091:
	s_or_b32 exec_lo, exec_lo, s4
	v_mov_b32_e32 v4, s43
	s_mov_b32 s4, exec_lo
	s_clause 0x3
	buffer_load_dword v1, v4, s[0:3], 0 offen
	buffer_load_dword v2, v4, s[0:3], 0 offen offset:4
	buffer_load_dword v3, v4, s[0:3], 0 offen offset:8
	;; [unrolled: 1-line block ×3, first 2 shown]
	s_waitcnt vmcnt(0)
	ds_write_b128 v48, v[1:4]
	s_waitcnt lgkmcnt(0)
	s_waitcnt_vscnt null, 0x0
	s_barrier
	buffer_gl0_inv
	v_cmpx_gt_u32_e32 29, v0
	s_cbranch_execz .LBB62_1099
; %bb.1092:
	ds_read_b128 v[1:4], v48
	v_cmp_ne_u32_e32 vcc_lo, 1, v53
	s_cbranch_vccnz .LBB62_1094
; %bb.1093:
	s_clause 0x3
	buffer_load_dword v54, v47, s[0:3], 0 offen offset:8
	buffer_load_dword v55, v47, s[0:3], 0 offen offset:12
	buffer_load_dword v56, v47, s[0:3], 0 offen
	buffer_load_dword v57, v47, s[0:3], 0 offen offset:4
	s_waitcnt vmcnt(2) lgkmcnt(0)
	v_mul_f64 v[58:59], v[3:4], v[54:55]
	v_mul_f64 v[54:55], v[1:2], v[54:55]
	s_waitcnt vmcnt(0)
	v_fma_f64 v[1:2], v[1:2], v[56:57], -v[58:59]
	v_fma_f64 v[3:4], v[3:4], v[56:57], v[54:55]
.LBB62_1094:
	s_mov_b32 s5, exec_lo
	v_cmpx_ne_u32_e32 28, v0
	s_cbranch_execz .LBB62_1098
; %bb.1095:
	v_or_b32_e32 v54, 0x400, v153
	v_add3_u32 v55, 0, v153, 16
	v_mov_b32_e32 v56, v0
	s_mov_b32 s6, 0
	.p2align	6
.LBB62_1096:                            ; =>This Inner Loop Header: Depth=1
	s_clause 0x3
	buffer_load_dword v65, v55, s[0:3], 0 offen offset:8
	buffer_load_dword v66, v55, s[0:3], 0 offen offset:12
	buffer_load_dword v67, v55, s[0:3], 0 offen
	buffer_load_dword v68, v55, s[0:3], 0 offen offset:4
	ds_read_b128 v[57:60], v54
	v_add_nc_u32_e32 v56, 1, v56
	v_add_nc_u32_e32 v54, 16, v54
	;; [unrolled: 1-line block ×3, first 2 shown]
	v_cmp_lt_u32_e32 vcc_lo, 27, v56
	s_or_b32 s6, vcc_lo, s6
	s_waitcnt vmcnt(2) lgkmcnt(0)
	v_mul_f64 v[69:70], v[59:60], v[65:66]
	v_mul_f64 v[65:66], v[57:58], v[65:66]
	s_waitcnt vmcnt(0)
	v_fma_f64 v[57:58], v[57:58], v[67:68], -v[69:70]
	v_fma_f64 v[59:60], v[59:60], v[67:68], v[65:66]
	v_add_f64 v[1:2], v[1:2], v[57:58]
	v_add_f64 v[3:4], v[3:4], v[59:60]
	s_andn2_b32 exec_lo, exec_lo, s6
	s_cbranch_execnz .LBB62_1096
; %bb.1097:
	s_or_b32 exec_lo, exec_lo, s6
.LBB62_1098:
	s_or_b32 exec_lo, exec_lo, s5
	v_mov_b32_e32 v54, 0
	ds_read_b128 v[54:57], v54 offset:464
	s_waitcnt lgkmcnt(0)
	v_mul_f64 v[58:59], v[3:4], v[56:57]
	v_mul_f64 v[56:57], v[1:2], v[56:57]
	v_fma_f64 v[1:2], v[1:2], v[54:55], -v[58:59]
	v_fma_f64 v[3:4], v[3:4], v[54:55], v[56:57]
	buffer_store_dword v2, off, s[0:3], 0 offset:468
	buffer_store_dword v1, off, s[0:3], 0 offset:464
	;; [unrolled: 1-line block ×4, first 2 shown]
.LBB62_1099:
	s_or_b32 exec_lo, exec_lo, s4
	v_mov_b32_e32 v4, s42
	s_mov_b32 s4, exec_lo
	s_clause 0x3
	buffer_load_dword v1, v4, s[0:3], 0 offen
	buffer_load_dword v2, v4, s[0:3], 0 offen offset:4
	buffer_load_dword v3, v4, s[0:3], 0 offen offset:8
	;; [unrolled: 1-line block ×3, first 2 shown]
	s_waitcnt vmcnt(0)
	ds_write_b128 v48, v[1:4]
	s_waitcnt lgkmcnt(0)
	s_waitcnt_vscnt null, 0x0
	s_barrier
	buffer_gl0_inv
	v_cmpx_gt_u32_e32 30, v0
	s_cbranch_execz .LBB62_1107
; %bb.1100:
	ds_read_b128 v[1:4], v48
	v_cmp_ne_u32_e32 vcc_lo, 1, v53
	s_cbranch_vccnz .LBB62_1102
; %bb.1101:
	s_clause 0x3
	buffer_load_dword v54, v47, s[0:3], 0 offen offset:8
	buffer_load_dword v55, v47, s[0:3], 0 offen offset:12
	buffer_load_dword v56, v47, s[0:3], 0 offen
	buffer_load_dword v57, v47, s[0:3], 0 offen offset:4
	s_waitcnt vmcnt(2) lgkmcnt(0)
	v_mul_f64 v[58:59], v[3:4], v[54:55]
	v_mul_f64 v[54:55], v[1:2], v[54:55]
	s_waitcnt vmcnt(0)
	v_fma_f64 v[1:2], v[1:2], v[56:57], -v[58:59]
	v_fma_f64 v[3:4], v[3:4], v[56:57], v[54:55]
.LBB62_1102:
	s_mov_b32 s5, exec_lo
	v_cmpx_ne_u32_e32 29, v0
	s_cbranch_execz .LBB62_1106
; %bb.1103:
	v_or_b32_e32 v54, 0x400, v153
	v_add3_u32 v55, 0, v153, 16
	v_mov_b32_e32 v56, v0
	s_mov_b32 s6, 0
	.p2align	6
.LBB62_1104:                            ; =>This Inner Loop Header: Depth=1
	s_clause 0x3
	buffer_load_dword v65, v55, s[0:3], 0 offen offset:8
	buffer_load_dword v66, v55, s[0:3], 0 offen offset:12
	buffer_load_dword v67, v55, s[0:3], 0 offen
	buffer_load_dword v68, v55, s[0:3], 0 offen offset:4
	ds_read_b128 v[57:60], v54
	v_add_nc_u32_e32 v56, 1, v56
	v_add_nc_u32_e32 v54, 16, v54
	;; [unrolled: 1-line block ×3, first 2 shown]
	v_cmp_lt_u32_e32 vcc_lo, 28, v56
	s_or_b32 s6, vcc_lo, s6
	s_waitcnt vmcnt(2) lgkmcnt(0)
	v_mul_f64 v[69:70], v[59:60], v[65:66]
	v_mul_f64 v[65:66], v[57:58], v[65:66]
	s_waitcnt vmcnt(0)
	v_fma_f64 v[57:58], v[57:58], v[67:68], -v[69:70]
	v_fma_f64 v[59:60], v[59:60], v[67:68], v[65:66]
	v_add_f64 v[1:2], v[1:2], v[57:58]
	v_add_f64 v[3:4], v[3:4], v[59:60]
	s_andn2_b32 exec_lo, exec_lo, s6
	s_cbranch_execnz .LBB62_1104
; %bb.1105:
	s_or_b32 exec_lo, exec_lo, s6
.LBB62_1106:
	s_or_b32 exec_lo, exec_lo, s5
	v_mov_b32_e32 v54, 0
	ds_read_b128 v[54:57], v54 offset:480
	s_waitcnt lgkmcnt(0)
	v_mul_f64 v[58:59], v[3:4], v[56:57]
	v_mul_f64 v[56:57], v[1:2], v[56:57]
	v_fma_f64 v[1:2], v[1:2], v[54:55], -v[58:59]
	v_fma_f64 v[3:4], v[3:4], v[54:55], v[56:57]
	buffer_store_dword v2, off, s[0:3], 0 offset:484
	buffer_store_dword v1, off, s[0:3], 0 offset:480
	;; [unrolled: 1-line block ×4, first 2 shown]
.LBB62_1107:
	s_or_b32 exec_lo, exec_lo, s4
	v_mov_b32_e32 v4, s41
	s_mov_b32 s4, exec_lo
	s_clause 0x3
	buffer_load_dword v1, v4, s[0:3], 0 offen
	buffer_load_dword v2, v4, s[0:3], 0 offen offset:4
	buffer_load_dword v3, v4, s[0:3], 0 offen offset:8
	;; [unrolled: 1-line block ×3, first 2 shown]
	s_waitcnt vmcnt(0)
	ds_write_b128 v48, v[1:4]
	s_waitcnt lgkmcnt(0)
	s_waitcnt_vscnt null, 0x0
	s_barrier
	buffer_gl0_inv
	v_cmpx_gt_u32_e32 31, v0
	s_cbranch_execz .LBB62_1115
; %bb.1108:
	ds_read_b128 v[1:4], v48
	v_cmp_ne_u32_e32 vcc_lo, 1, v53
	s_cbranch_vccnz .LBB62_1110
; %bb.1109:
	s_clause 0x3
	buffer_load_dword v54, v47, s[0:3], 0 offen offset:8
	buffer_load_dword v55, v47, s[0:3], 0 offen offset:12
	buffer_load_dword v56, v47, s[0:3], 0 offen
	buffer_load_dword v57, v47, s[0:3], 0 offen offset:4
	s_waitcnt vmcnt(2) lgkmcnt(0)
	v_mul_f64 v[58:59], v[3:4], v[54:55]
	v_mul_f64 v[54:55], v[1:2], v[54:55]
	s_waitcnt vmcnt(0)
	v_fma_f64 v[1:2], v[1:2], v[56:57], -v[58:59]
	v_fma_f64 v[3:4], v[3:4], v[56:57], v[54:55]
.LBB62_1110:
	s_mov_b32 s5, exec_lo
	v_cmpx_ne_u32_e32 30, v0
	s_cbranch_execz .LBB62_1114
; %bb.1111:
	v_or_b32_e32 v54, 0x400, v153
	v_add3_u32 v55, 0, v153, 16
	v_mov_b32_e32 v56, v0
	s_mov_b32 s6, 0
	.p2align	6
.LBB62_1112:                            ; =>This Inner Loop Header: Depth=1
	s_clause 0x3
	buffer_load_dword v65, v55, s[0:3], 0 offen offset:8
	buffer_load_dword v66, v55, s[0:3], 0 offen offset:12
	buffer_load_dword v67, v55, s[0:3], 0 offen
	buffer_load_dword v68, v55, s[0:3], 0 offen offset:4
	ds_read_b128 v[57:60], v54
	v_add_nc_u32_e32 v56, 1, v56
	v_add_nc_u32_e32 v54, 16, v54
	;; [unrolled: 1-line block ×3, first 2 shown]
	v_cmp_lt_u32_e32 vcc_lo, 29, v56
	s_or_b32 s6, vcc_lo, s6
	s_waitcnt vmcnt(2) lgkmcnt(0)
	v_mul_f64 v[69:70], v[59:60], v[65:66]
	v_mul_f64 v[65:66], v[57:58], v[65:66]
	s_waitcnt vmcnt(0)
	v_fma_f64 v[57:58], v[57:58], v[67:68], -v[69:70]
	v_fma_f64 v[59:60], v[59:60], v[67:68], v[65:66]
	v_add_f64 v[1:2], v[1:2], v[57:58]
	v_add_f64 v[3:4], v[3:4], v[59:60]
	s_andn2_b32 exec_lo, exec_lo, s6
	s_cbranch_execnz .LBB62_1112
; %bb.1113:
	s_or_b32 exec_lo, exec_lo, s6
.LBB62_1114:
	s_or_b32 exec_lo, exec_lo, s5
	v_mov_b32_e32 v54, 0
	ds_read_b128 v[54:57], v54 offset:496
	s_waitcnt lgkmcnt(0)
	v_mul_f64 v[58:59], v[3:4], v[56:57]
	v_mul_f64 v[56:57], v[1:2], v[56:57]
	v_fma_f64 v[1:2], v[1:2], v[54:55], -v[58:59]
	v_fma_f64 v[3:4], v[3:4], v[54:55], v[56:57]
	buffer_store_dword v2, off, s[0:3], 0 offset:500
	buffer_store_dword v1, off, s[0:3], 0 offset:496
	;; [unrolled: 1-line block ×4, first 2 shown]
.LBB62_1115:
	s_or_b32 exec_lo, exec_lo, s4
	v_mov_b32_e32 v4, s40
	s_mov_b32 s4, exec_lo
	s_clause 0x3
	buffer_load_dword v1, v4, s[0:3], 0 offen
	buffer_load_dword v2, v4, s[0:3], 0 offen offset:4
	buffer_load_dword v3, v4, s[0:3], 0 offen offset:8
	;; [unrolled: 1-line block ×3, first 2 shown]
	s_waitcnt vmcnt(0)
	ds_write_b128 v48, v[1:4]
	s_waitcnt lgkmcnt(0)
	s_waitcnt_vscnt null, 0x0
	s_barrier
	buffer_gl0_inv
	v_cmpx_gt_u32_e32 32, v0
	s_cbranch_execz .LBB62_1123
; %bb.1116:
	ds_read_b128 v[1:4], v48
	v_cmp_ne_u32_e32 vcc_lo, 1, v53
	s_cbranch_vccnz .LBB62_1118
; %bb.1117:
	s_clause 0x3
	buffer_load_dword v54, v47, s[0:3], 0 offen offset:8
	buffer_load_dword v55, v47, s[0:3], 0 offen offset:12
	buffer_load_dword v56, v47, s[0:3], 0 offen
	buffer_load_dword v57, v47, s[0:3], 0 offen offset:4
	s_waitcnt vmcnt(2) lgkmcnt(0)
	v_mul_f64 v[58:59], v[3:4], v[54:55]
	v_mul_f64 v[54:55], v[1:2], v[54:55]
	s_waitcnt vmcnt(0)
	v_fma_f64 v[1:2], v[1:2], v[56:57], -v[58:59]
	v_fma_f64 v[3:4], v[3:4], v[56:57], v[54:55]
.LBB62_1118:
	s_mov_b32 s5, exec_lo
	v_cmpx_ne_u32_e32 31, v0
	s_cbranch_execz .LBB62_1122
; %bb.1119:
	v_or_b32_e32 v54, 0x400, v153
	v_add3_u32 v55, 0, v153, 16
	v_mov_b32_e32 v56, v0
	s_mov_b32 s6, 0
	.p2align	6
.LBB62_1120:                            ; =>This Inner Loop Header: Depth=1
	s_clause 0x3
	buffer_load_dword v65, v55, s[0:3], 0 offen offset:8
	buffer_load_dword v66, v55, s[0:3], 0 offen offset:12
	buffer_load_dword v67, v55, s[0:3], 0 offen
	buffer_load_dword v68, v55, s[0:3], 0 offen offset:4
	ds_read_b128 v[57:60], v54
	v_add_nc_u32_e32 v56, 1, v56
	v_add_nc_u32_e32 v54, 16, v54
	;; [unrolled: 1-line block ×3, first 2 shown]
	v_cmp_lt_u32_e32 vcc_lo, 30, v56
	s_or_b32 s6, vcc_lo, s6
	s_waitcnt vmcnt(2) lgkmcnt(0)
	v_mul_f64 v[69:70], v[59:60], v[65:66]
	v_mul_f64 v[65:66], v[57:58], v[65:66]
	s_waitcnt vmcnt(0)
	v_fma_f64 v[57:58], v[57:58], v[67:68], -v[69:70]
	v_fma_f64 v[59:60], v[59:60], v[67:68], v[65:66]
	v_add_f64 v[1:2], v[1:2], v[57:58]
	v_add_f64 v[3:4], v[3:4], v[59:60]
	s_andn2_b32 exec_lo, exec_lo, s6
	s_cbranch_execnz .LBB62_1120
; %bb.1121:
	s_or_b32 exec_lo, exec_lo, s6
.LBB62_1122:
	s_or_b32 exec_lo, exec_lo, s5
	v_mov_b32_e32 v54, 0
	ds_read_b128 v[54:57], v54 offset:512
	s_waitcnt lgkmcnt(0)
	v_mul_f64 v[58:59], v[3:4], v[56:57]
	v_mul_f64 v[56:57], v[1:2], v[56:57]
	v_fma_f64 v[1:2], v[1:2], v[54:55], -v[58:59]
	v_fma_f64 v[3:4], v[3:4], v[54:55], v[56:57]
	buffer_store_dword v2, off, s[0:3], 0 offset:516
	buffer_store_dword v1, off, s[0:3], 0 offset:512
	buffer_store_dword v4, off, s[0:3], 0 offset:524
	buffer_store_dword v3, off, s[0:3], 0 offset:520
.LBB62_1123:
	s_or_b32 exec_lo, exec_lo, s4
	v_mov_b32_e32 v4, s39
	s_mov_b32 s4, exec_lo
	s_clause 0x3
	buffer_load_dword v1, v4, s[0:3], 0 offen
	buffer_load_dword v2, v4, s[0:3], 0 offen offset:4
	buffer_load_dword v3, v4, s[0:3], 0 offen offset:8
	;; [unrolled: 1-line block ×3, first 2 shown]
	s_waitcnt vmcnt(0)
	ds_write_b128 v48, v[1:4]
	s_waitcnt lgkmcnt(0)
	s_waitcnt_vscnt null, 0x0
	s_barrier
	buffer_gl0_inv
	v_cmpx_gt_u32_e32 33, v0
	s_cbranch_execz .LBB62_1131
; %bb.1124:
	ds_read_b128 v[1:4], v48
	v_cmp_ne_u32_e32 vcc_lo, 1, v53
	s_cbranch_vccnz .LBB62_1126
; %bb.1125:
	s_clause 0x3
	buffer_load_dword v54, v47, s[0:3], 0 offen offset:8
	buffer_load_dword v55, v47, s[0:3], 0 offen offset:12
	buffer_load_dword v56, v47, s[0:3], 0 offen
	buffer_load_dword v57, v47, s[0:3], 0 offen offset:4
	s_waitcnt vmcnt(2) lgkmcnt(0)
	v_mul_f64 v[58:59], v[3:4], v[54:55]
	v_mul_f64 v[54:55], v[1:2], v[54:55]
	s_waitcnt vmcnt(0)
	v_fma_f64 v[1:2], v[1:2], v[56:57], -v[58:59]
	v_fma_f64 v[3:4], v[3:4], v[56:57], v[54:55]
.LBB62_1126:
	s_mov_b32 s5, exec_lo
	v_cmpx_ne_u32_e32 32, v0
	s_cbranch_execz .LBB62_1130
; %bb.1127:
	v_or_b32_e32 v54, 0x400, v153
	v_add3_u32 v55, 0, v153, 16
	v_mov_b32_e32 v56, v0
	s_mov_b32 s6, 0
	.p2align	6
.LBB62_1128:                            ; =>This Inner Loop Header: Depth=1
	s_clause 0x3
	buffer_load_dword v65, v55, s[0:3], 0 offen offset:8
	buffer_load_dword v66, v55, s[0:3], 0 offen offset:12
	buffer_load_dword v67, v55, s[0:3], 0 offen
	buffer_load_dword v68, v55, s[0:3], 0 offen offset:4
	ds_read_b128 v[57:60], v54
	v_add_nc_u32_e32 v56, 1, v56
	v_add_nc_u32_e32 v54, 16, v54
	;; [unrolled: 1-line block ×3, first 2 shown]
	v_cmp_lt_u32_e32 vcc_lo, 31, v56
	s_or_b32 s6, vcc_lo, s6
	s_waitcnt vmcnt(2) lgkmcnt(0)
	v_mul_f64 v[69:70], v[59:60], v[65:66]
	v_mul_f64 v[65:66], v[57:58], v[65:66]
	s_waitcnt vmcnt(0)
	v_fma_f64 v[57:58], v[57:58], v[67:68], -v[69:70]
	v_fma_f64 v[59:60], v[59:60], v[67:68], v[65:66]
	v_add_f64 v[1:2], v[1:2], v[57:58]
	v_add_f64 v[3:4], v[3:4], v[59:60]
	s_andn2_b32 exec_lo, exec_lo, s6
	s_cbranch_execnz .LBB62_1128
; %bb.1129:
	s_or_b32 exec_lo, exec_lo, s6
.LBB62_1130:
	s_or_b32 exec_lo, exec_lo, s5
	v_mov_b32_e32 v54, 0
	ds_read_b128 v[54:57], v54 offset:528
	s_waitcnt lgkmcnt(0)
	v_mul_f64 v[58:59], v[3:4], v[56:57]
	v_mul_f64 v[56:57], v[1:2], v[56:57]
	v_fma_f64 v[1:2], v[1:2], v[54:55], -v[58:59]
	v_fma_f64 v[3:4], v[3:4], v[54:55], v[56:57]
	buffer_store_dword v2, off, s[0:3], 0 offset:532
	buffer_store_dword v1, off, s[0:3], 0 offset:528
	;; [unrolled: 1-line block ×4, first 2 shown]
.LBB62_1131:
	s_or_b32 exec_lo, exec_lo, s4
	v_mov_b32_e32 v4, s38
	s_mov_b32 s4, exec_lo
	s_clause 0x3
	buffer_load_dword v1, v4, s[0:3], 0 offen
	buffer_load_dword v2, v4, s[0:3], 0 offen offset:4
	buffer_load_dword v3, v4, s[0:3], 0 offen offset:8
	buffer_load_dword v4, v4, s[0:3], 0 offen offset:12
	s_waitcnt vmcnt(0)
	ds_write_b128 v48, v[1:4]
	s_waitcnt lgkmcnt(0)
	s_waitcnt_vscnt null, 0x0
	s_barrier
	buffer_gl0_inv
	v_cmpx_gt_u32_e32 34, v0
	s_cbranch_execz .LBB62_1139
; %bb.1132:
	ds_read_b128 v[1:4], v48
	v_cmp_ne_u32_e32 vcc_lo, 1, v53
	s_cbranch_vccnz .LBB62_1134
; %bb.1133:
	s_clause 0x3
	buffer_load_dword v54, v47, s[0:3], 0 offen offset:8
	buffer_load_dword v55, v47, s[0:3], 0 offen offset:12
	buffer_load_dword v56, v47, s[0:3], 0 offen
	buffer_load_dword v57, v47, s[0:3], 0 offen offset:4
	s_waitcnt vmcnt(2) lgkmcnt(0)
	v_mul_f64 v[58:59], v[3:4], v[54:55]
	v_mul_f64 v[54:55], v[1:2], v[54:55]
	s_waitcnt vmcnt(0)
	v_fma_f64 v[1:2], v[1:2], v[56:57], -v[58:59]
	v_fma_f64 v[3:4], v[3:4], v[56:57], v[54:55]
.LBB62_1134:
	s_mov_b32 s5, exec_lo
	v_cmpx_ne_u32_e32 33, v0
	s_cbranch_execz .LBB62_1138
; %bb.1135:
	v_or_b32_e32 v54, 0x400, v153
	v_add3_u32 v55, 0, v153, 16
	v_mov_b32_e32 v56, v0
	s_mov_b32 s6, 0
	.p2align	6
.LBB62_1136:                            ; =>This Inner Loop Header: Depth=1
	s_clause 0x3
	buffer_load_dword v65, v55, s[0:3], 0 offen offset:8
	buffer_load_dword v66, v55, s[0:3], 0 offen offset:12
	buffer_load_dword v67, v55, s[0:3], 0 offen
	buffer_load_dword v68, v55, s[0:3], 0 offen offset:4
	ds_read_b128 v[57:60], v54
	v_add_nc_u32_e32 v56, 1, v56
	v_add_nc_u32_e32 v54, 16, v54
	;; [unrolled: 1-line block ×3, first 2 shown]
	v_cmp_lt_u32_e32 vcc_lo, 32, v56
	s_or_b32 s6, vcc_lo, s6
	s_waitcnt vmcnt(2) lgkmcnt(0)
	v_mul_f64 v[69:70], v[59:60], v[65:66]
	v_mul_f64 v[65:66], v[57:58], v[65:66]
	s_waitcnt vmcnt(0)
	v_fma_f64 v[57:58], v[57:58], v[67:68], -v[69:70]
	v_fma_f64 v[59:60], v[59:60], v[67:68], v[65:66]
	v_add_f64 v[1:2], v[1:2], v[57:58]
	v_add_f64 v[3:4], v[3:4], v[59:60]
	s_andn2_b32 exec_lo, exec_lo, s6
	s_cbranch_execnz .LBB62_1136
; %bb.1137:
	s_or_b32 exec_lo, exec_lo, s6
.LBB62_1138:
	s_or_b32 exec_lo, exec_lo, s5
	v_mov_b32_e32 v54, 0
	ds_read_b128 v[54:57], v54 offset:544
	s_waitcnt lgkmcnt(0)
	v_mul_f64 v[58:59], v[3:4], v[56:57]
	v_mul_f64 v[56:57], v[1:2], v[56:57]
	v_fma_f64 v[1:2], v[1:2], v[54:55], -v[58:59]
	v_fma_f64 v[3:4], v[3:4], v[54:55], v[56:57]
	buffer_store_dword v2, off, s[0:3], 0 offset:548
	buffer_store_dword v1, off, s[0:3], 0 offset:544
	;; [unrolled: 1-line block ×4, first 2 shown]
.LBB62_1139:
	s_or_b32 exec_lo, exec_lo, s4
	v_mov_b32_e32 v4, s37
	s_mov_b32 s4, exec_lo
	s_clause 0x3
	buffer_load_dword v1, v4, s[0:3], 0 offen
	buffer_load_dword v2, v4, s[0:3], 0 offen offset:4
	buffer_load_dword v3, v4, s[0:3], 0 offen offset:8
	;; [unrolled: 1-line block ×3, first 2 shown]
	s_waitcnt vmcnt(0)
	ds_write_b128 v48, v[1:4]
	s_waitcnt lgkmcnt(0)
	s_waitcnt_vscnt null, 0x0
	s_barrier
	buffer_gl0_inv
	v_cmpx_gt_u32_e32 35, v0
	s_cbranch_execz .LBB62_1147
; %bb.1140:
	ds_read_b128 v[1:4], v48
	v_cmp_ne_u32_e32 vcc_lo, 1, v53
	s_cbranch_vccnz .LBB62_1142
; %bb.1141:
	s_clause 0x3
	buffer_load_dword v54, v47, s[0:3], 0 offen offset:8
	buffer_load_dword v55, v47, s[0:3], 0 offen offset:12
	buffer_load_dword v56, v47, s[0:3], 0 offen
	buffer_load_dword v57, v47, s[0:3], 0 offen offset:4
	s_waitcnt vmcnt(2) lgkmcnt(0)
	v_mul_f64 v[58:59], v[3:4], v[54:55]
	v_mul_f64 v[54:55], v[1:2], v[54:55]
	s_waitcnt vmcnt(0)
	v_fma_f64 v[1:2], v[1:2], v[56:57], -v[58:59]
	v_fma_f64 v[3:4], v[3:4], v[56:57], v[54:55]
.LBB62_1142:
	s_mov_b32 s5, exec_lo
	v_cmpx_ne_u32_e32 34, v0
	s_cbranch_execz .LBB62_1146
; %bb.1143:
	v_or_b32_e32 v54, 0x400, v153
	v_add3_u32 v55, 0, v153, 16
	v_mov_b32_e32 v56, v0
	s_mov_b32 s6, 0
	.p2align	6
.LBB62_1144:                            ; =>This Inner Loop Header: Depth=1
	s_clause 0x3
	buffer_load_dword v65, v55, s[0:3], 0 offen offset:8
	buffer_load_dword v66, v55, s[0:3], 0 offen offset:12
	buffer_load_dword v67, v55, s[0:3], 0 offen
	buffer_load_dword v68, v55, s[0:3], 0 offen offset:4
	ds_read_b128 v[57:60], v54
	v_add_nc_u32_e32 v56, 1, v56
	v_add_nc_u32_e32 v54, 16, v54
	;; [unrolled: 1-line block ×3, first 2 shown]
	v_cmp_lt_u32_e32 vcc_lo, 33, v56
	s_or_b32 s6, vcc_lo, s6
	s_waitcnt vmcnt(2) lgkmcnt(0)
	v_mul_f64 v[69:70], v[59:60], v[65:66]
	v_mul_f64 v[65:66], v[57:58], v[65:66]
	s_waitcnt vmcnt(0)
	v_fma_f64 v[57:58], v[57:58], v[67:68], -v[69:70]
	v_fma_f64 v[59:60], v[59:60], v[67:68], v[65:66]
	v_add_f64 v[1:2], v[1:2], v[57:58]
	v_add_f64 v[3:4], v[3:4], v[59:60]
	s_andn2_b32 exec_lo, exec_lo, s6
	s_cbranch_execnz .LBB62_1144
; %bb.1145:
	s_or_b32 exec_lo, exec_lo, s6
.LBB62_1146:
	s_or_b32 exec_lo, exec_lo, s5
	v_mov_b32_e32 v54, 0
	ds_read_b128 v[54:57], v54 offset:560
	s_waitcnt lgkmcnt(0)
	v_mul_f64 v[58:59], v[3:4], v[56:57]
	v_mul_f64 v[56:57], v[1:2], v[56:57]
	v_fma_f64 v[1:2], v[1:2], v[54:55], -v[58:59]
	v_fma_f64 v[3:4], v[3:4], v[54:55], v[56:57]
	buffer_store_dword v2, off, s[0:3], 0 offset:564
	buffer_store_dword v1, off, s[0:3], 0 offset:560
	;; [unrolled: 1-line block ×4, first 2 shown]
.LBB62_1147:
	s_or_b32 exec_lo, exec_lo, s4
	v_mov_b32_e32 v4, s36
	s_mov_b32 s4, exec_lo
	s_clause 0x3
	buffer_load_dword v1, v4, s[0:3], 0 offen
	buffer_load_dword v2, v4, s[0:3], 0 offen offset:4
	buffer_load_dword v3, v4, s[0:3], 0 offen offset:8
	buffer_load_dword v4, v4, s[0:3], 0 offen offset:12
	s_waitcnt vmcnt(0)
	ds_write_b128 v48, v[1:4]
	s_waitcnt lgkmcnt(0)
	s_waitcnt_vscnt null, 0x0
	s_barrier
	buffer_gl0_inv
	v_cmpx_gt_u32_e32 36, v0
	s_cbranch_execz .LBB62_1155
; %bb.1148:
	ds_read_b128 v[1:4], v48
	v_cmp_ne_u32_e32 vcc_lo, 1, v53
	s_cbranch_vccnz .LBB62_1150
; %bb.1149:
	s_clause 0x3
	buffer_load_dword v54, v47, s[0:3], 0 offen offset:8
	buffer_load_dword v55, v47, s[0:3], 0 offen offset:12
	buffer_load_dword v56, v47, s[0:3], 0 offen
	buffer_load_dword v57, v47, s[0:3], 0 offen offset:4
	s_waitcnt vmcnt(2) lgkmcnt(0)
	v_mul_f64 v[58:59], v[3:4], v[54:55]
	v_mul_f64 v[54:55], v[1:2], v[54:55]
	s_waitcnt vmcnt(0)
	v_fma_f64 v[1:2], v[1:2], v[56:57], -v[58:59]
	v_fma_f64 v[3:4], v[3:4], v[56:57], v[54:55]
.LBB62_1150:
	s_mov_b32 s5, exec_lo
	v_cmpx_ne_u32_e32 35, v0
	s_cbranch_execz .LBB62_1154
; %bb.1151:
	v_or_b32_e32 v54, 0x400, v153
	v_add3_u32 v55, 0, v153, 16
	v_mov_b32_e32 v56, v0
	s_mov_b32 s6, 0
	.p2align	6
.LBB62_1152:                            ; =>This Inner Loop Header: Depth=1
	s_clause 0x3
	buffer_load_dword v65, v55, s[0:3], 0 offen offset:8
	buffer_load_dword v66, v55, s[0:3], 0 offen offset:12
	buffer_load_dword v67, v55, s[0:3], 0 offen
	buffer_load_dword v68, v55, s[0:3], 0 offen offset:4
	ds_read_b128 v[57:60], v54
	v_add_nc_u32_e32 v56, 1, v56
	v_add_nc_u32_e32 v54, 16, v54
	v_add_nc_u32_e32 v55, 16, v55
	v_cmp_lt_u32_e32 vcc_lo, 34, v56
	s_or_b32 s6, vcc_lo, s6
	s_waitcnt vmcnt(2) lgkmcnt(0)
	v_mul_f64 v[69:70], v[59:60], v[65:66]
	v_mul_f64 v[65:66], v[57:58], v[65:66]
	s_waitcnt vmcnt(0)
	v_fma_f64 v[57:58], v[57:58], v[67:68], -v[69:70]
	v_fma_f64 v[59:60], v[59:60], v[67:68], v[65:66]
	v_add_f64 v[1:2], v[1:2], v[57:58]
	v_add_f64 v[3:4], v[3:4], v[59:60]
	s_andn2_b32 exec_lo, exec_lo, s6
	s_cbranch_execnz .LBB62_1152
; %bb.1153:
	s_or_b32 exec_lo, exec_lo, s6
.LBB62_1154:
	s_or_b32 exec_lo, exec_lo, s5
	v_mov_b32_e32 v54, 0
	ds_read_b128 v[54:57], v54 offset:576
	s_waitcnt lgkmcnt(0)
	v_mul_f64 v[58:59], v[3:4], v[56:57]
	v_mul_f64 v[56:57], v[1:2], v[56:57]
	v_fma_f64 v[1:2], v[1:2], v[54:55], -v[58:59]
	v_fma_f64 v[3:4], v[3:4], v[54:55], v[56:57]
	buffer_store_dword v2, off, s[0:3], 0 offset:580
	buffer_store_dword v1, off, s[0:3], 0 offset:576
	;; [unrolled: 1-line block ×4, first 2 shown]
.LBB62_1155:
	s_or_b32 exec_lo, exec_lo, s4
	v_mov_b32_e32 v4, s35
	s_mov_b32 s4, exec_lo
	s_clause 0x3
	buffer_load_dword v1, v4, s[0:3], 0 offen
	buffer_load_dword v2, v4, s[0:3], 0 offen offset:4
	buffer_load_dword v3, v4, s[0:3], 0 offen offset:8
	;; [unrolled: 1-line block ×3, first 2 shown]
	s_waitcnt vmcnt(0)
	ds_write_b128 v48, v[1:4]
	s_waitcnt lgkmcnt(0)
	s_waitcnt_vscnt null, 0x0
	s_barrier
	buffer_gl0_inv
	v_cmpx_gt_u32_e32 37, v0
	s_cbranch_execz .LBB62_1163
; %bb.1156:
	ds_read_b128 v[1:4], v48
	v_cmp_ne_u32_e32 vcc_lo, 1, v53
	s_cbranch_vccnz .LBB62_1158
; %bb.1157:
	s_clause 0x3
	buffer_load_dword v54, v47, s[0:3], 0 offen offset:8
	buffer_load_dword v55, v47, s[0:3], 0 offen offset:12
	buffer_load_dword v56, v47, s[0:3], 0 offen
	buffer_load_dword v57, v47, s[0:3], 0 offen offset:4
	s_waitcnt vmcnt(2) lgkmcnt(0)
	v_mul_f64 v[58:59], v[3:4], v[54:55]
	v_mul_f64 v[54:55], v[1:2], v[54:55]
	s_waitcnt vmcnt(0)
	v_fma_f64 v[1:2], v[1:2], v[56:57], -v[58:59]
	v_fma_f64 v[3:4], v[3:4], v[56:57], v[54:55]
.LBB62_1158:
	s_mov_b32 s5, exec_lo
	v_cmpx_ne_u32_e32 36, v0
	s_cbranch_execz .LBB62_1162
; %bb.1159:
	v_or_b32_e32 v54, 0x400, v153
	v_add3_u32 v55, 0, v153, 16
	v_mov_b32_e32 v56, v0
	s_mov_b32 s6, 0
	.p2align	6
.LBB62_1160:                            ; =>This Inner Loop Header: Depth=1
	s_clause 0x3
	buffer_load_dword v65, v55, s[0:3], 0 offen offset:8
	buffer_load_dword v66, v55, s[0:3], 0 offen offset:12
	buffer_load_dword v67, v55, s[0:3], 0 offen
	buffer_load_dword v68, v55, s[0:3], 0 offen offset:4
	ds_read_b128 v[57:60], v54
	v_add_nc_u32_e32 v56, 1, v56
	v_add_nc_u32_e32 v54, 16, v54
	;; [unrolled: 1-line block ×3, first 2 shown]
	v_cmp_lt_u32_e32 vcc_lo, 35, v56
	s_or_b32 s6, vcc_lo, s6
	s_waitcnt vmcnt(2) lgkmcnt(0)
	v_mul_f64 v[69:70], v[59:60], v[65:66]
	v_mul_f64 v[65:66], v[57:58], v[65:66]
	s_waitcnt vmcnt(0)
	v_fma_f64 v[57:58], v[57:58], v[67:68], -v[69:70]
	v_fma_f64 v[59:60], v[59:60], v[67:68], v[65:66]
	v_add_f64 v[1:2], v[1:2], v[57:58]
	v_add_f64 v[3:4], v[3:4], v[59:60]
	s_andn2_b32 exec_lo, exec_lo, s6
	s_cbranch_execnz .LBB62_1160
; %bb.1161:
	s_or_b32 exec_lo, exec_lo, s6
.LBB62_1162:
	s_or_b32 exec_lo, exec_lo, s5
	v_mov_b32_e32 v54, 0
	ds_read_b128 v[54:57], v54 offset:592
	s_waitcnt lgkmcnt(0)
	v_mul_f64 v[58:59], v[3:4], v[56:57]
	v_mul_f64 v[56:57], v[1:2], v[56:57]
	v_fma_f64 v[1:2], v[1:2], v[54:55], -v[58:59]
	v_fma_f64 v[3:4], v[3:4], v[54:55], v[56:57]
	buffer_store_dword v2, off, s[0:3], 0 offset:596
	buffer_store_dword v1, off, s[0:3], 0 offset:592
	;; [unrolled: 1-line block ×4, first 2 shown]
.LBB62_1163:
	s_or_b32 exec_lo, exec_lo, s4
	v_mov_b32_e32 v4, s34
	s_mov_b32 s4, exec_lo
	s_clause 0x3
	buffer_load_dword v1, v4, s[0:3], 0 offen
	buffer_load_dword v2, v4, s[0:3], 0 offen offset:4
	buffer_load_dword v3, v4, s[0:3], 0 offen offset:8
	;; [unrolled: 1-line block ×3, first 2 shown]
	s_waitcnt vmcnt(0)
	ds_write_b128 v48, v[1:4]
	s_waitcnt lgkmcnt(0)
	s_waitcnt_vscnt null, 0x0
	s_barrier
	buffer_gl0_inv
	v_cmpx_gt_u32_e32 38, v0
	s_cbranch_execz .LBB62_1171
; %bb.1164:
	ds_read_b128 v[1:4], v48
	v_cmp_ne_u32_e32 vcc_lo, 1, v53
	s_cbranch_vccnz .LBB62_1166
; %bb.1165:
	s_clause 0x3
	buffer_load_dword v54, v47, s[0:3], 0 offen offset:8
	buffer_load_dword v55, v47, s[0:3], 0 offen offset:12
	buffer_load_dword v56, v47, s[0:3], 0 offen
	buffer_load_dword v57, v47, s[0:3], 0 offen offset:4
	s_waitcnt vmcnt(2) lgkmcnt(0)
	v_mul_f64 v[58:59], v[3:4], v[54:55]
	v_mul_f64 v[54:55], v[1:2], v[54:55]
	s_waitcnt vmcnt(0)
	v_fma_f64 v[1:2], v[1:2], v[56:57], -v[58:59]
	v_fma_f64 v[3:4], v[3:4], v[56:57], v[54:55]
.LBB62_1166:
	s_mov_b32 s5, exec_lo
	v_cmpx_ne_u32_e32 37, v0
	s_cbranch_execz .LBB62_1170
; %bb.1167:
	v_or_b32_e32 v54, 0x400, v153
	v_add3_u32 v55, 0, v153, 16
	v_mov_b32_e32 v56, v0
	s_mov_b32 s6, 0
	.p2align	6
.LBB62_1168:                            ; =>This Inner Loop Header: Depth=1
	s_clause 0x3
	buffer_load_dword v65, v55, s[0:3], 0 offen offset:8
	buffer_load_dword v66, v55, s[0:3], 0 offen offset:12
	buffer_load_dword v67, v55, s[0:3], 0 offen
	buffer_load_dword v68, v55, s[0:3], 0 offen offset:4
	ds_read_b128 v[57:60], v54
	v_add_nc_u32_e32 v56, 1, v56
	v_add_nc_u32_e32 v54, 16, v54
	;; [unrolled: 1-line block ×3, first 2 shown]
	v_cmp_lt_u32_e32 vcc_lo, 36, v56
	s_or_b32 s6, vcc_lo, s6
	s_waitcnt vmcnt(2) lgkmcnt(0)
	v_mul_f64 v[69:70], v[59:60], v[65:66]
	v_mul_f64 v[65:66], v[57:58], v[65:66]
	s_waitcnt vmcnt(0)
	v_fma_f64 v[57:58], v[57:58], v[67:68], -v[69:70]
	v_fma_f64 v[59:60], v[59:60], v[67:68], v[65:66]
	v_add_f64 v[1:2], v[1:2], v[57:58]
	v_add_f64 v[3:4], v[3:4], v[59:60]
	s_andn2_b32 exec_lo, exec_lo, s6
	s_cbranch_execnz .LBB62_1168
; %bb.1169:
	s_or_b32 exec_lo, exec_lo, s6
.LBB62_1170:
	s_or_b32 exec_lo, exec_lo, s5
	v_mov_b32_e32 v54, 0
	ds_read_b128 v[54:57], v54 offset:608
	s_waitcnt lgkmcnt(0)
	v_mul_f64 v[58:59], v[3:4], v[56:57]
	v_mul_f64 v[56:57], v[1:2], v[56:57]
	v_fma_f64 v[1:2], v[1:2], v[54:55], -v[58:59]
	v_fma_f64 v[3:4], v[3:4], v[54:55], v[56:57]
	buffer_store_dword v2, off, s[0:3], 0 offset:612
	buffer_store_dword v1, off, s[0:3], 0 offset:608
	;; [unrolled: 1-line block ×4, first 2 shown]
.LBB62_1171:
	s_or_b32 exec_lo, exec_lo, s4
	v_mov_b32_e32 v4, s33
	s_mov_b32 s4, exec_lo
	s_clause 0x3
	buffer_load_dword v1, v4, s[0:3], 0 offen
	buffer_load_dword v2, v4, s[0:3], 0 offen offset:4
	buffer_load_dword v3, v4, s[0:3], 0 offen offset:8
	;; [unrolled: 1-line block ×3, first 2 shown]
	s_waitcnt vmcnt(0)
	ds_write_b128 v48, v[1:4]
	s_waitcnt lgkmcnt(0)
	s_waitcnt_vscnt null, 0x0
	s_barrier
	buffer_gl0_inv
	v_cmpx_gt_u32_e32 39, v0
	s_cbranch_execz .LBB62_1179
; %bb.1172:
	ds_read_b128 v[1:4], v48
	v_cmp_ne_u32_e32 vcc_lo, 1, v53
	s_cbranch_vccnz .LBB62_1174
; %bb.1173:
	s_clause 0x3
	buffer_load_dword v54, v47, s[0:3], 0 offen offset:8
	buffer_load_dword v55, v47, s[0:3], 0 offen offset:12
	buffer_load_dword v56, v47, s[0:3], 0 offen
	buffer_load_dword v57, v47, s[0:3], 0 offen offset:4
	s_waitcnt vmcnt(2) lgkmcnt(0)
	v_mul_f64 v[58:59], v[3:4], v[54:55]
	v_mul_f64 v[54:55], v[1:2], v[54:55]
	s_waitcnt vmcnt(0)
	v_fma_f64 v[1:2], v[1:2], v[56:57], -v[58:59]
	v_fma_f64 v[3:4], v[3:4], v[56:57], v[54:55]
.LBB62_1174:
	s_mov_b32 s5, exec_lo
	v_cmpx_ne_u32_e32 38, v0
	s_cbranch_execz .LBB62_1178
; %bb.1175:
	v_or_b32_e32 v54, 0x400, v153
	v_add3_u32 v55, 0, v153, 16
	v_mov_b32_e32 v56, v0
	s_mov_b32 s6, 0
	.p2align	6
.LBB62_1176:                            ; =>This Inner Loop Header: Depth=1
	s_clause 0x3
	buffer_load_dword v65, v55, s[0:3], 0 offen offset:8
	buffer_load_dword v66, v55, s[0:3], 0 offen offset:12
	buffer_load_dword v67, v55, s[0:3], 0 offen
	buffer_load_dword v68, v55, s[0:3], 0 offen offset:4
	ds_read_b128 v[57:60], v54
	v_add_nc_u32_e32 v56, 1, v56
	v_add_nc_u32_e32 v54, 16, v54
	;; [unrolled: 1-line block ×3, first 2 shown]
	v_cmp_lt_u32_e32 vcc_lo, 37, v56
	s_or_b32 s6, vcc_lo, s6
	s_waitcnt vmcnt(2) lgkmcnt(0)
	v_mul_f64 v[69:70], v[59:60], v[65:66]
	v_mul_f64 v[65:66], v[57:58], v[65:66]
	s_waitcnt vmcnt(0)
	v_fma_f64 v[57:58], v[57:58], v[67:68], -v[69:70]
	v_fma_f64 v[59:60], v[59:60], v[67:68], v[65:66]
	v_add_f64 v[1:2], v[1:2], v[57:58]
	v_add_f64 v[3:4], v[3:4], v[59:60]
	s_andn2_b32 exec_lo, exec_lo, s6
	s_cbranch_execnz .LBB62_1176
; %bb.1177:
	s_or_b32 exec_lo, exec_lo, s6
.LBB62_1178:
	s_or_b32 exec_lo, exec_lo, s5
	v_mov_b32_e32 v54, 0
	ds_read_b128 v[54:57], v54 offset:624
	s_waitcnt lgkmcnt(0)
	v_mul_f64 v[58:59], v[3:4], v[56:57]
	v_mul_f64 v[56:57], v[1:2], v[56:57]
	v_fma_f64 v[1:2], v[1:2], v[54:55], -v[58:59]
	v_fma_f64 v[3:4], v[3:4], v[54:55], v[56:57]
	buffer_store_dword v2, off, s[0:3], 0 offset:628
	buffer_store_dword v1, off, s[0:3], 0 offset:624
	;; [unrolled: 1-line block ×4, first 2 shown]
.LBB62_1179:
	s_or_b32 exec_lo, exec_lo, s4
	v_mov_b32_e32 v4, s31
	s_mov_b32 s4, exec_lo
	s_clause 0x3
	buffer_load_dword v1, v4, s[0:3], 0 offen
	buffer_load_dword v2, v4, s[0:3], 0 offen offset:4
	buffer_load_dword v3, v4, s[0:3], 0 offen offset:8
	buffer_load_dword v4, v4, s[0:3], 0 offen offset:12
	s_waitcnt vmcnt(0)
	ds_write_b128 v48, v[1:4]
	s_waitcnt lgkmcnt(0)
	s_waitcnt_vscnt null, 0x0
	s_barrier
	buffer_gl0_inv
	v_cmpx_gt_u32_e32 40, v0
	s_cbranch_execz .LBB62_1187
; %bb.1180:
	ds_read_b128 v[1:4], v48
	v_cmp_ne_u32_e32 vcc_lo, 1, v53
	s_cbranch_vccnz .LBB62_1182
; %bb.1181:
	s_clause 0x3
	buffer_load_dword v54, v47, s[0:3], 0 offen offset:8
	buffer_load_dword v55, v47, s[0:3], 0 offen offset:12
	buffer_load_dword v56, v47, s[0:3], 0 offen
	buffer_load_dword v57, v47, s[0:3], 0 offen offset:4
	s_waitcnt vmcnt(2) lgkmcnt(0)
	v_mul_f64 v[58:59], v[3:4], v[54:55]
	v_mul_f64 v[54:55], v[1:2], v[54:55]
	s_waitcnt vmcnt(0)
	v_fma_f64 v[1:2], v[1:2], v[56:57], -v[58:59]
	v_fma_f64 v[3:4], v[3:4], v[56:57], v[54:55]
.LBB62_1182:
	s_mov_b32 s5, exec_lo
	v_cmpx_ne_u32_e32 39, v0
	s_cbranch_execz .LBB62_1186
; %bb.1183:
	v_or_b32_e32 v54, 0x400, v153
	v_add3_u32 v55, 0, v153, 16
	v_mov_b32_e32 v56, v0
	s_mov_b32 s6, 0
	.p2align	6
.LBB62_1184:                            ; =>This Inner Loop Header: Depth=1
	s_clause 0x3
	buffer_load_dword v65, v55, s[0:3], 0 offen offset:8
	buffer_load_dword v66, v55, s[0:3], 0 offen offset:12
	buffer_load_dword v67, v55, s[0:3], 0 offen
	buffer_load_dword v68, v55, s[0:3], 0 offen offset:4
	ds_read_b128 v[57:60], v54
	v_add_nc_u32_e32 v56, 1, v56
	v_add_nc_u32_e32 v54, 16, v54
	v_add_nc_u32_e32 v55, 16, v55
	v_cmp_lt_u32_e32 vcc_lo, 38, v56
	s_or_b32 s6, vcc_lo, s6
	s_waitcnt vmcnt(2) lgkmcnt(0)
	v_mul_f64 v[69:70], v[59:60], v[65:66]
	v_mul_f64 v[65:66], v[57:58], v[65:66]
	s_waitcnt vmcnt(0)
	v_fma_f64 v[57:58], v[57:58], v[67:68], -v[69:70]
	v_fma_f64 v[59:60], v[59:60], v[67:68], v[65:66]
	v_add_f64 v[1:2], v[1:2], v[57:58]
	v_add_f64 v[3:4], v[3:4], v[59:60]
	s_andn2_b32 exec_lo, exec_lo, s6
	s_cbranch_execnz .LBB62_1184
; %bb.1185:
	s_or_b32 exec_lo, exec_lo, s6
.LBB62_1186:
	s_or_b32 exec_lo, exec_lo, s5
	v_mov_b32_e32 v54, 0
	ds_read_b128 v[54:57], v54 offset:640
	s_waitcnt lgkmcnt(0)
	v_mul_f64 v[58:59], v[3:4], v[56:57]
	v_mul_f64 v[56:57], v[1:2], v[56:57]
	v_fma_f64 v[1:2], v[1:2], v[54:55], -v[58:59]
	v_fma_f64 v[3:4], v[3:4], v[54:55], v[56:57]
	buffer_store_dword v2, off, s[0:3], 0 offset:644
	buffer_store_dword v1, off, s[0:3], 0 offset:640
	;; [unrolled: 1-line block ×4, first 2 shown]
.LBB62_1187:
	s_or_b32 exec_lo, exec_lo, s4
	v_mov_b32_e32 v4, s30
	s_mov_b32 s4, exec_lo
	s_clause 0x3
	buffer_load_dword v1, v4, s[0:3], 0 offen
	buffer_load_dword v2, v4, s[0:3], 0 offen offset:4
	buffer_load_dword v3, v4, s[0:3], 0 offen offset:8
	;; [unrolled: 1-line block ×3, first 2 shown]
	s_waitcnt vmcnt(0)
	ds_write_b128 v48, v[1:4]
	s_waitcnt lgkmcnt(0)
	s_waitcnt_vscnt null, 0x0
	s_barrier
	buffer_gl0_inv
	v_cmpx_gt_u32_e32 41, v0
	s_cbranch_execz .LBB62_1195
; %bb.1188:
	ds_read_b128 v[1:4], v48
	v_cmp_ne_u32_e32 vcc_lo, 1, v53
	s_cbranch_vccnz .LBB62_1190
; %bb.1189:
	s_clause 0x3
	buffer_load_dword v54, v47, s[0:3], 0 offen offset:8
	buffer_load_dword v55, v47, s[0:3], 0 offen offset:12
	buffer_load_dword v56, v47, s[0:3], 0 offen
	buffer_load_dword v57, v47, s[0:3], 0 offen offset:4
	s_waitcnt vmcnt(2) lgkmcnt(0)
	v_mul_f64 v[58:59], v[3:4], v[54:55]
	v_mul_f64 v[54:55], v[1:2], v[54:55]
	s_waitcnt vmcnt(0)
	v_fma_f64 v[1:2], v[1:2], v[56:57], -v[58:59]
	v_fma_f64 v[3:4], v[3:4], v[56:57], v[54:55]
.LBB62_1190:
	s_mov_b32 s5, exec_lo
	v_cmpx_ne_u32_e32 40, v0
	s_cbranch_execz .LBB62_1194
; %bb.1191:
	v_or_b32_e32 v54, 0x400, v153
	v_add3_u32 v55, 0, v153, 16
	v_mov_b32_e32 v56, v0
	s_mov_b32 s6, 0
	.p2align	6
.LBB62_1192:                            ; =>This Inner Loop Header: Depth=1
	s_clause 0x3
	buffer_load_dword v65, v55, s[0:3], 0 offen offset:8
	buffer_load_dword v66, v55, s[0:3], 0 offen offset:12
	buffer_load_dword v67, v55, s[0:3], 0 offen
	buffer_load_dword v68, v55, s[0:3], 0 offen offset:4
	ds_read_b128 v[57:60], v54
	v_add_nc_u32_e32 v56, 1, v56
	v_add_nc_u32_e32 v54, 16, v54
	v_add_nc_u32_e32 v55, 16, v55
	v_cmp_lt_u32_e32 vcc_lo, 39, v56
	s_or_b32 s6, vcc_lo, s6
	s_waitcnt vmcnt(2) lgkmcnt(0)
	v_mul_f64 v[69:70], v[59:60], v[65:66]
	v_mul_f64 v[65:66], v[57:58], v[65:66]
	s_waitcnt vmcnt(0)
	v_fma_f64 v[57:58], v[57:58], v[67:68], -v[69:70]
	v_fma_f64 v[59:60], v[59:60], v[67:68], v[65:66]
	v_add_f64 v[1:2], v[1:2], v[57:58]
	v_add_f64 v[3:4], v[3:4], v[59:60]
	s_andn2_b32 exec_lo, exec_lo, s6
	s_cbranch_execnz .LBB62_1192
; %bb.1193:
	s_or_b32 exec_lo, exec_lo, s6
.LBB62_1194:
	s_or_b32 exec_lo, exec_lo, s5
	v_mov_b32_e32 v54, 0
	ds_read_b128 v[54:57], v54 offset:656
	s_waitcnt lgkmcnt(0)
	v_mul_f64 v[58:59], v[3:4], v[56:57]
	v_mul_f64 v[56:57], v[1:2], v[56:57]
	v_fma_f64 v[1:2], v[1:2], v[54:55], -v[58:59]
	v_fma_f64 v[3:4], v[3:4], v[54:55], v[56:57]
	buffer_store_dword v2, off, s[0:3], 0 offset:660
	buffer_store_dword v1, off, s[0:3], 0 offset:656
	;; [unrolled: 1-line block ×4, first 2 shown]
.LBB62_1195:
	s_or_b32 exec_lo, exec_lo, s4
	v_mov_b32_e32 v4, s29
	s_mov_b32 s4, exec_lo
	s_clause 0x3
	buffer_load_dword v1, v4, s[0:3], 0 offen
	buffer_load_dword v2, v4, s[0:3], 0 offen offset:4
	buffer_load_dword v3, v4, s[0:3], 0 offen offset:8
	;; [unrolled: 1-line block ×3, first 2 shown]
	s_waitcnt vmcnt(0)
	ds_write_b128 v48, v[1:4]
	s_waitcnt lgkmcnt(0)
	s_waitcnt_vscnt null, 0x0
	s_barrier
	buffer_gl0_inv
	v_cmpx_gt_u32_e32 42, v0
	s_cbranch_execz .LBB62_1203
; %bb.1196:
	ds_read_b128 v[1:4], v48
	v_cmp_ne_u32_e32 vcc_lo, 1, v53
	s_cbranch_vccnz .LBB62_1198
; %bb.1197:
	s_clause 0x3
	buffer_load_dword v54, v47, s[0:3], 0 offen offset:8
	buffer_load_dword v55, v47, s[0:3], 0 offen offset:12
	buffer_load_dword v56, v47, s[0:3], 0 offen
	buffer_load_dword v57, v47, s[0:3], 0 offen offset:4
	s_waitcnt vmcnt(2) lgkmcnt(0)
	v_mul_f64 v[58:59], v[3:4], v[54:55]
	v_mul_f64 v[54:55], v[1:2], v[54:55]
	s_waitcnt vmcnt(0)
	v_fma_f64 v[1:2], v[1:2], v[56:57], -v[58:59]
	v_fma_f64 v[3:4], v[3:4], v[56:57], v[54:55]
.LBB62_1198:
	s_mov_b32 s5, exec_lo
	v_cmpx_ne_u32_e32 41, v0
	s_cbranch_execz .LBB62_1202
; %bb.1199:
	v_or_b32_e32 v54, 0x400, v153
	v_add3_u32 v55, 0, v153, 16
	v_mov_b32_e32 v56, v0
	s_mov_b32 s6, 0
	.p2align	6
.LBB62_1200:                            ; =>This Inner Loop Header: Depth=1
	s_clause 0x3
	buffer_load_dword v65, v55, s[0:3], 0 offen offset:8
	buffer_load_dword v66, v55, s[0:3], 0 offen offset:12
	buffer_load_dword v67, v55, s[0:3], 0 offen
	buffer_load_dword v68, v55, s[0:3], 0 offen offset:4
	ds_read_b128 v[57:60], v54
	v_add_nc_u32_e32 v56, 1, v56
	v_add_nc_u32_e32 v54, 16, v54
	;; [unrolled: 1-line block ×3, first 2 shown]
	v_cmp_lt_u32_e32 vcc_lo, 40, v56
	s_or_b32 s6, vcc_lo, s6
	s_waitcnt vmcnt(2) lgkmcnt(0)
	v_mul_f64 v[69:70], v[59:60], v[65:66]
	v_mul_f64 v[65:66], v[57:58], v[65:66]
	s_waitcnt vmcnt(0)
	v_fma_f64 v[57:58], v[57:58], v[67:68], -v[69:70]
	v_fma_f64 v[59:60], v[59:60], v[67:68], v[65:66]
	v_add_f64 v[1:2], v[1:2], v[57:58]
	v_add_f64 v[3:4], v[3:4], v[59:60]
	s_andn2_b32 exec_lo, exec_lo, s6
	s_cbranch_execnz .LBB62_1200
; %bb.1201:
	s_or_b32 exec_lo, exec_lo, s6
.LBB62_1202:
	s_or_b32 exec_lo, exec_lo, s5
	v_mov_b32_e32 v54, 0
	ds_read_b128 v[54:57], v54 offset:672
	s_waitcnt lgkmcnt(0)
	v_mul_f64 v[58:59], v[3:4], v[56:57]
	v_mul_f64 v[56:57], v[1:2], v[56:57]
	v_fma_f64 v[1:2], v[1:2], v[54:55], -v[58:59]
	v_fma_f64 v[3:4], v[3:4], v[54:55], v[56:57]
	buffer_store_dword v2, off, s[0:3], 0 offset:676
	buffer_store_dword v1, off, s[0:3], 0 offset:672
	;; [unrolled: 1-line block ×4, first 2 shown]
.LBB62_1203:
	s_or_b32 exec_lo, exec_lo, s4
	v_mov_b32_e32 v4, s28
	s_mov_b32 s4, exec_lo
	s_clause 0x3
	buffer_load_dword v1, v4, s[0:3], 0 offen
	buffer_load_dword v2, v4, s[0:3], 0 offen offset:4
	buffer_load_dword v3, v4, s[0:3], 0 offen offset:8
	;; [unrolled: 1-line block ×3, first 2 shown]
	s_waitcnt vmcnt(0)
	ds_write_b128 v48, v[1:4]
	s_waitcnt lgkmcnt(0)
	s_waitcnt_vscnt null, 0x0
	s_barrier
	buffer_gl0_inv
	v_cmpx_gt_u32_e32 43, v0
	s_cbranch_execz .LBB62_1211
; %bb.1204:
	ds_read_b128 v[1:4], v48
	v_cmp_ne_u32_e32 vcc_lo, 1, v53
	s_cbranch_vccnz .LBB62_1206
; %bb.1205:
	s_clause 0x3
	buffer_load_dword v54, v47, s[0:3], 0 offen offset:8
	buffer_load_dword v55, v47, s[0:3], 0 offen offset:12
	buffer_load_dword v56, v47, s[0:3], 0 offen
	buffer_load_dword v57, v47, s[0:3], 0 offen offset:4
	s_waitcnt vmcnt(2) lgkmcnt(0)
	v_mul_f64 v[58:59], v[3:4], v[54:55]
	v_mul_f64 v[54:55], v[1:2], v[54:55]
	s_waitcnt vmcnt(0)
	v_fma_f64 v[1:2], v[1:2], v[56:57], -v[58:59]
	v_fma_f64 v[3:4], v[3:4], v[56:57], v[54:55]
.LBB62_1206:
	s_mov_b32 s5, exec_lo
	v_cmpx_ne_u32_e32 42, v0
	s_cbranch_execz .LBB62_1210
; %bb.1207:
	v_or_b32_e32 v54, 0x400, v153
	v_add3_u32 v55, 0, v153, 16
	v_mov_b32_e32 v56, v0
	s_mov_b32 s6, 0
	.p2align	6
.LBB62_1208:                            ; =>This Inner Loop Header: Depth=1
	s_clause 0x3
	buffer_load_dword v65, v55, s[0:3], 0 offen offset:8
	buffer_load_dword v66, v55, s[0:3], 0 offen offset:12
	buffer_load_dword v67, v55, s[0:3], 0 offen
	buffer_load_dword v68, v55, s[0:3], 0 offen offset:4
	ds_read_b128 v[57:60], v54
	v_add_nc_u32_e32 v56, 1, v56
	v_add_nc_u32_e32 v54, 16, v54
	;; [unrolled: 1-line block ×3, first 2 shown]
	v_cmp_lt_u32_e32 vcc_lo, 41, v56
	s_or_b32 s6, vcc_lo, s6
	s_waitcnt vmcnt(2) lgkmcnt(0)
	v_mul_f64 v[69:70], v[59:60], v[65:66]
	v_mul_f64 v[65:66], v[57:58], v[65:66]
	s_waitcnt vmcnt(0)
	v_fma_f64 v[57:58], v[57:58], v[67:68], -v[69:70]
	v_fma_f64 v[59:60], v[59:60], v[67:68], v[65:66]
	v_add_f64 v[1:2], v[1:2], v[57:58]
	v_add_f64 v[3:4], v[3:4], v[59:60]
	s_andn2_b32 exec_lo, exec_lo, s6
	s_cbranch_execnz .LBB62_1208
; %bb.1209:
	s_or_b32 exec_lo, exec_lo, s6
.LBB62_1210:
	s_or_b32 exec_lo, exec_lo, s5
	v_mov_b32_e32 v54, 0
	ds_read_b128 v[54:57], v54 offset:688
	s_waitcnt lgkmcnt(0)
	v_mul_f64 v[58:59], v[3:4], v[56:57]
	v_mul_f64 v[56:57], v[1:2], v[56:57]
	v_fma_f64 v[1:2], v[1:2], v[54:55], -v[58:59]
	v_fma_f64 v[3:4], v[3:4], v[54:55], v[56:57]
	buffer_store_dword v2, off, s[0:3], 0 offset:692
	buffer_store_dword v1, off, s[0:3], 0 offset:688
	;; [unrolled: 1-line block ×4, first 2 shown]
.LBB62_1211:
	s_or_b32 exec_lo, exec_lo, s4
	v_mov_b32_e32 v4, s27
	s_mov_b32 s4, exec_lo
	s_clause 0x3
	buffer_load_dword v1, v4, s[0:3], 0 offen
	buffer_load_dword v2, v4, s[0:3], 0 offen offset:4
	buffer_load_dword v3, v4, s[0:3], 0 offen offset:8
	;; [unrolled: 1-line block ×3, first 2 shown]
	s_waitcnt vmcnt(0)
	ds_write_b128 v48, v[1:4]
	s_waitcnt lgkmcnt(0)
	s_waitcnt_vscnt null, 0x0
	s_barrier
	buffer_gl0_inv
	v_cmpx_gt_u32_e32 44, v0
	s_cbranch_execz .LBB62_1219
; %bb.1212:
	ds_read_b128 v[1:4], v48
	v_cmp_ne_u32_e32 vcc_lo, 1, v53
	s_cbranch_vccnz .LBB62_1214
; %bb.1213:
	s_clause 0x3
	buffer_load_dword v54, v47, s[0:3], 0 offen offset:8
	buffer_load_dword v55, v47, s[0:3], 0 offen offset:12
	buffer_load_dword v56, v47, s[0:3], 0 offen
	buffer_load_dword v57, v47, s[0:3], 0 offen offset:4
	s_waitcnt vmcnt(2) lgkmcnt(0)
	v_mul_f64 v[58:59], v[3:4], v[54:55]
	v_mul_f64 v[54:55], v[1:2], v[54:55]
	s_waitcnt vmcnt(0)
	v_fma_f64 v[1:2], v[1:2], v[56:57], -v[58:59]
	v_fma_f64 v[3:4], v[3:4], v[56:57], v[54:55]
.LBB62_1214:
	s_mov_b32 s5, exec_lo
	v_cmpx_ne_u32_e32 43, v0
	s_cbranch_execz .LBB62_1218
; %bb.1215:
	v_or_b32_e32 v54, 0x400, v153
	v_add3_u32 v55, 0, v153, 16
	v_mov_b32_e32 v56, v0
	s_mov_b32 s6, 0
	.p2align	6
.LBB62_1216:                            ; =>This Inner Loop Header: Depth=1
	s_clause 0x3
	buffer_load_dword v65, v55, s[0:3], 0 offen offset:8
	buffer_load_dword v66, v55, s[0:3], 0 offen offset:12
	buffer_load_dword v67, v55, s[0:3], 0 offen
	buffer_load_dword v68, v55, s[0:3], 0 offen offset:4
	ds_read_b128 v[57:60], v54
	v_add_nc_u32_e32 v56, 1, v56
	v_add_nc_u32_e32 v54, 16, v54
	;; [unrolled: 1-line block ×3, first 2 shown]
	v_cmp_lt_u32_e32 vcc_lo, 42, v56
	s_or_b32 s6, vcc_lo, s6
	s_waitcnt vmcnt(2) lgkmcnt(0)
	v_mul_f64 v[69:70], v[59:60], v[65:66]
	v_mul_f64 v[65:66], v[57:58], v[65:66]
	s_waitcnt vmcnt(0)
	v_fma_f64 v[57:58], v[57:58], v[67:68], -v[69:70]
	v_fma_f64 v[59:60], v[59:60], v[67:68], v[65:66]
	v_add_f64 v[1:2], v[1:2], v[57:58]
	v_add_f64 v[3:4], v[3:4], v[59:60]
	s_andn2_b32 exec_lo, exec_lo, s6
	s_cbranch_execnz .LBB62_1216
; %bb.1217:
	s_or_b32 exec_lo, exec_lo, s6
.LBB62_1218:
	s_or_b32 exec_lo, exec_lo, s5
	v_mov_b32_e32 v54, 0
	ds_read_b128 v[54:57], v54 offset:704
	s_waitcnt lgkmcnt(0)
	v_mul_f64 v[58:59], v[3:4], v[56:57]
	v_mul_f64 v[56:57], v[1:2], v[56:57]
	v_fma_f64 v[1:2], v[1:2], v[54:55], -v[58:59]
	v_fma_f64 v[3:4], v[3:4], v[54:55], v[56:57]
	buffer_store_dword v2, off, s[0:3], 0 offset:708
	buffer_store_dword v1, off, s[0:3], 0 offset:704
	;; [unrolled: 1-line block ×4, first 2 shown]
.LBB62_1219:
	s_or_b32 exec_lo, exec_lo, s4
	v_mov_b32_e32 v4, s26
	s_mov_b32 s4, exec_lo
	s_clause 0x3
	buffer_load_dword v1, v4, s[0:3], 0 offen
	buffer_load_dword v2, v4, s[0:3], 0 offen offset:4
	buffer_load_dword v3, v4, s[0:3], 0 offen offset:8
	;; [unrolled: 1-line block ×3, first 2 shown]
	s_waitcnt vmcnt(0)
	ds_write_b128 v48, v[1:4]
	s_waitcnt lgkmcnt(0)
	s_waitcnt_vscnt null, 0x0
	s_barrier
	buffer_gl0_inv
	v_cmpx_gt_u32_e32 45, v0
	s_cbranch_execz .LBB62_1227
; %bb.1220:
	ds_read_b128 v[1:4], v48
	v_cmp_ne_u32_e32 vcc_lo, 1, v53
	s_cbranch_vccnz .LBB62_1222
; %bb.1221:
	s_clause 0x3
	buffer_load_dword v54, v47, s[0:3], 0 offen offset:8
	buffer_load_dword v55, v47, s[0:3], 0 offen offset:12
	buffer_load_dword v56, v47, s[0:3], 0 offen
	buffer_load_dword v57, v47, s[0:3], 0 offen offset:4
	s_waitcnt vmcnt(2) lgkmcnt(0)
	v_mul_f64 v[58:59], v[3:4], v[54:55]
	v_mul_f64 v[54:55], v[1:2], v[54:55]
	s_waitcnt vmcnt(0)
	v_fma_f64 v[1:2], v[1:2], v[56:57], -v[58:59]
	v_fma_f64 v[3:4], v[3:4], v[56:57], v[54:55]
.LBB62_1222:
	s_mov_b32 s5, exec_lo
	v_cmpx_ne_u32_e32 44, v0
	s_cbranch_execz .LBB62_1226
; %bb.1223:
	v_or_b32_e32 v54, 0x400, v153
	v_add3_u32 v55, 0, v153, 16
	v_mov_b32_e32 v56, v0
	s_mov_b32 s6, 0
	.p2align	6
.LBB62_1224:                            ; =>This Inner Loop Header: Depth=1
	s_clause 0x3
	buffer_load_dword v65, v55, s[0:3], 0 offen offset:8
	buffer_load_dword v66, v55, s[0:3], 0 offen offset:12
	buffer_load_dword v67, v55, s[0:3], 0 offen
	buffer_load_dword v68, v55, s[0:3], 0 offen offset:4
	ds_read_b128 v[57:60], v54
	v_add_nc_u32_e32 v56, 1, v56
	v_add_nc_u32_e32 v54, 16, v54
	v_add_nc_u32_e32 v55, 16, v55
	v_cmp_lt_u32_e32 vcc_lo, 43, v56
	s_or_b32 s6, vcc_lo, s6
	s_waitcnt vmcnt(2) lgkmcnt(0)
	v_mul_f64 v[69:70], v[59:60], v[65:66]
	v_mul_f64 v[65:66], v[57:58], v[65:66]
	s_waitcnt vmcnt(0)
	v_fma_f64 v[57:58], v[57:58], v[67:68], -v[69:70]
	v_fma_f64 v[59:60], v[59:60], v[67:68], v[65:66]
	v_add_f64 v[1:2], v[1:2], v[57:58]
	v_add_f64 v[3:4], v[3:4], v[59:60]
	s_andn2_b32 exec_lo, exec_lo, s6
	s_cbranch_execnz .LBB62_1224
; %bb.1225:
	s_or_b32 exec_lo, exec_lo, s6
.LBB62_1226:
	s_or_b32 exec_lo, exec_lo, s5
	v_mov_b32_e32 v54, 0
	ds_read_b128 v[54:57], v54 offset:720
	s_waitcnt lgkmcnt(0)
	v_mul_f64 v[58:59], v[3:4], v[56:57]
	v_mul_f64 v[56:57], v[1:2], v[56:57]
	v_fma_f64 v[1:2], v[1:2], v[54:55], -v[58:59]
	v_fma_f64 v[3:4], v[3:4], v[54:55], v[56:57]
	buffer_store_dword v2, off, s[0:3], 0 offset:724
	buffer_store_dword v1, off, s[0:3], 0 offset:720
	buffer_store_dword v4, off, s[0:3], 0 offset:732
	buffer_store_dword v3, off, s[0:3], 0 offset:728
.LBB62_1227:
	s_or_b32 exec_lo, exec_lo, s4
	v_mov_b32_e32 v4, s25
	s_mov_b32 s4, exec_lo
	s_clause 0x3
	buffer_load_dword v1, v4, s[0:3], 0 offen
	buffer_load_dword v2, v4, s[0:3], 0 offen offset:4
	buffer_load_dword v3, v4, s[0:3], 0 offen offset:8
	;; [unrolled: 1-line block ×3, first 2 shown]
	s_waitcnt vmcnt(0)
	ds_write_b128 v48, v[1:4]
	s_waitcnt lgkmcnt(0)
	s_waitcnt_vscnt null, 0x0
	s_barrier
	buffer_gl0_inv
	v_cmpx_gt_u32_e32 46, v0
	s_cbranch_execz .LBB62_1235
; %bb.1228:
	ds_read_b128 v[1:4], v48
	v_cmp_ne_u32_e32 vcc_lo, 1, v53
	s_cbranch_vccnz .LBB62_1230
; %bb.1229:
	s_clause 0x3
	buffer_load_dword v54, v47, s[0:3], 0 offen offset:8
	buffer_load_dword v55, v47, s[0:3], 0 offen offset:12
	buffer_load_dword v56, v47, s[0:3], 0 offen
	buffer_load_dword v57, v47, s[0:3], 0 offen offset:4
	s_waitcnt vmcnt(2) lgkmcnt(0)
	v_mul_f64 v[58:59], v[3:4], v[54:55]
	v_mul_f64 v[54:55], v[1:2], v[54:55]
	s_waitcnt vmcnt(0)
	v_fma_f64 v[1:2], v[1:2], v[56:57], -v[58:59]
	v_fma_f64 v[3:4], v[3:4], v[56:57], v[54:55]
.LBB62_1230:
	s_mov_b32 s5, exec_lo
	v_cmpx_ne_u32_e32 45, v0
	s_cbranch_execz .LBB62_1234
; %bb.1231:
	v_or_b32_e32 v54, 0x400, v153
	v_add3_u32 v55, 0, v153, 16
	v_mov_b32_e32 v56, v0
	s_mov_b32 s6, 0
	.p2align	6
.LBB62_1232:                            ; =>This Inner Loop Header: Depth=1
	s_clause 0x3
	buffer_load_dword v65, v55, s[0:3], 0 offen offset:8
	buffer_load_dword v66, v55, s[0:3], 0 offen offset:12
	buffer_load_dword v67, v55, s[0:3], 0 offen
	buffer_load_dword v68, v55, s[0:3], 0 offen offset:4
	ds_read_b128 v[57:60], v54
	v_add_nc_u32_e32 v56, 1, v56
	v_add_nc_u32_e32 v54, 16, v54
	;; [unrolled: 1-line block ×3, first 2 shown]
	v_cmp_lt_u32_e32 vcc_lo, 44, v56
	s_or_b32 s6, vcc_lo, s6
	s_waitcnt vmcnt(2) lgkmcnt(0)
	v_mul_f64 v[69:70], v[59:60], v[65:66]
	v_mul_f64 v[65:66], v[57:58], v[65:66]
	s_waitcnt vmcnt(0)
	v_fma_f64 v[57:58], v[57:58], v[67:68], -v[69:70]
	v_fma_f64 v[59:60], v[59:60], v[67:68], v[65:66]
	v_add_f64 v[1:2], v[1:2], v[57:58]
	v_add_f64 v[3:4], v[3:4], v[59:60]
	s_andn2_b32 exec_lo, exec_lo, s6
	s_cbranch_execnz .LBB62_1232
; %bb.1233:
	s_or_b32 exec_lo, exec_lo, s6
.LBB62_1234:
	s_or_b32 exec_lo, exec_lo, s5
	v_mov_b32_e32 v54, 0
	ds_read_b128 v[54:57], v54 offset:736
	s_waitcnt lgkmcnt(0)
	v_mul_f64 v[58:59], v[3:4], v[56:57]
	v_mul_f64 v[56:57], v[1:2], v[56:57]
	v_fma_f64 v[1:2], v[1:2], v[54:55], -v[58:59]
	v_fma_f64 v[3:4], v[3:4], v[54:55], v[56:57]
	buffer_store_dword v2, off, s[0:3], 0 offset:740
	buffer_store_dword v1, off, s[0:3], 0 offset:736
	;; [unrolled: 1-line block ×4, first 2 shown]
.LBB62_1235:
	s_or_b32 exec_lo, exec_lo, s4
	v_mov_b32_e32 v4, s24
	s_mov_b32 s4, exec_lo
	s_clause 0x3
	buffer_load_dword v1, v4, s[0:3], 0 offen
	buffer_load_dword v2, v4, s[0:3], 0 offen offset:4
	buffer_load_dword v3, v4, s[0:3], 0 offen offset:8
	;; [unrolled: 1-line block ×3, first 2 shown]
	s_waitcnt vmcnt(0)
	ds_write_b128 v48, v[1:4]
	s_waitcnt lgkmcnt(0)
	s_waitcnt_vscnt null, 0x0
	s_barrier
	buffer_gl0_inv
	v_cmpx_gt_u32_e32 47, v0
	s_cbranch_execz .LBB62_1243
; %bb.1236:
	ds_read_b128 v[1:4], v48
	v_cmp_ne_u32_e32 vcc_lo, 1, v53
	s_cbranch_vccnz .LBB62_1238
; %bb.1237:
	s_clause 0x3
	buffer_load_dword v54, v47, s[0:3], 0 offen offset:8
	buffer_load_dword v55, v47, s[0:3], 0 offen offset:12
	buffer_load_dword v56, v47, s[0:3], 0 offen
	buffer_load_dword v57, v47, s[0:3], 0 offen offset:4
	s_waitcnt vmcnt(2) lgkmcnt(0)
	v_mul_f64 v[58:59], v[3:4], v[54:55]
	v_mul_f64 v[54:55], v[1:2], v[54:55]
	s_waitcnt vmcnt(0)
	v_fma_f64 v[1:2], v[1:2], v[56:57], -v[58:59]
	v_fma_f64 v[3:4], v[3:4], v[56:57], v[54:55]
.LBB62_1238:
	s_mov_b32 s5, exec_lo
	v_cmpx_ne_u32_e32 46, v0
	s_cbranch_execz .LBB62_1242
; %bb.1239:
	v_or_b32_e32 v54, 0x400, v153
	v_add3_u32 v55, 0, v153, 16
	v_mov_b32_e32 v56, v0
	s_mov_b32 s6, 0
	.p2align	6
.LBB62_1240:                            ; =>This Inner Loop Header: Depth=1
	s_clause 0x3
	buffer_load_dword v65, v55, s[0:3], 0 offen offset:8
	buffer_load_dword v66, v55, s[0:3], 0 offen offset:12
	buffer_load_dword v67, v55, s[0:3], 0 offen
	buffer_load_dword v68, v55, s[0:3], 0 offen offset:4
	ds_read_b128 v[57:60], v54
	v_add_nc_u32_e32 v56, 1, v56
	v_add_nc_u32_e32 v54, 16, v54
	v_add_nc_u32_e32 v55, 16, v55
	v_cmp_lt_u32_e32 vcc_lo, 45, v56
	s_or_b32 s6, vcc_lo, s6
	s_waitcnt vmcnt(2) lgkmcnt(0)
	v_mul_f64 v[69:70], v[59:60], v[65:66]
	v_mul_f64 v[65:66], v[57:58], v[65:66]
	s_waitcnt vmcnt(0)
	v_fma_f64 v[57:58], v[57:58], v[67:68], -v[69:70]
	v_fma_f64 v[59:60], v[59:60], v[67:68], v[65:66]
	v_add_f64 v[1:2], v[1:2], v[57:58]
	v_add_f64 v[3:4], v[3:4], v[59:60]
	s_andn2_b32 exec_lo, exec_lo, s6
	s_cbranch_execnz .LBB62_1240
; %bb.1241:
	s_or_b32 exec_lo, exec_lo, s6
.LBB62_1242:
	s_or_b32 exec_lo, exec_lo, s5
	v_mov_b32_e32 v54, 0
	ds_read_b128 v[54:57], v54 offset:752
	s_waitcnt lgkmcnt(0)
	v_mul_f64 v[58:59], v[3:4], v[56:57]
	v_mul_f64 v[56:57], v[1:2], v[56:57]
	v_fma_f64 v[1:2], v[1:2], v[54:55], -v[58:59]
	v_fma_f64 v[3:4], v[3:4], v[54:55], v[56:57]
	buffer_store_dword v2, off, s[0:3], 0 offset:756
	buffer_store_dword v1, off, s[0:3], 0 offset:752
	buffer_store_dword v4, off, s[0:3], 0 offset:764
	buffer_store_dword v3, off, s[0:3], 0 offset:760
.LBB62_1243:
	s_or_b32 exec_lo, exec_lo, s4
	v_mov_b32_e32 v4, s23
	s_mov_b32 s4, exec_lo
	s_clause 0x3
	buffer_load_dword v1, v4, s[0:3], 0 offen
	buffer_load_dword v2, v4, s[0:3], 0 offen offset:4
	buffer_load_dword v3, v4, s[0:3], 0 offen offset:8
	;; [unrolled: 1-line block ×3, first 2 shown]
	s_waitcnt vmcnt(0)
	ds_write_b128 v48, v[1:4]
	s_waitcnt lgkmcnt(0)
	s_waitcnt_vscnt null, 0x0
	s_barrier
	buffer_gl0_inv
	v_cmpx_gt_u32_e32 48, v0
	s_cbranch_execz .LBB62_1251
; %bb.1244:
	ds_read_b128 v[1:4], v48
	v_cmp_ne_u32_e32 vcc_lo, 1, v53
	s_cbranch_vccnz .LBB62_1246
; %bb.1245:
	s_clause 0x3
	buffer_load_dword v54, v47, s[0:3], 0 offen offset:8
	buffer_load_dword v55, v47, s[0:3], 0 offen offset:12
	buffer_load_dword v56, v47, s[0:3], 0 offen
	buffer_load_dword v57, v47, s[0:3], 0 offen offset:4
	s_waitcnt vmcnt(2) lgkmcnt(0)
	v_mul_f64 v[58:59], v[3:4], v[54:55]
	v_mul_f64 v[54:55], v[1:2], v[54:55]
	s_waitcnt vmcnt(0)
	v_fma_f64 v[1:2], v[1:2], v[56:57], -v[58:59]
	v_fma_f64 v[3:4], v[3:4], v[56:57], v[54:55]
.LBB62_1246:
	s_mov_b32 s5, exec_lo
	v_cmpx_ne_u32_e32 47, v0
	s_cbranch_execz .LBB62_1250
; %bb.1247:
	v_or_b32_e32 v54, 0x400, v153
	v_add3_u32 v55, 0, v153, 16
	v_mov_b32_e32 v56, v0
	s_mov_b32 s6, 0
	.p2align	6
.LBB62_1248:                            ; =>This Inner Loop Header: Depth=1
	s_clause 0x3
	buffer_load_dword v65, v55, s[0:3], 0 offen offset:8
	buffer_load_dword v66, v55, s[0:3], 0 offen offset:12
	buffer_load_dword v67, v55, s[0:3], 0 offen
	buffer_load_dword v68, v55, s[0:3], 0 offen offset:4
	ds_read_b128 v[57:60], v54
	v_add_nc_u32_e32 v56, 1, v56
	v_add_nc_u32_e32 v54, 16, v54
	;; [unrolled: 1-line block ×3, first 2 shown]
	v_cmp_lt_u32_e32 vcc_lo, 46, v56
	s_or_b32 s6, vcc_lo, s6
	s_waitcnt vmcnt(2) lgkmcnt(0)
	v_mul_f64 v[69:70], v[59:60], v[65:66]
	v_mul_f64 v[65:66], v[57:58], v[65:66]
	s_waitcnt vmcnt(0)
	v_fma_f64 v[57:58], v[57:58], v[67:68], -v[69:70]
	v_fma_f64 v[59:60], v[59:60], v[67:68], v[65:66]
	v_add_f64 v[1:2], v[1:2], v[57:58]
	v_add_f64 v[3:4], v[3:4], v[59:60]
	s_andn2_b32 exec_lo, exec_lo, s6
	s_cbranch_execnz .LBB62_1248
; %bb.1249:
	s_or_b32 exec_lo, exec_lo, s6
.LBB62_1250:
	s_or_b32 exec_lo, exec_lo, s5
	v_mov_b32_e32 v54, 0
	ds_read_b128 v[54:57], v54 offset:768
	s_waitcnt lgkmcnt(0)
	v_mul_f64 v[58:59], v[3:4], v[56:57]
	v_mul_f64 v[56:57], v[1:2], v[56:57]
	v_fma_f64 v[1:2], v[1:2], v[54:55], -v[58:59]
	v_fma_f64 v[3:4], v[3:4], v[54:55], v[56:57]
	buffer_store_dword v2, off, s[0:3], 0 offset:772
	buffer_store_dword v1, off, s[0:3], 0 offset:768
	;; [unrolled: 1-line block ×4, first 2 shown]
.LBB62_1251:
	s_or_b32 exec_lo, exec_lo, s4
	v_mov_b32_e32 v4, s22
	s_mov_b32 s4, exec_lo
	s_clause 0x3
	buffer_load_dword v1, v4, s[0:3], 0 offen
	buffer_load_dword v2, v4, s[0:3], 0 offen offset:4
	buffer_load_dword v3, v4, s[0:3], 0 offen offset:8
	;; [unrolled: 1-line block ×3, first 2 shown]
	s_waitcnt vmcnt(0)
	ds_write_b128 v48, v[1:4]
	s_waitcnt lgkmcnt(0)
	s_waitcnt_vscnt null, 0x0
	s_barrier
	buffer_gl0_inv
	v_cmpx_gt_u32_e32 49, v0
	s_cbranch_execz .LBB62_1259
; %bb.1252:
	ds_read_b128 v[1:4], v48
	v_cmp_ne_u32_e32 vcc_lo, 1, v53
	s_cbranch_vccnz .LBB62_1254
; %bb.1253:
	s_clause 0x3
	buffer_load_dword v54, v47, s[0:3], 0 offen offset:8
	buffer_load_dword v55, v47, s[0:3], 0 offen offset:12
	buffer_load_dword v56, v47, s[0:3], 0 offen
	buffer_load_dword v57, v47, s[0:3], 0 offen offset:4
	s_waitcnt vmcnt(2) lgkmcnt(0)
	v_mul_f64 v[58:59], v[3:4], v[54:55]
	v_mul_f64 v[54:55], v[1:2], v[54:55]
	s_waitcnt vmcnt(0)
	v_fma_f64 v[1:2], v[1:2], v[56:57], -v[58:59]
	v_fma_f64 v[3:4], v[3:4], v[56:57], v[54:55]
.LBB62_1254:
	s_mov_b32 s5, exec_lo
	v_cmpx_ne_u32_e32 48, v0
	s_cbranch_execz .LBB62_1258
; %bb.1255:
	v_or_b32_e32 v54, 0x400, v153
	v_add3_u32 v55, 0, v153, 16
	v_mov_b32_e32 v56, v0
	s_mov_b32 s6, 0
	.p2align	6
.LBB62_1256:                            ; =>This Inner Loop Header: Depth=1
	s_clause 0x3
	buffer_load_dword v65, v55, s[0:3], 0 offen offset:8
	buffer_load_dword v66, v55, s[0:3], 0 offen offset:12
	buffer_load_dword v67, v55, s[0:3], 0 offen
	buffer_load_dword v68, v55, s[0:3], 0 offen offset:4
	ds_read_b128 v[57:60], v54
	v_add_nc_u32_e32 v56, 1, v56
	v_add_nc_u32_e32 v54, 16, v54
	;; [unrolled: 1-line block ×3, first 2 shown]
	v_cmp_lt_u32_e32 vcc_lo, 47, v56
	s_or_b32 s6, vcc_lo, s6
	s_waitcnt vmcnt(2) lgkmcnt(0)
	v_mul_f64 v[69:70], v[59:60], v[65:66]
	v_mul_f64 v[65:66], v[57:58], v[65:66]
	s_waitcnt vmcnt(0)
	v_fma_f64 v[57:58], v[57:58], v[67:68], -v[69:70]
	v_fma_f64 v[59:60], v[59:60], v[67:68], v[65:66]
	v_add_f64 v[1:2], v[1:2], v[57:58]
	v_add_f64 v[3:4], v[3:4], v[59:60]
	s_andn2_b32 exec_lo, exec_lo, s6
	s_cbranch_execnz .LBB62_1256
; %bb.1257:
	s_or_b32 exec_lo, exec_lo, s6
.LBB62_1258:
	s_or_b32 exec_lo, exec_lo, s5
	v_mov_b32_e32 v54, 0
	ds_read_b128 v[54:57], v54 offset:784
	s_waitcnt lgkmcnt(0)
	v_mul_f64 v[58:59], v[3:4], v[56:57]
	v_mul_f64 v[56:57], v[1:2], v[56:57]
	v_fma_f64 v[1:2], v[1:2], v[54:55], -v[58:59]
	v_fma_f64 v[3:4], v[3:4], v[54:55], v[56:57]
	buffer_store_dword v2, off, s[0:3], 0 offset:788
	buffer_store_dword v1, off, s[0:3], 0 offset:784
	;; [unrolled: 1-line block ×4, first 2 shown]
.LBB62_1259:
	s_or_b32 exec_lo, exec_lo, s4
	v_mov_b32_e32 v4, s21
	s_mov_b32 s4, exec_lo
	s_clause 0x3
	buffer_load_dword v1, v4, s[0:3], 0 offen
	buffer_load_dword v2, v4, s[0:3], 0 offen offset:4
	buffer_load_dword v3, v4, s[0:3], 0 offen offset:8
	;; [unrolled: 1-line block ×3, first 2 shown]
	s_waitcnt vmcnt(0)
	ds_write_b128 v48, v[1:4]
	s_waitcnt lgkmcnt(0)
	s_waitcnt_vscnt null, 0x0
	s_barrier
	buffer_gl0_inv
	v_cmpx_gt_u32_e32 50, v0
	s_cbranch_execz .LBB62_1267
; %bb.1260:
	ds_read_b128 v[1:4], v48
	v_cmp_ne_u32_e32 vcc_lo, 1, v53
	s_cbranch_vccnz .LBB62_1262
; %bb.1261:
	s_clause 0x3
	buffer_load_dword v54, v47, s[0:3], 0 offen offset:8
	buffer_load_dword v55, v47, s[0:3], 0 offen offset:12
	buffer_load_dword v56, v47, s[0:3], 0 offen
	buffer_load_dword v57, v47, s[0:3], 0 offen offset:4
	s_waitcnt vmcnt(2) lgkmcnt(0)
	v_mul_f64 v[58:59], v[3:4], v[54:55]
	v_mul_f64 v[54:55], v[1:2], v[54:55]
	s_waitcnt vmcnt(0)
	v_fma_f64 v[1:2], v[1:2], v[56:57], -v[58:59]
	v_fma_f64 v[3:4], v[3:4], v[56:57], v[54:55]
.LBB62_1262:
	s_mov_b32 s5, exec_lo
	v_cmpx_ne_u32_e32 49, v0
	s_cbranch_execz .LBB62_1266
; %bb.1263:
	v_or_b32_e32 v54, 0x400, v153
	v_add3_u32 v55, 0, v153, 16
	v_mov_b32_e32 v56, v0
	s_mov_b32 s6, 0
	.p2align	6
.LBB62_1264:                            ; =>This Inner Loop Header: Depth=1
	s_clause 0x3
	buffer_load_dword v65, v55, s[0:3], 0 offen offset:8
	buffer_load_dword v66, v55, s[0:3], 0 offen offset:12
	buffer_load_dword v67, v55, s[0:3], 0 offen
	buffer_load_dword v68, v55, s[0:3], 0 offen offset:4
	ds_read_b128 v[57:60], v54
	v_add_nc_u32_e32 v56, 1, v56
	v_add_nc_u32_e32 v54, 16, v54
	;; [unrolled: 1-line block ×3, first 2 shown]
	v_cmp_lt_u32_e32 vcc_lo, 48, v56
	s_or_b32 s6, vcc_lo, s6
	s_waitcnt vmcnt(2) lgkmcnt(0)
	v_mul_f64 v[69:70], v[59:60], v[65:66]
	v_mul_f64 v[65:66], v[57:58], v[65:66]
	s_waitcnt vmcnt(0)
	v_fma_f64 v[57:58], v[57:58], v[67:68], -v[69:70]
	v_fma_f64 v[59:60], v[59:60], v[67:68], v[65:66]
	v_add_f64 v[1:2], v[1:2], v[57:58]
	v_add_f64 v[3:4], v[3:4], v[59:60]
	s_andn2_b32 exec_lo, exec_lo, s6
	s_cbranch_execnz .LBB62_1264
; %bb.1265:
	s_or_b32 exec_lo, exec_lo, s6
.LBB62_1266:
	s_or_b32 exec_lo, exec_lo, s5
	v_mov_b32_e32 v54, 0
	ds_read_b128 v[54:57], v54 offset:800
	s_waitcnt lgkmcnt(0)
	v_mul_f64 v[58:59], v[3:4], v[56:57]
	v_mul_f64 v[56:57], v[1:2], v[56:57]
	v_fma_f64 v[1:2], v[1:2], v[54:55], -v[58:59]
	v_fma_f64 v[3:4], v[3:4], v[54:55], v[56:57]
	buffer_store_dword v2, off, s[0:3], 0 offset:804
	buffer_store_dword v1, off, s[0:3], 0 offset:800
	;; [unrolled: 1-line block ×4, first 2 shown]
.LBB62_1267:
	s_or_b32 exec_lo, exec_lo, s4
	v_mov_b32_e32 v4, s20
	s_mov_b32 s4, exec_lo
	s_clause 0x3
	buffer_load_dword v1, v4, s[0:3], 0 offen
	buffer_load_dword v2, v4, s[0:3], 0 offen offset:4
	buffer_load_dword v3, v4, s[0:3], 0 offen offset:8
	;; [unrolled: 1-line block ×3, first 2 shown]
	s_waitcnt vmcnt(0)
	ds_write_b128 v48, v[1:4]
	s_waitcnt lgkmcnt(0)
	s_waitcnt_vscnt null, 0x0
	s_barrier
	buffer_gl0_inv
	v_cmpx_gt_u32_e32 51, v0
	s_cbranch_execz .LBB62_1275
; %bb.1268:
	ds_read_b128 v[1:4], v48
	v_cmp_ne_u32_e32 vcc_lo, 1, v53
	s_cbranch_vccnz .LBB62_1270
; %bb.1269:
	s_clause 0x3
	buffer_load_dword v54, v47, s[0:3], 0 offen offset:8
	buffer_load_dword v55, v47, s[0:3], 0 offen offset:12
	buffer_load_dword v56, v47, s[0:3], 0 offen
	buffer_load_dword v57, v47, s[0:3], 0 offen offset:4
	s_waitcnt vmcnt(2) lgkmcnt(0)
	v_mul_f64 v[58:59], v[3:4], v[54:55]
	v_mul_f64 v[54:55], v[1:2], v[54:55]
	s_waitcnt vmcnt(0)
	v_fma_f64 v[1:2], v[1:2], v[56:57], -v[58:59]
	v_fma_f64 v[3:4], v[3:4], v[56:57], v[54:55]
.LBB62_1270:
	s_mov_b32 s5, exec_lo
	v_cmpx_ne_u32_e32 50, v0
	s_cbranch_execz .LBB62_1274
; %bb.1271:
	v_or_b32_e32 v54, 0x400, v153
	v_add3_u32 v55, 0, v153, 16
	v_mov_b32_e32 v56, v0
	s_mov_b32 s6, 0
	.p2align	6
.LBB62_1272:                            ; =>This Inner Loop Header: Depth=1
	s_clause 0x3
	buffer_load_dword v65, v55, s[0:3], 0 offen offset:8
	buffer_load_dword v66, v55, s[0:3], 0 offen offset:12
	buffer_load_dword v67, v55, s[0:3], 0 offen
	buffer_load_dword v68, v55, s[0:3], 0 offen offset:4
	ds_read_b128 v[57:60], v54
	v_add_nc_u32_e32 v56, 1, v56
	v_add_nc_u32_e32 v54, 16, v54
	;; [unrolled: 1-line block ×3, first 2 shown]
	v_cmp_lt_u32_e32 vcc_lo, 49, v56
	s_or_b32 s6, vcc_lo, s6
	s_waitcnt vmcnt(2) lgkmcnt(0)
	v_mul_f64 v[69:70], v[59:60], v[65:66]
	v_mul_f64 v[65:66], v[57:58], v[65:66]
	s_waitcnt vmcnt(0)
	v_fma_f64 v[57:58], v[57:58], v[67:68], -v[69:70]
	v_fma_f64 v[59:60], v[59:60], v[67:68], v[65:66]
	v_add_f64 v[1:2], v[1:2], v[57:58]
	v_add_f64 v[3:4], v[3:4], v[59:60]
	s_andn2_b32 exec_lo, exec_lo, s6
	s_cbranch_execnz .LBB62_1272
; %bb.1273:
	s_or_b32 exec_lo, exec_lo, s6
.LBB62_1274:
	s_or_b32 exec_lo, exec_lo, s5
	v_mov_b32_e32 v54, 0
	ds_read_b128 v[54:57], v54 offset:816
	s_waitcnt lgkmcnt(0)
	v_mul_f64 v[58:59], v[3:4], v[56:57]
	v_mul_f64 v[56:57], v[1:2], v[56:57]
	v_fma_f64 v[1:2], v[1:2], v[54:55], -v[58:59]
	v_fma_f64 v[3:4], v[3:4], v[54:55], v[56:57]
	buffer_store_dword v2, off, s[0:3], 0 offset:820
	buffer_store_dword v1, off, s[0:3], 0 offset:816
	;; [unrolled: 1-line block ×4, first 2 shown]
.LBB62_1275:
	s_or_b32 exec_lo, exec_lo, s4
	v_mov_b32_e32 v4, s19
	s_mov_b32 s4, exec_lo
	s_clause 0x3
	buffer_load_dword v1, v4, s[0:3], 0 offen
	buffer_load_dword v2, v4, s[0:3], 0 offen offset:4
	buffer_load_dword v3, v4, s[0:3], 0 offen offset:8
	;; [unrolled: 1-line block ×3, first 2 shown]
	s_waitcnt vmcnt(0)
	ds_write_b128 v48, v[1:4]
	s_waitcnt lgkmcnt(0)
	s_waitcnt_vscnt null, 0x0
	s_barrier
	buffer_gl0_inv
	v_cmpx_gt_u32_e32 52, v0
	s_cbranch_execz .LBB62_1283
; %bb.1276:
	ds_read_b128 v[1:4], v48
	v_cmp_ne_u32_e32 vcc_lo, 1, v53
	s_cbranch_vccnz .LBB62_1278
; %bb.1277:
	s_clause 0x3
	buffer_load_dword v54, v47, s[0:3], 0 offen offset:8
	buffer_load_dword v55, v47, s[0:3], 0 offen offset:12
	buffer_load_dword v56, v47, s[0:3], 0 offen
	buffer_load_dword v57, v47, s[0:3], 0 offen offset:4
	s_waitcnt vmcnt(2) lgkmcnt(0)
	v_mul_f64 v[58:59], v[3:4], v[54:55]
	v_mul_f64 v[54:55], v[1:2], v[54:55]
	s_waitcnt vmcnt(0)
	v_fma_f64 v[1:2], v[1:2], v[56:57], -v[58:59]
	v_fma_f64 v[3:4], v[3:4], v[56:57], v[54:55]
.LBB62_1278:
	s_mov_b32 s5, exec_lo
	v_cmpx_ne_u32_e32 51, v0
	s_cbranch_execz .LBB62_1282
; %bb.1279:
	v_or_b32_e32 v54, 0x400, v153
	v_add3_u32 v55, 0, v153, 16
	v_mov_b32_e32 v56, v0
	s_mov_b32 s6, 0
	.p2align	6
.LBB62_1280:                            ; =>This Inner Loop Header: Depth=1
	s_clause 0x3
	buffer_load_dword v65, v55, s[0:3], 0 offen offset:8
	buffer_load_dword v66, v55, s[0:3], 0 offen offset:12
	buffer_load_dword v67, v55, s[0:3], 0 offen
	buffer_load_dword v68, v55, s[0:3], 0 offen offset:4
	ds_read_b128 v[57:60], v54
	v_add_nc_u32_e32 v56, 1, v56
	v_add_nc_u32_e32 v54, 16, v54
	;; [unrolled: 1-line block ×3, first 2 shown]
	v_cmp_lt_u32_e32 vcc_lo, 50, v56
	s_or_b32 s6, vcc_lo, s6
	s_waitcnt vmcnt(2) lgkmcnt(0)
	v_mul_f64 v[69:70], v[59:60], v[65:66]
	v_mul_f64 v[65:66], v[57:58], v[65:66]
	s_waitcnt vmcnt(0)
	v_fma_f64 v[57:58], v[57:58], v[67:68], -v[69:70]
	v_fma_f64 v[59:60], v[59:60], v[67:68], v[65:66]
	v_add_f64 v[1:2], v[1:2], v[57:58]
	v_add_f64 v[3:4], v[3:4], v[59:60]
	s_andn2_b32 exec_lo, exec_lo, s6
	s_cbranch_execnz .LBB62_1280
; %bb.1281:
	s_or_b32 exec_lo, exec_lo, s6
.LBB62_1282:
	s_or_b32 exec_lo, exec_lo, s5
	v_mov_b32_e32 v54, 0
	ds_read_b128 v[54:57], v54 offset:832
	s_waitcnt lgkmcnt(0)
	v_mul_f64 v[58:59], v[3:4], v[56:57]
	v_mul_f64 v[56:57], v[1:2], v[56:57]
	v_fma_f64 v[1:2], v[1:2], v[54:55], -v[58:59]
	v_fma_f64 v[3:4], v[3:4], v[54:55], v[56:57]
	buffer_store_dword v2, off, s[0:3], 0 offset:836
	buffer_store_dword v1, off, s[0:3], 0 offset:832
	;; [unrolled: 1-line block ×4, first 2 shown]
.LBB62_1283:
	s_or_b32 exec_lo, exec_lo, s4
	v_mov_b32_e32 v4, s18
	s_mov_b32 s4, exec_lo
	s_clause 0x3
	buffer_load_dword v1, v4, s[0:3], 0 offen
	buffer_load_dword v2, v4, s[0:3], 0 offen offset:4
	buffer_load_dword v3, v4, s[0:3], 0 offen offset:8
	;; [unrolled: 1-line block ×3, first 2 shown]
	s_waitcnt vmcnt(0)
	ds_write_b128 v48, v[1:4]
	s_waitcnt lgkmcnt(0)
	s_waitcnt_vscnt null, 0x0
	s_barrier
	buffer_gl0_inv
	v_cmpx_gt_u32_e32 53, v0
	s_cbranch_execz .LBB62_1291
; %bb.1284:
	ds_read_b128 v[1:4], v48
	v_cmp_ne_u32_e32 vcc_lo, 1, v53
	s_cbranch_vccnz .LBB62_1286
; %bb.1285:
	s_clause 0x3
	buffer_load_dword v54, v47, s[0:3], 0 offen offset:8
	buffer_load_dword v55, v47, s[0:3], 0 offen offset:12
	buffer_load_dword v56, v47, s[0:3], 0 offen
	buffer_load_dword v57, v47, s[0:3], 0 offen offset:4
	s_waitcnt vmcnt(2) lgkmcnt(0)
	v_mul_f64 v[58:59], v[3:4], v[54:55]
	v_mul_f64 v[54:55], v[1:2], v[54:55]
	s_waitcnt vmcnt(0)
	v_fma_f64 v[1:2], v[1:2], v[56:57], -v[58:59]
	v_fma_f64 v[3:4], v[3:4], v[56:57], v[54:55]
.LBB62_1286:
	s_mov_b32 s5, exec_lo
	v_cmpx_ne_u32_e32 52, v0
	s_cbranch_execz .LBB62_1290
; %bb.1287:
	v_or_b32_e32 v54, 0x400, v153
	v_add3_u32 v55, 0, v153, 16
	v_mov_b32_e32 v56, v0
	s_mov_b32 s6, 0
	.p2align	6
.LBB62_1288:                            ; =>This Inner Loop Header: Depth=1
	s_clause 0x3
	buffer_load_dword v65, v55, s[0:3], 0 offen offset:8
	buffer_load_dword v66, v55, s[0:3], 0 offen offset:12
	buffer_load_dword v67, v55, s[0:3], 0 offen
	buffer_load_dword v68, v55, s[0:3], 0 offen offset:4
	ds_read_b128 v[57:60], v54
	v_add_nc_u32_e32 v56, 1, v56
	v_add_nc_u32_e32 v54, 16, v54
	v_add_nc_u32_e32 v55, 16, v55
	v_cmp_lt_u32_e32 vcc_lo, 51, v56
	s_or_b32 s6, vcc_lo, s6
	s_waitcnt vmcnt(2) lgkmcnt(0)
	v_mul_f64 v[69:70], v[59:60], v[65:66]
	v_mul_f64 v[65:66], v[57:58], v[65:66]
	s_waitcnt vmcnt(0)
	v_fma_f64 v[57:58], v[57:58], v[67:68], -v[69:70]
	v_fma_f64 v[59:60], v[59:60], v[67:68], v[65:66]
	v_add_f64 v[1:2], v[1:2], v[57:58]
	v_add_f64 v[3:4], v[3:4], v[59:60]
	s_andn2_b32 exec_lo, exec_lo, s6
	s_cbranch_execnz .LBB62_1288
; %bb.1289:
	s_or_b32 exec_lo, exec_lo, s6
.LBB62_1290:
	s_or_b32 exec_lo, exec_lo, s5
	v_mov_b32_e32 v54, 0
	ds_read_b128 v[54:57], v54 offset:848
	s_waitcnt lgkmcnt(0)
	v_mul_f64 v[58:59], v[3:4], v[56:57]
	v_mul_f64 v[56:57], v[1:2], v[56:57]
	v_fma_f64 v[1:2], v[1:2], v[54:55], -v[58:59]
	v_fma_f64 v[3:4], v[3:4], v[54:55], v[56:57]
	buffer_store_dword v2, off, s[0:3], 0 offset:852
	buffer_store_dword v1, off, s[0:3], 0 offset:848
	;; [unrolled: 1-line block ×4, first 2 shown]
.LBB62_1291:
	s_or_b32 exec_lo, exec_lo, s4
	v_mov_b32_e32 v4, s17
	s_mov_b32 s4, exec_lo
	s_clause 0x3
	buffer_load_dword v1, v4, s[0:3], 0 offen
	buffer_load_dword v2, v4, s[0:3], 0 offen offset:4
	buffer_load_dword v3, v4, s[0:3], 0 offen offset:8
	;; [unrolled: 1-line block ×3, first 2 shown]
	s_waitcnt vmcnt(0)
	ds_write_b128 v48, v[1:4]
	s_waitcnt lgkmcnt(0)
	s_waitcnt_vscnt null, 0x0
	s_barrier
	buffer_gl0_inv
	v_cmpx_gt_u32_e32 54, v0
	s_cbranch_execz .LBB62_1299
; %bb.1292:
	ds_read_b128 v[1:4], v48
	v_cmp_ne_u32_e32 vcc_lo, 1, v53
	s_cbranch_vccnz .LBB62_1294
; %bb.1293:
	s_clause 0x3
	buffer_load_dword v54, v47, s[0:3], 0 offen offset:8
	buffer_load_dword v55, v47, s[0:3], 0 offen offset:12
	buffer_load_dword v56, v47, s[0:3], 0 offen
	buffer_load_dword v57, v47, s[0:3], 0 offen offset:4
	s_waitcnt vmcnt(2) lgkmcnt(0)
	v_mul_f64 v[58:59], v[3:4], v[54:55]
	v_mul_f64 v[54:55], v[1:2], v[54:55]
	s_waitcnt vmcnt(0)
	v_fma_f64 v[1:2], v[1:2], v[56:57], -v[58:59]
	v_fma_f64 v[3:4], v[3:4], v[56:57], v[54:55]
.LBB62_1294:
	s_mov_b32 s5, exec_lo
	v_cmpx_ne_u32_e32 53, v0
	s_cbranch_execz .LBB62_1298
; %bb.1295:
	v_or_b32_e32 v54, 0x400, v153
	v_add3_u32 v55, 0, v153, 16
	v_mov_b32_e32 v56, v0
	s_mov_b32 s6, 0
	.p2align	6
.LBB62_1296:                            ; =>This Inner Loop Header: Depth=1
	s_clause 0x3
	buffer_load_dword v65, v55, s[0:3], 0 offen offset:8
	buffer_load_dword v66, v55, s[0:3], 0 offen offset:12
	buffer_load_dword v67, v55, s[0:3], 0 offen
	buffer_load_dword v68, v55, s[0:3], 0 offen offset:4
	ds_read_b128 v[57:60], v54
	v_add_nc_u32_e32 v56, 1, v56
	v_add_nc_u32_e32 v54, 16, v54
	;; [unrolled: 1-line block ×3, first 2 shown]
	v_cmp_lt_u32_e32 vcc_lo, 52, v56
	s_or_b32 s6, vcc_lo, s6
	s_waitcnt vmcnt(2) lgkmcnt(0)
	v_mul_f64 v[69:70], v[59:60], v[65:66]
	v_mul_f64 v[65:66], v[57:58], v[65:66]
	s_waitcnt vmcnt(0)
	v_fma_f64 v[57:58], v[57:58], v[67:68], -v[69:70]
	v_fma_f64 v[59:60], v[59:60], v[67:68], v[65:66]
	v_add_f64 v[1:2], v[1:2], v[57:58]
	v_add_f64 v[3:4], v[3:4], v[59:60]
	s_andn2_b32 exec_lo, exec_lo, s6
	s_cbranch_execnz .LBB62_1296
; %bb.1297:
	s_or_b32 exec_lo, exec_lo, s6
.LBB62_1298:
	s_or_b32 exec_lo, exec_lo, s5
	v_mov_b32_e32 v54, 0
	ds_read_b128 v[54:57], v54 offset:864
	s_waitcnt lgkmcnt(0)
	v_mul_f64 v[58:59], v[3:4], v[56:57]
	v_mul_f64 v[56:57], v[1:2], v[56:57]
	v_fma_f64 v[1:2], v[1:2], v[54:55], -v[58:59]
	v_fma_f64 v[3:4], v[3:4], v[54:55], v[56:57]
	buffer_store_dword v2, off, s[0:3], 0 offset:868
	buffer_store_dword v1, off, s[0:3], 0 offset:864
	;; [unrolled: 1-line block ×4, first 2 shown]
.LBB62_1299:
	s_or_b32 exec_lo, exec_lo, s4
	v_mov_b32_e32 v4, s16
	s_mov_b32 s4, exec_lo
	s_clause 0x3
	buffer_load_dword v1, v4, s[0:3], 0 offen
	buffer_load_dword v2, v4, s[0:3], 0 offen offset:4
	buffer_load_dword v3, v4, s[0:3], 0 offen offset:8
	;; [unrolled: 1-line block ×3, first 2 shown]
	s_waitcnt vmcnt(0)
	ds_write_b128 v48, v[1:4]
	s_waitcnt lgkmcnt(0)
	s_waitcnt_vscnt null, 0x0
	s_barrier
	buffer_gl0_inv
	v_cmpx_gt_u32_e32 55, v0
	s_cbranch_execz .LBB62_1307
; %bb.1300:
	ds_read_b128 v[1:4], v48
	v_cmp_ne_u32_e32 vcc_lo, 1, v53
	s_cbranch_vccnz .LBB62_1302
; %bb.1301:
	s_clause 0x3
	buffer_load_dword v54, v47, s[0:3], 0 offen offset:8
	buffer_load_dword v55, v47, s[0:3], 0 offen offset:12
	buffer_load_dword v56, v47, s[0:3], 0 offen
	buffer_load_dword v57, v47, s[0:3], 0 offen offset:4
	s_waitcnt vmcnt(2) lgkmcnt(0)
	v_mul_f64 v[58:59], v[3:4], v[54:55]
	v_mul_f64 v[54:55], v[1:2], v[54:55]
	s_waitcnt vmcnt(0)
	v_fma_f64 v[1:2], v[1:2], v[56:57], -v[58:59]
	v_fma_f64 v[3:4], v[3:4], v[56:57], v[54:55]
.LBB62_1302:
	s_mov_b32 s5, exec_lo
	v_cmpx_ne_u32_e32 54, v0
	s_cbranch_execz .LBB62_1306
; %bb.1303:
	v_or_b32_e32 v54, 0x400, v153
	v_add3_u32 v55, 0, v153, 16
	v_mov_b32_e32 v56, v0
	s_mov_b32 s6, 0
	.p2align	6
.LBB62_1304:                            ; =>This Inner Loop Header: Depth=1
	s_clause 0x3
	buffer_load_dword v65, v55, s[0:3], 0 offen offset:8
	buffer_load_dword v66, v55, s[0:3], 0 offen offset:12
	buffer_load_dword v67, v55, s[0:3], 0 offen
	buffer_load_dword v68, v55, s[0:3], 0 offen offset:4
	ds_read_b128 v[57:60], v54
	v_add_nc_u32_e32 v56, 1, v56
	v_add_nc_u32_e32 v54, 16, v54
	;; [unrolled: 1-line block ×3, first 2 shown]
	v_cmp_lt_u32_e32 vcc_lo, 53, v56
	s_or_b32 s6, vcc_lo, s6
	s_waitcnt vmcnt(2) lgkmcnt(0)
	v_mul_f64 v[69:70], v[59:60], v[65:66]
	v_mul_f64 v[65:66], v[57:58], v[65:66]
	s_waitcnt vmcnt(0)
	v_fma_f64 v[57:58], v[57:58], v[67:68], -v[69:70]
	v_fma_f64 v[59:60], v[59:60], v[67:68], v[65:66]
	v_add_f64 v[1:2], v[1:2], v[57:58]
	v_add_f64 v[3:4], v[3:4], v[59:60]
	s_andn2_b32 exec_lo, exec_lo, s6
	s_cbranch_execnz .LBB62_1304
; %bb.1305:
	s_or_b32 exec_lo, exec_lo, s6
.LBB62_1306:
	s_or_b32 exec_lo, exec_lo, s5
	v_mov_b32_e32 v54, 0
	ds_read_b128 v[54:57], v54 offset:880
	s_waitcnt lgkmcnt(0)
	v_mul_f64 v[58:59], v[3:4], v[56:57]
	v_mul_f64 v[56:57], v[1:2], v[56:57]
	v_fma_f64 v[1:2], v[1:2], v[54:55], -v[58:59]
	v_fma_f64 v[3:4], v[3:4], v[54:55], v[56:57]
	buffer_store_dword v2, off, s[0:3], 0 offset:884
	buffer_store_dword v1, off, s[0:3], 0 offset:880
	buffer_store_dword v4, off, s[0:3], 0 offset:892
	buffer_store_dword v3, off, s[0:3], 0 offset:888
.LBB62_1307:
	s_or_b32 exec_lo, exec_lo, s4
	v_mov_b32_e32 v4, s15
	s_mov_b32 s4, exec_lo
	s_clause 0x3
	buffer_load_dword v1, v4, s[0:3], 0 offen
	buffer_load_dword v2, v4, s[0:3], 0 offen offset:4
	buffer_load_dword v3, v4, s[0:3], 0 offen offset:8
	;; [unrolled: 1-line block ×3, first 2 shown]
	s_waitcnt vmcnt(0)
	ds_write_b128 v48, v[1:4]
	s_waitcnt lgkmcnt(0)
	s_waitcnt_vscnt null, 0x0
	s_barrier
	buffer_gl0_inv
	v_cmpx_gt_u32_e32 56, v0
	s_cbranch_execz .LBB62_1315
; %bb.1308:
	ds_read_b128 v[1:4], v48
	v_cmp_ne_u32_e32 vcc_lo, 1, v53
	s_cbranch_vccnz .LBB62_1310
; %bb.1309:
	s_clause 0x3
	buffer_load_dword v54, v47, s[0:3], 0 offen offset:8
	buffer_load_dword v55, v47, s[0:3], 0 offen offset:12
	buffer_load_dword v56, v47, s[0:3], 0 offen
	buffer_load_dword v57, v47, s[0:3], 0 offen offset:4
	s_waitcnt vmcnt(2) lgkmcnt(0)
	v_mul_f64 v[58:59], v[3:4], v[54:55]
	v_mul_f64 v[54:55], v[1:2], v[54:55]
	s_waitcnt vmcnt(0)
	v_fma_f64 v[1:2], v[1:2], v[56:57], -v[58:59]
	v_fma_f64 v[3:4], v[3:4], v[56:57], v[54:55]
.LBB62_1310:
	s_mov_b32 s5, exec_lo
	v_cmpx_ne_u32_e32 55, v0
	s_cbranch_execz .LBB62_1314
; %bb.1311:
	v_or_b32_e32 v54, 0x400, v153
	v_add3_u32 v55, 0, v153, 16
	v_mov_b32_e32 v56, v0
	s_mov_b32 s6, 0
	.p2align	6
.LBB62_1312:                            ; =>This Inner Loop Header: Depth=1
	s_clause 0x3
	buffer_load_dword v65, v55, s[0:3], 0 offen offset:8
	buffer_load_dword v66, v55, s[0:3], 0 offen offset:12
	buffer_load_dword v67, v55, s[0:3], 0 offen
	buffer_load_dword v68, v55, s[0:3], 0 offen offset:4
	ds_read_b128 v[57:60], v54
	v_add_nc_u32_e32 v56, 1, v56
	v_add_nc_u32_e32 v54, 16, v54
	;; [unrolled: 1-line block ×3, first 2 shown]
	v_cmp_lt_u32_e32 vcc_lo, 54, v56
	s_or_b32 s6, vcc_lo, s6
	s_waitcnt vmcnt(2) lgkmcnt(0)
	v_mul_f64 v[69:70], v[59:60], v[65:66]
	v_mul_f64 v[65:66], v[57:58], v[65:66]
	s_waitcnt vmcnt(0)
	v_fma_f64 v[57:58], v[57:58], v[67:68], -v[69:70]
	v_fma_f64 v[59:60], v[59:60], v[67:68], v[65:66]
	v_add_f64 v[1:2], v[1:2], v[57:58]
	v_add_f64 v[3:4], v[3:4], v[59:60]
	s_andn2_b32 exec_lo, exec_lo, s6
	s_cbranch_execnz .LBB62_1312
; %bb.1313:
	s_or_b32 exec_lo, exec_lo, s6
.LBB62_1314:
	s_or_b32 exec_lo, exec_lo, s5
	v_mov_b32_e32 v54, 0
	ds_read_b128 v[54:57], v54 offset:896
	s_waitcnt lgkmcnt(0)
	v_mul_f64 v[58:59], v[3:4], v[56:57]
	v_mul_f64 v[56:57], v[1:2], v[56:57]
	v_fma_f64 v[1:2], v[1:2], v[54:55], -v[58:59]
	v_fma_f64 v[3:4], v[3:4], v[54:55], v[56:57]
	buffer_store_dword v2, off, s[0:3], 0 offset:900
	buffer_store_dword v1, off, s[0:3], 0 offset:896
	;; [unrolled: 1-line block ×4, first 2 shown]
.LBB62_1315:
	s_or_b32 exec_lo, exec_lo, s4
	v_mov_b32_e32 v4, s14
	s_mov_b32 s4, exec_lo
	s_clause 0x3
	buffer_load_dword v1, v4, s[0:3], 0 offen
	buffer_load_dword v2, v4, s[0:3], 0 offen offset:4
	buffer_load_dword v3, v4, s[0:3], 0 offen offset:8
	;; [unrolled: 1-line block ×3, first 2 shown]
	s_waitcnt vmcnt(0)
	ds_write_b128 v48, v[1:4]
	s_waitcnt lgkmcnt(0)
	s_waitcnt_vscnt null, 0x0
	s_barrier
	buffer_gl0_inv
	v_cmpx_gt_u32_e32 57, v0
	s_cbranch_execz .LBB62_1323
; %bb.1316:
	ds_read_b128 v[1:4], v48
	v_cmp_ne_u32_e32 vcc_lo, 1, v53
	s_cbranch_vccnz .LBB62_1318
; %bb.1317:
	s_clause 0x3
	buffer_load_dword v54, v47, s[0:3], 0 offen offset:8
	buffer_load_dword v55, v47, s[0:3], 0 offen offset:12
	buffer_load_dword v56, v47, s[0:3], 0 offen
	buffer_load_dword v57, v47, s[0:3], 0 offen offset:4
	s_waitcnt vmcnt(2) lgkmcnt(0)
	v_mul_f64 v[58:59], v[3:4], v[54:55]
	v_mul_f64 v[54:55], v[1:2], v[54:55]
	s_waitcnt vmcnt(0)
	v_fma_f64 v[1:2], v[1:2], v[56:57], -v[58:59]
	v_fma_f64 v[3:4], v[3:4], v[56:57], v[54:55]
.LBB62_1318:
	s_mov_b32 s5, exec_lo
	v_cmpx_ne_u32_e32 56, v0
	s_cbranch_execz .LBB62_1322
; %bb.1319:
	v_or_b32_e32 v54, 0x400, v153
	v_add3_u32 v55, 0, v153, 16
	v_mov_b32_e32 v56, v0
	s_mov_b32 s6, 0
	.p2align	6
.LBB62_1320:                            ; =>This Inner Loop Header: Depth=1
	s_clause 0x3
	buffer_load_dword v65, v55, s[0:3], 0 offen offset:8
	buffer_load_dword v66, v55, s[0:3], 0 offen offset:12
	buffer_load_dword v67, v55, s[0:3], 0 offen
	buffer_load_dword v68, v55, s[0:3], 0 offen offset:4
	ds_read_b128 v[57:60], v54
	v_add_nc_u32_e32 v56, 1, v56
	v_add_nc_u32_e32 v54, 16, v54
	;; [unrolled: 1-line block ×3, first 2 shown]
	v_cmp_lt_u32_e32 vcc_lo, 55, v56
	s_or_b32 s6, vcc_lo, s6
	s_waitcnt vmcnt(2) lgkmcnt(0)
	v_mul_f64 v[69:70], v[59:60], v[65:66]
	v_mul_f64 v[65:66], v[57:58], v[65:66]
	s_waitcnt vmcnt(0)
	v_fma_f64 v[57:58], v[57:58], v[67:68], -v[69:70]
	v_fma_f64 v[59:60], v[59:60], v[67:68], v[65:66]
	v_add_f64 v[1:2], v[1:2], v[57:58]
	v_add_f64 v[3:4], v[3:4], v[59:60]
	s_andn2_b32 exec_lo, exec_lo, s6
	s_cbranch_execnz .LBB62_1320
; %bb.1321:
	s_or_b32 exec_lo, exec_lo, s6
.LBB62_1322:
	s_or_b32 exec_lo, exec_lo, s5
	v_mov_b32_e32 v54, 0
	ds_read_b128 v[54:57], v54 offset:912
	s_waitcnt lgkmcnt(0)
	v_mul_f64 v[58:59], v[3:4], v[56:57]
	v_mul_f64 v[56:57], v[1:2], v[56:57]
	v_fma_f64 v[1:2], v[1:2], v[54:55], -v[58:59]
	v_fma_f64 v[3:4], v[3:4], v[54:55], v[56:57]
	buffer_store_dword v2, off, s[0:3], 0 offset:916
	buffer_store_dword v1, off, s[0:3], 0 offset:912
	;; [unrolled: 1-line block ×4, first 2 shown]
.LBB62_1323:
	s_or_b32 exec_lo, exec_lo, s4
	v_mov_b32_e32 v4, s13
	s_mov_b32 s4, exec_lo
	s_clause 0x3
	buffer_load_dword v1, v4, s[0:3], 0 offen
	buffer_load_dword v2, v4, s[0:3], 0 offen offset:4
	buffer_load_dword v3, v4, s[0:3], 0 offen offset:8
	;; [unrolled: 1-line block ×3, first 2 shown]
	s_waitcnt vmcnt(0)
	ds_write_b128 v48, v[1:4]
	s_waitcnt lgkmcnt(0)
	s_waitcnt_vscnt null, 0x0
	s_barrier
	buffer_gl0_inv
	v_cmpx_gt_u32_e32 58, v0
	s_cbranch_execz .LBB62_1331
; %bb.1324:
	ds_read_b128 v[1:4], v48
	v_cmp_ne_u32_e32 vcc_lo, 1, v53
	s_cbranch_vccnz .LBB62_1326
; %bb.1325:
	s_clause 0x3
	buffer_load_dword v54, v47, s[0:3], 0 offen offset:8
	buffer_load_dword v55, v47, s[0:3], 0 offen offset:12
	buffer_load_dword v56, v47, s[0:3], 0 offen
	buffer_load_dword v57, v47, s[0:3], 0 offen offset:4
	s_waitcnt vmcnt(2) lgkmcnt(0)
	v_mul_f64 v[58:59], v[3:4], v[54:55]
	v_mul_f64 v[54:55], v[1:2], v[54:55]
	s_waitcnt vmcnt(0)
	v_fma_f64 v[1:2], v[1:2], v[56:57], -v[58:59]
	v_fma_f64 v[3:4], v[3:4], v[56:57], v[54:55]
.LBB62_1326:
	s_mov_b32 s5, exec_lo
	v_cmpx_ne_u32_e32 57, v0
	s_cbranch_execz .LBB62_1330
; %bb.1327:
	v_or_b32_e32 v54, 0x400, v153
	v_add3_u32 v55, 0, v153, 16
	v_mov_b32_e32 v56, v0
	s_mov_b32 s6, 0
	.p2align	6
.LBB62_1328:                            ; =>This Inner Loop Header: Depth=1
	s_clause 0x3
	buffer_load_dword v65, v55, s[0:3], 0 offen offset:8
	buffer_load_dword v66, v55, s[0:3], 0 offen offset:12
	buffer_load_dword v67, v55, s[0:3], 0 offen
	buffer_load_dword v68, v55, s[0:3], 0 offen offset:4
	ds_read_b128 v[57:60], v54
	v_add_nc_u32_e32 v56, 1, v56
	v_add_nc_u32_e32 v54, 16, v54
	;; [unrolled: 1-line block ×3, first 2 shown]
	v_cmp_lt_u32_e32 vcc_lo, 56, v56
	s_or_b32 s6, vcc_lo, s6
	s_waitcnt vmcnt(2) lgkmcnt(0)
	v_mul_f64 v[69:70], v[59:60], v[65:66]
	v_mul_f64 v[65:66], v[57:58], v[65:66]
	s_waitcnt vmcnt(0)
	v_fma_f64 v[57:58], v[57:58], v[67:68], -v[69:70]
	v_fma_f64 v[59:60], v[59:60], v[67:68], v[65:66]
	v_add_f64 v[1:2], v[1:2], v[57:58]
	v_add_f64 v[3:4], v[3:4], v[59:60]
	s_andn2_b32 exec_lo, exec_lo, s6
	s_cbranch_execnz .LBB62_1328
; %bb.1329:
	s_or_b32 exec_lo, exec_lo, s6
.LBB62_1330:
	s_or_b32 exec_lo, exec_lo, s5
	v_mov_b32_e32 v54, 0
	ds_read_b128 v[54:57], v54 offset:928
	s_waitcnt lgkmcnt(0)
	v_mul_f64 v[58:59], v[3:4], v[56:57]
	v_mul_f64 v[56:57], v[1:2], v[56:57]
	v_fma_f64 v[1:2], v[1:2], v[54:55], -v[58:59]
	v_fma_f64 v[3:4], v[3:4], v[54:55], v[56:57]
	buffer_store_dword v2, off, s[0:3], 0 offset:932
	buffer_store_dword v1, off, s[0:3], 0 offset:928
	;; [unrolled: 1-line block ×4, first 2 shown]
.LBB62_1331:
	s_or_b32 exec_lo, exec_lo, s4
	v_mov_b32_e32 v4, s12
	s_mov_b32 s4, exec_lo
	s_clause 0x3
	buffer_load_dword v1, v4, s[0:3], 0 offen
	buffer_load_dword v2, v4, s[0:3], 0 offen offset:4
	buffer_load_dword v3, v4, s[0:3], 0 offen offset:8
	;; [unrolled: 1-line block ×3, first 2 shown]
	s_waitcnt vmcnt(0)
	ds_write_b128 v48, v[1:4]
	s_waitcnt lgkmcnt(0)
	s_waitcnt_vscnt null, 0x0
	s_barrier
	buffer_gl0_inv
	v_cmpx_gt_u32_e32 59, v0
	s_cbranch_execz .LBB62_1339
; %bb.1332:
	ds_read_b128 v[1:4], v48
	v_cmp_ne_u32_e32 vcc_lo, 1, v53
	s_cbranch_vccnz .LBB62_1334
; %bb.1333:
	s_clause 0x3
	buffer_load_dword v54, v47, s[0:3], 0 offen offset:8
	buffer_load_dword v55, v47, s[0:3], 0 offen offset:12
	buffer_load_dword v56, v47, s[0:3], 0 offen
	buffer_load_dword v57, v47, s[0:3], 0 offen offset:4
	s_waitcnt vmcnt(2) lgkmcnt(0)
	v_mul_f64 v[58:59], v[3:4], v[54:55]
	v_mul_f64 v[54:55], v[1:2], v[54:55]
	s_waitcnt vmcnt(0)
	v_fma_f64 v[1:2], v[1:2], v[56:57], -v[58:59]
	v_fma_f64 v[3:4], v[3:4], v[56:57], v[54:55]
.LBB62_1334:
	s_mov_b32 s5, exec_lo
	v_cmpx_ne_u32_e32 58, v0
	s_cbranch_execz .LBB62_1338
; %bb.1335:
	v_or_b32_e32 v54, 0x400, v153
	v_add3_u32 v55, 0, v153, 16
	v_mov_b32_e32 v56, v0
	s_mov_b32 s6, 0
	.p2align	6
.LBB62_1336:                            ; =>This Inner Loop Header: Depth=1
	s_clause 0x3
	buffer_load_dword v65, v55, s[0:3], 0 offen offset:8
	buffer_load_dword v66, v55, s[0:3], 0 offen offset:12
	buffer_load_dword v67, v55, s[0:3], 0 offen
	buffer_load_dword v68, v55, s[0:3], 0 offen offset:4
	ds_read_b128 v[57:60], v54
	v_add_nc_u32_e32 v56, 1, v56
	v_add_nc_u32_e32 v54, 16, v54
	;; [unrolled: 1-line block ×3, first 2 shown]
	v_cmp_lt_u32_e32 vcc_lo, 57, v56
	s_or_b32 s6, vcc_lo, s6
	s_waitcnt vmcnt(2) lgkmcnt(0)
	v_mul_f64 v[69:70], v[59:60], v[65:66]
	v_mul_f64 v[65:66], v[57:58], v[65:66]
	s_waitcnt vmcnt(0)
	v_fma_f64 v[57:58], v[57:58], v[67:68], -v[69:70]
	v_fma_f64 v[59:60], v[59:60], v[67:68], v[65:66]
	v_add_f64 v[1:2], v[1:2], v[57:58]
	v_add_f64 v[3:4], v[3:4], v[59:60]
	s_andn2_b32 exec_lo, exec_lo, s6
	s_cbranch_execnz .LBB62_1336
; %bb.1337:
	s_or_b32 exec_lo, exec_lo, s6
.LBB62_1338:
	s_or_b32 exec_lo, exec_lo, s5
	v_mov_b32_e32 v54, 0
	ds_read_b128 v[54:57], v54 offset:944
	s_waitcnt lgkmcnt(0)
	v_mul_f64 v[58:59], v[3:4], v[56:57]
	v_mul_f64 v[56:57], v[1:2], v[56:57]
	v_fma_f64 v[1:2], v[1:2], v[54:55], -v[58:59]
	v_fma_f64 v[3:4], v[3:4], v[54:55], v[56:57]
	buffer_store_dword v2, off, s[0:3], 0 offset:948
	buffer_store_dword v1, off, s[0:3], 0 offset:944
	;; [unrolled: 1-line block ×4, first 2 shown]
.LBB62_1339:
	s_or_b32 exec_lo, exec_lo, s4
	v_mov_b32_e32 v4, s11
	s_mov_b32 s4, exec_lo
	s_clause 0x3
	buffer_load_dword v1, v4, s[0:3], 0 offen
	buffer_load_dword v2, v4, s[0:3], 0 offen offset:4
	buffer_load_dword v3, v4, s[0:3], 0 offen offset:8
	;; [unrolled: 1-line block ×3, first 2 shown]
	s_waitcnt vmcnt(0)
	ds_write_b128 v48, v[1:4]
	s_waitcnt lgkmcnt(0)
	s_waitcnt_vscnt null, 0x0
	s_barrier
	buffer_gl0_inv
	v_cmpx_gt_u32_e32 60, v0
	s_cbranch_execz .LBB62_1347
; %bb.1340:
	ds_read_b128 v[1:4], v48
	v_cmp_ne_u32_e32 vcc_lo, 1, v53
	s_cbranch_vccnz .LBB62_1342
; %bb.1341:
	s_clause 0x3
	buffer_load_dword v54, v47, s[0:3], 0 offen offset:8
	buffer_load_dword v55, v47, s[0:3], 0 offen offset:12
	buffer_load_dword v56, v47, s[0:3], 0 offen
	buffer_load_dword v57, v47, s[0:3], 0 offen offset:4
	s_waitcnt vmcnt(2) lgkmcnt(0)
	v_mul_f64 v[58:59], v[3:4], v[54:55]
	v_mul_f64 v[54:55], v[1:2], v[54:55]
	s_waitcnt vmcnt(0)
	v_fma_f64 v[1:2], v[1:2], v[56:57], -v[58:59]
	v_fma_f64 v[3:4], v[3:4], v[56:57], v[54:55]
.LBB62_1342:
	s_mov_b32 s5, exec_lo
	v_cmpx_ne_u32_e32 59, v0
	s_cbranch_execz .LBB62_1346
; %bb.1343:
	v_or_b32_e32 v54, 0x400, v153
	v_add3_u32 v55, 0, v153, 16
	v_mov_b32_e32 v56, v0
	s_mov_b32 s6, 0
	.p2align	6
.LBB62_1344:                            ; =>This Inner Loop Header: Depth=1
	s_clause 0x3
	buffer_load_dword v65, v55, s[0:3], 0 offen offset:8
	buffer_load_dword v66, v55, s[0:3], 0 offen offset:12
	buffer_load_dword v67, v55, s[0:3], 0 offen
	buffer_load_dword v68, v55, s[0:3], 0 offen offset:4
	ds_read_b128 v[57:60], v54
	v_add_nc_u32_e32 v56, 1, v56
	v_add_nc_u32_e32 v54, 16, v54
	;; [unrolled: 1-line block ×3, first 2 shown]
	v_cmp_lt_u32_e32 vcc_lo, 58, v56
	s_or_b32 s6, vcc_lo, s6
	s_waitcnt vmcnt(2) lgkmcnt(0)
	v_mul_f64 v[69:70], v[59:60], v[65:66]
	v_mul_f64 v[65:66], v[57:58], v[65:66]
	s_waitcnt vmcnt(0)
	v_fma_f64 v[57:58], v[57:58], v[67:68], -v[69:70]
	v_fma_f64 v[59:60], v[59:60], v[67:68], v[65:66]
	v_add_f64 v[1:2], v[1:2], v[57:58]
	v_add_f64 v[3:4], v[3:4], v[59:60]
	s_andn2_b32 exec_lo, exec_lo, s6
	s_cbranch_execnz .LBB62_1344
; %bb.1345:
	s_or_b32 exec_lo, exec_lo, s6
.LBB62_1346:
	s_or_b32 exec_lo, exec_lo, s5
	v_mov_b32_e32 v54, 0
	ds_read_b128 v[54:57], v54 offset:960
	s_waitcnt lgkmcnt(0)
	v_mul_f64 v[58:59], v[3:4], v[56:57]
	v_mul_f64 v[56:57], v[1:2], v[56:57]
	v_fma_f64 v[1:2], v[1:2], v[54:55], -v[58:59]
	v_fma_f64 v[3:4], v[3:4], v[54:55], v[56:57]
	buffer_store_dword v2, off, s[0:3], 0 offset:964
	buffer_store_dword v1, off, s[0:3], 0 offset:960
	;; [unrolled: 1-line block ×4, first 2 shown]
.LBB62_1347:
	s_or_b32 exec_lo, exec_lo, s4
	v_mov_b32_e32 v4, s10
	v_cmp_gt_u32_e64 s4, 61, v0
	s_clause 0x3
	buffer_load_dword v1, v4, s[0:3], 0 offen
	buffer_load_dword v2, v4, s[0:3], 0 offen offset:4
	buffer_load_dword v3, v4, s[0:3], 0 offen offset:8
	;; [unrolled: 1-line block ×3, first 2 shown]
	s_waitcnt vmcnt(0)
	ds_write_b128 v48, v[1:4]
	s_waitcnt lgkmcnt(0)
	s_waitcnt_vscnt null, 0x0
	s_barrier
	buffer_gl0_inv
	s_and_saveexec_b32 s5, s4
	s_cbranch_execz .LBB62_1355
; %bb.1348:
	ds_read_b128 v[1:4], v48
	v_cmp_ne_u32_e32 vcc_lo, 1, v53
	s_cbranch_vccnz .LBB62_1350
; %bb.1349:
	s_clause 0x3
	buffer_load_dword v54, v47, s[0:3], 0 offen offset:8
	buffer_load_dword v55, v47, s[0:3], 0 offen offset:12
	buffer_load_dword v56, v47, s[0:3], 0 offen
	buffer_load_dword v57, v47, s[0:3], 0 offen offset:4
	s_waitcnt vmcnt(2) lgkmcnt(0)
	v_mul_f64 v[58:59], v[3:4], v[54:55]
	v_mul_f64 v[54:55], v[1:2], v[54:55]
	s_waitcnt vmcnt(0)
	v_fma_f64 v[1:2], v[1:2], v[56:57], -v[58:59]
	v_fma_f64 v[3:4], v[3:4], v[56:57], v[54:55]
.LBB62_1350:
	s_mov_b32 s6, exec_lo
	v_cmpx_ne_u32_e32 60, v0
	s_cbranch_execz .LBB62_1354
; %bb.1351:
	v_or_b32_e32 v54, 0x400, v153
	v_add3_u32 v55, 0, v153, 16
	v_mov_b32_e32 v56, v0
	s_mov_b32 s7, 0
	.p2align	6
.LBB62_1352:                            ; =>This Inner Loop Header: Depth=1
	s_clause 0x3
	buffer_load_dword v65, v55, s[0:3], 0 offen offset:8
	buffer_load_dword v66, v55, s[0:3], 0 offen offset:12
	buffer_load_dword v67, v55, s[0:3], 0 offen
	buffer_load_dword v68, v55, s[0:3], 0 offen offset:4
	ds_read_b128 v[57:60], v54
	v_add_nc_u32_e32 v56, 1, v56
	v_add_nc_u32_e32 v54, 16, v54
	;; [unrolled: 1-line block ×3, first 2 shown]
	v_cmp_lt_u32_e32 vcc_lo, 59, v56
	s_or_b32 s7, vcc_lo, s7
	s_waitcnt vmcnt(2) lgkmcnt(0)
	v_mul_f64 v[69:70], v[59:60], v[65:66]
	v_mul_f64 v[65:66], v[57:58], v[65:66]
	s_waitcnt vmcnt(0)
	v_fma_f64 v[57:58], v[57:58], v[67:68], -v[69:70]
	v_fma_f64 v[59:60], v[59:60], v[67:68], v[65:66]
	v_add_f64 v[1:2], v[1:2], v[57:58]
	v_add_f64 v[3:4], v[3:4], v[59:60]
	s_andn2_b32 exec_lo, exec_lo, s7
	s_cbranch_execnz .LBB62_1352
; %bb.1353:
	s_or_b32 exec_lo, exec_lo, s7
.LBB62_1354:
	s_or_b32 exec_lo, exec_lo, s6
	v_mov_b32_e32 v54, 0
	ds_read_b128 v[54:57], v54 offset:976
	s_waitcnt lgkmcnt(0)
	v_mul_f64 v[58:59], v[3:4], v[56:57]
	v_mul_f64 v[56:57], v[1:2], v[56:57]
	v_fma_f64 v[1:2], v[1:2], v[54:55], -v[58:59]
	v_fma_f64 v[3:4], v[3:4], v[54:55], v[56:57]
	buffer_store_dword v2, off, s[0:3], 0 offset:980
	buffer_store_dword v1, off, s[0:3], 0 offset:976
	;; [unrolled: 1-line block ×4, first 2 shown]
.LBB62_1355:
	s_or_b32 exec_lo, exec_lo, s5
	v_mov_b32_e32 v4, s9
	s_mov_b32 s5, exec_lo
                                        ; implicit-def: $sgpr72
	s_clause 0x3
	buffer_load_dword v1, v4, s[0:3], 0 offen
	buffer_load_dword v2, v4, s[0:3], 0 offen offset:4
	buffer_load_dword v3, v4, s[0:3], 0 offen offset:8
	;; [unrolled: 1-line block ×3, first 2 shown]
	s_waitcnt vmcnt(0)
	ds_write_b128 v48, v[1:4]
	s_waitcnt lgkmcnt(0)
	s_waitcnt_vscnt null, 0x0
	s_barrier
	buffer_gl0_inv
                                        ; implicit-def: $vgpr1_vgpr2
	v_cmpx_ne_u32_e32 62, v0
	s_cbranch_execz .LBB62_1363
; %bb.1356:
	ds_read_b128 v[1:4], v48
	v_cmp_ne_u32_e32 vcc_lo, 1, v53
	s_cbranch_vccnz .LBB62_1358
; %bb.1357:
	s_clause 0x3
	buffer_load_dword v53, v47, s[0:3], 0 offen offset:8
	buffer_load_dword v54, v47, s[0:3], 0 offen offset:12
	buffer_load_dword v55, v47, s[0:3], 0 offen
	buffer_load_dword v56, v47, s[0:3], 0 offen offset:4
	s_waitcnt vmcnt(2) lgkmcnt(0)
	v_mul_f64 v[47:48], v[3:4], v[53:54]
	v_mul_f64 v[53:54], v[1:2], v[53:54]
	s_waitcnt vmcnt(0)
	v_fma_f64 v[1:2], v[1:2], v[55:56], -v[47:48]
	v_fma_f64 v[3:4], v[3:4], v[55:56], v[53:54]
.LBB62_1358:
	s_and_saveexec_b32 s6, s4
	s_cbranch_execz .LBB62_1362
; %bb.1359:
	v_or_b32_e32 v47, 0x400, v153
	v_add3_u32 v48, 0, v153, 16
	s_mov_b32 s4, 0
	.p2align	6
.LBB62_1360:                            ; =>This Inner Loop Header: Depth=1
	s_clause 0x3
	buffer_load_dword v57, v48, s[0:3], 0 offen offset:8
	buffer_load_dword v58, v48, s[0:3], 0 offen offset:12
	buffer_load_dword v59, v48, s[0:3], 0 offen
	buffer_load_dword v60, v48, s[0:3], 0 offen offset:4
	ds_read_b128 v[53:56], v47
	v_add_nc_u32_e32 v0, 1, v0
	v_add_nc_u32_e32 v47, 16, v47
	;; [unrolled: 1-line block ×3, first 2 shown]
	v_cmp_lt_u32_e32 vcc_lo, 60, v0
	s_or_b32 s4, vcc_lo, s4
	s_waitcnt vmcnt(2) lgkmcnt(0)
	v_mul_f64 v[65:66], v[55:56], v[57:58]
	v_mul_f64 v[57:58], v[53:54], v[57:58]
	s_waitcnt vmcnt(0)
	v_fma_f64 v[53:54], v[53:54], v[59:60], -v[65:66]
	v_fma_f64 v[55:56], v[55:56], v[59:60], v[57:58]
	v_add_f64 v[1:2], v[1:2], v[53:54]
	v_add_f64 v[3:4], v[3:4], v[55:56]
	s_andn2_b32 exec_lo, exec_lo, s4
	s_cbranch_execnz .LBB62_1360
; %bb.1361:
	s_or_b32 exec_lo, exec_lo, s4
.LBB62_1362:
	s_or_b32 exec_lo, exec_lo, s6
	v_mov_b32_e32 v0, 0
	s_movk_i32 s72, 0x3e8
	s_or_b32 s8, s8, exec_lo
	ds_read_b128 v[53:56], v0 offset:992
	s_waitcnt lgkmcnt(0)
	v_mul_f64 v[47:48], v[3:4], v[55:56]
	v_mul_f64 v[55:56], v[1:2], v[55:56]
	v_fma_f64 v[47:48], v[1:2], v[53:54], -v[47:48]
	v_fma_f64 v[1:2], v[3:4], v[53:54], v[55:56]
	buffer_store_dword v48, off, s[0:3], 0 offset:996
	buffer_store_dword v47, off, s[0:3], 0 offset:992
.LBB62_1363:
	s_or_b32 exec_lo, exec_lo, s5
.LBB62_1364:
	s_and_saveexec_b32 s4, s8
	s_cbranch_execz .LBB62_1366
; %bb.1365:
	v_mov_b32_e32 v0, s72
	buffer_store_dword v2, v0, s[0:3], 0 offen offset:4
	buffer_store_dword v1, v0, s[0:3], 0 offen
.LBB62_1366:
	s_or_b32 exec_lo, exec_lo, s4
	s_clause 0x3
	buffer_load_dword v0, off, s[0:3], 0
	buffer_load_dword v1, off, s[0:3], 0 offset:4
	buffer_load_dword v2, off, s[0:3], 0 offset:8
	;; [unrolled: 1-line block ×3, first 2 shown]
	v_mov_b32_e32 v4, s71
	v_mov_b32_e32 v47, s63
	;; [unrolled: 1-line block ×4, first 2 shown]
	s_clause 0x3
	buffer_load_dword v53, v4, s[0:3], 0 offen
	buffer_load_dword v54, v4, s[0:3], 0 offen offset:4
	buffer_load_dword v55, v4, s[0:3], 0 offen offset:8
	;; [unrolled: 1-line block ×3, first 2 shown]
	v_mov_b32_e32 v4, s70
	v_mov_b32_e32 v203, s23
	;; [unrolled: 1-line block ×3, first 2 shown]
	s_clause 0x3
	buffer_load_dword v57, v4, s[0:3], 0 offen
	buffer_load_dword v58, v4, s[0:3], 0 offen offset:4
	buffer_load_dword v59, v4, s[0:3], 0 offen offset:8
	;; [unrolled: 1-line block ×3, first 2 shown]
	v_mov_b32_e32 v4, s69
	v_mov_b32_e32 v202, s24
	s_clause 0x3
	buffer_load_dword v65, v4, s[0:3], 0 offen
	buffer_load_dword v66, v4, s[0:3], 0 offen offset:4
	buffer_load_dword v67, v4, s[0:3], 0 offen offset:8
	buffer_load_dword v68, v4, s[0:3], 0 offen offset:12
	v_mov_b32_e32 v4, s68
	s_clause 0x3
	buffer_load_dword v69, v4, s[0:3], 0 offen
	buffer_load_dword v70, v4, s[0:3], 0 offen offset:4
	buffer_load_dword v71, v4, s[0:3], 0 offen offset:8
	buffer_load_dword v72, v4, s[0:3], 0 offen offset:12
	v_mov_b32_e32 v4, s67
	s_clause 0x3
	buffer_load_dword v73, v4, s[0:3], 0 offen
	buffer_load_dword v74, v4, s[0:3], 0 offen offset:4
	buffer_load_dword v75, v4, s[0:3], 0 offen offset:8
	buffer_load_dword v76, v4, s[0:3], 0 offen offset:12
	v_mov_b32_e32 v4, s66
	s_clause 0x3
	buffer_load_dword v153, v4, s[0:3], 0 offen
	buffer_load_dword v154, v4, s[0:3], 0 offen offset:4
	buffer_load_dword v155, v4, s[0:3], 0 offen offset:8
	buffer_load_dword v156, v4, s[0:3], 0 offen offset:12
	v_mov_b32_e32 v4, s65
	s_clause 0x3
	buffer_load_dword v157, v4, s[0:3], 0 offen
	buffer_load_dword v158, v4, s[0:3], 0 offen offset:4
	buffer_load_dword v159, v4, s[0:3], 0 offen offset:8
	buffer_load_dword v160, v4, s[0:3], 0 offen offset:12
	v_mov_b32_e32 v4, s64
	s_clause 0x7
	buffer_load_dword v161, v4, s[0:3], 0 offen
	buffer_load_dword v162, v4, s[0:3], 0 offen offset:4
	buffer_load_dword v163, v4, s[0:3], 0 offen offset:8
	buffer_load_dword v164, v4, s[0:3], 0 offen offset:12
	buffer_load_dword v165, v47, s[0:3], 0 offen
	buffer_load_dword v166, v47, s[0:3], 0 offen offset:4
	buffer_load_dword v167, v47, s[0:3], 0 offen offset:8
	;; [unrolled: 1-line block ×3, first 2 shown]
	v_mov_b32_e32 v4, s62
	s_clause 0x3
	buffer_load_dword v169, v4, s[0:3], 0 offen
	buffer_load_dword v170, v4, s[0:3], 0 offen offset:4
	buffer_load_dword v171, v4, s[0:3], 0 offen offset:8
	;; [unrolled: 1-line block ×3, first 2 shown]
	v_mov_b32_e32 v4, s61
	v_mov_b32_e32 v47, s60
	s_clause 0x3
	buffer_load_dword v173, v4, s[0:3], 0 offen
	buffer_load_dword v174, v4, s[0:3], 0 offen offset:4
	buffer_load_dword v175, v4, s[0:3], 0 offen offset:8
	buffer_load_dword v176, v4, s[0:3], 0 offen offset:12
	v_mov_b32_e32 v4, s59
	s_clause 0x3
	buffer_load_dword v177, v47, s[0:3], 0 offen
	buffer_load_dword v178, v47, s[0:3], 0 offen offset:4
	buffer_load_dword v179, v47, s[0:3], 0 offen offset:8
	buffer_load_dword v180, v47, s[0:3], 0 offen offset:12
	;; [unrolled: 6-line block ×4, first 2 shown]
	v_mov_b32_e32 v47, s56
	v_mov_b32_e32 v207, s17
	;; [unrolled: 1-line block ×10, first 2 shown]
	s_waitcnt vmcnt(56)
	global_store_dwordx4 v[77:78], v[0:3], off
	s_clause 0x7
	buffer_load_dword v0, v4, s[0:3], 0 offen
	buffer_load_dword v1, v4, s[0:3], 0 offen offset:4
	buffer_load_dword v2, v4, s[0:3], 0 offen offset:8
	buffer_load_dword v3, v4, s[0:3], 0 offen offset:12
	buffer_load_dword v189, v47, s[0:3], 0 offen
	buffer_load_dword v190, v47, s[0:3], 0 offen offset:4
	buffer_load_dword v191, v47, s[0:3], 0 offen offset:8
	buffer_load_dword v192, v47, s[0:3], 0 offen offset:12
	v_mov_b32_e32 v4, s55
	v_mov_b32_e32 v47, s53
	s_waitcnt vmcnt(60)
	global_store_dwordx4 v[81:82], v[53:56], off
	s_clause 0x3
	buffer_load_dword v53, v4, s[0:3], 0 offen
	buffer_load_dword v54, v4, s[0:3], 0 offen offset:4
	buffer_load_dword v55, v4, s[0:3], 0 offen offset:8
	buffer_load_dword v56, v4, s[0:3], 0 offen offset:12
	v_mov_b32_e32 v4, s54
	s_waitcnt vmcnt(60)
	global_store_dwordx4 v[149:150], v[57:60], off
	s_clause 0x7
	buffer_load_dword v57, v4, s[0:3], 0 offen
	buffer_load_dword v58, v4, s[0:3], 0 offen offset:4
	buffer_load_dword v59, v4, s[0:3], 0 offen offset:8
	buffer_load_dword v60, v4, s[0:3], 0 offen offset:12
	buffer_load_dword v193, v47, s[0:3], 0 offen
	buffer_load_dword v194, v47, s[0:3], 0 offen offset:4
	buffer_load_dword v195, v47, s[0:3], 0 offen offset:8
	buffer_load_dword v196, v47, s[0:3], 0 offen offset:12
	v_mov_b32_e32 v4, s52
	v_mov_b32_e32 v47, s50
	s_waitcnt vmcnt(62)
	global_store_dwordx4 v[151:152], v[65:68], off
	s_clause 0x3
	buffer_load_dword v65, v4, s[0:3], 0 offen
	buffer_load_dword v66, v4, s[0:3], 0 offen offset:4
	buffer_load_dword v67, v4, s[0:3], 0 offen offset:8
	buffer_load_dword v68, v4, s[0:3], 0 offen offset:12
	v_mov_b32_e32 v4, s51
	;; [unrolled: 21-line block ×3, first 2 shown]
	v_mov_b32_e32 v147, s29
	v_mov_b32_e32 v148, s28
	global_store_dwordx4 v[143:144], v[153:156], off
	s_clause 0x7
	buffer_load_dword v143, v4, s[0:3], 0 offen
	buffer_load_dword v144, v4, s[0:3], 0 offen offset:4
	buffer_load_dword v145, v4, s[0:3], 0 offen offset:8
	;; [unrolled: 1-line block ×3, first 2 shown]
	buffer_load_dword v153, v47, s[0:3], 0 offen
	buffer_load_dword v154, v47, s[0:3], 0 offen offset:4
	buffer_load_dword v155, v47, s[0:3], 0 offen offset:8
	;; [unrolled: 1-line block ×3, first 2 shown]
	v_mov_b32_e32 v4, s46
	v_mov_b32_e32 v47, s44
	s_waitcnt vmcnt(62)
	global_store_dwordx4 v[137:138], v[157:160], off
	s_clause 0x3
	buffer_load_dword v157, v4, s[0:3], 0 offen
	buffer_load_dword v158, v4, s[0:3], 0 offen offset:4
	buffer_load_dword v159, v4, s[0:3], 0 offen offset:8
	;; [unrolled: 1-line block ×3, first 2 shown]
	v_mov_b32_e32 v4, s45
	global_store_dwordx4 v[135:136], v[161:164], off
	s_clause 0x3
	buffer_load_dword v135, v4, s[0:3], 0 offen
	buffer_load_dword v136, v4, s[0:3], 0 offen offset:4
	buffer_load_dword v137, v4, s[0:3], 0 offen offset:8
	;; [unrolled: 1-line block ×3, first 2 shown]
	v_mov_b32_e32 v4, s42
	global_store_dwordx4 v[133:134], v[165:168], off
	s_clause 0x7
	buffer_load_dword v161, v47, s[0:3], 0 offen
	buffer_load_dword v162, v47, s[0:3], 0 offen offset:4
	buffer_load_dword v163, v47, s[0:3], 0 offen offset:8
	;; [unrolled: 1-line block ×3, first 2 shown]
	buffer_load_dword v165, v48, s[0:3], 0 offen
	buffer_load_dword v166, v48, s[0:3], 0 offen offset:4
	buffer_load_dword v167, v48, s[0:3], 0 offen offset:8
	;; [unrolled: 1-line block ×3, first 2 shown]
	v_mov_b32_e32 v47, s41
	s_waitcnt vmcnt(62)
	global_store_dwordx4 v[129:130], v[169:172], off
	s_clause 0x7
	buffer_load_dword v169, v4, s[0:3], 0 offen
	buffer_load_dword v170, v4, s[0:3], 0 offen offset:4
	buffer_load_dword v171, v4, s[0:3], 0 offen offset:8
	;; [unrolled: 1-line block ×3, first 2 shown]
	buffer_load_dword v197, v47, s[0:3], 0 offen
	buffer_load_dword v198, v47, s[0:3], 0 offen offset:4
	buffer_load_dword v199, v47, s[0:3], 0 offen offset:8
	;; [unrolled: 1-line block ×3, first 2 shown]
	v_mov_b32_e32 v4, s40
	v_mov_b32_e32 v48, s38
	;; [unrolled: 1-line block ×4, first 2 shown]
	global_store_dwordx4 v[131:132], v[173:176], off
	v_mov_b32_e32 v133, s31
	global_store_dwordx4 v[123:124], v[177:180], off
	v_mov_b32_e32 v123, s34
	v_mov_b32_e32 v129, s37
	v_mov_b32_e32 v132, s35
	global_store_dwordx4 v[113:114], v[181:184], off
	v_mov_b32_e32 v113, s27
	s_waitcnt vmcnt(62)
	global_store_dwordx4 v[103:104], v[185:188], off
	v_mov_b32_e32 v124, s33
	v_mov_b32_e32 v134, s30
	;; [unrolled: 1-line block ×5, first 2 shown]
	global_store_dwordx4 v[99:100], v[0:3], off
	s_waitcnt vmcnt(60)
	global_store_dwordx4 v[83:84], v[189:192], off
	s_clause 0x7
	buffer_load_dword v0, v4, s[0:3], 0 offen
	buffer_load_dword v1, v4, s[0:3], 0 offen offset:4
	buffer_load_dword v2, v4, s[0:3], 0 offen offset:8
	;; [unrolled: 1-line block ×3, first 2 shown]
	buffer_load_dword v81, v47, s[0:3], 0 offen
	buffer_load_dword v82, v47, s[0:3], 0 offen offset:4
	buffer_load_dword v83, v47, s[0:3], 0 offen offset:8
	;; [unrolled: 1-line block ×3, first 2 shown]
	v_mov_b32_e32 v4, s10
	v_mov_b32_e32 v47, s9
	s_waitcnt vmcnt(62)
	global_store_dwordx4 v[79:80], v[53:56], off
	s_clause 0x7
	buffer_load_dword v53, v48, s[0:3], 0 offen
	buffer_load_dword v54, v48, s[0:3], 0 offen offset:4
	buffer_load_dword v55, v48, s[0:3], 0 offen offset:8
	;; [unrolled: 1-line block ×3, first 2 shown]
	buffer_load_dword v77, v129, s[0:3], 0 offen
	buffer_load_dword v78, v129, s[0:3], 0 offen offset:4
	buffer_load_dword v79, v129, s[0:3], 0 offen offset:8
	;; [unrolled: 1-line block ×3, first 2 shown]
	s_waitcnt vmcnt(62)
	global_store_dwordx4 v[85:86], v[57:60], off
	s_clause 0x7
	buffer_load_dword v57, v130, s[0:3], 0 offen
	buffer_load_dword v58, v130, s[0:3], 0 offen offset:4
	buffer_load_dword v59, v130, s[0:3], 0 offen offset:8
	;; [unrolled: 1-line block ×3, first 2 shown]
	buffer_load_dword v129, v132, s[0:3], 0 offen
	buffer_load_dword v130, v132, s[0:3], 0 offen offset:4
	buffer_load_dword v131, v132, s[0:3], 0 offen offset:8
	;; [unrolled: 1-line block ×3, first 2 shown]
	global_store_dwordx4 v[87:88], v[193:196], off
	s_clause 0x7
	buffer_load_dword v85, v123, s[0:3], 0 offen
	buffer_load_dword v86, v123, s[0:3], 0 offen offset:4
	buffer_load_dword v87, v123, s[0:3], 0 offen offset:8
	;; [unrolled: 1-line block ×3, first 2 shown]
	buffer_load_dword v173, v124, s[0:3], 0 offen
	buffer_load_dword v174, v124, s[0:3], 0 offen offset:4
	buffer_load_dword v175, v124, s[0:3], 0 offen offset:8
	buffer_load_dword v176, v124, s[0:3], 0 offen offset:12
	s_waitcnt vmcnt(62)
	global_store_dwordx4 v[89:90], v[65:68], off
	s_clause 0x7
	buffer_load_dword v65, v133, s[0:3], 0 offen
	buffer_load_dword v66, v133, s[0:3], 0 offen offset:4
	buffer_load_dword v67, v133, s[0:3], 0 offen offset:8
	buffer_load_dword v68, v133, s[0:3], 0 offen offset:12
	buffer_load_dword v177, v134, s[0:3], 0 offen
	buffer_load_dword v178, v134, s[0:3], 0 offen offset:4
	buffer_load_dword v179, v134, s[0:3], 0 offen offset:8
	buffer_load_dword v180, v134, s[0:3], 0 offen offset:12
	global_store_dwordx4 v[95:96], v[69:72], off
	s_clause 0x7
	buffer_load_dword v69, v147, s[0:3], 0 offen
	buffer_load_dword v70, v147, s[0:3], 0 offen offset:4
	buffer_load_dword v71, v147, s[0:3], 0 offen offset:8
	buffer_load_dword v72, v147, s[0:3], 0 offen offset:12
	buffer_load_dword v181, v148, s[0:3], 0 offen
	buffer_load_dword v182, v148, s[0:3], 0 offen offset:4
	buffer_load_dword v183, v148, s[0:3], 0 offen offset:8
	buffer_load_dword v184, v148, s[0:3], 0 offen offset:12
	;; [unrolled: 10-line block ×4, first 2 shown]
	s_waitcnt vmcnt(62)
	global_store_dwordx4 v[93:94], v[143:146], off
	s_clause 0x7
	buffer_load_dword v143, v203, s[0:3], 0 offen
	buffer_load_dword v144, v203, s[0:3], 0 offen offset:4
	buffer_load_dword v145, v203, s[0:3], 0 offen offset:8
	buffer_load_dword v146, v203, s[0:3], 0 offen offset:12
	buffer_load_dword v185, v204, s[0:3], 0 offen
	buffer_load_dword v186, v204, s[0:3], 0 offen offset:4
	buffer_load_dword v187, v204, s[0:3], 0 offen offset:8
	buffer_load_dword v188, v204, s[0:3], 0 offen offset:12
	global_store_dwordx4 v[101:102], v[153:156], off
	s_clause 0x7
	buffer_load_dword v99, v103, s[0:3], 0 offen
	buffer_load_dword v100, v103, s[0:3], 0 offen offset:4
	buffer_load_dword v101, v103, s[0:3], 0 offen offset:8
	buffer_load_dword v102, v103, s[0:3], 0 offen offset:12
	buffer_load_dword v151, v104, s[0:3], 0 offen
	buffer_load_dword v152, v104, s[0:3], 0 offen offset:4
	buffer_load_dword v153, v104, s[0:3], 0 offen offset:8
	buffer_load_dword v154, v104, s[0:3], 0 offen offset:12
	;; [unrolled: 10-line block ×5, first 2 shown]
	global_store_dwordx4 v[111:112], v[165:168], off
	global_store_dwordx4 v[115:116], v[169:172], off
	;; [unrolled: 1-line block ×3, first 2 shown]
	s_clause 0x13
	buffer_load_dword v111, v211, s[0:3], 0 offen
	buffer_load_dword v112, v211, s[0:3], 0 offen offset:4
	buffer_load_dword v113, v211, s[0:3], 0 offen offset:8
	buffer_load_dword v114, v211, s[0:3], 0 offen offset:12
	buffer_load_dword v115, v212, s[0:3], 0 offen
	buffer_load_dword v116, v212, s[0:3], 0 offen offset:4
	buffer_load_dword v117, v212, s[0:3], 0 offen offset:8
	buffer_load_dword v118, v212, s[0:3], 0 offen offset:12
	;; [unrolled: 4-line block ×5, first 2 shown]
	s_waitcnt vmcnt(62)
	global_store_dwordx4 v[119:120], v[0:3], off
	global_store_dwordx4 v[121:122], v[81:84], off
	;; [unrolled: 1-line block ×15, first 2 shown]
	s_waitcnt vmcnt(60)
	global_store_dwordx4 v[11:12], v[95:98], off
	s_waitcnt vmcnt(56)
	global_store_dwordx4 v[13:14], v[143:146], off
	;; [unrolled: 2-line block ×16, first 2 shown]
.LBB62_1367:
	s_endpgm
	.section	.rodata,"a",@progbits
	.p2align	6, 0x0
	.amdhsa_kernel _ZN9rocsolver6v33100L18trti2_kernel_smallILi63E19rocblas_complex_numIdEPS3_EEv13rocblas_fill_17rocblas_diagonal_T1_iil
		.amdhsa_group_segment_fixed_size 2016
		.amdhsa_private_segment_fixed_size 1024
		.amdhsa_kernarg_size 32
		.amdhsa_user_sgpr_count 6
		.amdhsa_user_sgpr_private_segment_buffer 1
		.amdhsa_user_sgpr_dispatch_ptr 0
		.amdhsa_user_sgpr_queue_ptr 0
		.amdhsa_user_sgpr_kernarg_segment_ptr 1
		.amdhsa_user_sgpr_dispatch_id 0
		.amdhsa_user_sgpr_flat_scratch_init 0
		.amdhsa_user_sgpr_private_segment_size 0
		.amdhsa_wavefront_size32 1
		.amdhsa_uses_dynamic_stack 0
		.amdhsa_system_sgpr_private_segment_wavefront_offset 1
		.amdhsa_system_sgpr_workgroup_id_x 1
		.amdhsa_system_sgpr_workgroup_id_y 0
		.amdhsa_system_sgpr_workgroup_id_z 0
		.amdhsa_system_sgpr_workgroup_info 0
		.amdhsa_system_vgpr_workitem_id 0
		.amdhsa_next_free_vgpr 214
		.amdhsa_next_free_sgpr 98
		.amdhsa_reserve_vcc 1
		.amdhsa_reserve_flat_scratch 0
		.amdhsa_float_round_mode_32 0
		.amdhsa_float_round_mode_16_64 0
		.amdhsa_float_denorm_mode_32 3
		.amdhsa_float_denorm_mode_16_64 3
		.amdhsa_dx10_clamp 1
		.amdhsa_ieee_mode 1
		.amdhsa_fp16_overflow 0
		.amdhsa_workgroup_processor_mode 1
		.amdhsa_memory_ordered 1
		.amdhsa_forward_progress 1
		.amdhsa_shared_vgpr_count 0
		.amdhsa_exception_fp_ieee_invalid_op 0
		.amdhsa_exception_fp_denorm_src 0
		.amdhsa_exception_fp_ieee_div_zero 0
		.amdhsa_exception_fp_ieee_overflow 0
		.amdhsa_exception_fp_ieee_underflow 0
		.amdhsa_exception_fp_ieee_inexact 0
		.amdhsa_exception_int_div_zero 0
	.end_amdhsa_kernel
	.section	.text._ZN9rocsolver6v33100L18trti2_kernel_smallILi63E19rocblas_complex_numIdEPS3_EEv13rocblas_fill_17rocblas_diagonal_T1_iil,"axG",@progbits,_ZN9rocsolver6v33100L18trti2_kernel_smallILi63E19rocblas_complex_numIdEPS3_EEv13rocblas_fill_17rocblas_diagonal_T1_iil,comdat
.Lfunc_end62:
	.size	_ZN9rocsolver6v33100L18trti2_kernel_smallILi63E19rocblas_complex_numIdEPS3_EEv13rocblas_fill_17rocblas_diagonal_T1_iil, .Lfunc_end62-_ZN9rocsolver6v33100L18trti2_kernel_smallILi63E19rocblas_complex_numIdEPS3_EEv13rocblas_fill_17rocblas_diagonal_T1_iil
                                        ; -- End function
	.set _ZN9rocsolver6v33100L18trti2_kernel_smallILi63E19rocblas_complex_numIdEPS3_EEv13rocblas_fill_17rocblas_diagonal_T1_iil.num_vgpr, 214
	.set _ZN9rocsolver6v33100L18trti2_kernel_smallILi63E19rocblas_complex_numIdEPS3_EEv13rocblas_fill_17rocblas_diagonal_T1_iil.num_agpr, 0
	.set _ZN9rocsolver6v33100L18trti2_kernel_smallILi63E19rocblas_complex_numIdEPS3_EEv13rocblas_fill_17rocblas_diagonal_T1_iil.numbered_sgpr, 98
	.set _ZN9rocsolver6v33100L18trti2_kernel_smallILi63E19rocblas_complex_numIdEPS3_EEv13rocblas_fill_17rocblas_diagonal_T1_iil.num_named_barrier, 0
	.set _ZN9rocsolver6v33100L18trti2_kernel_smallILi63E19rocblas_complex_numIdEPS3_EEv13rocblas_fill_17rocblas_diagonal_T1_iil.private_seg_size, 1024
	.set _ZN9rocsolver6v33100L18trti2_kernel_smallILi63E19rocblas_complex_numIdEPS3_EEv13rocblas_fill_17rocblas_diagonal_T1_iil.uses_vcc, 1
	.set _ZN9rocsolver6v33100L18trti2_kernel_smallILi63E19rocblas_complex_numIdEPS3_EEv13rocblas_fill_17rocblas_diagonal_T1_iil.uses_flat_scratch, 0
	.set _ZN9rocsolver6v33100L18trti2_kernel_smallILi63E19rocblas_complex_numIdEPS3_EEv13rocblas_fill_17rocblas_diagonal_T1_iil.has_dyn_sized_stack, 0
	.set _ZN9rocsolver6v33100L18trti2_kernel_smallILi63E19rocblas_complex_numIdEPS3_EEv13rocblas_fill_17rocblas_diagonal_T1_iil.has_recursion, 0
	.set _ZN9rocsolver6v33100L18trti2_kernel_smallILi63E19rocblas_complex_numIdEPS3_EEv13rocblas_fill_17rocblas_diagonal_T1_iil.has_indirect_call, 0
	.section	.AMDGPU.csdata,"",@progbits
; Kernel info:
; codeLenInByte = 118688
; TotalNumSgprs: 100
; NumVgprs: 214
; ScratchSize: 1024
; MemoryBound: 0
; FloatMode: 240
; IeeeMode: 1
; LDSByteSize: 2016 bytes/workgroup (compile time only)
; SGPRBlocks: 0
; VGPRBlocks: 26
; NumSGPRsForWavesPerEU: 100
; NumVGPRsForWavesPerEU: 214
; Occupancy: 4
; WaveLimiterHint : 0
; COMPUTE_PGM_RSRC2:SCRATCH_EN: 1
; COMPUTE_PGM_RSRC2:USER_SGPR: 6
; COMPUTE_PGM_RSRC2:TRAP_HANDLER: 0
; COMPUTE_PGM_RSRC2:TGID_X_EN: 1
; COMPUTE_PGM_RSRC2:TGID_Y_EN: 0
; COMPUTE_PGM_RSRC2:TGID_Z_EN: 0
; COMPUTE_PGM_RSRC2:TIDIG_COMP_CNT: 0
	.section	.text._ZN9rocsolver6v33100L18trti2_kernel_smallILi64E19rocblas_complex_numIdEPS3_EEv13rocblas_fill_17rocblas_diagonal_T1_iil,"axG",@progbits,_ZN9rocsolver6v33100L18trti2_kernel_smallILi64E19rocblas_complex_numIdEPS3_EEv13rocblas_fill_17rocblas_diagonal_T1_iil,comdat
	.globl	_ZN9rocsolver6v33100L18trti2_kernel_smallILi64E19rocblas_complex_numIdEPS3_EEv13rocblas_fill_17rocblas_diagonal_T1_iil ; -- Begin function _ZN9rocsolver6v33100L18trti2_kernel_smallILi64E19rocblas_complex_numIdEPS3_EEv13rocblas_fill_17rocblas_diagonal_T1_iil
	.p2align	8
	.type	_ZN9rocsolver6v33100L18trti2_kernel_smallILi64E19rocblas_complex_numIdEPS3_EEv13rocblas_fill_17rocblas_diagonal_T1_iil,@function
_ZN9rocsolver6v33100L18trti2_kernel_smallILi64E19rocblas_complex_numIdEPS3_EEv13rocblas_fill_17rocblas_diagonal_T1_iil: ; @_ZN9rocsolver6v33100L18trti2_kernel_smallILi64E19rocblas_complex_numIdEPS3_EEv13rocblas_fill_17rocblas_diagonal_T1_iil
; %bb.0:
	s_add_u32 s0, s0, s7
	s_addc_u32 s1, s1, 0
	s_mov_b32 s7, exec_lo
	v_cmpx_gt_u32_e32 64, v0
	s_cbranch_execz .LBB63_1389
; %bb.1:
	s_load_dwordx8 s[8:15], s[4:5], 0x0
	s_ashr_i32 s4, s6, 31
	v_lshlrev_b32_e32 v139, 4, v0
	s_movk_i32 s17, 0xf0
	s_movk_i32 s18, 0x100
	;; [unrolled: 1-line block ×17, first 2 shown]
	s_waitcnt lgkmcnt(0)
	s_mul_hi_u32 s7, s14, s6
	s_mul_i32 s16, s14, s4
	s_mul_i32 s15, s15, s6
	s_add_i32 s7, s7, s16
	v_add3_u32 v1, s13, s13, v0
	s_mul_i32 s6, s14, s6
	s_add_i32 s7, s7, s15
	s_ashr_i32 s5, s12, 31
	s_lshl_b64 s[6:7], s[6:7], 4
	s_mov_b32 s4, s12
	s_add_u32 s6, s10, s6
	v_add_nc_u32_e32 v3, s13, v1
	v_ashrrev_i32_e32 v2, 31, v1
	s_addc_u32 s7, s11, s7
	s_lshl_b64 s[4:5], s[4:5], 4
	s_mov_b32 s14, s13
	s_add_u32 s4, s6, s4
	s_addc_u32 s5, s7, s5
	v_add_co_u32 v89, s6, s4, v139
	v_add_nc_u32_e32 v5, s13, v3
	s_ashr_i32 s15, s13, 31
	v_lshlrev_b64 v[1:2], 4, v[1:2]
	v_add_co_ci_u32_e64 v90, null, s5, 0, s6
	s_lshl_b64 s[6:7], s[14:15], 4
	v_ashrrev_i32_e32 v4, 31, v3
	v_add_co_u32 v85, vcc_lo, v89, s6
	v_ashrrev_i32_e32 v6, 31, v5
	v_add_co_ci_u32_e64 v86, null, s7, v90, vcc_lo
	v_add_co_u32 v87, vcc_lo, s4, v1
	v_add_nc_u32_e32 v19, s13, v5
	v_add_co_ci_u32_e64 v88, null, s5, v2, vcc_lo
	v_lshlrev_b64 v[2:3], 4, v[3:4]
	v_lshlrev_b64 v[5:6], 4, v[5:6]
	v_ashrrev_i32_e32 v20, 31, v19
	v_add_nc_u32_e32 v29, s13, v19
	s_clause 0x2
	global_load_dwordx4 v[7:10], v139, s[4:5]
	global_load_dwordx4 v[11:14], v[85:86], off
	global_load_dwordx4 v[15:18], v[87:88], off
	v_add_co_u32 v75, vcc_lo, s4, v2
	v_add_co_ci_u32_e64 v76, null, s5, v3, vcc_lo
	v_add_co_u32 v83, vcc_lo, s4, v5
	v_add_co_ci_u32_e64 v84, null, s5, v6, vcc_lo
	v_lshlrev_b64 v[5:6], 4, v[19:20]
	v_ashrrev_i32_e32 v30, 31, v29
	v_add_nc_u32_e32 v31, s13, v29
	s_clause 0x1
	global_load_dwordx4 v[21:24], v[75:76], off
	global_load_dwordx4 v[25:28], v[83:84], off
	s_cmpk_lg_i32 s9, 0x84
	v_add_co_u32 v71, vcc_lo, s4, v5
	v_add_co_ci_u32_e64 v72, null, s5, v6, vcc_lo
	v_lshlrev_b64 v[5:6], 4, v[29:30]
	v_ashrrev_i32_e32 v32, 31, v31
	v_add_nc_u32_e32 v41, s13, v31
	global_load_dwordx4 v[33:36], v[71:72], off
	s_movk_i32 s6, 0x70
	s_movk_i32 s10, 0x80
	v_add_co_u32 v77, vcc_lo, s4, v5
	v_add_co_ci_u32_e64 v78, null, s5, v6, vcc_lo
	v_lshlrev_b64 v[5:6], 4, v[31:32]
	v_ashrrev_i32_e32 v42, 31, v41
	v_add_nc_u32_e32 v1, s13, v41
	global_load_dwordx4 v[37:40], v[77:78], off
	s_movk_i32 s11, 0x90
	s_movk_i32 s12, 0xa0
	;; [unrolled: 8-line block ×3, first 2 shown]
	v_add_co_u32 v65, vcc_lo, s4, v5
	v_lshlrev_b64 v[1:2], 4, v[1:2]
	v_add_co_ci_u32_e64 v66, null, s5, v6, vcc_lo
	v_ashrrev_i32_e32 v5, 31, v4
	v_add_nc_u32_e32 v3, s13, v4
	s_movk_i32 s16, 0xe0
	v_add_co_u32 v61, vcc_lo, s4, v1
	global_load_dwordx4 v[45:48], v[65:66], off
	v_add_co_ci_u32_e64 v62, null, s5, v2, vcc_lo
	v_lshlrev_b64 v[1:2], 4, v[4:5]
	v_add_nc_u32_e32 v49, s13, v3
	v_ashrrev_i32_e32 v4, 31, v3
	global_load_dwordx4 v[51:54], v[61:62], off
	s_movk_i32 s35, 0x200
	s_movk_i32 s36, 0x210
	v_add_co_u32 v57, vcc_lo, s4, v1
	v_add_co_ci_u32_e64 v58, null, s5, v2, vcc_lo
	v_add_nc_u32_e32 v55, s13, v49
	v_lshlrev_b64 v[1:2], 4, v[3:4]
	v_ashrrev_i32_e32 v50, 31, v49
	global_load_dwordx4 v[132:135], v[57:58], off
	s_movk_i32 s37, 0x220
	v_add_nc_u32_e32 v19, s13, v55
	v_ashrrev_i32_e32 v56, 31, v55
	v_add_co_u32 v73, vcc_lo, s4, v1
	v_add_co_ci_u32_e64 v74, null, s5, v2, vcc_lo
	v_add_nc_u32_e32 v63, s13, v19
	v_lshlrev_b64 v[3:4], 4, v[49:50]
	v_ashrrev_i32_e32 v20, 31, v19
	global_load_dwordx4 v[140:143], v[73:74], off
	s_movk_i32 s38, 0x230
	v_add_nc_u32_e32 v29, s13, v63
	v_ashrrev_i32_e32 v64, 31, v63
	v_add_co_u32 v79, vcc_lo, s4, v3
	v_add_co_ci_u32_e64 v80, null, s5, v4, vcc_lo
	v_add_nc_u32_e32 v69, s13, v29
	v_lshlrev_b64 v[3:4], 4, v[55:56]
	v_ashrrev_i32_e32 v30, 31, v29
	v_lshlrev_b64 v[19:20], 4, v[19:20]
	v_lshlrev_b64 v[31:32], 4, v[63:64]
	v_add_nc_u32_e32 v81, s13, v69
	v_ashrrev_i32_e32 v70, 31, v69
	global_load_dwordx4 v[144:147], v[79:80], off
	s_movk_i32 s73, 0x240
	s_movk_i32 s74, 0x250
	v_add_nc_u32_e32 v94, s13, v81
	v_ashrrev_i32_e32 v82, 31, v81
	s_movk_i32 s75, 0x260
	s_movk_i32 s76, 0x270
	s_movk_i32 s77, 0x280
	v_add_nc_u32_e32 v99, s13, v94
	v_ashrrev_i32_e32 v95, 31, v94
	s_movk_i32 s78, 0x290
	;; [unrolled: 5-line block ×9, first 2 shown]
	s_movk_i32 s100, 0x3f0
	s_cselect_b32 s7, -1, 0
	v_add_nc_u32_e32 v188, s13, v186
	v_ashrrev_i32_e32 v187, 31, v186
	s_cmpk_eq_i32 s9, 0x84
	v_add_nc_u32_e32 v190, s13, v188
	v_ashrrev_i32_e32 v189, 31, v188
	v_add_nc_u32_e32 v192, s13, v190
	v_ashrrev_i32_e32 v191, 31, v190
	;; [unrolled: 2-line block ×13, first 2 shown]
	v_lshlrev_b64 v[63:64], 4, v[210:211]
	v_add_nc_u32_e32 v216, s13, v214
	v_ashrrev_i32_e32 v215, 31, v214
	v_add_nc_u32_e32 v91, s13, v216
	v_ashrrev_i32_e32 v217, 31, v216
	;; [unrolled: 2-line block ×3, first 2 shown]
	v_add_nc_u32_e32 v98, s13, v93
	v_add_nc_u32_e32 v97, s13, v98
	v_add_nc_u32_e32 v103, s13, v97
	v_add_nc_u32_e32 v101, s13, v103
	v_ashrrev_i32_e32 v104, 31, v103
	v_add_nc_u32_e32 v105, s13, v101
	v_ashrrev_i32_e32 v102, 31, v101
	v_lshlrev_b64 v[103:104], 4, v[103:104]
	v_add_nc_u32_e32 v107, s13, v105
	v_ashrrev_i32_e32 v106, 31, v105
	v_add_nc_u32_e32 v111, s13, v107
	v_lshlrev_b64 v[105:106], 4, v[105:106]
	v_ashrrev_i32_e32 v108, 31, v107
	v_add_nc_u32_e32 v109, s13, v111
	v_ashrrev_i32_e32 v112, 31, v111
	v_lshlrev_b64 v[107:108], 4, v[107:108]
	v_add_nc_u32_e32 v118, s13, v109
	v_ashrrev_i32_e32 v110, 31, v109
	v_lshlrev_b64 v[111:112], 4, v[111:112]
	v_add_nc_u32_e32 v113, s13, v118
	v_add_nc_u32_e32 v115, s13, v113
	v_ashrrev_i32_e32 v114, 31, v113
	v_add_nc_u32_e32 v117, s13, v115
	v_ashrrev_i32_e32 v116, 31, v115
	v_add_nc_u32_e32 v126, s13, v117
	v_add_nc_u32_e32 v121, s13, v126
	v_add_nc_u32_e32 v123, s13, v121
	v_ashrrev_i32_e32 v122, 31, v121
	v_add_nc_u32_e32 v125, s13, v123
	v_ashrrev_i32_e32 v124, 31, v123
	v_add_nc_u32_e32 v129, s13, v125
	v_add_nc_u32_e32 v131, s13, v129
	v_ashrrev_i32_e32 v130, 31, v129
	v_add_nc_u32_e32 v1, s13, v131
	v_lshlrev_b64 v[129:130], 4, v[129:130]
	s_movk_i32 s13, 0xb0
	v_ashrrev_i32_e32 v2, 31, v1
	v_lshlrev_b64 v[1:2], 4, v[1:2]
	v_add_co_u32 v5, vcc_lo, s4, v1
	v_add_co_ci_u32_e64 v6, null, s5, v2, vcc_lo
	v_add_co_u32 v59, vcc_lo, s4, v3
	v_add_co_ci_u32_e64 v60, null, s5, v4, vcc_lo
	global_load_dwordx4 v[1:4], v[5:6], off
	s_waitcnt vmcnt(13)
	buffer_store_dword v10, off, s[0:3], 0 offset:12
	buffer_store_dword v9, off, s[0:3], 0 offset:8
	buffer_store_dword v8, off, s[0:3], 0 offset:4
	buffer_store_dword v7, off, s[0:3], 0
	v_lshlrev_b64 v[7:8], 4, v[29:30]
	v_add_co_u32 v49, vcc_lo, s4, v19
	v_lshlrev_b64 v[9:10], 4, v[69:70]
	global_load_dwordx4 v[148:151], v[59:60], off
	v_add_co_ci_u32_e64 v50, null, s5, v20, vcc_lo
	s_waitcnt vmcnt(13)
	buffer_store_dword v14, off, s[0:3], 0 offset:28
	buffer_store_dword v13, off, s[0:3], 0 offset:24
	;; [unrolled: 1-line block ×4, first 2 shown]
	v_add_co_u32 v31, vcc_lo, s4, v31
	v_lshlrev_b64 v[11:12], 4, v[81:82]
	v_add_co_ci_u32_e64 v32, null, s5, v32, vcc_lo
	v_add_co_u32 v19, vcc_lo, s4, v7
	v_add_co_ci_u32_e64 v20, null, s5, v8, vcc_lo
	v_add_co_u32 v7, vcc_lo, s4, v9
	v_add_co_ci_u32_e64 v8, null, s5, v10, vcc_lo
	v_lshlrev_b64 v[13:14], 4, v[94:95]
	v_add_co_u32 v9, vcc_lo, s4, v11
	v_add_co_ci_u32_e64 v10, null, s5, v12, vcc_lo
	v_lshlrev_b64 v[11:12], 4, v[99:100]
	global_load_dwordx4 v[152:155], v[49:50], off
	s_waitcnt vmcnt(13)
	buffer_store_dword v18, off, s[0:3], 0 offset:44
	buffer_store_dword v17, off, s[0:3], 0 offset:40
	;; [unrolled: 1-line block ×4, first 2 shown]
	v_lshlrev_b64 v[17:18], 4, v[119:120]
	v_add_co_u32 v15, vcc_lo, s4, v13
	v_add_co_ci_u32_e64 v16, null, s5, v14, vcc_lo
	v_add_co_u32 v13, vcc_lo, s4, v11
	v_add_co_ci_u32_e64 v14, null, s5, v12, vcc_lo
	v_add_co_u32 v11, vcc_lo, s4, v17
	global_load_dwordx4 v[156:159], v[31:32], off
	s_waitcnt vmcnt(13)
	buffer_store_dword v24, off, s[0:3], 0 offset:60
	buffer_store_dword v23, off, s[0:3], 0 offset:56
	;; [unrolled: 1-line block ×4, first 2 shown]
	global_load_dwordx4 v[160:163], v[19:20], off
	s_waitcnt vmcnt(13)
	buffer_store_dword v28, off, s[0:3], 0 offset:76
	buffer_store_dword v27, off, s[0:3], 0 offset:72
	;; [unrolled: 1-line block ×4, first 2 shown]
	v_add_co_ci_u32_e64 v12, null, s5, v18, vcc_lo
	global_load_dwordx4 v[164:167], v[7:8], off
	s_waitcnt vmcnt(13)
	buffer_store_dword v36, off, s[0:3], 0 offset:92
	buffer_store_dword v35, off, s[0:3], 0 offset:88
	buffer_store_dword v34, off, s[0:3], 0 offset:84
	buffer_store_dword v33, off, s[0:3], 0 offset:80
	global_load_dwordx4 v[168:171], v[9:10], off
	s_waitcnt vmcnt(13)
	buffer_store_dword v40, off, s[0:3], 0 offset:108
	buffer_store_dword v39, off, s[0:3], 0 offset:104
	buffer_store_dword v38, off, s[0:3], 0 offset:100
	buffer_store_dword v37, off, s[0:3], 0 offset:96
	;; [unrolled: 6-line block ×4, first 2 shown]
	v_lshlrev_b64 v[17:18], 4, v[127:128]
	global_load_dwordx4 v[43:46], v[11:12], off
	v_lshlrev_b64 v[21:22], 4, v[136:137]
	s_waitcnt vmcnt(13)
	buffer_store_dword v51, off, s[0:3], 0 offset:144
	buffer_store_dword v52, off, s[0:3], 0 offset:148
	;; [unrolled: 1-line block ×4, first 2 shown]
	v_lshlrev_b64 v[23:24], 4, v[180:181]
	v_lshlrev_b64 v[25:26], 4, v[182:183]
	v_add_co_u32 v17, vcc_lo, s4, v17
	v_add_co_ci_u32_e64 v18, null, s5, v18, vcc_lo
	v_add_co_u32 v21, vcc_lo, s4, v21
	v_add_co_ci_u32_e64 v22, null, s5, v22, vcc_lo
	global_load_dwordx4 v[53:56], v[17:18], off
	s_waitcnt vmcnt(13)
	buffer_store_dword v132, off, s[0:3], 0 offset:160
	buffer_store_dword v133, off, s[0:3], 0 offset:164
	;; [unrolled: 1-line block ×4, first 2 shown]
	v_lshlrev_b64 v[29:30], 4, v[184:185]
	global_load_dwordx4 v[132:135], v[21:22], off
	v_add_co_u32 v23, vcc_lo, s4, v23
	v_lshlrev_b64 v[33:34], 4, v[186:187]
	v_add_co_ci_u32_e64 v24, null, s5, v24, vcc_lo
	v_add_co_u32 v27, vcc_lo, s4, v25
	v_add_co_ci_u32_e64 v28, null, s5, v26, vcc_lo
	v_add_co_u32 v25, vcc_lo, s4, v29
	v_add_co_ci_u32_e64 v26, null, s5, v30, vcc_lo
	v_lshlrev_b64 v[29:30], 4, v[188:189]
	v_add_co_u32 v35, vcc_lo, s4, v33
	v_add_co_ci_u32_e64 v36, null, s5, v34, vcc_lo
	v_lshlrev_b64 v[33:34], 4, v[190:191]
	;; [unrolled: 3-line block ×6, first 2 shown]
	v_add_co_u32 v51, vcc_lo, s4, v37
	v_add_co_ci_u32_e64 v52, null, s5, v38, vcc_lo
	s_waitcnt vmcnt(13)
	buffer_store_dword v140, off, s[0:3], 0 offset:176
	buffer_store_dword v141, off, s[0:3], 0 offset:180
	;; [unrolled: 1-line block ×4, first 2 shown]
	v_add_co_u32 v33, vcc_lo, s4, v33
	global_load_dwordx4 v[140:143], v[23:24], off
	v_add_co_ci_u32_e64 v34, null, s5, v34, vcc_lo
	v_lshlrev_b64 v[37:38], 4, v[200:201]
	v_lshlrev_b64 v[69:70], 4, v[212:213]
	;; [unrolled: 1-line block ×5, first 2 shown]
	v_ashrrev_i32_e32 v94, 31, v93
	v_add_co_u32 v37, vcc_lo, s4, v37
	v_add_co_ci_u32_e64 v38, null, s5, v38, vcc_lo
	v_lshlrev_b64 v[127:128], 4, v[109:110]
	s_waitcnt vmcnt(13)
	buffer_store_dword v147, off, s[0:3], 0 offset:204
	buffer_store_dword v146, off, s[0:3], 0 offset:200
	buffer_store_dword v145, off, s[0:3], 0 offset:196
	buffer_store_dword v144, off, s[0:3], 0 offset:192
	s_waitcnt vmcnt(11)
	buffer_store_dword v151, off, s[0:3], 0 offset:220
	buffer_store_dword v150, off, s[0:3], 0 offset:216
	buffer_store_dword v149, off, s[0:3], 0 offset:212
	buffer_store_dword v148, off, s[0:3], 0 offset:208
	s_clause 0x1
	global_load_dwordx4 v[144:147], v[27:28], off
	global_load_dwordx4 v[148:151], v[25:26], off
	s_waitcnt vmcnt(12)
	buffer_store_dword v155, off, s[0:3], 0 offset:236
	buffer_store_dword v154, off, s[0:3], 0 offset:232
	buffer_store_dword v153, off, s[0:3], 0 offset:228
	buffer_store_dword v152, off, s[0:3], 0 offset:224
	s_waitcnt vmcnt(11)
	buffer_store_dword v159, off, s[0:3], 0 offset:252
	buffer_store_dword v158, off, s[0:3], 0 offset:248
	buffer_store_dword v157, off, s[0:3], 0 offset:244
	buffer_store_dword v156, off, s[0:3], 0 offset:240
	s_clause 0x1
	global_load_dwordx4 v[152:155], v[35:36], off
	global_load_dwordx4 v[156:159], v[29:30], off
	;; [unrolled: 13-line block ×4, first 2 shown]
	s_waitcnt vmcnt(12)
	buffer_store_dword v179, off, s[0:3], 0 offset:332
	buffer_store_dword v178, off, s[0:3], 0 offset:328
	;; [unrolled: 1-line block ×4, first 2 shown]
	global_load_dwordx4 v[176:179], v[33:34], off
	s_waitcnt vmcnt(12)
	buffer_store_dword v46, off, s[0:3], 0 offset:348
	buffer_store_dword v45, off, s[0:3], 0 offset:344
	;; [unrolled: 1-line block ×4, first 2 shown]
	v_lshlrev_b64 v[43:44], 4, v[202:203]
	v_lshlrev_b64 v[45:46], 4, v[204:205]
	global_load_dwordx4 v[180:183], v[37:38], off
	s_waitcnt vmcnt(12)
	buffer_store_dword v56, off, s[0:3], 0 offset:364
	buffer_store_dword v55, off, s[0:3], 0 offset:360
	;; [unrolled: 1-line block ×4, first 2 shown]
	v_add_co_u32 v43, vcc_lo, s4, v43
	v_add_co_ci_u32_e64 v44, null, s5, v44, vcc_lo
	v_add_co_u32 v45, vcc_lo, s4, v45
	v_add_co_ci_u32_e64 v46, null, s5, v46, vcc_lo
	global_load_dwordx4 v[184:187], v[43:44], off
	s_waitcnt vmcnt(12)
	buffer_store_dword v135, off, s[0:3], 0 offset:380
	buffer_store_dword v134, off, s[0:3], 0 offset:376
	;; [unrolled: 1-line block ×4, first 2 shown]
	v_lshlrev_b64 v[53:54], 4, v[206:207]
	global_load_dwordx4 v[132:135], v[45:46], off
	v_lshlrev_b64 v[55:56], 4, v[208:209]
	s_waitcnt vmcnt(12)
	buffer_store_dword v143, off, s[0:3], 0 offset:396
	buffer_store_dword v142, off, s[0:3], 0 offset:392
	;; [unrolled: 1-line block ×4, first 2 shown]
	s_waitcnt vmcnt(11)
	buffer_store_dword v147, off, s[0:3], 0 offset:412
	buffer_store_dword v146, off, s[0:3], 0 offset:408
	;; [unrolled: 1-line block ×4, first 2 shown]
	v_add_co_u32 v53, vcc_lo, s4, v53
	v_add_co_ci_u32_e64 v54, null, s5, v54, vcc_lo
	v_add_co_u32 v55, vcc_lo, s4, v55
	v_add_co_ci_u32_e64 v56, null, s5, v56, vcc_lo
	;; [unrolled: 2-line block ×6, first 2 shown]
	v_lshlrev_b64 v[95:96], 4, v[93:94]
	v_add_co_u32 v93, vcc_lo, s4, v99
	v_ashrrev_i32_e32 v99, 31, v98
	v_add_co_ci_u32_e64 v94, null, s5, v100, vcc_lo
	v_add_co_u32 v95, vcc_lo, s4, v95
	v_lshlrev_b64 v[99:100], 4, v[98:99]
	v_ashrrev_i32_e32 v98, 31, v97
	v_add_co_ci_u32_e64 v96, null, s5, v96, vcc_lo
	s_clause 0x1
	global_load_dwordx4 v[140:143], v[53:54], off
	global_load_dwordx4 v[144:147], v[55:56], off
	s_waitcnt vmcnt(12)
	buffer_store_dword v151, off, s[0:3], 0 offset:428
	buffer_store_dword v150, off, s[0:3], 0 offset:424
	;; [unrolled: 1-line block ×4, first 2 shown]
	s_waitcnt vmcnt(11)
	buffer_store_dword v155, off, s[0:3], 0 offset:444
	buffer_store_dword v154, off, s[0:3], 0 offset:440
	;; [unrolled: 1-line block ×4, first 2 shown]
	v_lshlrev_b64 v[119:120], 4, v[97:98]
	v_add_co_u32 v97, vcc_lo, s4, v99
	v_add_co_ci_u32_e64 v98, null, s5, v100, vcc_lo
	s_clause 0x1
	global_load_dwordx4 v[148:151], v[63:64], off
	global_load_dwordx4 v[152:155], v[69:70], off
	v_add_co_u32 v99, vcc_lo, s4, v119
	v_add_co_ci_u32_e64 v100, null, s5, v120, vcc_lo
	v_lshlrev_b64 v[119:120], 4, v[101:102]
	v_add_co_u32 v101, vcc_lo, s4, v103
	v_add_co_ci_u32_e64 v102, null, s5, v104, vcc_lo
	s_waitcnt vmcnt(12)
	buffer_store_dword v159, off, s[0:3], 0 offset:460
	buffer_store_dword v158, off, s[0:3], 0 offset:456
	buffer_store_dword v157, off, s[0:3], 0 offset:452
	buffer_store_dword v156, off, s[0:3], 0 offset:448
	s_waitcnt vmcnt(11)
	buffer_store_dword v163, off, s[0:3], 0 offset:476
	buffer_store_dword v162, off, s[0:3], 0 offset:472
	buffer_store_dword v161, off, s[0:3], 0 offset:468
	buffer_store_dword v160, off, s[0:3], 0 offset:464
	;; [unrolled: 5-line block ×6, first 2 shown]
	s_waitcnt vmcnt(6)
	buffer_store_dword v183, off, s[0:3], 0 offset:556
	buffer_store_dword v182, off, s[0:3], 0 offset:552
	;; [unrolled: 1-line block ×3, first 2 shown]
	v_add_co_u32 v103, vcc_lo, s4, v119
	v_add_co_ci_u32_e64 v104, null, s5, v120, vcc_lo
	v_add_co_u32 v105, vcc_lo, s4, v105
	v_add_co_ci_u32_e64 v106, null, s5, v106, vcc_lo
	s_clause 0x3
	global_load_dwordx4 v[156:159], v[81:82], off
	global_load_dwordx4 v[160:163], v[91:92], off
	global_load_dwordx4 v[164:167], v[93:94], off
	global_load_dwordx4 v[168:171], v[95:96], off
	buffer_store_dword v180, off, s[0:3], 0 offset:544
	s_clause 0x2
	global_load_dwordx4 v[172:175], v[97:98], off
	global_load_dwordx4 v[176:179], v[99:100], off
	;; [unrolled: 1-line block ×3, first 2 shown]
	s_waitcnt vmcnt(12)
	buffer_store_dword v187, off, s[0:3], 0 offset:572
	buffer_store_dword v186, off, s[0:3], 0 offset:568
	;; [unrolled: 1-line block ×4, first 2 shown]
	global_load_dwordx4 v[184:187], v[103:104], off
	s_waitcnt vmcnt(12)
	buffer_store_dword v135, off, s[0:3], 0 offset:588
	buffer_store_dword v134, off, s[0:3], 0 offset:584
	buffer_store_dword v133, off, s[0:3], 0 offset:580
	buffer_store_dword v132, off, s[0:3], 0 offset:576
	global_load_dwordx4 v[133:136], v[105:106], off
	v_ashrrev_i32_e32 v119, 31, v118
	v_add_co_u32 v107, vcc_lo, s4, v107
	v_add_co_ci_u32_e64 v108, null, s5, v108, vcc_lo
	v_lshlrev_b64 v[118:119], 4, v[118:119]
	v_add_co_u32 v109, vcc_lo, s4, v111
	v_add_co_ci_u32_e64 v110, null, s5, v112, vcc_lo
	v_add_co_u32 v111, vcc_lo, s4, v127
	v_add_co_ci_u32_e64 v112, null, s5, v128, vcc_lo
	v_lshlrev_b64 v[127:128], 4, v[113:114]
	v_add_co_u32 v113, vcc_lo, s4, v118
	v_ashrrev_i32_e32 v118, 31, v117
	v_add_co_ci_u32_e64 v114, null, s5, v119, vcc_lo
	v_lshlrev_b64 v[119:120], 4, v[115:116]
	v_add_co_u32 v115, vcc_lo, s4, v127
	v_ashrrev_i32_e32 v127, 31, v126
	v_add_co_ci_u32_e64 v116, null, s5, v128, vcc_lo
	v_ashrrev_i32_e32 v132, 31, v131
	s_waitcnt vmcnt(12)
	buffer_store_dword v143, off, s[0:3], 0 offset:604
	buffer_store_dword v142, off, s[0:3], 0 offset:600
	buffer_store_dword v141, off, s[0:3], 0 offset:596
	buffer_store_dword v140, off, s[0:3], 0 offset:592
	s_waitcnt vmcnt(11)
	buffer_store_dword v147, off, s[0:3], 0 offset:620
	buffer_store_dword v146, off, s[0:3], 0 offset:616
	buffer_store_dword v145, off, s[0:3], 0 offset:612
	buffer_store_dword v144, off, s[0:3], 0 offset:608
	;; [unrolled: 5-line block ×12, first 2 shown]
	v_lshlrev_b64 v[126:127], 4, v[126:127]
	global_load_dwordx4 v[140:143], v[107:108], off
	s_waitcnt vmcnt(1)
	buffer_store_dword v136, off, s[0:3], 0 offset:796
	v_lshlrev_b64 v[136:137], 4, v[117:118]
	v_add_co_u32 v117, vcc_lo, s4, v119
	v_add_co_ci_u32_e64 v118, null, s5, v120, vcc_lo
	s_clause 0x1
	global_load_dwordx4 v[144:147], v[109:110], off
	global_load_dwordx4 v[148:151], v[111:112], off
	v_add_co_u32 v119, vcc_lo, s4, v136
	v_add_co_ci_u32_e64 v120, null, s5, v137, vcc_lo
	v_lshlrev_b64 v[136:137], 4, v[121:122]
	v_add_co_u32 v121, vcc_lo, s4, v126
	v_ashrrev_i32_e32 v126, 31, v125
	v_add_co_ci_u32_e64 v122, null, s5, v127, vcc_lo
	v_lshlrev_b64 v[127:128], 4, v[123:124]
	v_add_co_u32 v123, vcc_lo, s4, v136
	v_add_co_ci_u32_e64 v124, null, s5, v137, vcc_lo
	v_lshlrev_b64 v[136:137], 4, v[125:126]
	v_add_co_u32 v125, vcc_lo, s4, v127
	v_add_co_ci_u32_e64 v126, null, s5, v128, vcc_lo
	s_clause 0x1
	global_load_dwordx4 v[152:155], v[113:114], off
	global_load_dwordx4 v[156:159], v[115:116], off
	v_add_co_u32 v127, vcc_lo, s4, v136
	v_add_co_ci_u32_e64 v128, null, s5, v137, vcc_lo
	s_clause 0x5
	global_load_dwordx4 v[160:163], v[117:118], off
	global_load_dwordx4 v[164:167], v[119:120], off
	;; [unrolled: 1-line block ×6, first 2 shown]
	v_lshlrev_b64 v[131:132], 4, v[131:132]
	v_add_co_u32 v129, vcc_lo, s4, v129
	v_add_co_ci_u32_e64 v130, null, s5, v130, vcc_lo
	v_add_co_u32 v131, vcc_lo, s4, v131
	v_add_co_ci_u32_e64 v132, null, s5, v132, vcc_lo
	global_load_dwordx4 v[184:187], v[129:130], off
	buffer_store_dword v135, off, s[0:3], 0 offset:792
	buffer_store_dword v134, off, s[0:3], 0 offset:788
	;; [unrolled: 1-line block ×3, first 2 shown]
	s_movk_i32 s4, 0x50
	global_load_dwordx4 v[133:136], v[131:132], off
	s_movk_i32 s5, 0x60
	s_waitcnt vmcnt(12)
	buffer_store_dword v143, off, s[0:3], 0 offset:812
	buffer_store_dword v142, off, s[0:3], 0 offset:808
	buffer_store_dword v141, off, s[0:3], 0 offset:804
	buffer_store_dword v140, off, s[0:3], 0 offset:800
	s_waitcnt vmcnt(11)
	buffer_store_dword v147, off, s[0:3], 0 offset:828
	buffer_store_dword v146, off, s[0:3], 0 offset:824
	buffer_store_dword v145, off, s[0:3], 0 offset:820
	buffer_store_dword v144, off, s[0:3], 0 offset:816
	s_waitcnt vmcnt(10)
	buffer_store_dword v151, off, s[0:3], 0 offset:844
	buffer_store_dword v150, off, s[0:3], 0 offset:840
	buffer_store_dword v149, off, s[0:3], 0 offset:836
	buffer_store_dword v148, off, s[0:3], 0 offset:832
	s_waitcnt vmcnt(9)
	buffer_store_dword v155, off, s[0:3], 0 offset:860
	buffer_store_dword v154, off, s[0:3], 0 offset:856
	buffer_store_dword v153, off, s[0:3], 0 offset:852
	buffer_store_dword v152, off, s[0:3], 0 offset:848
	s_waitcnt vmcnt(8)
	buffer_store_dword v159, off, s[0:3], 0 offset:876
	buffer_store_dword v158, off, s[0:3], 0 offset:872
	buffer_store_dword v157, off, s[0:3], 0 offset:868
	buffer_store_dword v156, off, s[0:3], 0 offset:864
	s_waitcnt vmcnt(7)
	buffer_store_dword v163, off, s[0:3], 0 offset:892
	buffer_store_dword v162, off, s[0:3], 0 offset:888
	buffer_store_dword v161, off, s[0:3], 0 offset:884
	buffer_store_dword v160, off, s[0:3], 0 offset:880
	s_waitcnt vmcnt(6)
	buffer_store_dword v167, off, s[0:3], 0 offset:908
	buffer_store_dword v166, off, s[0:3], 0 offset:904
	buffer_store_dword v165, off, s[0:3], 0 offset:900
	buffer_store_dword v164, off, s[0:3], 0 offset:896
	s_waitcnt vmcnt(5)
	buffer_store_dword v171, off, s[0:3], 0 offset:924
	buffer_store_dword v170, off, s[0:3], 0 offset:920
	buffer_store_dword v169, off, s[0:3], 0 offset:916
	buffer_store_dword v168, off, s[0:3], 0 offset:912
	s_waitcnt vmcnt(4)
	buffer_store_dword v175, off, s[0:3], 0 offset:940
	buffer_store_dword v174, off, s[0:3], 0 offset:936
	buffer_store_dword v173, off, s[0:3], 0 offset:932
	buffer_store_dword v172, off, s[0:3], 0 offset:928
	s_waitcnt vmcnt(3)
	buffer_store_dword v179, off, s[0:3], 0 offset:956
	buffer_store_dword v178, off, s[0:3], 0 offset:952
	buffer_store_dword v177, off, s[0:3], 0 offset:948
	buffer_store_dword v176, off, s[0:3], 0 offset:944
	s_waitcnt vmcnt(2)
	buffer_store_dword v183, off, s[0:3], 0 offset:972
	buffer_store_dword v182, off, s[0:3], 0 offset:968
	buffer_store_dword v181, off, s[0:3], 0 offset:964
	buffer_store_dword v180, off, s[0:3], 0 offset:960
	s_waitcnt vmcnt(1)
	buffer_store_dword v187, off, s[0:3], 0 offset:988
	buffer_store_dword v186, off, s[0:3], 0 offset:984
	buffer_store_dword v185, off, s[0:3], 0 offset:980
	buffer_store_dword v184, off, s[0:3], 0 offset:976
	s_waitcnt vmcnt(0)
	buffer_store_dword v136, off, s[0:3], 0 offset:1004
	buffer_store_dword v135, off, s[0:3], 0 offset:1000
	buffer_store_dword v134, off, s[0:3], 0 offset:996
	buffer_store_dword v133, off, s[0:3], 0 offset:992
	buffer_store_dword v4, off, s[0:3], 0 offset:1020
	buffer_store_dword v3, off, s[0:3], 0 offset:1016
	;; [unrolled: 1-line block ×4, first 2 shown]
	s_cbranch_scc1 .LBB63_7
; %bb.2:
	v_lshl_add_u32 v140, v0, 4, 0
                                        ; implicit-def: $vgpr135_vgpr136
                                        ; implicit-def: $vgpr3_vgpr4
	s_clause 0x3
	buffer_load_dword v133, v140, s[0:3], 0 offen
	buffer_load_dword v134, v140, s[0:3], 0 offen offset:4
	buffer_load_dword v137, v140, s[0:3], 0 offen offset:8
	;; [unrolled: 1-line block ×3, first 2 shown]
	s_waitcnt vmcnt(0)
	v_cmp_ngt_f64_e64 s9, |v[133:134]|, |v[137:138]|
	s_and_saveexec_b32 s39, s9
	s_xor_b32 s9, exec_lo, s39
	s_cbranch_execz .LBB63_4
; %bb.3:
	v_div_scale_f64 v[1:2], null, v[137:138], v[137:138], v[133:134]
	v_div_scale_f64 v[141:142], vcc_lo, v[133:134], v[137:138], v[133:134]
	v_rcp_f64_e32 v[3:4], v[1:2]
	v_fma_f64 v[135:136], -v[1:2], v[3:4], 1.0
	v_fma_f64 v[3:4], v[3:4], v[135:136], v[3:4]
	v_fma_f64 v[135:136], -v[1:2], v[3:4], 1.0
	v_fma_f64 v[3:4], v[3:4], v[135:136], v[3:4]
	v_mul_f64 v[135:136], v[141:142], v[3:4]
	v_fma_f64 v[1:2], -v[1:2], v[135:136], v[141:142]
	v_div_fmas_f64 v[1:2], v[1:2], v[3:4], v[135:136]
	v_div_fixup_f64 v[1:2], v[1:2], v[137:138], v[133:134]
	v_fma_f64 v[3:4], v[133:134], v[1:2], v[137:138]
	v_div_scale_f64 v[133:134], null, v[3:4], v[3:4], 1.0
	v_div_scale_f64 v[141:142], vcc_lo, 1.0, v[3:4], 1.0
	v_rcp_f64_e32 v[135:136], v[133:134]
	v_fma_f64 v[137:138], -v[133:134], v[135:136], 1.0
	v_fma_f64 v[135:136], v[135:136], v[137:138], v[135:136]
	v_fma_f64 v[137:138], -v[133:134], v[135:136], 1.0
	v_fma_f64 v[135:136], v[135:136], v[137:138], v[135:136]
	v_mul_f64 v[137:138], v[141:142], v[135:136]
	v_fma_f64 v[133:134], -v[133:134], v[137:138], v[141:142]
	v_div_fmas_f64 v[133:134], v[133:134], v[135:136], v[137:138]
                                        ; implicit-def: $vgpr137_vgpr138
	v_div_fixup_f64 v[3:4], v[133:134], v[3:4], 1.0
                                        ; implicit-def: $vgpr133_vgpr134
	v_mul_f64 v[135:136], v[1:2], v[3:4]
	v_xor_b32_e32 v4, 0x80000000, v4
	v_xor_b32_e32 v2, 0x80000000, v136
	v_mov_b32_e32 v1, v135
.LBB63_4:
	s_andn2_saveexec_b32 s9, s9
	s_cbranch_execz .LBB63_6
; %bb.5:
	v_div_scale_f64 v[1:2], null, v[133:134], v[133:134], v[137:138]
	v_div_scale_f64 v[141:142], vcc_lo, v[137:138], v[133:134], v[137:138]
	v_rcp_f64_e32 v[3:4], v[1:2]
	v_fma_f64 v[135:136], -v[1:2], v[3:4], 1.0
	v_fma_f64 v[3:4], v[3:4], v[135:136], v[3:4]
	v_fma_f64 v[135:136], -v[1:2], v[3:4], 1.0
	v_fma_f64 v[3:4], v[3:4], v[135:136], v[3:4]
	v_mul_f64 v[135:136], v[141:142], v[3:4]
	v_fma_f64 v[1:2], -v[1:2], v[135:136], v[141:142]
	v_div_fmas_f64 v[1:2], v[1:2], v[3:4], v[135:136]
	v_div_fixup_f64 v[1:2], v[1:2], v[133:134], v[137:138]
	v_fma_f64 v[3:4], v[137:138], v[1:2], v[133:134]
	v_div_scale_f64 v[133:134], null, v[3:4], v[3:4], 1.0
	v_rcp_f64_e32 v[135:136], v[133:134]
	v_fma_f64 v[137:138], -v[133:134], v[135:136], 1.0
	v_fma_f64 v[135:136], v[135:136], v[137:138], v[135:136]
	v_fma_f64 v[137:138], -v[133:134], v[135:136], 1.0
	v_fma_f64 v[135:136], v[135:136], v[137:138], v[135:136]
	v_div_scale_f64 v[137:138], vcc_lo, 1.0, v[3:4], 1.0
	v_mul_f64 v[141:142], v[137:138], v[135:136]
	v_fma_f64 v[133:134], -v[133:134], v[141:142], v[137:138]
	v_div_fmas_f64 v[133:134], v[133:134], v[135:136], v[141:142]
	v_div_fixup_f64 v[135:136], v[133:134], v[3:4], 1.0
	v_mul_f64 v[3:4], v[1:2], -v[135:136]
	v_xor_b32_e32 v2, 0x80000000, v136
	v_mov_b32_e32 v1, v135
.LBB63_6:
	s_or_b32 exec_lo, exec_lo, s9
	buffer_store_dword v4, v140, s[0:3], 0 offen offset:12
	v_xor_b32_e32 v4, 0x80000000, v4
	buffer_store_dword v136, v140, s[0:3], 0 offen offset:4
	buffer_store_dword v135, v140, s[0:3], 0 offen
	buffer_store_dword v3, v140, s[0:3], 0 offen offset:8
	s_branch .LBB63_8
.LBB63_7:
	v_mov_b32_e32 v1, 0
	v_mov_b32_e32 v3, 0
	;; [unrolled: 1-line block ×4, first 2 shown]
.LBB63_8:
	v_or_b32_e32 v134, 0x400, v139
	v_mov_b32_e32 v133, v139
	s_mov_b32 s72, 16
	s_mov_b32 s71, 32
	;; [unrolled: 1-line block ×62, first 2 shown]
	s_cmpk_eq_i32 s8, 0x79
	ds_write_b128 v139, v[1:4]
	s_cbranch_scc1 .LBB63_874
; %bb.9:
	v_mov_b32_e32 v4, s10
	v_cmp_eq_u32_e64 s4, 63, v0
	s_clause 0x3
	buffer_load_dword v1, v4, s[0:3], 0 offen
	buffer_load_dword v2, v4, s[0:3], 0 offen offset:4
	buffer_load_dword v3, v4, s[0:3], 0 offen offset:8
	;; [unrolled: 1-line block ×3, first 2 shown]
	s_waitcnt vmcnt(0)
	ds_write_b128 v134, v[1:4]
	s_waitcnt lgkmcnt(0)
	s_waitcnt_vscnt null, 0x0
	s_barrier
	buffer_gl0_inv
	s_and_saveexec_b32 s5, s4
	s_cbranch_execz .LBB63_13
; %bb.10:
	ds_read_b128 v[1:4], v134
	s_andn2_b32 vcc_lo, exec_lo, s7
	s_cbranch_vccnz .LBB63_12
; %bb.11:
	s_clause 0x3
	buffer_load_dword v135, v133, s[0:3], 0 offen offset:8
	buffer_load_dword v136, v133, s[0:3], 0 offen offset:12
	buffer_load_dword v137, v133, s[0:3], 0 offen
	buffer_load_dword v138, v133, s[0:3], 0 offen offset:4
	s_waitcnt vmcnt(2) lgkmcnt(0)
	v_mul_f64 v[140:141], v[3:4], v[135:136]
	v_mul_f64 v[135:136], v[1:2], v[135:136]
	s_waitcnt vmcnt(0)
	v_fma_f64 v[1:2], v[1:2], v[137:138], -v[140:141]
	v_fma_f64 v[3:4], v[3:4], v[137:138], v[135:136]
.LBB63_12:
	v_mov_b32_e32 v135, 0
	ds_read_b128 v[135:138], v135 offset:992
	s_waitcnt lgkmcnt(0)
	v_mul_f64 v[140:141], v[3:4], v[137:138]
	v_mul_f64 v[137:138], v[1:2], v[137:138]
	v_fma_f64 v[1:2], v[1:2], v[135:136], -v[140:141]
	v_fma_f64 v[3:4], v[3:4], v[135:136], v[137:138]
	buffer_store_dword v2, off, s[0:3], 0 offset:996
	buffer_store_dword v1, off, s[0:3], 0 offset:992
	buffer_store_dword v4, off, s[0:3], 0 offset:1004
	buffer_store_dword v3, off, s[0:3], 0 offset:1000
.LBB63_13:
	s_or_b32 exec_lo, exec_lo, s5
	v_mov_b32_e32 v4, s11
	v_cmp_lt_u32_e64 s5, 61, v0
	s_clause 0x3
	buffer_load_dword v1, v4, s[0:3], 0 offen
	buffer_load_dword v2, v4, s[0:3], 0 offen offset:4
	buffer_load_dword v3, v4, s[0:3], 0 offen offset:8
	;; [unrolled: 1-line block ×3, first 2 shown]
	s_waitcnt vmcnt(0)
	ds_write_b128 v134, v[1:4]
	s_waitcnt lgkmcnt(0)
	s_waitcnt_vscnt null, 0x0
	s_barrier
	buffer_gl0_inv
	s_and_saveexec_b32 s6, s5
	s_cbranch_execz .LBB63_19
; %bb.14:
	ds_read_b128 v[1:4], v134
	s_andn2_b32 vcc_lo, exec_lo, s7
	s_cbranch_vccnz .LBB63_16
; %bb.15:
	s_clause 0x3
	buffer_load_dword v135, v133, s[0:3], 0 offen offset:8
	buffer_load_dword v136, v133, s[0:3], 0 offen offset:12
	buffer_load_dword v137, v133, s[0:3], 0 offen
	buffer_load_dword v138, v133, s[0:3], 0 offen offset:4
	s_waitcnt vmcnt(2) lgkmcnt(0)
	v_mul_f64 v[140:141], v[3:4], v[135:136]
	v_mul_f64 v[135:136], v[1:2], v[135:136]
	s_waitcnt vmcnt(0)
	v_fma_f64 v[1:2], v[1:2], v[137:138], -v[140:141]
	v_fma_f64 v[3:4], v[3:4], v[137:138], v[135:136]
.LBB63_16:
	s_and_saveexec_b32 s8, s4
	s_cbranch_execz .LBB63_18
; %bb.17:
	s_clause 0x3
	buffer_load_dword v140, off, s[0:3], 0 offset:1000
	buffer_load_dword v141, off, s[0:3], 0 offset:1004
	;; [unrolled: 1-line block ×4, first 2 shown]
	v_mov_b32_e32 v135, 0
	ds_read_b128 v[135:138], v135 offset:2016
	s_waitcnt vmcnt(2) lgkmcnt(0)
	v_mul_f64 v[144:145], v[135:136], v[140:141]
	v_mul_f64 v[140:141], v[137:138], v[140:141]
	s_waitcnt vmcnt(0)
	v_fma_f64 v[137:138], v[137:138], v[142:143], v[144:145]
	v_fma_f64 v[135:136], v[135:136], v[142:143], -v[140:141]
	v_add_f64 v[3:4], v[3:4], v[137:138]
	v_add_f64 v[1:2], v[1:2], v[135:136]
.LBB63_18:
	s_or_b32 exec_lo, exec_lo, s8
	v_mov_b32_e32 v135, 0
	ds_read_b128 v[135:138], v135 offset:976
	s_waitcnt lgkmcnt(0)
	v_mul_f64 v[140:141], v[3:4], v[137:138]
	v_mul_f64 v[137:138], v[1:2], v[137:138]
	v_fma_f64 v[1:2], v[1:2], v[135:136], -v[140:141]
	v_fma_f64 v[3:4], v[3:4], v[135:136], v[137:138]
	buffer_store_dword v2, off, s[0:3], 0 offset:980
	buffer_store_dword v1, off, s[0:3], 0 offset:976
	;; [unrolled: 1-line block ×4, first 2 shown]
.LBB63_19:
	s_or_b32 exec_lo, exec_lo, s6
	v_mov_b32_e32 v4, s12
	v_cmp_lt_u32_e64 s4, 60, v0
	s_clause 0x3
	buffer_load_dword v1, v4, s[0:3], 0 offen
	buffer_load_dword v2, v4, s[0:3], 0 offen offset:4
	buffer_load_dword v3, v4, s[0:3], 0 offen offset:8
	buffer_load_dword v4, v4, s[0:3], 0 offen offset:12
	s_waitcnt vmcnt(0)
	ds_write_b128 v134, v[1:4]
	s_waitcnt lgkmcnt(0)
	s_waitcnt_vscnt null, 0x0
	s_barrier
	buffer_gl0_inv
	s_and_saveexec_b32 s6, s4
	s_cbranch_execz .LBB63_33
; %bb.20:
	ds_read_b128 v[1:4], v134
	s_andn2_b32 vcc_lo, exec_lo, s7
	s_cbranch_vccnz .LBB63_22
; %bb.21:
	s_clause 0x3
	buffer_load_dword v135, v133, s[0:3], 0 offen offset:8
	buffer_load_dword v136, v133, s[0:3], 0 offen offset:12
	buffer_load_dword v137, v133, s[0:3], 0 offen
	buffer_load_dword v138, v133, s[0:3], 0 offen offset:4
	s_waitcnt vmcnt(2) lgkmcnt(0)
	v_mul_f64 v[140:141], v[3:4], v[135:136]
	v_mul_f64 v[135:136], v[1:2], v[135:136]
	s_waitcnt vmcnt(0)
	v_fma_f64 v[1:2], v[1:2], v[137:138], -v[140:141]
	v_fma_f64 v[3:4], v[3:4], v[137:138], v[135:136]
.LBB63_22:
	s_and_saveexec_b32 s8, s5
	s_cbranch_execz .LBB63_32
; %bb.23:
	v_subrev_nc_u32_e32 v136, 62, v0
	v_mov_b32_e32 v137, 61
	v_subrev_nc_u32_e32 v135, 61, v0
	s_mov_b32 s5, exec_lo
	v_cmpx_lt_u32_e32 6, v136
	s_cbranch_execz .LBB63_27
; %bb.24:
	v_and_b32_e32 v136, -8, v135
	s_movk_i32 s74, 0x7d0
	s_mov_b32 s73, 0
	s_mov_b32 s75, s11
	;; [unrolled: 1-line block ×3, first 2 shown]
.LBB63_25:                              ; =>This Inner Loop Header: Depth=1
	v_mov_b32_e32 v140, s75
	v_mov_b32_e32 v186, s74
	s_add_i32 s77, s76, 8
	s_addk_i32 s76, 0x45
	v_cmp_eq_u32_e32 vcc_lo, s77, v136
	s_clause 0x1f
	buffer_load_dword v137, v140, s[0:3], 0 offen offset:8
	buffer_load_dword v138, v140, s[0:3], 0 offen offset:12
	buffer_load_dword v148, v140, s[0:3], 0 offen
	buffer_load_dword v149, v140, s[0:3], 0 offen offset:4
	buffer_load_dword v150, v140, s[0:3], 0 offen offset:24
	;; [unrolled: 1-line block ×29, first 2 shown]
	ds_read_b128 v[140:143], v186
	ds_read_b128 v[144:147], v186 offset:16
	s_addk_i32 s74, 0x80
	s_addk_i32 s75, 0x80
	s_or_b32 s73, vcc_lo, s73
	s_waitcnt vmcnt(30) lgkmcnt(1)
	v_mul_f64 v[178:179], v[142:143], v[137:138]
	v_mul_f64 v[137:138], v[140:141], v[137:138]
	s_waitcnt vmcnt(26) lgkmcnt(0)
	v_mul_f64 v[180:181], v[146:147], v[150:151]
	v_mul_f64 v[182:183], v[144:145], v[150:151]
	v_fma_f64 v[178:179], v[140:141], v[148:149], -v[178:179]
	v_fma_f64 v[137:138], v[142:143], v[148:149], v[137:138]
	ds_read_b128 v[140:143], v186 offset:32
	ds_read_b128 v[148:151], v186 offset:48
	s_waitcnt vmcnt(24)
	v_fma_f64 v[144:145], v[144:145], v[152:153], -v[180:181]
	v_fma_f64 v[146:147], v[146:147], v[152:153], v[182:183]
	s_waitcnt vmcnt(22) lgkmcnt(1)
	v_mul_f64 v[184:185], v[142:143], v[154:155]
	v_mul_f64 v[154:155], v[140:141], v[154:155]
	v_add_f64 v[1:2], v[1:2], v[178:179]
	v_add_f64 v[3:4], v[3:4], v[137:138]
	s_waitcnt vmcnt(18) lgkmcnt(0)
	v_mul_f64 v[137:138], v[150:151], v[158:159]
	v_mul_f64 v[152:153], v[148:149], v[158:159]
	v_fma_f64 v[158:159], v[140:141], v[156:157], -v[184:185]
	v_fma_f64 v[154:155], v[142:143], v[156:157], v[154:155]
	v_add_f64 v[144:145], v[1:2], v[144:145]
	v_add_f64 v[146:147], v[3:4], v[146:147]
	ds_read_b128 v[1:4], v186 offset:64
	ds_read_b128 v[140:143], v186 offset:80
	s_waitcnt vmcnt(16)
	v_fma_f64 v[137:138], v[148:149], v[160:161], -v[137:138]
	v_fma_f64 v[148:149], v[150:151], v[160:161], v[152:153]
	s_waitcnt vmcnt(12) lgkmcnt(1)
	v_mul_f64 v[156:157], v[3:4], v[162:163]
	v_mul_f64 v[162:163], v[1:2], v[162:163]
	v_add_f64 v[144:145], v[144:145], v[158:159]
	v_add_f64 v[146:147], v[146:147], v[154:155]
	s_waitcnt vmcnt(10) lgkmcnt(0)
	v_mul_f64 v[150:151], v[142:143], v[164:165]
	v_mul_f64 v[152:153], v[140:141], v[164:165]
	s_waitcnt vmcnt(8)
	v_fma_f64 v[154:155], v[1:2], v[168:169], -v[156:157]
	v_fma_f64 v[156:157], v[3:4], v[168:169], v[162:163]
	v_add_f64 v[137:138], v[144:145], v[137:138]
	v_add_f64 v[148:149], v[146:147], v[148:149]
	ds_read_b128 v[1:4], v186 offset:96
	ds_read_b128 v[144:147], v186 offset:112
	v_fma_f64 v[140:141], v[140:141], v[166:167], -v[150:151]
	v_fma_f64 v[142:143], v[142:143], v[166:167], v[152:153]
	s_waitcnt vmcnt(4) lgkmcnt(1)
	v_mul_f64 v[158:159], v[3:4], v[170:171]
	v_mul_f64 v[160:161], v[1:2], v[170:171]
	v_add_f64 v[137:138], v[137:138], v[154:155]
	v_add_f64 v[148:149], v[148:149], v[156:157]
	s_waitcnt vmcnt(2) lgkmcnt(0)
	v_mul_f64 v[150:151], v[146:147], v[172:173]
	v_mul_f64 v[152:153], v[144:145], v[172:173]
	s_waitcnt vmcnt(0)
	v_fma_f64 v[1:2], v[1:2], v[176:177], -v[158:159]
	v_fma_f64 v[3:4], v[3:4], v[176:177], v[160:161]
	v_add_f64 v[137:138], v[137:138], v[140:141]
	v_add_f64 v[140:141], v[148:149], v[142:143]
	v_fma_f64 v[142:143], v[144:145], v[174:175], -v[150:151]
	v_fma_f64 v[144:145], v[146:147], v[174:175], v[152:153]
	v_add_f64 v[1:2], v[137:138], v[1:2]
	v_add_f64 v[3:4], v[140:141], v[3:4]
	v_mov_b32_e32 v137, s76
	s_mov_b32 s76, s77
	v_add_f64 v[1:2], v[1:2], v[142:143]
	v_add_f64 v[3:4], v[3:4], v[144:145]
	s_andn2_b32 exec_lo, exec_lo, s73
	s_cbranch_execnz .LBB63_25
; %bb.26:
	s_or_b32 exec_lo, exec_lo, s73
.LBB63_27:
	s_or_b32 exec_lo, exec_lo, s5
	v_and_b32_e32 v135, 7, v135
	s_mov_b32 s73, 0
	s_mov_b32 s5, exec_lo
	v_cmpx_ne_u32_e32 0, v135
	s_cbranch_execz .LBB63_31
; %bb.28:
	v_lshlrev_b32_e32 v137, 4, v137
	v_add_nc_u32_e32 v136, 0x400, v137
	.p2align	6
.LBB63_29:                              ; =>This Inner Loop Header: Depth=1
	s_clause 0x3
	buffer_load_dword v144, v137, s[0:3], 0 offen offset:8
	buffer_load_dword v145, v137, s[0:3], 0 offen offset:12
	buffer_load_dword v146, v137, s[0:3], 0 offen
	buffer_load_dword v147, v137, s[0:3], 0 offen offset:4
	ds_read_b128 v[140:143], v136
	v_add_nc_u32_e32 v135, -1, v135
	v_add_nc_u32_e32 v136, 16, v136
	v_add_nc_u32_e32 v137, 16, v137
	v_cmp_eq_u32_e32 vcc_lo, 0, v135
	s_or_b32 s73, vcc_lo, s73
	s_waitcnt vmcnt(2) lgkmcnt(0)
	v_mul_f64 v[148:149], v[142:143], v[144:145]
	v_mul_f64 v[144:145], v[140:141], v[144:145]
	s_waitcnt vmcnt(0)
	v_fma_f64 v[140:141], v[140:141], v[146:147], -v[148:149]
	v_fma_f64 v[142:143], v[142:143], v[146:147], v[144:145]
	v_add_f64 v[1:2], v[1:2], v[140:141]
	v_add_f64 v[3:4], v[3:4], v[142:143]
	s_andn2_b32 exec_lo, exec_lo, s73
	s_cbranch_execnz .LBB63_29
; %bb.30:
	s_or_b32 exec_lo, exec_lo, s73
.LBB63_31:
	s_or_b32 exec_lo, exec_lo, s5
.LBB63_32:
	s_or_b32 exec_lo, exec_lo, s8
	v_mov_b32_e32 v135, 0
	ds_read_b128 v[135:138], v135 offset:960
	s_waitcnt lgkmcnt(0)
	v_mul_f64 v[140:141], v[3:4], v[137:138]
	v_mul_f64 v[137:138], v[1:2], v[137:138]
	v_fma_f64 v[1:2], v[1:2], v[135:136], -v[140:141]
	v_fma_f64 v[3:4], v[3:4], v[135:136], v[137:138]
	buffer_store_dword v2, off, s[0:3], 0 offset:964
	buffer_store_dword v1, off, s[0:3], 0 offset:960
	;; [unrolled: 1-line block ×4, first 2 shown]
.LBB63_33:
	s_or_b32 exec_lo, exec_lo, s6
	v_mov_b32_e32 v4, s13
	v_cmp_lt_u32_e64 s5, 59, v0
	s_clause 0x3
	buffer_load_dword v1, v4, s[0:3], 0 offen
	buffer_load_dword v2, v4, s[0:3], 0 offen offset:4
	buffer_load_dword v3, v4, s[0:3], 0 offen offset:8
	;; [unrolled: 1-line block ×3, first 2 shown]
	s_waitcnt vmcnt(0)
	ds_write_b128 v134, v[1:4]
	s_waitcnt lgkmcnt(0)
	s_waitcnt_vscnt null, 0x0
	s_barrier
	buffer_gl0_inv
	s_and_saveexec_b32 s6, s5
	s_cbranch_execz .LBB63_47
; %bb.34:
	ds_read_b128 v[1:4], v134
	s_andn2_b32 vcc_lo, exec_lo, s7
	s_cbranch_vccnz .LBB63_36
; %bb.35:
	s_clause 0x3
	buffer_load_dword v135, v133, s[0:3], 0 offen offset:8
	buffer_load_dword v136, v133, s[0:3], 0 offen offset:12
	buffer_load_dword v137, v133, s[0:3], 0 offen
	buffer_load_dword v138, v133, s[0:3], 0 offen offset:4
	s_waitcnt vmcnt(2) lgkmcnt(0)
	v_mul_f64 v[140:141], v[3:4], v[135:136]
	v_mul_f64 v[135:136], v[1:2], v[135:136]
	s_waitcnt vmcnt(0)
	v_fma_f64 v[1:2], v[1:2], v[137:138], -v[140:141]
	v_fma_f64 v[3:4], v[3:4], v[137:138], v[135:136]
.LBB63_36:
	s_and_saveexec_b32 s8, s4
	s_cbranch_execz .LBB63_46
; %bb.37:
	v_subrev_nc_u32_e32 v136, 61, v0
	v_mov_b32_e32 v137, 60
	v_subrev_nc_u32_e32 v135, 60, v0
	s_mov_b32 s4, exec_lo
	v_cmpx_lt_u32_e32 6, v136
	s_cbranch_execz .LBB63_41
; %bb.38:
	v_and_b32_e32 v136, -8, v135
	s_movk_i32 s74, 0x7c0
	s_mov_b32 s73, 0
	s_mov_b32 s75, s12
	;; [unrolled: 1-line block ×3, first 2 shown]
.LBB63_39:                              ; =>This Inner Loop Header: Depth=1
	v_mov_b32_e32 v140, s75
	v_mov_b32_e32 v186, s74
	s_add_i32 s77, s76, 8
	s_addk_i32 s76, 0x44
	v_cmp_eq_u32_e32 vcc_lo, s77, v136
	s_clause 0x1f
	buffer_load_dword v137, v140, s[0:3], 0 offen offset:8
	buffer_load_dword v138, v140, s[0:3], 0 offen offset:12
	buffer_load_dword v148, v140, s[0:3], 0 offen
	buffer_load_dword v149, v140, s[0:3], 0 offen offset:4
	buffer_load_dword v150, v140, s[0:3], 0 offen offset:24
	;; [unrolled: 1-line block ×29, first 2 shown]
	ds_read_b128 v[140:143], v186
	ds_read_b128 v[144:147], v186 offset:16
	s_addk_i32 s74, 0x80
	s_addk_i32 s75, 0x80
	s_or_b32 s73, vcc_lo, s73
	s_waitcnt vmcnt(30) lgkmcnt(1)
	v_mul_f64 v[178:179], v[142:143], v[137:138]
	v_mul_f64 v[137:138], v[140:141], v[137:138]
	s_waitcnt vmcnt(26) lgkmcnt(0)
	v_mul_f64 v[180:181], v[146:147], v[150:151]
	v_mul_f64 v[182:183], v[144:145], v[150:151]
	v_fma_f64 v[178:179], v[140:141], v[148:149], -v[178:179]
	v_fma_f64 v[137:138], v[142:143], v[148:149], v[137:138]
	ds_read_b128 v[140:143], v186 offset:32
	ds_read_b128 v[148:151], v186 offset:48
	s_waitcnt vmcnt(24)
	v_fma_f64 v[144:145], v[144:145], v[152:153], -v[180:181]
	v_fma_f64 v[146:147], v[146:147], v[152:153], v[182:183]
	s_waitcnt vmcnt(22) lgkmcnt(1)
	v_mul_f64 v[184:185], v[142:143], v[154:155]
	v_mul_f64 v[154:155], v[140:141], v[154:155]
	v_add_f64 v[1:2], v[1:2], v[178:179]
	v_add_f64 v[3:4], v[3:4], v[137:138]
	s_waitcnt vmcnt(18) lgkmcnt(0)
	v_mul_f64 v[137:138], v[150:151], v[158:159]
	v_mul_f64 v[152:153], v[148:149], v[158:159]
	v_fma_f64 v[158:159], v[140:141], v[156:157], -v[184:185]
	v_fma_f64 v[154:155], v[142:143], v[156:157], v[154:155]
	v_add_f64 v[144:145], v[1:2], v[144:145]
	v_add_f64 v[146:147], v[3:4], v[146:147]
	ds_read_b128 v[1:4], v186 offset:64
	ds_read_b128 v[140:143], v186 offset:80
	s_waitcnt vmcnt(16)
	v_fma_f64 v[137:138], v[148:149], v[160:161], -v[137:138]
	v_fma_f64 v[148:149], v[150:151], v[160:161], v[152:153]
	s_waitcnt vmcnt(12) lgkmcnt(1)
	v_mul_f64 v[156:157], v[3:4], v[162:163]
	v_mul_f64 v[162:163], v[1:2], v[162:163]
	v_add_f64 v[144:145], v[144:145], v[158:159]
	v_add_f64 v[146:147], v[146:147], v[154:155]
	s_waitcnt vmcnt(10) lgkmcnt(0)
	v_mul_f64 v[150:151], v[142:143], v[164:165]
	v_mul_f64 v[152:153], v[140:141], v[164:165]
	s_waitcnt vmcnt(8)
	v_fma_f64 v[154:155], v[1:2], v[168:169], -v[156:157]
	v_fma_f64 v[156:157], v[3:4], v[168:169], v[162:163]
	v_add_f64 v[137:138], v[144:145], v[137:138]
	v_add_f64 v[148:149], v[146:147], v[148:149]
	ds_read_b128 v[1:4], v186 offset:96
	ds_read_b128 v[144:147], v186 offset:112
	v_fma_f64 v[140:141], v[140:141], v[166:167], -v[150:151]
	v_fma_f64 v[142:143], v[142:143], v[166:167], v[152:153]
	s_waitcnt vmcnt(4) lgkmcnt(1)
	v_mul_f64 v[158:159], v[3:4], v[170:171]
	v_mul_f64 v[160:161], v[1:2], v[170:171]
	v_add_f64 v[137:138], v[137:138], v[154:155]
	v_add_f64 v[148:149], v[148:149], v[156:157]
	s_waitcnt vmcnt(2) lgkmcnt(0)
	v_mul_f64 v[150:151], v[146:147], v[172:173]
	v_mul_f64 v[152:153], v[144:145], v[172:173]
	s_waitcnt vmcnt(0)
	v_fma_f64 v[1:2], v[1:2], v[176:177], -v[158:159]
	v_fma_f64 v[3:4], v[3:4], v[176:177], v[160:161]
	v_add_f64 v[137:138], v[137:138], v[140:141]
	v_add_f64 v[140:141], v[148:149], v[142:143]
	v_fma_f64 v[142:143], v[144:145], v[174:175], -v[150:151]
	v_fma_f64 v[144:145], v[146:147], v[174:175], v[152:153]
	v_add_f64 v[1:2], v[137:138], v[1:2]
	v_add_f64 v[3:4], v[140:141], v[3:4]
	v_mov_b32_e32 v137, s76
	s_mov_b32 s76, s77
	v_add_f64 v[1:2], v[1:2], v[142:143]
	v_add_f64 v[3:4], v[3:4], v[144:145]
	s_andn2_b32 exec_lo, exec_lo, s73
	s_cbranch_execnz .LBB63_39
; %bb.40:
	s_or_b32 exec_lo, exec_lo, s73
.LBB63_41:
	s_or_b32 exec_lo, exec_lo, s4
	v_and_b32_e32 v135, 7, v135
	s_mov_b32 s73, 0
	s_mov_b32 s4, exec_lo
	v_cmpx_ne_u32_e32 0, v135
	s_cbranch_execz .LBB63_45
; %bb.42:
	v_lshlrev_b32_e32 v137, 4, v137
	v_add_nc_u32_e32 v136, 0x400, v137
	.p2align	6
.LBB63_43:                              ; =>This Inner Loop Header: Depth=1
	s_clause 0x3
	buffer_load_dword v144, v137, s[0:3], 0 offen offset:8
	buffer_load_dword v145, v137, s[0:3], 0 offen offset:12
	buffer_load_dword v146, v137, s[0:3], 0 offen
	buffer_load_dword v147, v137, s[0:3], 0 offen offset:4
	ds_read_b128 v[140:143], v136
	v_add_nc_u32_e32 v135, -1, v135
	v_add_nc_u32_e32 v136, 16, v136
	v_add_nc_u32_e32 v137, 16, v137
	v_cmp_eq_u32_e32 vcc_lo, 0, v135
	s_or_b32 s73, vcc_lo, s73
	s_waitcnt vmcnt(2) lgkmcnt(0)
	v_mul_f64 v[148:149], v[142:143], v[144:145]
	v_mul_f64 v[144:145], v[140:141], v[144:145]
	s_waitcnt vmcnt(0)
	v_fma_f64 v[140:141], v[140:141], v[146:147], -v[148:149]
	v_fma_f64 v[142:143], v[142:143], v[146:147], v[144:145]
	v_add_f64 v[1:2], v[1:2], v[140:141]
	v_add_f64 v[3:4], v[3:4], v[142:143]
	s_andn2_b32 exec_lo, exec_lo, s73
	s_cbranch_execnz .LBB63_43
; %bb.44:
	s_or_b32 exec_lo, exec_lo, s73
.LBB63_45:
	s_or_b32 exec_lo, exec_lo, s4
.LBB63_46:
	s_or_b32 exec_lo, exec_lo, s8
	v_mov_b32_e32 v135, 0
	ds_read_b128 v[135:138], v135 offset:944
	s_waitcnt lgkmcnt(0)
	v_mul_f64 v[140:141], v[3:4], v[137:138]
	v_mul_f64 v[137:138], v[1:2], v[137:138]
	v_fma_f64 v[1:2], v[1:2], v[135:136], -v[140:141]
	v_fma_f64 v[3:4], v[3:4], v[135:136], v[137:138]
	buffer_store_dword v2, off, s[0:3], 0 offset:948
	buffer_store_dword v1, off, s[0:3], 0 offset:944
	;; [unrolled: 1-line block ×4, first 2 shown]
.LBB63_47:
	s_or_b32 exec_lo, exec_lo, s6
	v_mov_b32_e32 v4, s14
	v_cmp_lt_u32_e64 s4, 58, v0
	s_clause 0x3
	buffer_load_dword v1, v4, s[0:3], 0 offen
	buffer_load_dword v2, v4, s[0:3], 0 offen offset:4
	buffer_load_dword v3, v4, s[0:3], 0 offen offset:8
	buffer_load_dword v4, v4, s[0:3], 0 offen offset:12
	s_waitcnt vmcnt(0)
	ds_write_b128 v134, v[1:4]
	s_waitcnt lgkmcnt(0)
	s_waitcnt_vscnt null, 0x0
	s_barrier
	buffer_gl0_inv
	s_and_saveexec_b32 s6, s4
	s_cbranch_execz .LBB63_61
; %bb.48:
	ds_read_b128 v[1:4], v134
	s_andn2_b32 vcc_lo, exec_lo, s7
	s_cbranch_vccnz .LBB63_50
; %bb.49:
	s_clause 0x3
	buffer_load_dword v135, v133, s[0:3], 0 offen offset:8
	buffer_load_dword v136, v133, s[0:3], 0 offen offset:12
	buffer_load_dword v137, v133, s[0:3], 0 offen
	buffer_load_dword v138, v133, s[0:3], 0 offen offset:4
	s_waitcnt vmcnt(2) lgkmcnt(0)
	v_mul_f64 v[140:141], v[3:4], v[135:136]
	v_mul_f64 v[135:136], v[1:2], v[135:136]
	s_waitcnt vmcnt(0)
	v_fma_f64 v[1:2], v[1:2], v[137:138], -v[140:141]
	v_fma_f64 v[3:4], v[3:4], v[137:138], v[135:136]
.LBB63_50:
	s_and_saveexec_b32 s8, s5
	s_cbranch_execz .LBB63_60
; %bb.51:
	v_subrev_nc_u32_e32 v136, 60, v0
	v_mov_b32_e32 v137, 59
	v_subrev_nc_u32_e32 v135, 59, v0
	s_mov_b32 s5, exec_lo
	v_cmpx_lt_u32_e32 6, v136
	s_cbranch_execz .LBB63_55
; %bb.52:
	v_and_b32_e32 v136, -8, v135
	s_movk_i32 s74, 0x7b0
	s_mov_b32 s73, 0
	s_mov_b32 s75, s13
	s_mov_b32 s76, 0
.LBB63_53:                              ; =>This Inner Loop Header: Depth=1
	v_mov_b32_e32 v140, s75
	v_mov_b32_e32 v186, s74
	s_add_i32 s77, s76, 8
	s_addk_i32 s76, 0x43
	v_cmp_eq_u32_e32 vcc_lo, s77, v136
	s_clause 0x1f
	buffer_load_dword v137, v140, s[0:3], 0 offen offset:8
	buffer_load_dword v138, v140, s[0:3], 0 offen offset:12
	buffer_load_dword v148, v140, s[0:3], 0 offen
	buffer_load_dword v149, v140, s[0:3], 0 offen offset:4
	buffer_load_dword v150, v140, s[0:3], 0 offen offset:24
	;; [unrolled: 1-line block ×29, first 2 shown]
	ds_read_b128 v[140:143], v186
	ds_read_b128 v[144:147], v186 offset:16
	s_addk_i32 s74, 0x80
	s_addk_i32 s75, 0x80
	s_or_b32 s73, vcc_lo, s73
	s_waitcnt vmcnt(30) lgkmcnt(1)
	v_mul_f64 v[178:179], v[142:143], v[137:138]
	v_mul_f64 v[137:138], v[140:141], v[137:138]
	s_waitcnt vmcnt(26) lgkmcnt(0)
	v_mul_f64 v[180:181], v[146:147], v[150:151]
	v_mul_f64 v[182:183], v[144:145], v[150:151]
	v_fma_f64 v[178:179], v[140:141], v[148:149], -v[178:179]
	v_fma_f64 v[137:138], v[142:143], v[148:149], v[137:138]
	ds_read_b128 v[140:143], v186 offset:32
	ds_read_b128 v[148:151], v186 offset:48
	s_waitcnt vmcnt(24)
	v_fma_f64 v[144:145], v[144:145], v[152:153], -v[180:181]
	v_fma_f64 v[146:147], v[146:147], v[152:153], v[182:183]
	s_waitcnt vmcnt(22) lgkmcnt(1)
	v_mul_f64 v[184:185], v[142:143], v[154:155]
	v_mul_f64 v[154:155], v[140:141], v[154:155]
	v_add_f64 v[1:2], v[1:2], v[178:179]
	v_add_f64 v[3:4], v[3:4], v[137:138]
	s_waitcnt vmcnt(18) lgkmcnt(0)
	v_mul_f64 v[137:138], v[150:151], v[158:159]
	v_mul_f64 v[152:153], v[148:149], v[158:159]
	v_fma_f64 v[158:159], v[140:141], v[156:157], -v[184:185]
	v_fma_f64 v[154:155], v[142:143], v[156:157], v[154:155]
	v_add_f64 v[144:145], v[1:2], v[144:145]
	v_add_f64 v[146:147], v[3:4], v[146:147]
	ds_read_b128 v[1:4], v186 offset:64
	ds_read_b128 v[140:143], v186 offset:80
	s_waitcnt vmcnt(16)
	v_fma_f64 v[137:138], v[148:149], v[160:161], -v[137:138]
	v_fma_f64 v[148:149], v[150:151], v[160:161], v[152:153]
	s_waitcnt vmcnt(12) lgkmcnt(1)
	v_mul_f64 v[156:157], v[3:4], v[162:163]
	v_mul_f64 v[162:163], v[1:2], v[162:163]
	v_add_f64 v[144:145], v[144:145], v[158:159]
	v_add_f64 v[146:147], v[146:147], v[154:155]
	s_waitcnt vmcnt(10) lgkmcnt(0)
	v_mul_f64 v[150:151], v[142:143], v[164:165]
	v_mul_f64 v[152:153], v[140:141], v[164:165]
	s_waitcnt vmcnt(8)
	v_fma_f64 v[154:155], v[1:2], v[168:169], -v[156:157]
	v_fma_f64 v[156:157], v[3:4], v[168:169], v[162:163]
	v_add_f64 v[137:138], v[144:145], v[137:138]
	v_add_f64 v[148:149], v[146:147], v[148:149]
	ds_read_b128 v[1:4], v186 offset:96
	ds_read_b128 v[144:147], v186 offset:112
	v_fma_f64 v[140:141], v[140:141], v[166:167], -v[150:151]
	v_fma_f64 v[142:143], v[142:143], v[166:167], v[152:153]
	s_waitcnt vmcnt(4) lgkmcnt(1)
	v_mul_f64 v[158:159], v[3:4], v[170:171]
	v_mul_f64 v[160:161], v[1:2], v[170:171]
	v_add_f64 v[137:138], v[137:138], v[154:155]
	v_add_f64 v[148:149], v[148:149], v[156:157]
	s_waitcnt vmcnt(2) lgkmcnt(0)
	v_mul_f64 v[150:151], v[146:147], v[172:173]
	v_mul_f64 v[152:153], v[144:145], v[172:173]
	s_waitcnt vmcnt(0)
	v_fma_f64 v[1:2], v[1:2], v[176:177], -v[158:159]
	v_fma_f64 v[3:4], v[3:4], v[176:177], v[160:161]
	v_add_f64 v[137:138], v[137:138], v[140:141]
	v_add_f64 v[140:141], v[148:149], v[142:143]
	v_fma_f64 v[142:143], v[144:145], v[174:175], -v[150:151]
	v_fma_f64 v[144:145], v[146:147], v[174:175], v[152:153]
	v_add_f64 v[1:2], v[137:138], v[1:2]
	v_add_f64 v[3:4], v[140:141], v[3:4]
	v_mov_b32_e32 v137, s76
	s_mov_b32 s76, s77
	v_add_f64 v[1:2], v[1:2], v[142:143]
	v_add_f64 v[3:4], v[3:4], v[144:145]
	s_andn2_b32 exec_lo, exec_lo, s73
	s_cbranch_execnz .LBB63_53
; %bb.54:
	s_or_b32 exec_lo, exec_lo, s73
.LBB63_55:
	s_or_b32 exec_lo, exec_lo, s5
	v_and_b32_e32 v135, 7, v135
	s_mov_b32 s73, 0
	s_mov_b32 s5, exec_lo
	v_cmpx_ne_u32_e32 0, v135
	s_cbranch_execz .LBB63_59
; %bb.56:
	v_lshlrev_b32_e32 v137, 4, v137
	v_add_nc_u32_e32 v136, 0x400, v137
	.p2align	6
.LBB63_57:                              ; =>This Inner Loop Header: Depth=1
	s_clause 0x3
	buffer_load_dword v144, v137, s[0:3], 0 offen offset:8
	buffer_load_dword v145, v137, s[0:3], 0 offen offset:12
	buffer_load_dword v146, v137, s[0:3], 0 offen
	buffer_load_dword v147, v137, s[0:3], 0 offen offset:4
	ds_read_b128 v[140:143], v136
	v_add_nc_u32_e32 v135, -1, v135
	v_add_nc_u32_e32 v136, 16, v136
	v_add_nc_u32_e32 v137, 16, v137
	v_cmp_eq_u32_e32 vcc_lo, 0, v135
	s_or_b32 s73, vcc_lo, s73
	s_waitcnt vmcnt(2) lgkmcnt(0)
	v_mul_f64 v[148:149], v[142:143], v[144:145]
	v_mul_f64 v[144:145], v[140:141], v[144:145]
	s_waitcnt vmcnt(0)
	v_fma_f64 v[140:141], v[140:141], v[146:147], -v[148:149]
	v_fma_f64 v[142:143], v[142:143], v[146:147], v[144:145]
	v_add_f64 v[1:2], v[1:2], v[140:141]
	v_add_f64 v[3:4], v[3:4], v[142:143]
	s_andn2_b32 exec_lo, exec_lo, s73
	s_cbranch_execnz .LBB63_57
; %bb.58:
	s_or_b32 exec_lo, exec_lo, s73
.LBB63_59:
	s_or_b32 exec_lo, exec_lo, s5
.LBB63_60:
	s_or_b32 exec_lo, exec_lo, s8
	v_mov_b32_e32 v135, 0
	ds_read_b128 v[135:138], v135 offset:928
	s_waitcnt lgkmcnt(0)
	v_mul_f64 v[140:141], v[3:4], v[137:138]
	v_mul_f64 v[137:138], v[1:2], v[137:138]
	v_fma_f64 v[1:2], v[1:2], v[135:136], -v[140:141]
	v_fma_f64 v[3:4], v[3:4], v[135:136], v[137:138]
	buffer_store_dword v2, off, s[0:3], 0 offset:932
	buffer_store_dword v1, off, s[0:3], 0 offset:928
	;; [unrolled: 1-line block ×4, first 2 shown]
.LBB63_61:
	s_or_b32 exec_lo, exec_lo, s6
	v_mov_b32_e32 v4, s15
	v_cmp_lt_u32_e64 s5, 57, v0
	s_clause 0x3
	buffer_load_dword v1, v4, s[0:3], 0 offen
	buffer_load_dword v2, v4, s[0:3], 0 offen offset:4
	buffer_load_dword v3, v4, s[0:3], 0 offen offset:8
	;; [unrolled: 1-line block ×3, first 2 shown]
	s_waitcnt vmcnt(0)
	ds_write_b128 v134, v[1:4]
	s_waitcnt lgkmcnt(0)
	s_waitcnt_vscnt null, 0x0
	s_barrier
	buffer_gl0_inv
	s_and_saveexec_b32 s6, s5
	s_cbranch_execz .LBB63_75
; %bb.62:
	ds_read_b128 v[1:4], v134
	s_andn2_b32 vcc_lo, exec_lo, s7
	s_cbranch_vccnz .LBB63_64
; %bb.63:
	s_clause 0x3
	buffer_load_dword v135, v133, s[0:3], 0 offen offset:8
	buffer_load_dword v136, v133, s[0:3], 0 offen offset:12
	buffer_load_dword v137, v133, s[0:3], 0 offen
	buffer_load_dword v138, v133, s[0:3], 0 offen offset:4
	s_waitcnt vmcnt(2) lgkmcnt(0)
	v_mul_f64 v[140:141], v[3:4], v[135:136]
	v_mul_f64 v[135:136], v[1:2], v[135:136]
	s_waitcnt vmcnt(0)
	v_fma_f64 v[1:2], v[1:2], v[137:138], -v[140:141]
	v_fma_f64 v[3:4], v[3:4], v[137:138], v[135:136]
.LBB63_64:
	s_and_saveexec_b32 s8, s4
	s_cbranch_execz .LBB63_74
; %bb.65:
	v_subrev_nc_u32_e32 v136, 59, v0
	v_mov_b32_e32 v137, 58
	v_subrev_nc_u32_e32 v135, 58, v0
	s_mov_b32 s4, exec_lo
	v_cmpx_lt_u32_e32 6, v136
	s_cbranch_execz .LBB63_69
; %bb.66:
	v_and_b32_e32 v136, -8, v135
	s_movk_i32 s74, 0x7a0
	s_mov_b32 s73, 0
	s_mov_b32 s75, s14
	;; [unrolled: 1-line block ×3, first 2 shown]
.LBB63_67:                              ; =>This Inner Loop Header: Depth=1
	v_mov_b32_e32 v140, s75
	v_mov_b32_e32 v186, s74
	s_add_i32 s77, s76, 8
	s_addk_i32 s76, 0x42
	v_cmp_eq_u32_e32 vcc_lo, s77, v136
	s_clause 0x1f
	buffer_load_dword v137, v140, s[0:3], 0 offen offset:8
	buffer_load_dword v138, v140, s[0:3], 0 offen offset:12
	buffer_load_dword v148, v140, s[0:3], 0 offen
	buffer_load_dword v149, v140, s[0:3], 0 offen offset:4
	buffer_load_dword v150, v140, s[0:3], 0 offen offset:24
	;; [unrolled: 1-line block ×29, first 2 shown]
	ds_read_b128 v[140:143], v186
	ds_read_b128 v[144:147], v186 offset:16
	s_addk_i32 s74, 0x80
	s_addk_i32 s75, 0x80
	s_or_b32 s73, vcc_lo, s73
	s_waitcnt vmcnt(30) lgkmcnt(1)
	v_mul_f64 v[178:179], v[142:143], v[137:138]
	v_mul_f64 v[137:138], v[140:141], v[137:138]
	s_waitcnt vmcnt(26) lgkmcnt(0)
	v_mul_f64 v[180:181], v[146:147], v[150:151]
	v_mul_f64 v[182:183], v[144:145], v[150:151]
	v_fma_f64 v[178:179], v[140:141], v[148:149], -v[178:179]
	v_fma_f64 v[137:138], v[142:143], v[148:149], v[137:138]
	ds_read_b128 v[140:143], v186 offset:32
	ds_read_b128 v[148:151], v186 offset:48
	s_waitcnt vmcnt(24)
	v_fma_f64 v[144:145], v[144:145], v[152:153], -v[180:181]
	v_fma_f64 v[146:147], v[146:147], v[152:153], v[182:183]
	s_waitcnt vmcnt(22) lgkmcnt(1)
	v_mul_f64 v[184:185], v[142:143], v[154:155]
	v_mul_f64 v[154:155], v[140:141], v[154:155]
	v_add_f64 v[1:2], v[1:2], v[178:179]
	v_add_f64 v[3:4], v[3:4], v[137:138]
	s_waitcnt vmcnt(18) lgkmcnt(0)
	v_mul_f64 v[137:138], v[150:151], v[158:159]
	v_mul_f64 v[152:153], v[148:149], v[158:159]
	v_fma_f64 v[158:159], v[140:141], v[156:157], -v[184:185]
	v_fma_f64 v[154:155], v[142:143], v[156:157], v[154:155]
	v_add_f64 v[144:145], v[1:2], v[144:145]
	v_add_f64 v[146:147], v[3:4], v[146:147]
	ds_read_b128 v[1:4], v186 offset:64
	ds_read_b128 v[140:143], v186 offset:80
	s_waitcnt vmcnt(16)
	v_fma_f64 v[137:138], v[148:149], v[160:161], -v[137:138]
	v_fma_f64 v[148:149], v[150:151], v[160:161], v[152:153]
	s_waitcnt vmcnt(12) lgkmcnt(1)
	v_mul_f64 v[156:157], v[3:4], v[162:163]
	v_mul_f64 v[162:163], v[1:2], v[162:163]
	v_add_f64 v[144:145], v[144:145], v[158:159]
	v_add_f64 v[146:147], v[146:147], v[154:155]
	s_waitcnt vmcnt(10) lgkmcnt(0)
	v_mul_f64 v[150:151], v[142:143], v[164:165]
	v_mul_f64 v[152:153], v[140:141], v[164:165]
	s_waitcnt vmcnt(8)
	v_fma_f64 v[154:155], v[1:2], v[168:169], -v[156:157]
	v_fma_f64 v[156:157], v[3:4], v[168:169], v[162:163]
	v_add_f64 v[137:138], v[144:145], v[137:138]
	v_add_f64 v[148:149], v[146:147], v[148:149]
	ds_read_b128 v[1:4], v186 offset:96
	ds_read_b128 v[144:147], v186 offset:112
	v_fma_f64 v[140:141], v[140:141], v[166:167], -v[150:151]
	v_fma_f64 v[142:143], v[142:143], v[166:167], v[152:153]
	s_waitcnt vmcnt(4) lgkmcnt(1)
	v_mul_f64 v[158:159], v[3:4], v[170:171]
	v_mul_f64 v[160:161], v[1:2], v[170:171]
	v_add_f64 v[137:138], v[137:138], v[154:155]
	v_add_f64 v[148:149], v[148:149], v[156:157]
	s_waitcnt vmcnt(2) lgkmcnt(0)
	v_mul_f64 v[150:151], v[146:147], v[172:173]
	v_mul_f64 v[152:153], v[144:145], v[172:173]
	s_waitcnt vmcnt(0)
	v_fma_f64 v[1:2], v[1:2], v[176:177], -v[158:159]
	v_fma_f64 v[3:4], v[3:4], v[176:177], v[160:161]
	v_add_f64 v[137:138], v[137:138], v[140:141]
	v_add_f64 v[140:141], v[148:149], v[142:143]
	v_fma_f64 v[142:143], v[144:145], v[174:175], -v[150:151]
	v_fma_f64 v[144:145], v[146:147], v[174:175], v[152:153]
	v_add_f64 v[1:2], v[137:138], v[1:2]
	v_add_f64 v[3:4], v[140:141], v[3:4]
	v_mov_b32_e32 v137, s76
	s_mov_b32 s76, s77
	v_add_f64 v[1:2], v[1:2], v[142:143]
	v_add_f64 v[3:4], v[3:4], v[144:145]
	s_andn2_b32 exec_lo, exec_lo, s73
	s_cbranch_execnz .LBB63_67
; %bb.68:
	s_or_b32 exec_lo, exec_lo, s73
.LBB63_69:
	s_or_b32 exec_lo, exec_lo, s4
	v_and_b32_e32 v135, 7, v135
	s_mov_b32 s73, 0
	s_mov_b32 s4, exec_lo
	v_cmpx_ne_u32_e32 0, v135
	s_cbranch_execz .LBB63_73
; %bb.70:
	v_lshlrev_b32_e32 v137, 4, v137
	v_add_nc_u32_e32 v136, 0x400, v137
	.p2align	6
.LBB63_71:                              ; =>This Inner Loop Header: Depth=1
	s_clause 0x3
	buffer_load_dword v144, v137, s[0:3], 0 offen offset:8
	buffer_load_dword v145, v137, s[0:3], 0 offen offset:12
	buffer_load_dword v146, v137, s[0:3], 0 offen
	buffer_load_dword v147, v137, s[0:3], 0 offen offset:4
	ds_read_b128 v[140:143], v136
	v_add_nc_u32_e32 v135, -1, v135
	v_add_nc_u32_e32 v136, 16, v136
	v_add_nc_u32_e32 v137, 16, v137
	v_cmp_eq_u32_e32 vcc_lo, 0, v135
	s_or_b32 s73, vcc_lo, s73
	s_waitcnt vmcnt(2) lgkmcnt(0)
	v_mul_f64 v[148:149], v[142:143], v[144:145]
	v_mul_f64 v[144:145], v[140:141], v[144:145]
	s_waitcnt vmcnt(0)
	v_fma_f64 v[140:141], v[140:141], v[146:147], -v[148:149]
	v_fma_f64 v[142:143], v[142:143], v[146:147], v[144:145]
	v_add_f64 v[1:2], v[1:2], v[140:141]
	v_add_f64 v[3:4], v[3:4], v[142:143]
	s_andn2_b32 exec_lo, exec_lo, s73
	s_cbranch_execnz .LBB63_71
; %bb.72:
	s_or_b32 exec_lo, exec_lo, s73
.LBB63_73:
	s_or_b32 exec_lo, exec_lo, s4
.LBB63_74:
	s_or_b32 exec_lo, exec_lo, s8
	v_mov_b32_e32 v135, 0
	ds_read_b128 v[135:138], v135 offset:912
	s_waitcnt lgkmcnt(0)
	v_mul_f64 v[140:141], v[3:4], v[137:138]
	v_mul_f64 v[137:138], v[1:2], v[137:138]
	v_fma_f64 v[1:2], v[1:2], v[135:136], -v[140:141]
	v_fma_f64 v[3:4], v[3:4], v[135:136], v[137:138]
	buffer_store_dword v2, off, s[0:3], 0 offset:916
	buffer_store_dword v1, off, s[0:3], 0 offset:912
	;; [unrolled: 1-line block ×4, first 2 shown]
.LBB63_75:
	s_or_b32 exec_lo, exec_lo, s6
	v_mov_b32_e32 v4, s16
	v_cmp_lt_u32_e64 s4, 56, v0
	s_clause 0x3
	buffer_load_dword v1, v4, s[0:3], 0 offen
	buffer_load_dword v2, v4, s[0:3], 0 offen offset:4
	buffer_load_dword v3, v4, s[0:3], 0 offen offset:8
	;; [unrolled: 1-line block ×3, first 2 shown]
	s_waitcnt vmcnt(0)
	ds_write_b128 v134, v[1:4]
	s_waitcnt lgkmcnt(0)
	s_waitcnt_vscnt null, 0x0
	s_barrier
	buffer_gl0_inv
	s_and_saveexec_b32 s6, s4
	s_cbranch_execz .LBB63_89
; %bb.76:
	ds_read_b128 v[1:4], v134
	s_andn2_b32 vcc_lo, exec_lo, s7
	s_cbranch_vccnz .LBB63_78
; %bb.77:
	s_clause 0x3
	buffer_load_dword v135, v133, s[0:3], 0 offen offset:8
	buffer_load_dword v136, v133, s[0:3], 0 offen offset:12
	buffer_load_dword v137, v133, s[0:3], 0 offen
	buffer_load_dword v138, v133, s[0:3], 0 offen offset:4
	s_waitcnt vmcnt(2) lgkmcnt(0)
	v_mul_f64 v[140:141], v[3:4], v[135:136]
	v_mul_f64 v[135:136], v[1:2], v[135:136]
	s_waitcnt vmcnt(0)
	v_fma_f64 v[1:2], v[1:2], v[137:138], -v[140:141]
	v_fma_f64 v[3:4], v[3:4], v[137:138], v[135:136]
.LBB63_78:
	s_and_saveexec_b32 s8, s5
	s_cbranch_execz .LBB63_88
; %bb.79:
	v_subrev_nc_u32_e32 v136, 58, v0
	v_mov_b32_e32 v137, 57
	v_subrev_nc_u32_e32 v135, 57, v0
	s_mov_b32 s5, exec_lo
	v_cmpx_lt_u32_e32 6, v136
	s_cbranch_execz .LBB63_83
; %bb.80:
	v_and_b32_e32 v136, -8, v135
	s_movk_i32 s74, 0x790
	s_mov_b32 s73, 0
	s_mov_b32 s75, s15
	;; [unrolled: 1-line block ×3, first 2 shown]
.LBB63_81:                              ; =>This Inner Loop Header: Depth=1
	v_mov_b32_e32 v140, s75
	v_mov_b32_e32 v186, s74
	s_add_i32 s77, s76, 8
	s_addk_i32 s76, 0x41
	v_cmp_eq_u32_e32 vcc_lo, s77, v136
	s_clause 0x1f
	buffer_load_dword v137, v140, s[0:3], 0 offen offset:8
	buffer_load_dword v138, v140, s[0:3], 0 offen offset:12
	buffer_load_dword v148, v140, s[0:3], 0 offen
	buffer_load_dword v149, v140, s[0:3], 0 offen offset:4
	buffer_load_dword v150, v140, s[0:3], 0 offen offset:24
	;; [unrolled: 1-line block ×29, first 2 shown]
	ds_read_b128 v[140:143], v186
	ds_read_b128 v[144:147], v186 offset:16
	s_addk_i32 s74, 0x80
	s_addk_i32 s75, 0x80
	s_or_b32 s73, vcc_lo, s73
	s_waitcnt vmcnt(30) lgkmcnt(1)
	v_mul_f64 v[178:179], v[142:143], v[137:138]
	v_mul_f64 v[137:138], v[140:141], v[137:138]
	s_waitcnt vmcnt(26) lgkmcnt(0)
	v_mul_f64 v[180:181], v[146:147], v[150:151]
	v_mul_f64 v[182:183], v[144:145], v[150:151]
	v_fma_f64 v[178:179], v[140:141], v[148:149], -v[178:179]
	v_fma_f64 v[137:138], v[142:143], v[148:149], v[137:138]
	ds_read_b128 v[140:143], v186 offset:32
	ds_read_b128 v[148:151], v186 offset:48
	s_waitcnt vmcnt(24)
	v_fma_f64 v[144:145], v[144:145], v[152:153], -v[180:181]
	v_fma_f64 v[146:147], v[146:147], v[152:153], v[182:183]
	s_waitcnt vmcnt(22) lgkmcnt(1)
	v_mul_f64 v[184:185], v[142:143], v[154:155]
	v_mul_f64 v[154:155], v[140:141], v[154:155]
	v_add_f64 v[1:2], v[1:2], v[178:179]
	v_add_f64 v[3:4], v[3:4], v[137:138]
	s_waitcnt vmcnt(18) lgkmcnt(0)
	v_mul_f64 v[137:138], v[150:151], v[158:159]
	v_mul_f64 v[152:153], v[148:149], v[158:159]
	v_fma_f64 v[158:159], v[140:141], v[156:157], -v[184:185]
	v_fma_f64 v[154:155], v[142:143], v[156:157], v[154:155]
	v_add_f64 v[144:145], v[1:2], v[144:145]
	v_add_f64 v[146:147], v[3:4], v[146:147]
	ds_read_b128 v[1:4], v186 offset:64
	ds_read_b128 v[140:143], v186 offset:80
	s_waitcnt vmcnt(16)
	v_fma_f64 v[137:138], v[148:149], v[160:161], -v[137:138]
	v_fma_f64 v[148:149], v[150:151], v[160:161], v[152:153]
	s_waitcnt vmcnt(12) lgkmcnt(1)
	v_mul_f64 v[156:157], v[3:4], v[162:163]
	v_mul_f64 v[162:163], v[1:2], v[162:163]
	v_add_f64 v[144:145], v[144:145], v[158:159]
	v_add_f64 v[146:147], v[146:147], v[154:155]
	s_waitcnt vmcnt(10) lgkmcnt(0)
	v_mul_f64 v[150:151], v[142:143], v[164:165]
	v_mul_f64 v[152:153], v[140:141], v[164:165]
	s_waitcnt vmcnt(8)
	v_fma_f64 v[154:155], v[1:2], v[168:169], -v[156:157]
	v_fma_f64 v[156:157], v[3:4], v[168:169], v[162:163]
	v_add_f64 v[137:138], v[144:145], v[137:138]
	v_add_f64 v[148:149], v[146:147], v[148:149]
	ds_read_b128 v[1:4], v186 offset:96
	ds_read_b128 v[144:147], v186 offset:112
	v_fma_f64 v[140:141], v[140:141], v[166:167], -v[150:151]
	v_fma_f64 v[142:143], v[142:143], v[166:167], v[152:153]
	s_waitcnt vmcnt(4) lgkmcnt(1)
	v_mul_f64 v[158:159], v[3:4], v[170:171]
	v_mul_f64 v[160:161], v[1:2], v[170:171]
	v_add_f64 v[137:138], v[137:138], v[154:155]
	v_add_f64 v[148:149], v[148:149], v[156:157]
	s_waitcnt vmcnt(2) lgkmcnt(0)
	v_mul_f64 v[150:151], v[146:147], v[172:173]
	v_mul_f64 v[152:153], v[144:145], v[172:173]
	s_waitcnt vmcnt(0)
	v_fma_f64 v[1:2], v[1:2], v[176:177], -v[158:159]
	v_fma_f64 v[3:4], v[3:4], v[176:177], v[160:161]
	v_add_f64 v[137:138], v[137:138], v[140:141]
	v_add_f64 v[140:141], v[148:149], v[142:143]
	v_fma_f64 v[142:143], v[144:145], v[174:175], -v[150:151]
	v_fma_f64 v[144:145], v[146:147], v[174:175], v[152:153]
	v_add_f64 v[1:2], v[137:138], v[1:2]
	v_add_f64 v[3:4], v[140:141], v[3:4]
	v_mov_b32_e32 v137, s76
	s_mov_b32 s76, s77
	v_add_f64 v[1:2], v[1:2], v[142:143]
	v_add_f64 v[3:4], v[3:4], v[144:145]
	s_andn2_b32 exec_lo, exec_lo, s73
	s_cbranch_execnz .LBB63_81
; %bb.82:
	s_or_b32 exec_lo, exec_lo, s73
.LBB63_83:
	s_or_b32 exec_lo, exec_lo, s5
	v_and_b32_e32 v135, 7, v135
	s_mov_b32 s73, 0
	s_mov_b32 s5, exec_lo
	v_cmpx_ne_u32_e32 0, v135
	s_cbranch_execz .LBB63_87
; %bb.84:
	v_lshlrev_b32_e32 v137, 4, v137
	v_add_nc_u32_e32 v136, 0x400, v137
	.p2align	6
.LBB63_85:                              ; =>This Inner Loop Header: Depth=1
	s_clause 0x3
	buffer_load_dword v144, v137, s[0:3], 0 offen offset:8
	buffer_load_dword v145, v137, s[0:3], 0 offen offset:12
	buffer_load_dword v146, v137, s[0:3], 0 offen
	buffer_load_dword v147, v137, s[0:3], 0 offen offset:4
	ds_read_b128 v[140:143], v136
	v_add_nc_u32_e32 v135, -1, v135
	v_add_nc_u32_e32 v136, 16, v136
	v_add_nc_u32_e32 v137, 16, v137
	v_cmp_eq_u32_e32 vcc_lo, 0, v135
	s_or_b32 s73, vcc_lo, s73
	s_waitcnt vmcnt(2) lgkmcnt(0)
	v_mul_f64 v[148:149], v[142:143], v[144:145]
	v_mul_f64 v[144:145], v[140:141], v[144:145]
	s_waitcnt vmcnt(0)
	v_fma_f64 v[140:141], v[140:141], v[146:147], -v[148:149]
	v_fma_f64 v[142:143], v[142:143], v[146:147], v[144:145]
	v_add_f64 v[1:2], v[1:2], v[140:141]
	v_add_f64 v[3:4], v[3:4], v[142:143]
	s_andn2_b32 exec_lo, exec_lo, s73
	s_cbranch_execnz .LBB63_85
; %bb.86:
	s_or_b32 exec_lo, exec_lo, s73
.LBB63_87:
	s_or_b32 exec_lo, exec_lo, s5
.LBB63_88:
	s_or_b32 exec_lo, exec_lo, s8
	v_mov_b32_e32 v135, 0
	ds_read_b128 v[135:138], v135 offset:896
	s_waitcnt lgkmcnt(0)
	v_mul_f64 v[140:141], v[3:4], v[137:138]
	v_mul_f64 v[137:138], v[1:2], v[137:138]
	v_fma_f64 v[1:2], v[1:2], v[135:136], -v[140:141]
	v_fma_f64 v[3:4], v[3:4], v[135:136], v[137:138]
	buffer_store_dword v2, off, s[0:3], 0 offset:900
	buffer_store_dword v1, off, s[0:3], 0 offset:896
	;; [unrolled: 1-line block ×4, first 2 shown]
.LBB63_89:
	s_or_b32 exec_lo, exec_lo, s6
	v_mov_b32_e32 v4, s17
	v_cmp_lt_u32_e64 s5, 55, v0
	s_clause 0x3
	buffer_load_dword v1, v4, s[0:3], 0 offen
	buffer_load_dword v2, v4, s[0:3], 0 offen offset:4
	buffer_load_dword v3, v4, s[0:3], 0 offen offset:8
	;; [unrolled: 1-line block ×3, first 2 shown]
	s_waitcnt vmcnt(0)
	ds_write_b128 v134, v[1:4]
	s_waitcnt lgkmcnt(0)
	s_waitcnt_vscnt null, 0x0
	s_barrier
	buffer_gl0_inv
	s_and_saveexec_b32 s6, s5
	s_cbranch_execz .LBB63_103
; %bb.90:
	ds_read_b128 v[1:4], v134
	s_andn2_b32 vcc_lo, exec_lo, s7
	s_cbranch_vccnz .LBB63_92
; %bb.91:
	s_clause 0x3
	buffer_load_dword v135, v133, s[0:3], 0 offen offset:8
	buffer_load_dword v136, v133, s[0:3], 0 offen offset:12
	buffer_load_dword v137, v133, s[0:3], 0 offen
	buffer_load_dword v138, v133, s[0:3], 0 offen offset:4
	s_waitcnt vmcnt(2) lgkmcnt(0)
	v_mul_f64 v[140:141], v[3:4], v[135:136]
	v_mul_f64 v[135:136], v[1:2], v[135:136]
	s_waitcnt vmcnt(0)
	v_fma_f64 v[1:2], v[1:2], v[137:138], -v[140:141]
	v_fma_f64 v[3:4], v[3:4], v[137:138], v[135:136]
.LBB63_92:
	s_and_saveexec_b32 s8, s4
	s_cbranch_execz .LBB63_102
; %bb.93:
	v_subrev_nc_u32_e32 v135, 57, v0
	v_cmp_lt_u32_e32 vcc_lo, 6, v135
	v_mov_b32_e32 v135, 56
	s_and_saveexec_b32 s4, vcc_lo
	s_cbranch_execz .LBB63_97
; %bb.94:
	v_and_b32_e32 v135, 56, v0
	s_mov_b32 s73, 56
	s_movk_i32 s75, 0x780
	s_mov_b32 s74, 0
	s_mov_b32 s76, s16
.LBB63_95:                              ; =>This Inner Loop Header: Depth=1
	v_mov_b32_e32 v138, s76
	s_add_i32 s73, s73, 8
	s_addk_i32 s76, 0x80
	v_cmp_eq_u32_e32 vcc_lo, s73, v135
	s_clause 0x1f
	buffer_load_dword v136, v138, s[0:3], 0 offen offset:8
	buffer_load_dword v137, v138, s[0:3], 0 offen offset:12
	buffer_load_dword v148, v138, s[0:3], 0 offen
	buffer_load_dword v149, v138, s[0:3], 0 offen offset:4
	buffer_load_dword v150, v138, s[0:3], 0 offen offset:24
	;; [unrolled: 1-line block ×29, first 2 shown]
	v_mov_b32_e32 v138, s75
	s_addk_i32 s75, 0x80
	s_or_b32 s74, vcc_lo, s74
	ds_read_b128 v[140:143], v138
	ds_read_b128 v[144:147], v138 offset:16
	s_waitcnt vmcnt(30) lgkmcnt(1)
	v_mul_f64 v[178:179], v[142:143], v[136:137]
	v_mul_f64 v[136:137], v[140:141], v[136:137]
	s_waitcnt vmcnt(26) lgkmcnt(0)
	v_mul_f64 v[180:181], v[146:147], v[150:151]
	v_mul_f64 v[182:183], v[144:145], v[150:151]
	v_fma_f64 v[178:179], v[140:141], v[148:149], -v[178:179]
	v_fma_f64 v[136:137], v[142:143], v[148:149], v[136:137]
	ds_read_b128 v[140:143], v138 offset:32
	ds_read_b128 v[148:151], v138 offset:48
	s_waitcnt vmcnt(24)
	v_fma_f64 v[144:145], v[144:145], v[152:153], -v[180:181]
	v_fma_f64 v[146:147], v[146:147], v[152:153], v[182:183]
	s_waitcnt vmcnt(22) lgkmcnt(1)
	v_mul_f64 v[184:185], v[142:143], v[154:155]
	v_mul_f64 v[154:155], v[140:141], v[154:155]
	v_add_f64 v[1:2], v[1:2], v[178:179]
	v_add_f64 v[3:4], v[3:4], v[136:137]
	s_waitcnt vmcnt(18) lgkmcnt(0)
	v_mul_f64 v[136:137], v[150:151], v[158:159]
	v_mul_f64 v[152:153], v[148:149], v[158:159]
	v_fma_f64 v[158:159], v[140:141], v[156:157], -v[184:185]
	v_fma_f64 v[154:155], v[142:143], v[156:157], v[154:155]
	v_add_f64 v[144:145], v[1:2], v[144:145]
	v_add_f64 v[146:147], v[3:4], v[146:147]
	ds_read_b128 v[1:4], v138 offset:64
	ds_read_b128 v[140:143], v138 offset:80
	s_waitcnt vmcnt(16)
	v_fma_f64 v[136:137], v[148:149], v[160:161], -v[136:137]
	v_fma_f64 v[148:149], v[150:151], v[160:161], v[152:153]
	s_waitcnt vmcnt(12) lgkmcnt(1)
	v_mul_f64 v[156:157], v[3:4], v[162:163]
	v_mul_f64 v[162:163], v[1:2], v[162:163]
	v_add_f64 v[144:145], v[144:145], v[158:159]
	v_add_f64 v[146:147], v[146:147], v[154:155]
	s_waitcnt vmcnt(10) lgkmcnt(0)
	v_mul_f64 v[150:151], v[142:143], v[164:165]
	v_mul_f64 v[152:153], v[140:141], v[164:165]
	s_waitcnt vmcnt(8)
	v_fma_f64 v[154:155], v[1:2], v[168:169], -v[156:157]
	v_fma_f64 v[156:157], v[3:4], v[168:169], v[162:163]
	v_add_f64 v[136:137], v[144:145], v[136:137]
	v_add_f64 v[148:149], v[146:147], v[148:149]
	ds_read_b128 v[1:4], v138 offset:96
	ds_read_b128 v[144:147], v138 offset:112
	v_fma_f64 v[140:141], v[140:141], v[166:167], -v[150:151]
	v_fma_f64 v[142:143], v[142:143], v[166:167], v[152:153]
	s_waitcnt vmcnt(4) lgkmcnt(1)
	v_mul_f64 v[158:159], v[3:4], v[170:171]
	v_mul_f64 v[160:161], v[1:2], v[170:171]
	v_add_f64 v[136:137], v[136:137], v[154:155]
	v_add_f64 v[148:149], v[148:149], v[156:157]
	s_waitcnt vmcnt(2) lgkmcnt(0)
	v_mul_f64 v[150:151], v[146:147], v[172:173]
	v_mul_f64 v[152:153], v[144:145], v[172:173]
	s_waitcnt vmcnt(0)
	v_fma_f64 v[1:2], v[1:2], v[176:177], -v[158:159]
	v_fma_f64 v[3:4], v[3:4], v[176:177], v[160:161]
	v_add_f64 v[136:137], v[136:137], v[140:141]
	v_add_f64 v[140:141], v[148:149], v[142:143]
	v_fma_f64 v[142:143], v[144:145], v[174:175], -v[150:151]
	v_fma_f64 v[144:145], v[146:147], v[174:175], v[152:153]
	v_add_f64 v[1:2], v[136:137], v[1:2]
	v_add_f64 v[3:4], v[140:141], v[3:4]
	v_add_f64 v[1:2], v[1:2], v[142:143]
	v_add_f64 v[3:4], v[3:4], v[144:145]
	s_andn2_b32 exec_lo, exec_lo, s74
	s_cbranch_execnz .LBB63_95
; %bb.96:
	s_or_b32 exec_lo, exec_lo, s74
.LBB63_97:
	s_or_b32 exec_lo, exec_lo, s4
	v_and_b32_e32 v136, 7, v0
	s_mov_b32 s73, 0
	s_mov_b32 s4, exec_lo
	v_cmpx_ne_u32_e32 0, v136
	s_cbranch_execz .LBB63_101
; %bb.98:
	v_lshlrev_b32_e32 v137, 4, v135
	v_or_b32_e32 v135, 0x400, v137
	.p2align	6
.LBB63_99:                              ; =>This Inner Loop Header: Depth=1
	s_clause 0x3
	buffer_load_dword v144, v137, s[0:3], 0 offen offset:8
	buffer_load_dword v145, v137, s[0:3], 0 offen offset:12
	buffer_load_dword v146, v137, s[0:3], 0 offen
	buffer_load_dword v147, v137, s[0:3], 0 offen offset:4
	ds_read_b128 v[140:143], v135
	v_add_nc_u32_e32 v136, -1, v136
	v_add_nc_u32_e32 v135, 16, v135
	v_add_nc_u32_e32 v137, 16, v137
	v_cmp_eq_u32_e32 vcc_lo, 0, v136
	s_or_b32 s73, vcc_lo, s73
	s_waitcnt vmcnt(2) lgkmcnt(0)
	v_mul_f64 v[148:149], v[142:143], v[144:145]
	v_mul_f64 v[144:145], v[140:141], v[144:145]
	s_waitcnt vmcnt(0)
	v_fma_f64 v[140:141], v[140:141], v[146:147], -v[148:149]
	v_fma_f64 v[142:143], v[142:143], v[146:147], v[144:145]
	v_add_f64 v[1:2], v[1:2], v[140:141]
	v_add_f64 v[3:4], v[3:4], v[142:143]
	s_andn2_b32 exec_lo, exec_lo, s73
	s_cbranch_execnz .LBB63_99
; %bb.100:
	s_or_b32 exec_lo, exec_lo, s73
.LBB63_101:
	s_or_b32 exec_lo, exec_lo, s4
.LBB63_102:
	s_or_b32 exec_lo, exec_lo, s8
	v_mov_b32_e32 v135, 0
	ds_read_b128 v[135:138], v135 offset:880
	s_waitcnt lgkmcnt(0)
	v_mul_f64 v[140:141], v[3:4], v[137:138]
	v_mul_f64 v[137:138], v[1:2], v[137:138]
	v_fma_f64 v[1:2], v[1:2], v[135:136], -v[140:141]
	v_fma_f64 v[3:4], v[3:4], v[135:136], v[137:138]
	buffer_store_dword v2, off, s[0:3], 0 offset:884
	buffer_store_dword v1, off, s[0:3], 0 offset:880
	;; [unrolled: 1-line block ×4, first 2 shown]
.LBB63_103:
	s_or_b32 exec_lo, exec_lo, s6
	v_mov_b32_e32 v4, s18
	v_cmp_lt_u32_e64 s4, 54, v0
	s_clause 0x3
	buffer_load_dword v1, v4, s[0:3], 0 offen
	buffer_load_dword v2, v4, s[0:3], 0 offen offset:4
	buffer_load_dword v3, v4, s[0:3], 0 offen offset:8
	;; [unrolled: 1-line block ×3, first 2 shown]
	s_waitcnt vmcnt(0)
	ds_write_b128 v134, v[1:4]
	s_waitcnt lgkmcnt(0)
	s_waitcnt_vscnt null, 0x0
	s_barrier
	buffer_gl0_inv
	s_and_saveexec_b32 s6, s4
	s_cbranch_execz .LBB63_117
; %bb.104:
	ds_read_b128 v[1:4], v134
	s_andn2_b32 vcc_lo, exec_lo, s7
	s_cbranch_vccnz .LBB63_106
; %bb.105:
	s_clause 0x3
	buffer_load_dword v135, v133, s[0:3], 0 offen offset:8
	buffer_load_dword v136, v133, s[0:3], 0 offen offset:12
	buffer_load_dword v137, v133, s[0:3], 0 offen
	buffer_load_dword v138, v133, s[0:3], 0 offen offset:4
	s_waitcnt vmcnt(2) lgkmcnt(0)
	v_mul_f64 v[140:141], v[3:4], v[135:136]
	v_mul_f64 v[135:136], v[1:2], v[135:136]
	s_waitcnt vmcnt(0)
	v_fma_f64 v[1:2], v[1:2], v[137:138], -v[140:141]
	v_fma_f64 v[3:4], v[3:4], v[137:138], v[135:136]
.LBB63_106:
	s_and_saveexec_b32 s8, s5
	s_cbranch_execz .LBB63_116
; %bb.107:
	v_subrev_nc_u32_e32 v136, 56, v0
	v_mov_b32_e32 v137, 55
	v_subrev_nc_u32_e32 v135, 55, v0
	s_mov_b32 s5, exec_lo
	v_cmpx_lt_u32_e32 6, v136
	s_cbranch_execz .LBB63_111
; %bb.108:
	v_and_b32_e32 v136, -8, v135
	s_movk_i32 s74, 0x770
	s_mov_b32 s73, 0
	s_mov_b32 s75, s17
	;; [unrolled: 1-line block ×3, first 2 shown]
.LBB63_109:                             ; =>This Inner Loop Header: Depth=1
	v_mov_b32_e32 v140, s75
	v_mov_b32_e32 v186, s74
	s_add_i32 s77, s76, 8
	s_add_i32 s76, s76, 63
	v_cmp_eq_u32_e32 vcc_lo, s77, v136
	s_clause 0x1f
	buffer_load_dword v137, v140, s[0:3], 0 offen offset:8
	buffer_load_dword v138, v140, s[0:3], 0 offen offset:12
	buffer_load_dword v148, v140, s[0:3], 0 offen
	buffer_load_dword v149, v140, s[0:3], 0 offen offset:4
	buffer_load_dword v150, v140, s[0:3], 0 offen offset:24
	;; [unrolled: 1-line block ×29, first 2 shown]
	ds_read_b128 v[140:143], v186
	ds_read_b128 v[144:147], v186 offset:16
	s_addk_i32 s74, 0x80
	s_addk_i32 s75, 0x80
	s_or_b32 s73, vcc_lo, s73
	s_waitcnt vmcnt(30) lgkmcnt(1)
	v_mul_f64 v[178:179], v[142:143], v[137:138]
	v_mul_f64 v[137:138], v[140:141], v[137:138]
	s_waitcnt vmcnt(26) lgkmcnt(0)
	v_mul_f64 v[180:181], v[146:147], v[150:151]
	v_mul_f64 v[182:183], v[144:145], v[150:151]
	v_fma_f64 v[178:179], v[140:141], v[148:149], -v[178:179]
	v_fma_f64 v[137:138], v[142:143], v[148:149], v[137:138]
	ds_read_b128 v[140:143], v186 offset:32
	ds_read_b128 v[148:151], v186 offset:48
	s_waitcnt vmcnt(24)
	v_fma_f64 v[144:145], v[144:145], v[152:153], -v[180:181]
	v_fma_f64 v[146:147], v[146:147], v[152:153], v[182:183]
	s_waitcnt vmcnt(22) lgkmcnt(1)
	v_mul_f64 v[184:185], v[142:143], v[154:155]
	v_mul_f64 v[154:155], v[140:141], v[154:155]
	v_add_f64 v[1:2], v[1:2], v[178:179]
	v_add_f64 v[3:4], v[3:4], v[137:138]
	s_waitcnt vmcnt(18) lgkmcnt(0)
	v_mul_f64 v[137:138], v[150:151], v[158:159]
	v_mul_f64 v[152:153], v[148:149], v[158:159]
	v_fma_f64 v[158:159], v[140:141], v[156:157], -v[184:185]
	v_fma_f64 v[154:155], v[142:143], v[156:157], v[154:155]
	v_add_f64 v[144:145], v[1:2], v[144:145]
	v_add_f64 v[146:147], v[3:4], v[146:147]
	ds_read_b128 v[1:4], v186 offset:64
	ds_read_b128 v[140:143], v186 offset:80
	s_waitcnt vmcnt(16)
	v_fma_f64 v[137:138], v[148:149], v[160:161], -v[137:138]
	v_fma_f64 v[148:149], v[150:151], v[160:161], v[152:153]
	s_waitcnt vmcnt(12) lgkmcnt(1)
	v_mul_f64 v[156:157], v[3:4], v[162:163]
	v_mul_f64 v[162:163], v[1:2], v[162:163]
	v_add_f64 v[144:145], v[144:145], v[158:159]
	v_add_f64 v[146:147], v[146:147], v[154:155]
	s_waitcnt vmcnt(10) lgkmcnt(0)
	v_mul_f64 v[150:151], v[142:143], v[164:165]
	v_mul_f64 v[152:153], v[140:141], v[164:165]
	s_waitcnt vmcnt(8)
	v_fma_f64 v[154:155], v[1:2], v[168:169], -v[156:157]
	v_fma_f64 v[156:157], v[3:4], v[168:169], v[162:163]
	v_add_f64 v[137:138], v[144:145], v[137:138]
	v_add_f64 v[148:149], v[146:147], v[148:149]
	ds_read_b128 v[1:4], v186 offset:96
	ds_read_b128 v[144:147], v186 offset:112
	v_fma_f64 v[140:141], v[140:141], v[166:167], -v[150:151]
	v_fma_f64 v[142:143], v[142:143], v[166:167], v[152:153]
	s_waitcnt vmcnt(4) lgkmcnt(1)
	v_mul_f64 v[158:159], v[3:4], v[170:171]
	v_mul_f64 v[160:161], v[1:2], v[170:171]
	v_add_f64 v[137:138], v[137:138], v[154:155]
	v_add_f64 v[148:149], v[148:149], v[156:157]
	s_waitcnt vmcnt(2) lgkmcnt(0)
	v_mul_f64 v[150:151], v[146:147], v[172:173]
	v_mul_f64 v[152:153], v[144:145], v[172:173]
	s_waitcnt vmcnt(0)
	v_fma_f64 v[1:2], v[1:2], v[176:177], -v[158:159]
	v_fma_f64 v[3:4], v[3:4], v[176:177], v[160:161]
	v_add_f64 v[137:138], v[137:138], v[140:141]
	v_add_f64 v[140:141], v[148:149], v[142:143]
	v_fma_f64 v[142:143], v[144:145], v[174:175], -v[150:151]
	v_fma_f64 v[144:145], v[146:147], v[174:175], v[152:153]
	v_add_f64 v[1:2], v[137:138], v[1:2]
	v_add_f64 v[3:4], v[140:141], v[3:4]
	v_mov_b32_e32 v137, s76
	s_mov_b32 s76, s77
	v_add_f64 v[1:2], v[1:2], v[142:143]
	v_add_f64 v[3:4], v[3:4], v[144:145]
	s_andn2_b32 exec_lo, exec_lo, s73
	s_cbranch_execnz .LBB63_109
; %bb.110:
	s_or_b32 exec_lo, exec_lo, s73
.LBB63_111:
	s_or_b32 exec_lo, exec_lo, s5
	v_and_b32_e32 v135, 7, v135
	s_mov_b32 s73, 0
	s_mov_b32 s5, exec_lo
	v_cmpx_ne_u32_e32 0, v135
	s_cbranch_execz .LBB63_115
; %bb.112:
	v_lshlrev_b32_e32 v137, 4, v137
	v_add_nc_u32_e32 v136, 0x400, v137
	.p2align	6
.LBB63_113:                             ; =>This Inner Loop Header: Depth=1
	s_clause 0x3
	buffer_load_dword v144, v137, s[0:3], 0 offen offset:8
	buffer_load_dword v145, v137, s[0:3], 0 offen offset:12
	buffer_load_dword v146, v137, s[0:3], 0 offen
	buffer_load_dword v147, v137, s[0:3], 0 offen offset:4
	ds_read_b128 v[140:143], v136
	v_add_nc_u32_e32 v135, -1, v135
	v_add_nc_u32_e32 v136, 16, v136
	v_add_nc_u32_e32 v137, 16, v137
	v_cmp_eq_u32_e32 vcc_lo, 0, v135
	s_or_b32 s73, vcc_lo, s73
	s_waitcnt vmcnt(2) lgkmcnt(0)
	v_mul_f64 v[148:149], v[142:143], v[144:145]
	v_mul_f64 v[144:145], v[140:141], v[144:145]
	s_waitcnt vmcnt(0)
	v_fma_f64 v[140:141], v[140:141], v[146:147], -v[148:149]
	v_fma_f64 v[142:143], v[142:143], v[146:147], v[144:145]
	v_add_f64 v[1:2], v[1:2], v[140:141]
	v_add_f64 v[3:4], v[3:4], v[142:143]
	s_andn2_b32 exec_lo, exec_lo, s73
	s_cbranch_execnz .LBB63_113
; %bb.114:
	s_or_b32 exec_lo, exec_lo, s73
.LBB63_115:
	s_or_b32 exec_lo, exec_lo, s5
.LBB63_116:
	s_or_b32 exec_lo, exec_lo, s8
	v_mov_b32_e32 v135, 0
	ds_read_b128 v[135:138], v135 offset:864
	s_waitcnt lgkmcnt(0)
	v_mul_f64 v[140:141], v[3:4], v[137:138]
	v_mul_f64 v[137:138], v[1:2], v[137:138]
	v_fma_f64 v[1:2], v[1:2], v[135:136], -v[140:141]
	v_fma_f64 v[3:4], v[3:4], v[135:136], v[137:138]
	buffer_store_dword v2, off, s[0:3], 0 offset:868
	buffer_store_dword v1, off, s[0:3], 0 offset:864
	;; [unrolled: 1-line block ×4, first 2 shown]
.LBB63_117:
	s_or_b32 exec_lo, exec_lo, s6
	v_mov_b32_e32 v4, s19
	v_cmp_lt_u32_e64 s5, 53, v0
	s_clause 0x3
	buffer_load_dword v1, v4, s[0:3], 0 offen
	buffer_load_dword v2, v4, s[0:3], 0 offen offset:4
	buffer_load_dword v3, v4, s[0:3], 0 offen offset:8
	;; [unrolled: 1-line block ×3, first 2 shown]
	s_waitcnt vmcnt(0)
	ds_write_b128 v134, v[1:4]
	s_waitcnt lgkmcnt(0)
	s_waitcnt_vscnt null, 0x0
	s_barrier
	buffer_gl0_inv
	s_and_saveexec_b32 s6, s5
	s_cbranch_execz .LBB63_131
; %bb.118:
	ds_read_b128 v[1:4], v134
	s_andn2_b32 vcc_lo, exec_lo, s7
	s_cbranch_vccnz .LBB63_120
; %bb.119:
	s_clause 0x3
	buffer_load_dword v135, v133, s[0:3], 0 offen offset:8
	buffer_load_dword v136, v133, s[0:3], 0 offen offset:12
	buffer_load_dword v137, v133, s[0:3], 0 offen
	buffer_load_dword v138, v133, s[0:3], 0 offen offset:4
	s_waitcnt vmcnt(2) lgkmcnt(0)
	v_mul_f64 v[140:141], v[3:4], v[135:136]
	v_mul_f64 v[135:136], v[1:2], v[135:136]
	s_waitcnt vmcnt(0)
	v_fma_f64 v[1:2], v[1:2], v[137:138], -v[140:141]
	v_fma_f64 v[3:4], v[3:4], v[137:138], v[135:136]
.LBB63_120:
	s_and_saveexec_b32 s8, s4
	s_cbranch_execz .LBB63_130
; %bb.121:
	v_subrev_nc_u32_e32 v136, 55, v0
	v_mov_b32_e32 v137, 54
	v_subrev_nc_u32_e32 v135, 54, v0
	s_mov_b32 s4, exec_lo
	v_cmpx_lt_u32_e32 6, v136
	s_cbranch_execz .LBB63_125
; %bb.122:
	v_and_b32_e32 v136, -8, v135
	s_movk_i32 s74, 0x760
	s_mov_b32 s73, 0
	s_mov_b32 s75, s18
	;; [unrolled: 1-line block ×3, first 2 shown]
.LBB63_123:                             ; =>This Inner Loop Header: Depth=1
	v_mov_b32_e32 v140, s75
	v_mov_b32_e32 v186, s74
	s_add_i32 s77, s76, 8
	s_add_i32 s76, s76, 62
	v_cmp_eq_u32_e32 vcc_lo, s77, v136
	s_clause 0x1f
	buffer_load_dword v137, v140, s[0:3], 0 offen offset:8
	buffer_load_dword v138, v140, s[0:3], 0 offen offset:12
	buffer_load_dword v148, v140, s[0:3], 0 offen
	buffer_load_dword v149, v140, s[0:3], 0 offen offset:4
	buffer_load_dword v150, v140, s[0:3], 0 offen offset:24
	;; [unrolled: 1-line block ×29, first 2 shown]
	ds_read_b128 v[140:143], v186
	ds_read_b128 v[144:147], v186 offset:16
	s_addk_i32 s74, 0x80
	s_addk_i32 s75, 0x80
	s_or_b32 s73, vcc_lo, s73
	s_waitcnt vmcnt(30) lgkmcnt(1)
	v_mul_f64 v[178:179], v[142:143], v[137:138]
	v_mul_f64 v[137:138], v[140:141], v[137:138]
	s_waitcnt vmcnt(26) lgkmcnt(0)
	v_mul_f64 v[180:181], v[146:147], v[150:151]
	v_mul_f64 v[182:183], v[144:145], v[150:151]
	v_fma_f64 v[178:179], v[140:141], v[148:149], -v[178:179]
	v_fma_f64 v[137:138], v[142:143], v[148:149], v[137:138]
	ds_read_b128 v[140:143], v186 offset:32
	ds_read_b128 v[148:151], v186 offset:48
	s_waitcnt vmcnt(24)
	v_fma_f64 v[144:145], v[144:145], v[152:153], -v[180:181]
	v_fma_f64 v[146:147], v[146:147], v[152:153], v[182:183]
	s_waitcnt vmcnt(22) lgkmcnt(1)
	v_mul_f64 v[184:185], v[142:143], v[154:155]
	v_mul_f64 v[154:155], v[140:141], v[154:155]
	v_add_f64 v[1:2], v[1:2], v[178:179]
	v_add_f64 v[3:4], v[3:4], v[137:138]
	s_waitcnt vmcnt(18) lgkmcnt(0)
	v_mul_f64 v[137:138], v[150:151], v[158:159]
	v_mul_f64 v[152:153], v[148:149], v[158:159]
	v_fma_f64 v[158:159], v[140:141], v[156:157], -v[184:185]
	v_fma_f64 v[154:155], v[142:143], v[156:157], v[154:155]
	v_add_f64 v[144:145], v[1:2], v[144:145]
	v_add_f64 v[146:147], v[3:4], v[146:147]
	ds_read_b128 v[1:4], v186 offset:64
	ds_read_b128 v[140:143], v186 offset:80
	s_waitcnt vmcnt(16)
	v_fma_f64 v[137:138], v[148:149], v[160:161], -v[137:138]
	v_fma_f64 v[148:149], v[150:151], v[160:161], v[152:153]
	s_waitcnt vmcnt(12) lgkmcnt(1)
	v_mul_f64 v[156:157], v[3:4], v[162:163]
	v_mul_f64 v[162:163], v[1:2], v[162:163]
	v_add_f64 v[144:145], v[144:145], v[158:159]
	v_add_f64 v[146:147], v[146:147], v[154:155]
	s_waitcnt vmcnt(10) lgkmcnt(0)
	v_mul_f64 v[150:151], v[142:143], v[164:165]
	v_mul_f64 v[152:153], v[140:141], v[164:165]
	s_waitcnt vmcnt(8)
	v_fma_f64 v[154:155], v[1:2], v[168:169], -v[156:157]
	v_fma_f64 v[156:157], v[3:4], v[168:169], v[162:163]
	v_add_f64 v[137:138], v[144:145], v[137:138]
	v_add_f64 v[148:149], v[146:147], v[148:149]
	ds_read_b128 v[1:4], v186 offset:96
	ds_read_b128 v[144:147], v186 offset:112
	v_fma_f64 v[140:141], v[140:141], v[166:167], -v[150:151]
	v_fma_f64 v[142:143], v[142:143], v[166:167], v[152:153]
	s_waitcnt vmcnt(4) lgkmcnt(1)
	v_mul_f64 v[158:159], v[3:4], v[170:171]
	v_mul_f64 v[160:161], v[1:2], v[170:171]
	v_add_f64 v[137:138], v[137:138], v[154:155]
	v_add_f64 v[148:149], v[148:149], v[156:157]
	s_waitcnt vmcnt(2) lgkmcnt(0)
	v_mul_f64 v[150:151], v[146:147], v[172:173]
	v_mul_f64 v[152:153], v[144:145], v[172:173]
	s_waitcnt vmcnt(0)
	v_fma_f64 v[1:2], v[1:2], v[176:177], -v[158:159]
	v_fma_f64 v[3:4], v[3:4], v[176:177], v[160:161]
	v_add_f64 v[137:138], v[137:138], v[140:141]
	v_add_f64 v[140:141], v[148:149], v[142:143]
	v_fma_f64 v[142:143], v[144:145], v[174:175], -v[150:151]
	v_fma_f64 v[144:145], v[146:147], v[174:175], v[152:153]
	v_add_f64 v[1:2], v[137:138], v[1:2]
	v_add_f64 v[3:4], v[140:141], v[3:4]
	v_mov_b32_e32 v137, s76
	s_mov_b32 s76, s77
	v_add_f64 v[1:2], v[1:2], v[142:143]
	v_add_f64 v[3:4], v[3:4], v[144:145]
	s_andn2_b32 exec_lo, exec_lo, s73
	s_cbranch_execnz .LBB63_123
; %bb.124:
	s_or_b32 exec_lo, exec_lo, s73
.LBB63_125:
	s_or_b32 exec_lo, exec_lo, s4
	v_and_b32_e32 v135, 7, v135
	s_mov_b32 s73, 0
	s_mov_b32 s4, exec_lo
	v_cmpx_ne_u32_e32 0, v135
	s_cbranch_execz .LBB63_129
; %bb.126:
	v_lshlrev_b32_e32 v137, 4, v137
	v_add_nc_u32_e32 v136, 0x400, v137
	.p2align	6
.LBB63_127:                             ; =>This Inner Loop Header: Depth=1
	s_clause 0x3
	buffer_load_dword v144, v137, s[0:3], 0 offen offset:8
	buffer_load_dword v145, v137, s[0:3], 0 offen offset:12
	buffer_load_dword v146, v137, s[0:3], 0 offen
	buffer_load_dword v147, v137, s[0:3], 0 offen offset:4
	ds_read_b128 v[140:143], v136
	v_add_nc_u32_e32 v135, -1, v135
	v_add_nc_u32_e32 v136, 16, v136
	v_add_nc_u32_e32 v137, 16, v137
	v_cmp_eq_u32_e32 vcc_lo, 0, v135
	s_or_b32 s73, vcc_lo, s73
	s_waitcnt vmcnt(2) lgkmcnt(0)
	v_mul_f64 v[148:149], v[142:143], v[144:145]
	v_mul_f64 v[144:145], v[140:141], v[144:145]
	s_waitcnt vmcnt(0)
	v_fma_f64 v[140:141], v[140:141], v[146:147], -v[148:149]
	v_fma_f64 v[142:143], v[142:143], v[146:147], v[144:145]
	v_add_f64 v[1:2], v[1:2], v[140:141]
	v_add_f64 v[3:4], v[3:4], v[142:143]
	s_andn2_b32 exec_lo, exec_lo, s73
	s_cbranch_execnz .LBB63_127
; %bb.128:
	s_or_b32 exec_lo, exec_lo, s73
.LBB63_129:
	s_or_b32 exec_lo, exec_lo, s4
.LBB63_130:
	s_or_b32 exec_lo, exec_lo, s8
	v_mov_b32_e32 v135, 0
	ds_read_b128 v[135:138], v135 offset:848
	s_waitcnt lgkmcnt(0)
	v_mul_f64 v[140:141], v[3:4], v[137:138]
	v_mul_f64 v[137:138], v[1:2], v[137:138]
	v_fma_f64 v[1:2], v[1:2], v[135:136], -v[140:141]
	v_fma_f64 v[3:4], v[3:4], v[135:136], v[137:138]
	buffer_store_dword v2, off, s[0:3], 0 offset:852
	buffer_store_dword v1, off, s[0:3], 0 offset:848
	;; [unrolled: 1-line block ×4, first 2 shown]
.LBB63_131:
	s_or_b32 exec_lo, exec_lo, s6
	v_mov_b32_e32 v4, s20
	v_cmp_lt_u32_e64 s4, 52, v0
	s_clause 0x3
	buffer_load_dword v1, v4, s[0:3], 0 offen
	buffer_load_dword v2, v4, s[0:3], 0 offen offset:4
	buffer_load_dword v3, v4, s[0:3], 0 offen offset:8
	;; [unrolled: 1-line block ×3, first 2 shown]
	s_waitcnt vmcnt(0)
	ds_write_b128 v134, v[1:4]
	s_waitcnt lgkmcnt(0)
	s_waitcnt_vscnt null, 0x0
	s_barrier
	buffer_gl0_inv
	s_and_saveexec_b32 s6, s4
	s_cbranch_execz .LBB63_145
; %bb.132:
	ds_read_b128 v[1:4], v134
	s_andn2_b32 vcc_lo, exec_lo, s7
	s_cbranch_vccnz .LBB63_134
; %bb.133:
	s_clause 0x3
	buffer_load_dword v135, v133, s[0:3], 0 offen offset:8
	buffer_load_dword v136, v133, s[0:3], 0 offen offset:12
	buffer_load_dword v137, v133, s[0:3], 0 offen
	buffer_load_dword v138, v133, s[0:3], 0 offen offset:4
	s_waitcnt vmcnt(2) lgkmcnt(0)
	v_mul_f64 v[140:141], v[3:4], v[135:136]
	v_mul_f64 v[135:136], v[1:2], v[135:136]
	s_waitcnt vmcnt(0)
	v_fma_f64 v[1:2], v[1:2], v[137:138], -v[140:141]
	v_fma_f64 v[3:4], v[3:4], v[137:138], v[135:136]
.LBB63_134:
	s_and_saveexec_b32 s8, s5
	s_cbranch_execz .LBB63_144
; %bb.135:
	v_subrev_nc_u32_e32 v136, 54, v0
	v_mov_b32_e32 v137, 53
	v_subrev_nc_u32_e32 v135, 53, v0
	s_mov_b32 s5, exec_lo
	v_cmpx_lt_u32_e32 6, v136
	s_cbranch_execz .LBB63_139
; %bb.136:
	v_and_b32_e32 v136, -8, v135
	s_movk_i32 s74, 0x750
	s_mov_b32 s73, 0
	s_mov_b32 s75, s19
	;; [unrolled: 1-line block ×3, first 2 shown]
.LBB63_137:                             ; =>This Inner Loop Header: Depth=1
	v_mov_b32_e32 v140, s75
	v_mov_b32_e32 v186, s74
	s_add_i32 s77, s76, 8
	s_add_i32 s76, s76, 61
	v_cmp_eq_u32_e32 vcc_lo, s77, v136
	s_clause 0x1f
	buffer_load_dword v137, v140, s[0:3], 0 offen offset:8
	buffer_load_dword v138, v140, s[0:3], 0 offen offset:12
	buffer_load_dword v148, v140, s[0:3], 0 offen
	buffer_load_dword v149, v140, s[0:3], 0 offen offset:4
	buffer_load_dword v150, v140, s[0:3], 0 offen offset:24
	;; [unrolled: 1-line block ×29, first 2 shown]
	ds_read_b128 v[140:143], v186
	ds_read_b128 v[144:147], v186 offset:16
	s_addk_i32 s74, 0x80
	s_addk_i32 s75, 0x80
	s_or_b32 s73, vcc_lo, s73
	s_waitcnt vmcnt(30) lgkmcnt(1)
	v_mul_f64 v[178:179], v[142:143], v[137:138]
	v_mul_f64 v[137:138], v[140:141], v[137:138]
	s_waitcnt vmcnt(26) lgkmcnt(0)
	v_mul_f64 v[180:181], v[146:147], v[150:151]
	v_mul_f64 v[182:183], v[144:145], v[150:151]
	v_fma_f64 v[178:179], v[140:141], v[148:149], -v[178:179]
	v_fma_f64 v[137:138], v[142:143], v[148:149], v[137:138]
	ds_read_b128 v[140:143], v186 offset:32
	ds_read_b128 v[148:151], v186 offset:48
	s_waitcnt vmcnt(24)
	v_fma_f64 v[144:145], v[144:145], v[152:153], -v[180:181]
	v_fma_f64 v[146:147], v[146:147], v[152:153], v[182:183]
	s_waitcnt vmcnt(22) lgkmcnt(1)
	v_mul_f64 v[184:185], v[142:143], v[154:155]
	v_mul_f64 v[154:155], v[140:141], v[154:155]
	v_add_f64 v[1:2], v[1:2], v[178:179]
	v_add_f64 v[3:4], v[3:4], v[137:138]
	s_waitcnt vmcnt(18) lgkmcnt(0)
	v_mul_f64 v[137:138], v[150:151], v[158:159]
	v_mul_f64 v[152:153], v[148:149], v[158:159]
	v_fma_f64 v[158:159], v[140:141], v[156:157], -v[184:185]
	v_fma_f64 v[154:155], v[142:143], v[156:157], v[154:155]
	v_add_f64 v[144:145], v[1:2], v[144:145]
	v_add_f64 v[146:147], v[3:4], v[146:147]
	ds_read_b128 v[1:4], v186 offset:64
	ds_read_b128 v[140:143], v186 offset:80
	s_waitcnt vmcnt(16)
	v_fma_f64 v[137:138], v[148:149], v[160:161], -v[137:138]
	v_fma_f64 v[148:149], v[150:151], v[160:161], v[152:153]
	s_waitcnt vmcnt(12) lgkmcnt(1)
	v_mul_f64 v[156:157], v[3:4], v[162:163]
	v_mul_f64 v[162:163], v[1:2], v[162:163]
	v_add_f64 v[144:145], v[144:145], v[158:159]
	v_add_f64 v[146:147], v[146:147], v[154:155]
	s_waitcnt vmcnt(10) lgkmcnt(0)
	v_mul_f64 v[150:151], v[142:143], v[164:165]
	v_mul_f64 v[152:153], v[140:141], v[164:165]
	s_waitcnt vmcnt(8)
	v_fma_f64 v[154:155], v[1:2], v[168:169], -v[156:157]
	v_fma_f64 v[156:157], v[3:4], v[168:169], v[162:163]
	v_add_f64 v[137:138], v[144:145], v[137:138]
	v_add_f64 v[148:149], v[146:147], v[148:149]
	ds_read_b128 v[1:4], v186 offset:96
	ds_read_b128 v[144:147], v186 offset:112
	v_fma_f64 v[140:141], v[140:141], v[166:167], -v[150:151]
	v_fma_f64 v[142:143], v[142:143], v[166:167], v[152:153]
	s_waitcnt vmcnt(4) lgkmcnt(1)
	v_mul_f64 v[158:159], v[3:4], v[170:171]
	v_mul_f64 v[160:161], v[1:2], v[170:171]
	v_add_f64 v[137:138], v[137:138], v[154:155]
	v_add_f64 v[148:149], v[148:149], v[156:157]
	s_waitcnt vmcnt(2) lgkmcnt(0)
	v_mul_f64 v[150:151], v[146:147], v[172:173]
	v_mul_f64 v[152:153], v[144:145], v[172:173]
	s_waitcnt vmcnt(0)
	v_fma_f64 v[1:2], v[1:2], v[176:177], -v[158:159]
	v_fma_f64 v[3:4], v[3:4], v[176:177], v[160:161]
	v_add_f64 v[137:138], v[137:138], v[140:141]
	v_add_f64 v[140:141], v[148:149], v[142:143]
	v_fma_f64 v[142:143], v[144:145], v[174:175], -v[150:151]
	v_fma_f64 v[144:145], v[146:147], v[174:175], v[152:153]
	v_add_f64 v[1:2], v[137:138], v[1:2]
	v_add_f64 v[3:4], v[140:141], v[3:4]
	v_mov_b32_e32 v137, s76
	s_mov_b32 s76, s77
	v_add_f64 v[1:2], v[1:2], v[142:143]
	v_add_f64 v[3:4], v[3:4], v[144:145]
	s_andn2_b32 exec_lo, exec_lo, s73
	s_cbranch_execnz .LBB63_137
; %bb.138:
	s_or_b32 exec_lo, exec_lo, s73
.LBB63_139:
	s_or_b32 exec_lo, exec_lo, s5
	v_and_b32_e32 v135, 7, v135
	s_mov_b32 s73, 0
	s_mov_b32 s5, exec_lo
	v_cmpx_ne_u32_e32 0, v135
	s_cbranch_execz .LBB63_143
; %bb.140:
	v_lshlrev_b32_e32 v137, 4, v137
	v_add_nc_u32_e32 v136, 0x400, v137
	.p2align	6
.LBB63_141:                             ; =>This Inner Loop Header: Depth=1
	s_clause 0x3
	buffer_load_dword v144, v137, s[0:3], 0 offen offset:8
	buffer_load_dword v145, v137, s[0:3], 0 offen offset:12
	buffer_load_dword v146, v137, s[0:3], 0 offen
	buffer_load_dword v147, v137, s[0:3], 0 offen offset:4
	ds_read_b128 v[140:143], v136
	v_add_nc_u32_e32 v135, -1, v135
	v_add_nc_u32_e32 v136, 16, v136
	v_add_nc_u32_e32 v137, 16, v137
	v_cmp_eq_u32_e32 vcc_lo, 0, v135
	s_or_b32 s73, vcc_lo, s73
	s_waitcnt vmcnt(2) lgkmcnt(0)
	v_mul_f64 v[148:149], v[142:143], v[144:145]
	v_mul_f64 v[144:145], v[140:141], v[144:145]
	s_waitcnt vmcnt(0)
	v_fma_f64 v[140:141], v[140:141], v[146:147], -v[148:149]
	v_fma_f64 v[142:143], v[142:143], v[146:147], v[144:145]
	v_add_f64 v[1:2], v[1:2], v[140:141]
	v_add_f64 v[3:4], v[3:4], v[142:143]
	s_andn2_b32 exec_lo, exec_lo, s73
	s_cbranch_execnz .LBB63_141
; %bb.142:
	s_or_b32 exec_lo, exec_lo, s73
.LBB63_143:
	s_or_b32 exec_lo, exec_lo, s5
.LBB63_144:
	s_or_b32 exec_lo, exec_lo, s8
	v_mov_b32_e32 v135, 0
	ds_read_b128 v[135:138], v135 offset:832
	s_waitcnt lgkmcnt(0)
	v_mul_f64 v[140:141], v[3:4], v[137:138]
	v_mul_f64 v[137:138], v[1:2], v[137:138]
	v_fma_f64 v[1:2], v[1:2], v[135:136], -v[140:141]
	v_fma_f64 v[3:4], v[3:4], v[135:136], v[137:138]
	buffer_store_dword v2, off, s[0:3], 0 offset:836
	buffer_store_dword v1, off, s[0:3], 0 offset:832
	;; [unrolled: 1-line block ×4, first 2 shown]
.LBB63_145:
	s_or_b32 exec_lo, exec_lo, s6
	v_mov_b32_e32 v4, s21
	v_cmp_lt_u32_e64 s5, 51, v0
	s_clause 0x3
	buffer_load_dword v1, v4, s[0:3], 0 offen
	buffer_load_dword v2, v4, s[0:3], 0 offen offset:4
	buffer_load_dword v3, v4, s[0:3], 0 offen offset:8
	;; [unrolled: 1-line block ×3, first 2 shown]
	s_waitcnt vmcnt(0)
	ds_write_b128 v134, v[1:4]
	s_waitcnt lgkmcnt(0)
	s_waitcnt_vscnt null, 0x0
	s_barrier
	buffer_gl0_inv
	s_and_saveexec_b32 s6, s5
	s_cbranch_execz .LBB63_159
; %bb.146:
	ds_read_b128 v[1:4], v134
	s_andn2_b32 vcc_lo, exec_lo, s7
	s_cbranch_vccnz .LBB63_148
; %bb.147:
	s_clause 0x3
	buffer_load_dword v135, v133, s[0:3], 0 offen offset:8
	buffer_load_dword v136, v133, s[0:3], 0 offen offset:12
	buffer_load_dword v137, v133, s[0:3], 0 offen
	buffer_load_dword v138, v133, s[0:3], 0 offen offset:4
	s_waitcnt vmcnt(2) lgkmcnt(0)
	v_mul_f64 v[140:141], v[3:4], v[135:136]
	v_mul_f64 v[135:136], v[1:2], v[135:136]
	s_waitcnt vmcnt(0)
	v_fma_f64 v[1:2], v[1:2], v[137:138], -v[140:141]
	v_fma_f64 v[3:4], v[3:4], v[137:138], v[135:136]
.LBB63_148:
	s_and_saveexec_b32 s8, s4
	s_cbranch_execz .LBB63_158
; %bb.149:
	v_subrev_nc_u32_e32 v136, 53, v0
	v_mov_b32_e32 v137, 52
	v_subrev_nc_u32_e32 v135, 52, v0
	s_mov_b32 s4, exec_lo
	v_cmpx_lt_u32_e32 6, v136
	s_cbranch_execz .LBB63_153
; %bb.150:
	v_and_b32_e32 v136, -8, v135
	s_movk_i32 s74, 0x740
	s_mov_b32 s73, 0
	s_mov_b32 s75, s20
	;; [unrolled: 1-line block ×3, first 2 shown]
.LBB63_151:                             ; =>This Inner Loop Header: Depth=1
	v_mov_b32_e32 v140, s75
	v_mov_b32_e32 v186, s74
	s_add_i32 s77, s76, 8
	s_add_i32 s76, s76, 60
	v_cmp_eq_u32_e32 vcc_lo, s77, v136
	s_clause 0x1f
	buffer_load_dword v137, v140, s[0:3], 0 offen offset:8
	buffer_load_dword v138, v140, s[0:3], 0 offen offset:12
	buffer_load_dword v148, v140, s[0:3], 0 offen
	buffer_load_dword v149, v140, s[0:3], 0 offen offset:4
	buffer_load_dword v150, v140, s[0:3], 0 offen offset:24
	;; [unrolled: 1-line block ×29, first 2 shown]
	ds_read_b128 v[140:143], v186
	ds_read_b128 v[144:147], v186 offset:16
	s_addk_i32 s74, 0x80
	s_addk_i32 s75, 0x80
	s_or_b32 s73, vcc_lo, s73
	s_waitcnt vmcnt(30) lgkmcnt(1)
	v_mul_f64 v[178:179], v[142:143], v[137:138]
	v_mul_f64 v[137:138], v[140:141], v[137:138]
	s_waitcnt vmcnt(26) lgkmcnt(0)
	v_mul_f64 v[180:181], v[146:147], v[150:151]
	v_mul_f64 v[182:183], v[144:145], v[150:151]
	v_fma_f64 v[178:179], v[140:141], v[148:149], -v[178:179]
	v_fma_f64 v[137:138], v[142:143], v[148:149], v[137:138]
	ds_read_b128 v[140:143], v186 offset:32
	ds_read_b128 v[148:151], v186 offset:48
	s_waitcnt vmcnt(24)
	v_fma_f64 v[144:145], v[144:145], v[152:153], -v[180:181]
	v_fma_f64 v[146:147], v[146:147], v[152:153], v[182:183]
	s_waitcnt vmcnt(22) lgkmcnt(1)
	v_mul_f64 v[184:185], v[142:143], v[154:155]
	v_mul_f64 v[154:155], v[140:141], v[154:155]
	v_add_f64 v[1:2], v[1:2], v[178:179]
	v_add_f64 v[3:4], v[3:4], v[137:138]
	s_waitcnt vmcnt(18) lgkmcnt(0)
	v_mul_f64 v[137:138], v[150:151], v[158:159]
	v_mul_f64 v[152:153], v[148:149], v[158:159]
	v_fma_f64 v[158:159], v[140:141], v[156:157], -v[184:185]
	v_fma_f64 v[154:155], v[142:143], v[156:157], v[154:155]
	v_add_f64 v[144:145], v[1:2], v[144:145]
	v_add_f64 v[146:147], v[3:4], v[146:147]
	ds_read_b128 v[1:4], v186 offset:64
	ds_read_b128 v[140:143], v186 offset:80
	s_waitcnt vmcnt(16)
	v_fma_f64 v[137:138], v[148:149], v[160:161], -v[137:138]
	v_fma_f64 v[148:149], v[150:151], v[160:161], v[152:153]
	s_waitcnt vmcnt(12) lgkmcnt(1)
	v_mul_f64 v[156:157], v[3:4], v[162:163]
	v_mul_f64 v[162:163], v[1:2], v[162:163]
	v_add_f64 v[144:145], v[144:145], v[158:159]
	v_add_f64 v[146:147], v[146:147], v[154:155]
	s_waitcnt vmcnt(10) lgkmcnt(0)
	v_mul_f64 v[150:151], v[142:143], v[164:165]
	v_mul_f64 v[152:153], v[140:141], v[164:165]
	s_waitcnt vmcnt(8)
	v_fma_f64 v[154:155], v[1:2], v[168:169], -v[156:157]
	v_fma_f64 v[156:157], v[3:4], v[168:169], v[162:163]
	v_add_f64 v[137:138], v[144:145], v[137:138]
	v_add_f64 v[148:149], v[146:147], v[148:149]
	ds_read_b128 v[1:4], v186 offset:96
	ds_read_b128 v[144:147], v186 offset:112
	v_fma_f64 v[140:141], v[140:141], v[166:167], -v[150:151]
	v_fma_f64 v[142:143], v[142:143], v[166:167], v[152:153]
	s_waitcnt vmcnt(4) lgkmcnt(1)
	v_mul_f64 v[158:159], v[3:4], v[170:171]
	v_mul_f64 v[160:161], v[1:2], v[170:171]
	v_add_f64 v[137:138], v[137:138], v[154:155]
	v_add_f64 v[148:149], v[148:149], v[156:157]
	s_waitcnt vmcnt(2) lgkmcnt(0)
	v_mul_f64 v[150:151], v[146:147], v[172:173]
	v_mul_f64 v[152:153], v[144:145], v[172:173]
	s_waitcnt vmcnt(0)
	v_fma_f64 v[1:2], v[1:2], v[176:177], -v[158:159]
	v_fma_f64 v[3:4], v[3:4], v[176:177], v[160:161]
	v_add_f64 v[137:138], v[137:138], v[140:141]
	v_add_f64 v[140:141], v[148:149], v[142:143]
	v_fma_f64 v[142:143], v[144:145], v[174:175], -v[150:151]
	v_fma_f64 v[144:145], v[146:147], v[174:175], v[152:153]
	v_add_f64 v[1:2], v[137:138], v[1:2]
	v_add_f64 v[3:4], v[140:141], v[3:4]
	v_mov_b32_e32 v137, s76
	s_mov_b32 s76, s77
	v_add_f64 v[1:2], v[1:2], v[142:143]
	v_add_f64 v[3:4], v[3:4], v[144:145]
	s_andn2_b32 exec_lo, exec_lo, s73
	s_cbranch_execnz .LBB63_151
; %bb.152:
	s_or_b32 exec_lo, exec_lo, s73
.LBB63_153:
	s_or_b32 exec_lo, exec_lo, s4
	v_and_b32_e32 v135, 7, v135
	s_mov_b32 s73, 0
	s_mov_b32 s4, exec_lo
	v_cmpx_ne_u32_e32 0, v135
	s_cbranch_execz .LBB63_157
; %bb.154:
	v_lshlrev_b32_e32 v137, 4, v137
	v_add_nc_u32_e32 v136, 0x400, v137
	.p2align	6
.LBB63_155:                             ; =>This Inner Loop Header: Depth=1
	s_clause 0x3
	buffer_load_dword v144, v137, s[0:3], 0 offen offset:8
	buffer_load_dword v145, v137, s[0:3], 0 offen offset:12
	buffer_load_dword v146, v137, s[0:3], 0 offen
	buffer_load_dword v147, v137, s[0:3], 0 offen offset:4
	ds_read_b128 v[140:143], v136
	v_add_nc_u32_e32 v135, -1, v135
	v_add_nc_u32_e32 v136, 16, v136
	v_add_nc_u32_e32 v137, 16, v137
	v_cmp_eq_u32_e32 vcc_lo, 0, v135
	s_or_b32 s73, vcc_lo, s73
	s_waitcnt vmcnt(2) lgkmcnt(0)
	v_mul_f64 v[148:149], v[142:143], v[144:145]
	v_mul_f64 v[144:145], v[140:141], v[144:145]
	s_waitcnt vmcnt(0)
	v_fma_f64 v[140:141], v[140:141], v[146:147], -v[148:149]
	v_fma_f64 v[142:143], v[142:143], v[146:147], v[144:145]
	v_add_f64 v[1:2], v[1:2], v[140:141]
	v_add_f64 v[3:4], v[3:4], v[142:143]
	s_andn2_b32 exec_lo, exec_lo, s73
	s_cbranch_execnz .LBB63_155
; %bb.156:
	s_or_b32 exec_lo, exec_lo, s73
.LBB63_157:
	s_or_b32 exec_lo, exec_lo, s4
.LBB63_158:
	s_or_b32 exec_lo, exec_lo, s8
	v_mov_b32_e32 v135, 0
	ds_read_b128 v[135:138], v135 offset:816
	s_waitcnt lgkmcnt(0)
	v_mul_f64 v[140:141], v[3:4], v[137:138]
	v_mul_f64 v[137:138], v[1:2], v[137:138]
	v_fma_f64 v[1:2], v[1:2], v[135:136], -v[140:141]
	v_fma_f64 v[3:4], v[3:4], v[135:136], v[137:138]
	buffer_store_dword v2, off, s[0:3], 0 offset:820
	buffer_store_dword v1, off, s[0:3], 0 offset:816
	;; [unrolled: 1-line block ×4, first 2 shown]
.LBB63_159:
	s_or_b32 exec_lo, exec_lo, s6
	v_mov_b32_e32 v4, s22
	v_cmp_lt_u32_e64 s4, 50, v0
	s_clause 0x3
	buffer_load_dword v1, v4, s[0:3], 0 offen
	buffer_load_dword v2, v4, s[0:3], 0 offen offset:4
	buffer_load_dword v3, v4, s[0:3], 0 offen offset:8
	;; [unrolled: 1-line block ×3, first 2 shown]
	s_waitcnt vmcnt(0)
	ds_write_b128 v134, v[1:4]
	s_waitcnt lgkmcnt(0)
	s_waitcnt_vscnt null, 0x0
	s_barrier
	buffer_gl0_inv
	s_and_saveexec_b32 s6, s4
	s_cbranch_execz .LBB63_173
; %bb.160:
	ds_read_b128 v[1:4], v134
	s_andn2_b32 vcc_lo, exec_lo, s7
	s_cbranch_vccnz .LBB63_162
; %bb.161:
	s_clause 0x3
	buffer_load_dword v135, v133, s[0:3], 0 offen offset:8
	buffer_load_dword v136, v133, s[0:3], 0 offen offset:12
	buffer_load_dword v137, v133, s[0:3], 0 offen
	buffer_load_dword v138, v133, s[0:3], 0 offen offset:4
	s_waitcnt vmcnt(2) lgkmcnt(0)
	v_mul_f64 v[140:141], v[3:4], v[135:136]
	v_mul_f64 v[135:136], v[1:2], v[135:136]
	s_waitcnt vmcnt(0)
	v_fma_f64 v[1:2], v[1:2], v[137:138], -v[140:141]
	v_fma_f64 v[3:4], v[3:4], v[137:138], v[135:136]
.LBB63_162:
	s_and_saveexec_b32 s8, s5
	s_cbranch_execz .LBB63_172
; %bb.163:
	v_subrev_nc_u32_e32 v136, 52, v0
	v_mov_b32_e32 v137, 51
	v_subrev_nc_u32_e32 v135, 51, v0
	s_mov_b32 s5, exec_lo
	v_cmpx_lt_u32_e32 6, v136
	s_cbranch_execz .LBB63_167
; %bb.164:
	v_and_b32_e32 v136, -8, v135
	s_movk_i32 s74, 0x730
	s_mov_b32 s73, 0
	s_mov_b32 s75, s21
	s_mov_b32 s76, 0
.LBB63_165:                             ; =>This Inner Loop Header: Depth=1
	v_mov_b32_e32 v140, s75
	v_mov_b32_e32 v186, s74
	s_add_i32 s77, s76, 8
	s_add_i32 s76, s76, 59
	v_cmp_eq_u32_e32 vcc_lo, s77, v136
	s_clause 0x1f
	buffer_load_dword v137, v140, s[0:3], 0 offen offset:8
	buffer_load_dword v138, v140, s[0:3], 0 offen offset:12
	buffer_load_dword v148, v140, s[0:3], 0 offen
	buffer_load_dword v149, v140, s[0:3], 0 offen offset:4
	buffer_load_dword v150, v140, s[0:3], 0 offen offset:24
	;; [unrolled: 1-line block ×29, first 2 shown]
	ds_read_b128 v[140:143], v186
	ds_read_b128 v[144:147], v186 offset:16
	s_addk_i32 s74, 0x80
	s_addk_i32 s75, 0x80
	s_or_b32 s73, vcc_lo, s73
	s_waitcnt vmcnt(30) lgkmcnt(1)
	v_mul_f64 v[178:179], v[142:143], v[137:138]
	v_mul_f64 v[137:138], v[140:141], v[137:138]
	s_waitcnt vmcnt(26) lgkmcnt(0)
	v_mul_f64 v[180:181], v[146:147], v[150:151]
	v_mul_f64 v[182:183], v[144:145], v[150:151]
	v_fma_f64 v[178:179], v[140:141], v[148:149], -v[178:179]
	v_fma_f64 v[137:138], v[142:143], v[148:149], v[137:138]
	ds_read_b128 v[140:143], v186 offset:32
	ds_read_b128 v[148:151], v186 offset:48
	s_waitcnt vmcnt(24)
	v_fma_f64 v[144:145], v[144:145], v[152:153], -v[180:181]
	v_fma_f64 v[146:147], v[146:147], v[152:153], v[182:183]
	s_waitcnt vmcnt(22) lgkmcnt(1)
	v_mul_f64 v[184:185], v[142:143], v[154:155]
	v_mul_f64 v[154:155], v[140:141], v[154:155]
	v_add_f64 v[1:2], v[1:2], v[178:179]
	v_add_f64 v[3:4], v[3:4], v[137:138]
	s_waitcnt vmcnt(18) lgkmcnt(0)
	v_mul_f64 v[137:138], v[150:151], v[158:159]
	v_mul_f64 v[152:153], v[148:149], v[158:159]
	v_fma_f64 v[158:159], v[140:141], v[156:157], -v[184:185]
	v_fma_f64 v[154:155], v[142:143], v[156:157], v[154:155]
	v_add_f64 v[144:145], v[1:2], v[144:145]
	v_add_f64 v[146:147], v[3:4], v[146:147]
	ds_read_b128 v[1:4], v186 offset:64
	ds_read_b128 v[140:143], v186 offset:80
	s_waitcnt vmcnt(16)
	v_fma_f64 v[137:138], v[148:149], v[160:161], -v[137:138]
	v_fma_f64 v[148:149], v[150:151], v[160:161], v[152:153]
	s_waitcnt vmcnt(12) lgkmcnt(1)
	v_mul_f64 v[156:157], v[3:4], v[162:163]
	v_mul_f64 v[162:163], v[1:2], v[162:163]
	v_add_f64 v[144:145], v[144:145], v[158:159]
	v_add_f64 v[146:147], v[146:147], v[154:155]
	s_waitcnt vmcnt(10) lgkmcnt(0)
	v_mul_f64 v[150:151], v[142:143], v[164:165]
	v_mul_f64 v[152:153], v[140:141], v[164:165]
	s_waitcnt vmcnt(8)
	v_fma_f64 v[154:155], v[1:2], v[168:169], -v[156:157]
	v_fma_f64 v[156:157], v[3:4], v[168:169], v[162:163]
	v_add_f64 v[137:138], v[144:145], v[137:138]
	v_add_f64 v[148:149], v[146:147], v[148:149]
	ds_read_b128 v[1:4], v186 offset:96
	ds_read_b128 v[144:147], v186 offset:112
	v_fma_f64 v[140:141], v[140:141], v[166:167], -v[150:151]
	v_fma_f64 v[142:143], v[142:143], v[166:167], v[152:153]
	s_waitcnt vmcnt(4) lgkmcnt(1)
	v_mul_f64 v[158:159], v[3:4], v[170:171]
	v_mul_f64 v[160:161], v[1:2], v[170:171]
	v_add_f64 v[137:138], v[137:138], v[154:155]
	v_add_f64 v[148:149], v[148:149], v[156:157]
	s_waitcnt vmcnt(2) lgkmcnt(0)
	v_mul_f64 v[150:151], v[146:147], v[172:173]
	v_mul_f64 v[152:153], v[144:145], v[172:173]
	s_waitcnt vmcnt(0)
	v_fma_f64 v[1:2], v[1:2], v[176:177], -v[158:159]
	v_fma_f64 v[3:4], v[3:4], v[176:177], v[160:161]
	v_add_f64 v[137:138], v[137:138], v[140:141]
	v_add_f64 v[140:141], v[148:149], v[142:143]
	v_fma_f64 v[142:143], v[144:145], v[174:175], -v[150:151]
	v_fma_f64 v[144:145], v[146:147], v[174:175], v[152:153]
	v_add_f64 v[1:2], v[137:138], v[1:2]
	v_add_f64 v[3:4], v[140:141], v[3:4]
	v_mov_b32_e32 v137, s76
	s_mov_b32 s76, s77
	v_add_f64 v[1:2], v[1:2], v[142:143]
	v_add_f64 v[3:4], v[3:4], v[144:145]
	s_andn2_b32 exec_lo, exec_lo, s73
	s_cbranch_execnz .LBB63_165
; %bb.166:
	s_or_b32 exec_lo, exec_lo, s73
.LBB63_167:
	s_or_b32 exec_lo, exec_lo, s5
	v_and_b32_e32 v135, 7, v135
	s_mov_b32 s73, 0
	s_mov_b32 s5, exec_lo
	v_cmpx_ne_u32_e32 0, v135
	s_cbranch_execz .LBB63_171
; %bb.168:
	v_lshlrev_b32_e32 v137, 4, v137
	v_add_nc_u32_e32 v136, 0x400, v137
	.p2align	6
.LBB63_169:                             ; =>This Inner Loop Header: Depth=1
	s_clause 0x3
	buffer_load_dword v144, v137, s[0:3], 0 offen offset:8
	buffer_load_dword v145, v137, s[0:3], 0 offen offset:12
	buffer_load_dword v146, v137, s[0:3], 0 offen
	buffer_load_dword v147, v137, s[0:3], 0 offen offset:4
	ds_read_b128 v[140:143], v136
	v_add_nc_u32_e32 v135, -1, v135
	v_add_nc_u32_e32 v136, 16, v136
	v_add_nc_u32_e32 v137, 16, v137
	v_cmp_eq_u32_e32 vcc_lo, 0, v135
	s_or_b32 s73, vcc_lo, s73
	s_waitcnt vmcnt(2) lgkmcnt(0)
	v_mul_f64 v[148:149], v[142:143], v[144:145]
	v_mul_f64 v[144:145], v[140:141], v[144:145]
	s_waitcnt vmcnt(0)
	v_fma_f64 v[140:141], v[140:141], v[146:147], -v[148:149]
	v_fma_f64 v[142:143], v[142:143], v[146:147], v[144:145]
	v_add_f64 v[1:2], v[1:2], v[140:141]
	v_add_f64 v[3:4], v[3:4], v[142:143]
	s_andn2_b32 exec_lo, exec_lo, s73
	s_cbranch_execnz .LBB63_169
; %bb.170:
	s_or_b32 exec_lo, exec_lo, s73
.LBB63_171:
	s_or_b32 exec_lo, exec_lo, s5
.LBB63_172:
	s_or_b32 exec_lo, exec_lo, s8
	v_mov_b32_e32 v135, 0
	ds_read_b128 v[135:138], v135 offset:800
	s_waitcnt lgkmcnt(0)
	v_mul_f64 v[140:141], v[3:4], v[137:138]
	v_mul_f64 v[137:138], v[1:2], v[137:138]
	v_fma_f64 v[1:2], v[1:2], v[135:136], -v[140:141]
	v_fma_f64 v[3:4], v[3:4], v[135:136], v[137:138]
	buffer_store_dword v2, off, s[0:3], 0 offset:804
	buffer_store_dword v1, off, s[0:3], 0 offset:800
	;; [unrolled: 1-line block ×4, first 2 shown]
.LBB63_173:
	s_or_b32 exec_lo, exec_lo, s6
	v_mov_b32_e32 v4, s23
	v_cmp_lt_u32_e64 s5, 49, v0
	s_clause 0x3
	buffer_load_dword v1, v4, s[0:3], 0 offen
	buffer_load_dword v2, v4, s[0:3], 0 offen offset:4
	buffer_load_dword v3, v4, s[0:3], 0 offen offset:8
	;; [unrolled: 1-line block ×3, first 2 shown]
	s_waitcnt vmcnt(0)
	ds_write_b128 v134, v[1:4]
	s_waitcnt lgkmcnt(0)
	s_waitcnt_vscnt null, 0x0
	s_barrier
	buffer_gl0_inv
	s_and_saveexec_b32 s6, s5
	s_cbranch_execz .LBB63_187
; %bb.174:
	ds_read_b128 v[1:4], v134
	s_andn2_b32 vcc_lo, exec_lo, s7
	s_cbranch_vccnz .LBB63_176
; %bb.175:
	s_clause 0x3
	buffer_load_dword v135, v133, s[0:3], 0 offen offset:8
	buffer_load_dword v136, v133, s[0:3], 0 offen offset:12
	buffer_load_dword v137, v133, s[0:3], 0 offen
	buffer_load_dword v138, v133, s[0:3], 0 offen offset:4
	s_waitcnt vmcnt(2) lgkmcnt(0)
	v_mul_f64 v[140:141], v[3:4], v[135:136]
	v_mul_f64 v[135:136], v[1:2], v[135:136]
	s_waitcnt vmcnt(0)
	v_fma_f64 v[1:2], v[1:2], v[137:138], -v[140:141]
	v_fma_f64 v[3:4], v[3:4], v[137:138], v[135:136]
.LBB63_176:
	s_and_saveexec_b32 s8, s4
	s_cbranch_execz .LBB63_186
; %bb.177:
	v_subrev_nc_u32_e32 v136, 51, v0
	v_mov_b32_e32 v137, 50
	v_subrev_nc_u32_e32 v135, 50, v0
	s_mov_b32 s4, exec_lo
	v_cmpx_lt_u32_e32 6, v136
	s_cbranch_execz .LBB63_181
; %bb.178:
	v_and_b32_e32 v136, -8, v135
	s_movk_i32 s74, 0x720
	s_mov_b32 s73, 0
	s_mov_b32 s75, s22
	;; [unrolled: 1-line block ×3, first 2 shown]
.LBB63_179:                             ; =>This Inner Loop Header: Depth=1
	v_mov_b32_e32 v140, s75
	v_mov_b32_e32 v186, s74
	s_add_i32 s77, s76, 8
	s_add_i32 s76, s76, 58
	v_cmp_eq_u32_e32 vcc_lo, s77, v136
	s_clause 0x1f
	buffer_load_dword v137, v140, s[0:3], 0 offen offset:8
	buffer_load_dword v138, v140, s[0:3], 0 offen offset:12
	buffer_load_dword v148, v140, s[0:3], 0 offen
	buffer_load_dword v149, v140, s[0:3], 0 offen offset:4
	buffer_load_dword v150, v140, s[0:3], 0 offen offset:24
	buffer_load_dword v151, v140, s[0:3], 0 offen offset:28
	buffer_load_dword v152, v140, s[0:3], 0 offen offset:16
	buffer_load_dword v153, v140, s[0:3], 0 offen offset:20
	buffer_load_dword v154, v140, s[0:3], 0 offen offset:40
	buffer_load_dword v155, v140, s[0:3], 0 offen offset:44
	buffer_load_dword v156, v140, s[0:3], 0 offen offset:32
	buffer_load_dword v157, v140, s[0:3], 0 offen offset:36
	buffer_load_dword v158, v140, s[0:3], 0 offen offset:56
	buffer_load_dword v159, v140, s[0:3], 0 offen offset:60
	buffer_load_dword v160, v140, s[0:3], 0 offen offset:48
	buffer_load_dword v161, v140, s[0:3], 0 offen offset:52
	buffer_load_dword v163, v140, s[0:3], 0 offen offset:76
	buffer_load_dword v164, v140, s[0:3], 0 offen offset:88
	buffer_load_dword v166, v140, s[0:3], 0 offen offset:80
	buffer_load_dword v162, v140, s[0:3], 0 offen offset:72
	buffer_load_dword v167, v140, s[0:3], 0 offen offset:84
	buffer_load_dword v165, v140, s[0:3], 0 offen offset:92
	buffer_load_dword v169, v140, s[0:3], 0 offen offset:68
	buffer_load_dword v168, v140, s[0:3], 0 offen offset:64
	buffer_load_dword v171, v140, s[0:3], 0 offen offset:108
	buffer_load_dword v172, v140, s[0:3], 0 offen offset:120
	buffer_load_dword v174, v140, s[0:3], 0 offen offset:112
	buffer_load_dword v170, v140, s[0:3], 0 offen offset:104
	buffer_load_dword v175, v140, s[0:3], 0 offen offset:116
	buffer_load_dword v173, v140, s[0:3], 0 offen offset:124
	buffer_load_dword v177, v140, s[0:3], 0 offen offset:100
	buffer_load_dword v176, v140, s[0:3], 0 offen offset:96
	ds_read_b128 v[140:143], v186
	ds_read_b128 v[144:147], v186 offset:16
	s_addk_i32 s74, 0x80
	s_addk_i32 s75, 0x80
	s_or_b32 s73, vcc_lo, s73
	s_waitcnt vmcnt(30) lgkmcnt(1)
	v_mul_f64 v[178:179], v[142:143], v[137:138]
	v_mul_f64 v[137:138], v[140:141], v[137:138]
	s_waitcnt vmcnt(26) lgkmcnt(0)
	v_mul_f64 v[180:181], v[146:147], v[150:151]
	v_mul_f64 v[182:183], v[144:145], v[150:151]
	v_fma_f64 v[178:179], v[140:141], v[148:149], -v[178:179]
	v_fma_f64 v[137:138], v[142:143], v[148:149], v[137:138]
	ds_read_b128 v[140:143], v186 offset:32
	ds_read_b128 v[148:151], v186 offset:48
	s_waitcnt vmcnt(24)
	v_fma_f64 v[144:145], v[144:145], v[152:153], -v[180:181]
	v_fma_f64 v[146:147], v[146:147], v[152:153], v[182:183]
	s_waitcnt vmcnt(22) lgkmcnt(1)
	v_mul_f64 v[184:185], v[142:143], v[154:155]
	v_mul_f64 v[154:155], v[140:141], v[154:155]
	v_add_f64 v[1:2], v[1:2], v[178:179]
	v_add_f64 v[3:4], v[3:4], v[137:138]
	s_waitcnt vmcnt(18) lgkmcnt(0)
	v_mul_f64 v[137:138], v[150:151], v[158:159]
	v_mul_f64 v[152:153], v[148:149], v[158:159]
	v_fma_f64 v[158:159], v[140:141], v[156:157], -v[184:185]
	v_fma_f64 v[154:155], v[142:143], v[156:157], v[154:155]
	v_add_f64 v[144:145], v[1:2], v[144:145]
	v_add_f64 v[146:147], v[3:4], v[146:147]
	ds_read_b128 v[1:4], v186 offset:64
	ds_read_b128 v[140:143], v186 offset:80
	s_waitcnt vmcnt(16)
	v_fma_f64 v[137:138], v[148:149], v[160:161], -v[137:138]
	v_fma_f64 v[148:149], v[150:151], v[160:161], v[152:153]
	s_waitcnt vmcnt(12) lgkmcnt(1)
	v_mul_f64 v[156:157], v[3:4], v[162:163]
	v_mul_f64 v[162:163], v[1:2], v[162:163]
	v_add_f64 v[144:145], v[144:145], v[158:159]
	v_add_f64 v[146:147], v[146:147], v[154:155]
	s_waitcnt vmcnt(10) lgkmcnt(0)
	v_mul_f64 v[150:151], v[142:143], v[164:165]
	v_mul_f64 v[152:153], v[140:141], v[164:165]
	s_waitcnt vmcnt(8)
	v_fma_f64 v[154:155], v[1:2], v[168:169], -v[156:157]
	v_fma_f64 v[156:157], v[3:4], v[168:169], v[162:163]
	v_add_f64 v[137:138], v[144:145], v[137:138]
	v_add_f64 v[148:149], v[146:147], v[148:149]
	ds_read_b128 v[1:4], v186 offset:96
	ds_read_b128 v[144:147], v186 offset:112
	v_fma_f64 v[140:141], v[140:141], v[166:167], -v[150:151]
	v_fma_f64 v[142:143], v[142:143], v[166:167], v[152:153]
	s_waitcnt vmcnt(4) lgkmcnt(1)
	v_mul_f64 v[158:159], v[3:4], v[170:171]
	v_mul_f64 v[160:161], v[1:2], v[170:171]
	v_add_f64 v[137:138], v[137:138], v[154:155]
	v_add_f64 v[148:149], v[148:149], v[156:157]
	s_waitcnt vmcnt(2) lgkmcnt(0)
	v_mul_f64 v[150:151], v[146:147], v[172:173]
	v_mul_f64 v[152:153], v[144:145], v[172:173]
	s_waitcnt vmcnt(0)
	v_fma_f64 v[1:2], v[1:2], v[176:177], -v[158:159]
	v_fma_f64 v[3:4], v[3:4], v[176:177], v[160:161]
	v_add_f64 v[137:138], v[137:138], v[140:141]
	v_add_f64 v[140:141], v[148:149], v[142:143]
	v_fma_f64 v[142:143], v[144:145], v[174:175], -v[150:151]
	v_fma_f64 v[144:145], v[146:147], v[174:175], v[152:153]
	v_add_f64 v[1:2], v[137:138], v[1:2]
	v_add_f64 v[3:4], v[140:141], v[3:4]
	v_mov_b32_e32 v137, s76
	s_mov_b32 s76, s77
	v_add_f64 v[1:2], v[1:2], v[142:143]
	v_add_f64 v[3:4], v[3:4], v[144:145]
	s_andn2_b32 exec_lo, exec_lo, s73
	s_cbranch_execnz .LBB63_179
; %bb.180:
	s_or_b32 exec_lo, exec_lo, s73
.LBB63_181:
	s_or_b32 exec_lo, exec_lo, s4
	v_and_b32_e32 v135, 7, v135
	s_mov_b32 s73, 0
	s_mov_b32 s4, exec_lo
	v_cmpx_ne_u32_e32 0, v135
	s_cbranch_execz .LBB63_185
; %bb.182:
	v_lshlrev_b32_e32 v137, 4, v137
	v_add_nc_u32_e32 v136, 0x400, v137
	.p2align	6
.LBB63_183:                             ; =>This Inner Loop Header: Depth=1
	s_clause 0x3
	buffer_load_dword v144, v137, s[0:3], 0 offen offset:8
	buffer_load_dword v145, v137, s[0:3], 0 offen offset:12
	buffer_load_dword v146, v137, s[0:3], 0 offen
	buffer_load_dword v147, v137, s[0:3], 0 offen offset:4
	ds_read_b128 v[140:143], v136
	v_add_nc_u32_e32 v135, -1, v135
	v_add_nc_u32_e32 v136, 16, v136
	v_add_nc_u32_e32 v137, 16, v137
	v_cmp_eq_u32_e32 vcc_lo, 0, v135
	s_or_b32 s73, vcc_lo, s73
	s_waitcnt vmcnt(2) lgkmcnt(0)
	v_mul_f64 v[148:149], v[142:143], v[144:145]
	v_mul_f64 v[144:145], v[140:141], v[144:145]
	s_waitcnt vmcnt(0)
	v_fma_f64 v[140:141], v[140:141], v[146:147], -v[148:149]
	v_fma_f64 v[142:143], v[142:143], v[146:147], v[144:145]
	v_add_f64 v[1:2], v[1:2], v[140:141]
	v_add_f64 v[3:4], v[3:4], v[142:143]
	s_andn2_b32 exec_lo, exec_lo, s73
	s_cbranch_execnz .LBB63_183
; %bb.184:
	s_or_b32 exec_lo, exec_lo, s73
.LBB63_185:
	s_or_b32 exec_lo, exec_lo, s4
.LBB63_186:
	s_or_b32 exec_lo, exec_lo, s8
	v_mov_b32_e32 v135, 0
	ds_read_b128 v[135:138], v135 offset:784
	s_waitcnt lgkmcnt(0)
	v_mul_f64 v[140:141], v[3:4], v[137:138]
	v_mul_f64 v[137:138], v[1:2], v[137:138]
	v_fma_f64 v[1:2], v[1:2], v[135:136], -v[140:141]
	v_fma_f64 v[3:4], v[3:4], v[135:136], v[137:138]
	buffer_store_dword v2, off, s[0:3], 0 offset:788
	buffer_store_dword v1, off, s[0:3], 0 offset:784
	buffer_store_dword v4, off, s[0:3], 0 offset:796
	buffer_store_dword v3, off, s[0:3], 0 offset:792
.LBB63_187:
	s_or_b32 exec_lo, exec_lo, s6
	v_mov_b32_e32 v4, s24
	v_cmp_lt_u32_e64 s4, 48, v0
	s_clause 0x3
	buffer_load_dword v1, v4, s[0:3], 0 offen
	buffer_load_dword v2, v4, s[0:3], 0 offen offset:4
	buffer_load_dword v3, v4, s[0:3], 0 offen offset:8
	;; [unrolled: 1-line block ×3, first 2 shown]
	s_waitcnt vmcnt(0)
	ds_write_b128 v134, v[1:4]
	s_waitcnt lgkmcnt(0)
	s_waitcnt_vscnt null, 0x0
	s_barrier
	buffer_gl0_inv
	s_and_saveexec_b32 s6, s4
	s_cbranch_execz .LBB63_201
; %bb.188:
	ds_read_b128 v[1:4], v134
	s_andn2_b32 vcc_lo, exec_lo, s7
	s_cbranch_vccnz .LBB63_190
; %bb.189:
	s_clause 0x3
	buffer_load_dword v135, v133, s[0:3], 0 offen offset:8
	buffer_load_dword v136, v133, s[0:3], 0 offen offset:12
	buffer_load_dword v137, v133, s[0:3], 0 offen
	buffer_load_dword v138, v133, s[0:3], 0 offen offset:4
	s_waitcnt vmcnt(2) lgkmcnt(0)
	v_mul_f64 v[140:141], v[3:4], v[135:136]
	v_mul_f64 v[135:136], v[1:2], v[135:136]
	s_waitcnt vmcnt(0)
	v_fma_f64 v[1:2], v[1:2], v[137:138], -v[140:141]
	v_fma_f64 v[3:4], v[3:4], v[137:138], v[135:136]
.LBB63_190:
	s_and_saveexec_b32 s8, s5
	s_cbranch_execz .LBB63_200
; %bb.191:
	v_subrev_nc_u32_e32 v136, 50, v0
	v_mov_b32_e32 v137, 49
	v_subrev_nc_u32_e32 v135, 49, v0
	s_mov_b32 s5, exec_lo
	v_cmpx_lt_u32_e32 6, v136
	s_cbranch_execz .LBB63_195
; %bb.192:
	v_and_b32_e32 v136, -8, v135
	s_movk_i32 s74, 0x710
	s_mov_b32 s73, 0
	s_mov_b32 s75, s23
	;; [unrolled: 1-line block ×3, first 2 shown]
.LBB63_193:                             ; =>This Inner Loop Header: Depth=1
	v_mov_b32_e32 v140, s75
	v_mov_b32_e32 v186, s74
	s_add_i32 s77, s76, 8
	s_add_i32 s76, s76, 57
	v_cmp_eq_u32_e32 vcc_lo, s77, v136
	s_clause 0x1f
	buffer_load_dword v137, v140, s[0:3], 0 offen offset:8
	buffer_load_dword v138, v140, s[0:3], 0 offen offset:12
	buffer_load_dword v148, v140, s[0:3], 0 offen
	buffer_load_dword v149, v140, s[0:3], 0 offen offset:4
	buffer_load_dword v150, v140, s[0:3], 0 offen offset:24
	;; [unrolled: 1-line block ×29, first 2 shown]
	ds_read_b128 v[140:143], v186
	ds_read_b128 v[144:147], v186 offset:16
	s_addk_i32 s74, 0x80
	s_addk_i32 s75, 0x80
	s_or_b32 s73, vcc_lo, s73
	s_waitcnt vmcnt(30) lgkmcnt(1)
	v_mul_f64 v[178:179], v[142:143], v[137:138]
	v_mul_f64 v[137:138], v[140:141], v[137:138]
	s_waitcnt vmcnt(26) lgkmcnt(0)
	v_mul_f64 v[180:181], v[146:147], v[150:151]
	v_mul_f64 v[182:183], v[144:145], v[150:151]
	v_fma_f64 v[178:179], v[140:141], v[148:149], -v[178:179]
	v_fma_f64 v[137:138], v[142:143], v[148:149], v[137:138]
	ds_read_b128 v[140:143], v186 offset:32
	ds_read_b128 v[148:151], v186 offset:48
	s_waitcnt vmcnt(24)
	v_fma_f64 v[144:145], v[144:145], v[152:153], -v[180:181]
	v_fma_f64 v[146:147], v[146:147], v[152:153], v[182:183]
	s_waitcnt vmcnt(22) lgkmcnt(1)
	v_mul_f64 v[184:185], v[142:143], v[154:155]
	v_mul_f64 v[154:155], v[140:141], v[154:155]
	v_add_f64 v[1:2], v[1:2], v[178:179]
	v_add_f64 v[3:4], v[3:4], v[137:138]
	s_waitcnt vmcnt(18) lgkmcnt(0)
	v_mul_f64 v[137:138], v[150:151], v[158:159]
	v_mul_f64 v[152:153], v[148:149], v[158:159]
	v_fma_f64 v[158:159], v[140:141], v[156:157], -v[184:185]
	v_fma_f64 v[154:155], v[142:143], v[156:157], v[154:155]
	v_add_f64 v[144:145], v[1:2], v[144:145]
	v_add_f64 v[146:147], v[3:4], v[146:147]
	ds_read_b128 v[1:4], v186 offset:64
	ds_read_b128 v[140:143], v186 offset:80
	s_waitcnt vmcnt(16)
	v_fma_f64 v[137:138], v[148:149], v[160:161], -v[137:138]
	v_fma_f64 v[148:149], v[150:151], v[160:161], v[152:153]
	s_waitcnt vmcnt(12) lgkmcnt(1)
	v_mul_f64 v[156:157], v[3:4], v[162:163]
	v_mul_f64 v[162:163], v[1:2], v[162:163]
	v_add_f64 v[144:145], v[144:145], v[158:159]
	v_add_f64 v[146:147], v[146:147], v[154:155]
	s_waitcnt vmcnt(10) lgkmcnt(0)
	v_mul_f64 v[150:151], v[142:143], v[164:165]
	v_mul_f64 v[152:153], v[140:141], v[164:165]
	s_waitcnt vmcnt(8)
	v_fma_f64 v[154:155], v[1:2], v[168:169], -v[156:157]
	v_fma_f64 v[156:157], v[3:4], v[168:169], v[162:163]
	v_add_f64 v[137:138], v[144:145], v[137:138]
	v_add_f64 v[148:149], v[146:147], v[148:149]
	ds_read_b128 v[1:4], v186 offset:96
	ds_read_b128 v[144:147], v186 offset:112
	v_fma_f64 v[140:141], v[140:141], v[166:167], -v[150:151]
	v_fma_f64 v[142:143], v[142:143], v[166:167], v[152:153]
	s_waitcnt vmcnt(4) lgkmcnt(1)
	v_mul_f64 v[158:159], v[3:4], v[170:171]
	v_mul_f64 v[160:161], v[1:2], v[170:171]
	v_add_f64 v[137:138], v[137:138], v[154:155]
	v_add_f64 v[148:149], v[148:149], v[156:157]
	s_waitcnt vmcnt(2) lgkmcnt(0)
	v_mul_f64 v[150:151], v[146:147], v[172:173]
	v_mul_f64 v[152:153], v[144:145], v[172:173]
	s_waitcnt vmcnt(0)
	v_fma_f64 v[1:2], v[1:2], v[176:177], -v[158:159]
	v_fma_f64 v[3:4], v[3:4], v[176:177], v[160:161]
	v_add_f64 v[137:138], v[137:138], v[140:141]
	v_add_f64 v[140:141], v[148:149], v[142:143]
	v_fma_f64 v[142:143], v[144:145], v[174:175], -v[150:151]
	v_fma_f64 v[144:145], v[146:147], v[174:175], v[152:153]
	v_add_f64 v[1:2], v[137:138], v[1:2]
	v_add_f64 v[3:4], v[140:141], v[3:4]
	v_mov_b32_e32 v137, s76
	s_mov_b32 s76, s77
	v_add_f64 v[1:2], v[1:2], v[142:143]
	v_add_f64 v[3:4], v[3:4], v[144:145]
	s_andn2_b32 exec_lo, exec_lo, s73
	s_cbranch_execnz .LBB63_193
; %bb.194:
	s_or_b32 exec_lo, exec_lo, s73
.LBB63_195:
	s_or_b32 exec_lo, exec_lo, s5
	v_and_b32_e32 v135, 7, v135
	s_mov_b32 s73, 0
	s_mov_b32 s5, exec_lo
	v_cmpx_ne_u32_e32 0, v135
	s_cbranch_execz .LBB63_199
; %bb.196:
	v_lshlrev_b32_e32 v137, 4, v137
	v_add_nc_u32_e32 v136, 0x400, v137
	.p2align	6
.LBB63_197:                             ; =>This Inner Loop Header: Depth=1
	s_clause 0x3
	buffer_load_dword v144, v137, s[0:3], 0 offen offset:8
	buffer_load_dword v145, v137, s[0:3], 0 offen offset:12
	buffer_load_dword v146, v137, s[0:3], 0 offen
	buffer_load_dword v147, v137, s[0:3], 0 offen offset:4
	ds_read_b128 v[140:143], v136
	v_add_nc_u32_e32 v135, -1, v135
	v_add_nc_u32_e32 v136, 16, v136
	v_add_nc_u32_e32 v137, 16, v137
	v_cmp_eq_u32_e32 vcc_lo, 0, v135
	s_or_b32 s73, vcc_lo, s73
	s_waitcnt vmcnt(2) lgkmcnt(0)
	v_mul_f64 v[148:149], v[142:143], v[144:145]
	v_mul_f64 v[144:145], v[140:141], v[144:145]
	s_waitcnt vmcnt(0)
	v_fma_f64 v[140:141], v[140:141], v[146:147], -v[148:149]
	v_fma_f64 v[142:143], v[142:143], v[146:147], v[144:145]
	v_add_f64 v[1:2], v[1:2], v[140:141]
	v_add_f64 v[3:4], v[3:4], v[142:143]
	s_andn2_b32 exec_lo, exec_lo, s73
	s_cbranch_execnz .LBB63_197
; %bb.198:
	s_or_b32 exec_lo, exec_lo, s73
.LBB63_199:
	s_or_b32 exec_lo, exec_lo, s5
.LBB63_200:
	s_or_b32 exec_lo, exec_lo, s8
	v_mov_b32_e32 v135, 0
	ds_read_b128 v[135:138], v135 offset:768
	s_waitcnt lgkmcnt(0)
	v_mul_f64 v[140:141], v[3:4], v[137:138]
	v_mul_f64 v[137:138], v[1:2], v[137:138]
	v_fma_f64 v[1:2], v[1:2], v[135:136], -v[140:141]
	v_fma_f64 v[3:4], v[3:4], v[135:136], v[137:138]
	buffer_store_dword v2, off, s[0:3], 0 offset:772
	buffer_store_dword v1, off, s[0:3], 0 offset:768
	;; [unrolled: 1-line block ×4, first 2 shown]
.LBB63_201:
	s_or_b32 exec_lo, exec_lo, s6
	v_mov_b32_e32 v4, s25
	v_cmp_lt_u32_e64 s5, 47, v0
	s_clause 0x3
	buffer_load_dword v1, v4, s[0:3], 0 offen
	buffer_load_dword v2, v4, s[0:3], 0 offen offset:4
	buffer_load_dword v3, v4, s[0:3], 0 offen offset:8
	;; [unrolled: 1-line block ×3, first 2 shown]
	s_waitcnt vmcnt(0)
	ds_write_b128 v134, v[1:4]
	s_waitcnt lgkmcnt(0)
	s_waitcnt_vscnt null, 0x0
	s_barrier
	buffer_gl0_inv
	s_and_saveexec_b32 s6, s5
	s_cbranch_execz .LBB63_215
; %bb.202:
	ds_read_b128 v[1:4], v134
	s_andn2_b32 vcc_lo, exec_lo, s7
	s_cbranch_vccnz .LBB63_204
; %bb.203:
	s_clause 0x3
	buffer_load_dword v135, v133, s[0:3], 0 offen offset:8
	buffer_load_dword v136, v133, s[0:3], 0 offen offset:12
	buffer_load_dword v137, v133, s[0:3], 0 offen
	buffer_load_dword v138, v133, s[0:3], 0 offen offset:4
	s_waitcnt vmcnt(2) lgkmcnt(0)
	v_mul_f64 v[140:141], v[3:4], v[135:136]
	v_mul_f64 v[135:136], v[1:2], v[135:136]
	s_waitcnt vmcnt(0)
	v_fma_f64 v[1:2], v[1:2], v[137:138], -v[140:141]
	v_fma_f64 v[3:4], v[3:4], v[137:138], v[135:136]
.LBB63_204:
	s_and_saveexec_b32 s8, s4
	s_cbranch_execz .LBB63_214
; %bb.205:
	v_subrev_nc_u32_e32 v135, 49, v0
	v_cmp_lt_u32_e32 vcc_lo, 6, v135
	v_mov_b32_e32 v135, 48
	s_and_saveexec_b32 s4, vcc_lo
	s_cbranch_execz .LBB63_209
; %bb.206:
	v_and_b32_e32 v135, 56, v0
	s_mov_b32 s73, 48
	s_movk_i32 s75, 0x700
	s_mov_b32 s74, 0
	s_mov_b32 s76, s24
.LBB63_207:                             ; =>This Inner Loop Header: Depth=1
	v_mov_b32_e32 v138, s76
	s_add_i32 s73, s73, 8
	s_addk_i32 s76, 0x80
	v_cmp_eq_u32_e32 vcc_lo, s73, v135
	s_clause 0x1f
	buffer_load_dword v136, v138, s[0:3], 0 offen offset:8
	buffer_load_dword v137, v138, s[0:3], 0 offen offset:12
	buffer_load_dword v148, v138, s[0:3], 0 offen
	buffer_load_dword v149, v138, s[0:3], 0 offen offset:4
	buffer_load_dword v150, v138, s[0:3], 0 offen offset:24
	;; [unrolled: 1-line block ×29, first 2 shown]
	v_mov_b32_e32 v138, s75
	s_addk_i32 s75, 0x80
	s_or_b32 s74, vcc_lo, s74
	ds_read_b128 v[140:143], v138
	ds_read_b128 v[144:147], v138 offset:16
	s_waitcnt vmcnt(30) lgkmcnt(1)
	v_mul_f64 v[178:179], v[142:143], v[136:137]
	v_mul_f64 v[136:137], v[140:141], v[136:137]
	s_waitcnt vmcnt(26) lgkmcnt(0)
	v_mul_f64 v[180:181], v[146:147], v[150:151]
	v_mul_f64 v[182:183], v[144:145], v[150:151]
	v_fma_f64 v[178:179], v[140:141], v[148:149], -v[178:179]
	v_fma_f64 v[136:137], v[142:143], v[148:149], v[136:137]
	ds_read_b128 v[140:143], v138 offset:32
	ds_read_b128 v[148:151], v138 offset:48
	s_waitcnt vmcnt(24)
	v_fma_f64 v[144:145], v[144:145], v[152:153], -v[180:181]
	v_fma_f64 v[146:147], v[146:147], v[152:153], v[182:183]
	s_waitcnt vmcnt(22) lgkmcnt(1)
	v_mul_f64 v[184:185], v[142:143], v[154:155]
	v_mul_f64 v[154:155], v[140:141], v[154:155]
	v_add_f64 v[1:2], v[1:2], v[178:179]
	v_add_f64 v[3:4], v[3:4], v[136:137]
	s_waitcnt vmcnt(18) lgkmcnt(0)
	v_mul_f64 v[136:137], v[150:151], v[158:159]
	v_mul_f64 v[152:153], v[148:149], v[158:159]
	v_fma_f64 v[158:159], v[140:141], v[156:157], -v[184:185]
	v_fma_f64 v[154:155], v[142:143], v[156:157], v[154:155]
	v_add_f64 v[144:145], v[1:2], v[144:145]
	v_add_f64 v[146:147], v[3:4], v[146:147]
	ds_read_b128 v[1:4], v138 offset:64
	ds_read_b128 v[140:143], v138 offset:80
	s_waitcnt vmcnt(16)
	v_fma_f64 v[136:137], v[148:149], v[160:161], -v[136:137]
	v_fma_f64 v[148:149], v[150:151], v[160:161], v[152:153]
	s_waitcnt vmcnt(12) lgkmcnt(1)
	v_mul_f64 v[156:157], v[3:4], v[162:163]
	v_mul_f64 v[162:163], v[1:2], v[162:163]
	v_add_f64 v[144:145], v[144:145], v[158:159]
	v_add_f64 v[146:147], v[146:147], v[154:155]
	s_waitcnt vmcnt(10) lgkmcnt(0)
	v_mul_f64 v[150:151], v[142:143], v[164:165]
	v_mul_f64 v[152:153], v[140:141], v[164:165]
	s_waitcnt vmcnt(8)
	v_fma_f64 v[154:155], v[1:2], v[168:169], -v[156:157]
	v_fma_f64 v[156:157], v[3:4], v[168:169], v[162:163]
	v_add_f64 v[136:137], v[144:145], v[136:137]
	v_add_f64 v[148:149], v[146:147], v[148:149]
	ds_read_b128 v[1:4], v138 offset:96
	ds_read_b128 v[144:147], v138 offset:112
	v_fma_f64 v[140:141], v[140:141], v[166:167], -v[150:151]
	v_fma_f64 v[142:143], v[142:143], v[166:167], v[152:153]
	s_waitcnt vmcnt(4) lgkmcnt(1)
	v_mul_f64 v[158:159], v[3:4], v[170:171]
	v_mul_f64 v[160:161], v[1:2], v[170:171]
	v_add_f64 v[136:137], v[136:137], v[154:155]
	v_add_f64 v[148:149], v[148:149], v[156:157]
	s_waitcnt vmcnt(2) lgkmcnt(0)
	v_mul_f64 v[150:151], v[146:147], v[172:173]
	v_mul_f64 v[152:153], v[144:145], v[172:173]
	s_waitcnt vmcnt(0)
	v_fma_f64 v[1:2], v[1:2], v[176:177], -v[158:159]
	v_fma_f64 v[3:4], v[3:4], v[176:177], v[160:161]
	v_add_f64 v[136:137], v[136:137], v[140:141]
	v_add_f64 v[140:141], v[148:149], v[142:143]
	v_fma_f64 v[142:143], v[144:145], v[174:175], -v[150:151]
	v_fma_f64 v[144:145], v[146:147], v[174:175], v[152:153]
	v_add_f64 v[1:2], v[136:137], v[1:2]
	v_add_f64 v[3:4], v[140:141], v[3:4]
	;; [unrolled: 1-line block ×4, first 2 shown]
	s_andn2_b32 exec_lo, exec_lo, s74
	s_cbranch_execnz .LBB63_207
; %bb.208:
	s_or_b32 exec_lo, exec_lo, s74
.LBB63_209:
	s_or_b32 exec_lo, exec_lo, s4
	v_and_b32_e32 v136, 7, v0
	s_mov_b32 s73, 0
	s_mov_b32 s4, exec_lo
	v_cmpx_ne_u32_e32 0, v136
	s_cbranch_execz .LBB63_213
; %bb.210:
	v_lshlrev_b32_e32 v137, 4, v135
	v_or_b32_e32 v135, 0x400, v137
	.p2align	6
.LBB63_211:                             ; =>This Inner Loop Header: Depth=1
	s_clause 0x3
	buffer_load_dword v144, v137, s[0:3], 0 offen offset:8
	buffer_load_dword v145, v137, s[0:3], 0 offen offset:12
	buffer_load_dword v146, v137, s[0:3], 0 offen
	buffer_load_dword v147, v137, s[0:3], 0 offen offset:4
	ds_read_b128 v[140:143], v135
	v_add_nc_u32_e32 v136, -1, v136
	v_add_nc_u32_e32 v135, 16, v135
	v_add_nc_u32_e32 v137, 16, v137
	v_cmp_eq_u32_e32 vcc_lo, 0, v136
	s_or_b32 s73, vcc_lo, s73
	s_waitcnt vmcnt(2) lgkmcnt(0)
	v_mul_f64 v[148:149], v[142:143], v[144:145]
	v_mul_f64 v[144:145], v[140:141], v[144:145]
	s_waitcnt vmcnt(0)
	v_fma_f64 v[140:141], v[140:141], v[146:147], -v[148:149]
	v_fma_f64 v[142:143], v[142:143], v[146:147], v[144:145]
	v_add_f64 v[1:2], v[1:2], v[140:141]
	v_add_f64 v[3:4], v[3:4], v[142:143]
	s_andn2_b32 exec_lo, exec_lo, s73
	s_cbranch_execnz .LBB63_211
; %bb.212:
	s_or_b32 exec_lo, exec_lo, s73
.LBB63_213:
	s_or_b32 exec_lo, exec_lo, s4
.LBB63_214:
	s_or_b32 exec_lo, exec_lo, s8
	v_mov_b32_e32 v135, 0
	ds_read_b128 v[135:138], v135 offset:752
	s_waitcnt lgkmcnt(0)
	v_mul_f64 v[140:141], v[3:4], v[137:138]
	v_mul_f64 v[137:138], v[1:2], v[137:138]
	v_fma_f64 v[1:2], v[1:2], v[135:136], -v[140:141]
	v_fma_f64 v[3:4], v[3:4], v[135:136], v[137:138]
	buffer_store_dword v2, off, s[0:3], 0 offset:756
	buffer_store_dword v1, off, s[0:3], 0 offset:752
	;; [unrolled: 1-line block ×4, first 2 shown]
.LBB63_215:
	s_or_b32 exec_lo, exec_lo, s6
	v_mov_b32_e32 v4, s26
	v_cmp_lt_u32_e64 s4, 46, v0
	s_clause 0x3
	buffer_load_dword v1, v4, s[0:3], 0 offen
	buffer_load_dword v2, v4, s[0:3], 0 offen offset:4
	buffer_load_dword v3, v4, s[0:3], 0 offen offset:8
	;; [unrolled: 1-line block ×3, first 2 shown]
	s_waitcnt vmcnt(0)
	ds_write_b128 v134, v[1:4]
	s_waitcnt lgkmcnt(0)
	s_waitcnt_vscnt null, 0x0
	s_barrier
	buffer_gl0_inv
	s_and_saveexec_b32 s6, s4
	s_cbranch_execz .LBB63_229
; %bb.216:
	ds_read_b128 v[1:4], v134
	s_andn2_b32 vcc_lo, exec_lo, s7
	s_cbranch_vccnz .LBB63_218
; %bb.217:
	s_clause 0x3
	buffer_load_dword v135, v133, s[0:3], 0 offen offset:8
	buffer_load_dword v136, v133, s[0:3], 0 offen offset:12
	buffer_load_dword v137, v133, s[0:3], 0 offen
	buffer_load_dword v138, v133, s[0:3], 0 offen offset:4
	s_waitcnt vmcnt(2) lgkmcnt(0)
	v_mul_f64 v[140:141], v[3:4], v[135:136]
	v_mul_f64 v[135:136], v[1:2], v[135:136]
	s_waitcnt vmcnt(0)
	v_fma_f64 v[1:2], v[1:2], v[137:138], -v[140:141]
	v_fma_f64 v[3:4], v[3:4], v[137:138], v[135:136]
.LBB63_218:
	s_and_saveexec_b32 s8, s5
	s_cbranch_execz .LBB63_228
; %bb.219:
	v_subrev_nc_u32_e32 v136, 48, v0
	v_mov_b32_e32 v137, 47
	v_subrev_nc_u32_e32 v135, 47, v0
	s_mov_b32 s5, exec_lo
	v_cmpx_lt_u32_e32 6, v136
	s_cbranch_execz .LBB63_223
; %bb.220:
	v_and_b32_e32 v136, -8, v135
	s_movk_i32 s74, 0x6f0
	s_mov_b32 s73, 0
	s_mov_b32 s75, s25
	;; [unrolled: 1-line block ×3, first 2 shown]
.LBB63_221:                             ; =>This Inner Loop Header: Depth=1
	v_mov_b32_e32 v140, s75
	v_mov_b32_e32 v186, s74
	s_add_i32 s77, s76, 8
	s_add_i32 s76, s76, 55
	v_cmp_eq_u32_e32 vcc_lo, s77, v136
	s_clause 0x1f
	buffer_load_dword v137, v140, s[0:3], 0 offen offset:8
	buffer_load_dword v138, v140, s[0:3], 0 offen offset:12
	buffer_load_dword v148, v140, s[0:3], 0 offen
	buffer_load_dword v149, v140, s[0:3], 0 offen offset:4
	buffer_load_dword v150, v140, s[0:3], 0 offen offset:24
	;; [unrolled: 1-line block ×29, first 2 shown]
	ds_read_b128 v[140:143], v186
	ds_read_b128 v[144:147], v186 offset:16
	s_addk_i32 s74, 0x80
	s_addk_i32 s75, 0x80
	s_or_b32 s73, vcc_lo, s73
	s_waitcnt vmcnt(30) lgkmcnt(1)
	v_mul_f64 v[178:179], v[142:143], v[137:138]
	v_mul_f64 v[137:138], v[140:141], v[137:138]
	s_waitcnt vmcnt(26) lgkmcnt(0)
	v_mul_f64 v[180:181], v[146:147], v[150:151]
	v_mul_f64 v[182:183], v[144:145], v[150:151]
	v_fma_f64 v[178:179], v[140:141], v[148:149], -v[178:179]
	v_fma_f64 v[137:138], v[142:143], v[148:149], v[137:138]
	ds_read_b128 v[140:143], v186 offset:32
	ds_read_b128 v[148:151], v186 offset:48
	s_waitcnt vmcnt(24)
	v_fma_f64 v[144:145], v[144:145], v[152:153], -v[180:181]
	v_fma_f64 v[146:147], v[146:147], v[152:153], v[182:183]
	s_waitcnt vmcnt(22) lgkmcnt(1)
	v_mul_f64 v[184:185], v[142:143], v[154:155]
	v_mul_f64 v[154:155], v[140:141], v[154:155]
	v_add_f64 v[1:2], v[1:2], v[178:179]
	v_add_f64 v[3:4], v[3:4], v[137:138]
	s_waitcnt vmcnt(18) lgkmcnt(0)
	v_mul_f64 v[137:138], v[150:151], v[158:159]
	v_mul_f64 v[152:153], v[148:149], v[158:159]
	v_fma_f64 v[158:159], v[140:141], v[156:157], -v[184:185]
	v_fma_f64 v[154:155], v[142:143], v[156:157], v[154:155]
	v_add_f64 v[144:145], v[1:2], v[144:145]
	v_add_f64 v[146:147], v[3:4], v[146:147]
	ds_read_b128 v[1:4], v186 offset:64
	ds_read_b128 v[140:143], v186 offset:80
	s_waitcnt vmcnt(16)
	v_fma_f64 v[137:138], v[148:149], v[160:161], -v[137:138]
	v_fma_f64 v[148:149], v[150:151], v[160:161], v[152:153]
	s_waitcnt vmcnt(12) lgkmcnt(1)
	v_mul_f64 v[156:157], v[3:4], v[162:163]
	v_mul_f64 v[162:163], v[1:2], v[162:163]
	v_add_f64 v[144:145], v[144:145], v[158:159]
	v_add_f64 v[146:147], v[146:147], v[154:155]
	s_waitcnt vmcnt(10) lgkmcnt(0)
	v_mul_f64 v[150:151], v[142:143], v[164:165]
	v_mul_f64 v[152:153], v[140:141], v[164:165]
	s_waitcnt vmcnt(8)
	v_fma_f64 v[154:155], v[1:2], v[168:169], -v[156:157]
	v_fma_f64 v[156:157], v[3:4], v[168:169], v[162:163]
	v_add_f64 v[137:138], v[144:145], v[137:138]
	v_add_f64 v[148:149], v[146:147], v[148:149]
	ds_read_b128 v[1:4], v186 offset:96
	ds_read_b128 v[144:147], v186 offset:112
	v_fma_f64 v[140:141], v[140:141], v[166:167], -v[150:151]
	v_fma_f64 v[142:143], v[142:143], v[166:167], v[152:153]
	s_waitcnt vmcnt(4) lgkmcnt(1)
	v_mul_f64 v[158:159], v[3:4], v[170:171]
	v_mul_f64 v[160:161], v[1:2], v[170:171]
	v_add_f64 v[137:138], v[137:138], v[154:155]
	v_add_f64 v[148:149], v[148:149], v[156:157]
	s_waitcnt vmcnt(2) lgkmcnt(0)
	v_mul_f64 v[150:151], v[146:147], v[172:173]
	v_mul_f64 v[152:153], v[144:145], v[172:173]
	s_waitcnt vmcnt(0)
	v_fma_f64 v[1:2], v[1:2], v[176:177], -v[158:159]
	v_fma_f64 v[3:4], v[3:4], v[176:177], v[160:161]
	v_add_f64 v[137:138], v[137:138], v[140:141]
	v_add_f64 v[140:141], v[148:149], v[142:143]
	v_fma_f64 v[142:143], v[144:145], v[174:175], -v[150:151]
	v_fma_f64 v[144:145], v[146:147], v[174:175], v[152:153]
	v_add_f64 v[1:2], v[137:138], v[1:2]
	v_add_f64 v[3:4], v[140:141], v[3:4]
	v_mov_b32_e32 v137, s76
	s_mov_b32 s76, s77
	v_add_f64 v[1:2], v[1:2], v[142:143]
	v_add_f64 v[3:4], v[3:4], v[144:145]
	s_andn2_b32 exec_lo, exec_lo, s73
	s_cbranch_execnz .LBB63_221
; %bb.222:
	s_or_b32 exec_lo, exec_lo, s73
.LBB63_223:
	s_or_b32 exec_lo, exec_lo, s5
	v_and_b32_e32 v135, 7, v135
	s_mov_b32 s73, 0
	s_mov_b32 s5, exec_lo
	v_cmpx_ne_u32_e32 0, v135
	s_cbranch_execz .LBB63_227
; %bb.224:
	v_lshlrev_b32_e32 v137, 4, v137
	v_add_nc_u32_e32 v136, 0x400, v137
	.p2align	6
.LBB63_225:                             ; =>This Inner Loop Header: Depth=1
	s_clause 0x3
	buffer_load_dword v144, v137, s[0:3], 0 offen offset:8
	buffer_load_dword v145, v137, s[0:3], 0 offen offset:12
	buffer_load_dword v146, v137, s[0:3], 0 offen
	buffer_load_dword v147, v137, s[0:3], 0 offen offset:4
	ds_read_b128 v[140:143], v136
	v_add_nc_u32_e32 v135, -1, v135
	v_add_nc_u32_e32 v136, 16, v136
	v_add_nc_u32_e32 v137, 16, v137
	v_cmp_eq_u32_e32 vcc_lo, 0, v135
	s_or_b32 s73, vcc_lo, s73
	s_waitcnt vmcnt(2) lgkmcnt(0)
	v_mul_f64 v[148:149], v[142:143], v[144:145]
	v_mul_f64 v[144:145], v[140:141], v[144:145]
	s_waitcnt vmcnt(0)
	v_fma_f64 v[140:141], v[140:141], v[146:147], -v[148:149]
	v_fma_f64 v[142:143], v[142:143], v[146:147], v[144:145]
	v_add_f64 v[1:2], v[1:2], v[140:141]
	v_add_f64 v[3:4], v[3:4], v[142:143]
	s_andn2_b32 exec_lo, exec_lo, s73
	s_cbranch_execnz .LBB63_225
; %bb.226:
	s_or_b32 exec_lo, exec_lo, s73
.LBB63_227:
	s_or_b32 exec_lo, exec_lo, s5
.LBB63_228:
	s_or_b32 exec_lo, exec_lo, s8
	v_mov_b32_e32 v135, 0
	ds_read_b128 v[135:138], v135 offset:736
	s_waitcnt lgkmcnt(0)
	v_mul_f64 v[140:141], v[3:4], v[137:138]
	v_mul_f64 v[137:138], v[1:2], v[137:138]
	v_fma_f64 v[1:2], v[1:2], v[135:136], -v[140:141]
	v_fma_f64 v[3:4], v[3:4], v[135:136], v[137:138]
	buffer_store_dword v2, off, s[0:3], 0 offset:740
	buffer_store_dword v1, off, s[0:3], 0 offset:736
	;; [unrolled: 1-line block ×4, first 2 shown]
.LBB63_229:
	s_or_b32 exec_lo, exec_lo, s6
	v_mov_b32_e32 v4, s27
	v_cmp_lt_u32_e64 s5, 45, v0
	s_clause 0x3
	buffer_load_dword v1, v4, s[0:3], 0 offen
	buffer_load_dword v2, v4, s[0:3], 0 offen offset:4
	buffer_load_dword v3, v4, s[0:3], 0 offen offset:8
	;; [unrolled: 1-line block ×3, first 2 shown]
	s_waitcnt vmcnt(0)
	ds_write_b128 v134, v[1:4]
	s_waitcnt lgkmcnt(0)
	s_waitcnt_vscnt null, 0x0
	s_barrier
	buffer_gl0_inv
	s_and_saveexec_b32 s6, s5
	s_cbranch_execz .LBB63_243
; %bb.230:
	ds_read_b128 v[1:4], v134
	s_andn2_b32 vcc_lo, exec_lo, s7
	s_cbranch_vccnz .LBB63_232
; %bb.231:
	s_clause 0x3
	buffer_load_dword v135, v133, s[0:3], 0 offen offset:8
	buffer_load_dword v136, v133, s[0:3], 0 offen offset:12
	buffer_load_dword v137, v133, s[0:3], 0 offen
	buffer_load_dword v138, v133, s[0:3], 0 offen offset:4
	s_waitcnt vmcnt(2) lgkmcnt(0)
	v_mul_f64 v[140:141], v[3:4], v[135:136]
	v_mul_f64 v[135:136], v[1:2], v[135:136]
	s_waitcnt vmcnt(0)
	v_fma_f64 v[1:2], v[1:2], v[137:138], -v[140:141]
	v_fma_f64 v[3:4], v[3:4], v[137:138], v[135:136]
.LBB63_232:
	s_and_saveexec_b32 s8, s4
	s_cbranch_execz .LBB63_242
; %bb.233:
	v_subrev_nc_u32_e32 v136, 47, v0
	v_mov_b32_e32 v137, 46
	v_subrev_nc_u32_e32 v135, 46, v0
	s_mov_b32 s4, exec_lo
	v_cmpx_lt_u32_e32 6, v136
	s_cbranch_execz .LBB63_237
; %bb.234:
	v_and_b32_e32 v136, -8, v135
	s_movk_i32 s74, 0x6e0
	s_mov_b32 s73, 0
	s_mov_b32 s75, s26
	;; [unrolled: 1-line block ×3, first 2 shown]
.LBB63_235:                             ; =>This Inner Loop Header: Depth=1
	v_mov_b32_e32 v140, s75
	v_mov_b32_e32 v186, s74
	s_add_i32 s77, s76, 8
	s_add_i32 s76, s76, 54
	v_cmp_eq_u32_e32 vcc_lo, s77, v136
	s_clause 0x1f
	buffer_load_dword v137, v140, s[0:3], 0 offen offset:8
	buffer_load_dword v138, v140, s[0:3], 0 offen offset:12
	buffer_load_dword v148, v140, s[0:3], 0 offen
	buffer_load_dword v149, v140, s[0:3], 0 offen offset:4
	buffer_load_dword v150, v140, s[0:3], 0 offen offset:24
	;; [unrolled: 1-line block ×29, first 2 shown]
	ds_read_b128 v[140:143], v186
	ds_read_b128 v[144:147], v186 offset:16
	s_addk_i32 s74, 0x80
	s_addk_i32 s75, 0x80
	s_or_b32 s73, vcc_lo, s73
	s_waitcnt vmcnt(30) lgkmcnt(1)
	v_mul_f64 v[178:179], v[142:143], v[137:138]
	v_mul_f64 v[137:138], v[140:141], v[137:138]
	s_waitcnt vmcnt(26) lgkmcnt(0)
	v_mul_f64 v[180:181], v[146:147], v[150:151]
	v_mul_f64 v[182:183], v[144:145], v[150:151]
	v_fma_f64 v[178:179], v[140:141], v[148:149], -v[178:179]
	v_fma_f64 v[137:138], v[142:143], v[148:149], v[137:138]
	ds_read_b128 v[140:143], v186 offset:32
	ds_read_b128 v[148:151], v186 offset:48
	s_waitcnt vmcnt(24)
	v_fma_f64 v[144:145], v[144:145], v[152:153], -v[180:181]
	v_fma_f64 v[146:147], v[146:147], v[152:153], v[182:183]
	s_waitcnt vmcnt(22) lgkmcnt(1)
	v_mul_f64 v[184:185], v[142:143], v[154:155]
	v_mul_f64 v[154:155], v[140:141], v[154:155]
	v_add_f64 v[1:2], v[1:2], v[178:179]
	v_add_f64 v[3:4], v[3:4], v[137:138]
	s_waitcnt vmcnt(18) lgkmcnt(0)
	v_mul_f64 v[137:138], v[150:151], v[158:159]
	v_mul_f64 v[152:153], v[148:149], v[158:159]
	v_fma_f64 v[158:159], v[140:141], v[156:157], -v[184:185]
	v_fma_f64 v[154:155], v[142:143], v[156:157], v[154:155]
	v_add_f64 v[144:145], v[1:2], v[144:145]
	v_add_f64 v[146:147], v[3:4], v[146:147]
	ds_read_b128 v[1:4], v186 offset:64
	ds_read_b128 v[140:143], v186 offset:80
	s_waitcnt vmcnt(16)
	v_fma_f64 v[137:138], v[148:149], v[160:161], -v[137:138]
	v_fma_f64 v[148:149], v[150:151], v[160:161], v[152:153]
	s_waitcnt vmcnt(12) lgkmcnt(1)
	v_mul_f64 v[156:157], v[3:4], v[162:163]
	v_mul_f64 v[162:163], v[1:2], v[162:163]
	v_add_f64 v[144:145], v[144:145], v[158:159]
	v_add_f64 v[146:147], v[146:147], v[154:155]
	s_waitcnt vmcnt(10) lgkmcnt(0)
	v_mul_f64 v[150:151], v[142:143], v[164:165]
	v_mul_f64 v[152:153], v[140:141], v[164:165]
	s_waitcnt vmcnt(8)
	v_fma_f64 v[154:155], v[1:2], v[168:169], -v[156:157]
	v_fma_f64 v[156:157], v[3:4], v[168:169], v[162:163]
	v_add_f64 v[137:138], v[144:145], v[137:138]
	v_add_f64 v[148:149], v[146:147], v[148:149]
	ds_read_b128 v[1:4], v186 offset:96
	ds_read_b128 v[144:147], v186 offset:112
	v_fma_f64 v[140:141], v[140:141], v[166:167], -v[150:151]
	v_fma_f64 v[142:143], v[142:143], v[166:167], v[152:153]
	s_waitcnt vmcnt(4) lgkmcnt(1)
	v_mul_f64 v[158:159], v[3:4], v[170:171]
	v_mul_f64 v[160:161], v[1:2], v[170:171]
	v_add_f64 v[137:138], v[137:138], v[154:155]
	v_add_f64 v[148:149], v[148:149], v[156:157]
	s_waitcnt vmcnt(2) lgkmcnt(0)
	v_mul_f64 v[150:151], v[146:147], v[172:173]
	v_mul_f64 v[152:153], v[144:145], v[172:173]
	s_waitcnt vmcnt(0)
	v_fma_f64 v[1:2], v[1:2], v[176:177], -v[158:159]
	v_fma_f64 v[3:4], v[3:4], v[176:177], v[160:161]
	v_add_f64 v[137:138], v[137:138], v[140:141]
	v_add_f64 v[140:141], v[148:149], v[142:143]
	v_fma_f64 v[142:143], v[144:145], v[174:175], -v[150:151]
	v_fma_f64 v[144:145], v[146:147], v[174:175], v[152:153]
	v_add_f64 v[1:2], v[137:138], v[1:2]
	v_add_f64 v[3:4], v[140:141], v[3:4]
	v_mov_b32_e32 v137, s76
	s_mov_b32 s76, s77
	v_add_f64 v[1:2], v[1:2], v[142:143]
	v_add_f64 v[3:4], v[3:4], v[144:145]
	s_andn2_b32 exec_lo, exec_lo, s73
	s_cbranch_execnz .LBB63_235
; %bb.236:
	s_or_b32 exec_lo, exec_lo, s73
.LBB63_237:
	s_or_b32 exec_lo, exec_lo, s4
	v_and_b32_e32 v135, 7, v135
	s_mov_b32 s73, 0
	s_mov_b32 s4, exec_lo
	v_cmpx_ne_u32_e32 0, v135
	s_cbranch_execz .LBB63_241
; %bb.238:
	v_lshlrev_b32_e32 v137, 4, v137
	v_add_nc_u32_e32 v136, 0x400, v137
	.p2align	6
.LBB63_239:                             ; =>This Inner Loop Header: Depth=1
	s_clause 0x3
	buffer_load_dword v144, v137, s[0:3], 0 offen offset:8
	buffer_load_dword v145, v137, s[0:3], 0 offen offset:12
	buffer_load_dword v146, v137, s[0:3], 0 offen
	buffer_load_dword v147, v137, s[0:3], 0 offen offset:4
	ds_read_b128 v[140:143], v136
	v_add_nc_u32_e32 v135, -1, v135
	v_add_nc_u32_e32 v136, 16, v136
	v_add_nc_u32_e32 v137, 16, v137
	v_cmp_eq_u32_e32 vcc_lo, 0, v135
	s_or_b32 s73, vcc_lo, s73
	s_waitcnt vmcnt(2) lgkmcnt(0)
	v_mul_f64 v[148:149], v[142:143], v[144:145]
	v_mul_f64 v[144:145], v[140:141], v[144:145]
	s_waitcnt vmcnt(0)
	v_fma_f64 v[140:141], v[140:141], v[146:147], -v[148:149]
	v_fma_f64 v[142:143], v[142:143], v[146:147], v[144:145]
	v_add_f64 v[1:2], v[1:2], v[140:141]
	v_add_f64 v[3:4], v[3:4], v[142:143]
	s_andn2_b32 exec_lo, exec_lo, s73
	s_cbranch_execnz .LBB63_239
; %bb.240:
	s_or_b32 exec_lo, exec_lo, s73
.LBB63_241:
	s_or_b32 exec_lo, exec_lo, s4
.LBB63_242:
	s_or_b32 exec_lo, exec_lo, s8
	v_mov_b32_e32 v135, 0
	ds_read_b128 v[135:138], v135 offset:720
	s_waitcnt lgkmcnt(0)
	v_mul_f64 v[140:141], v[3:4], v[137:138]
	v_mul_f64 v[137:138], v[1:2], v[137:138]
	v_fma_f64 v[1:2], v[1:2], v[135:136], -v[140:141]
	v_fma_f64 v[3:4], v[3:4], v[135:136], v[137:138]
	buffer_store_dword v2, off, s[0:3], 0 offset:724
	buffer_store_dword v1, off, s[0:3], 0 offset:720
	;; [unrolled: 1-line block ×4, first 2 shown]
.LBB63_243:
	s_or_b32 exec_lo, exec_lo, s6
	v_mov_b32_e32 v4, s28
	v_cmp_lt_u32_e64 s4, 44, v0
	s_clause 0x3
	buffer_load_dword v1, v4, s[0:3], 0 offen
	buffer_load_dword v2, v4, s[0:3], 0 offen offset:4
	buffer_load_dword v3, v4, s[0:3], 0 offen offset:8
	;; [unrolled: 1-line block ×3, first 2 shown]
	s_waitcnt vmcnt(0)
	ds_write_b128 v134, v[1:4]
	s_waitcnt lgkmcnt(0)
	s_waitcnt_vscnt null, 0x0
	s_barrier
	buffer_gl0_inv
	s_and_saveexec_b32 s6, s4
	s_cbranch_execz .LBB63_257
; %bb.244:
	ds_read_b128 v[1:4], v134
	s_andn2_b32 vcc_lo, exec_lo, s7
	s_cbranch_vccnz .LBB63_246
; %bb.245:
	s_clause 0x3
	buffer_load_dword v135, v133, s[0:3], 0 offen offset:8
	buffer_load_dword v136, v133, s[0:3], 0 offen offset:12
	buffer_load_dword v137, v133, s[0:3], 0 offen
	buffer_load_dword v138, v133, s[0:3], 0 offen offset:4
	s_waitcnt vmcnt(2) lgkmcnt(0)
	v_mul_f64 v[140:141], v[3:4], v[135:136]
	v_mul_f64 v[135:136], v[1:2], v[135:136]
	s_waitcnt vmcnt(0)
	v_fma_f64 v[1:2], v[1:2], v[137:138], -v[140:141]
	v_fma_f64 v[3:4], v[3:4], v[137:138], v[135:136]
.LBB63_246:
	s_and_saveexec_b32 s8, s5
	s_cbranch_execz .LBB63_256
; %bb.247:
	v_subrev_nc_u32_e32 v136, 46, v0
	v_mov_b32_e32 v137, 45
	v_subrev_nc_u32_e32 v135, 45, v0
	s_mov_b32 s5, exec_lo
	v_cmpx_lt_u32_e32 6, v136
	s_cbranch_execz .LBB63_251
; %bb.248:
	v_and_b32_e32 v136, -8, v135
	s_movk_i32 s74, 0x6d0
	s_mov_b32 s73, 0
	s_mov_b32 s75, s27
	;; [unrolled: 1-line block ×3, first 2 shown]
.LBB63_249:                             ; =>This Inner Loop Header: Depth=1
	v_mov_b32_e32 v140, s75
	v_mov_b32_e32 v186, s74
	s_add_i32 s77, s76, 8
	s_add_i32 s76, s76, 53
	v_cmp_eq_u32_e32 vcc_lo, s77, v136
	s_clause 0x1f
	buffer_load_dword v137, v140, s[0:3], 0 offen offset:8
	buffer_load_dword v138, v140, s[0:3], 0 offen offset:12
	buffer_load_dword v148, v140, s[0:3], 0 offen
	buffer_load_dword v149, v140, s[0:3], 0 offen offset:4
	buffer_load_dword v150, v140, s[0:3], 0 offen offset:24
	buffer_load_dword v151, v140, s[0:3], 0 offen offset:28
	buffer_load_dword v152, v140, s[0:3], 0 offen offset:16
	buffer_load_dword v153, v140, s[0:3], 0 offen offset:20
	buffer_load_dword v154, v140, s[0:3], 0 offen offset:40
	buffer_load_dword v155, v140, s[0:3], 0 offen offset:44
	buffer_load_dword v156, v140, s[0:3], 0 offen offset:32
	buffer_load_dword v157, v140, s[0:3], 0 offen offset:36
	buffer_load_dword v158, v140, s[0:3], 0 offen offset:56
	buffer_load_dword v159, v140, s[0:3], 0 offen offset:60
	buffer_load_dword v160, v140, s[0:3], 0 offen offset:48
	buffer_load_dword v161, v140, s[0:3], 0 offen offset:52
	buffer_load_dword v163, v140, s[0:3], 0 offen offset:76
	buffer_load_dword v164, v140, s[0:3], 0 offen offset:88
	buffer_load_dword v166, v140, s[0:3], 0 offen offset:80
	buffer_load_dword v162, v140, s[0:3], 0 offen offset:72
	buffer_load_dword v167, v140, s[0:3], 0 offen offset:84
	buffer_load_dword v165, v140, s[0:3], 0 offen offset:92
	buffer_load_dword v169, v140, s[0:3], 0 offen offset:68
	buffer_load_dword v168, v140, s[0:3], 0 offen offset:64
	buffer_load_dword v171, v140, s[0:3], 0 offen offset:108
	buffer_load_dword v172, v140, s[0:3], 0 offen offset:120
	buffer_load_dword v174, v140, s[0:3], 0 offen offset:112
	buffer_load_dword v170, v140, s[0:3], 0 offen offset:104
	buffer_load_dword v175, v140, s[0:3], 0 offen offset:116
	buffer_load_dword v173, v140, s[0:3], 0 offen offset:124
	buffer_load_dword v177, v140, s[0:3], 0 offen offset:100
	buffer_load_dword v176, v140, s[0:3], 0 offen offset:96
	ds_read_b128 v[140:143], v186
	ds_read_b128 v[144:147], v186 offset:16
	s_addk_i32 s74, 0x80
	s_addk_i32 s75, 0x80
	s_or_b32 s73, vcc_lo, s73
	s_waitcnt vmcnt(30) lgkmcnt(1)
	v_mul_f64 v[178:179], v[142:143], v[137:138]
	v_mul_f64 v[137:138], v[140:141], v[137:138]
	s_waitcnt vmcnt(26) lgkmcnt(0)
	v_mul_f64 v[180:181], v[146:147], v[150:151]
	v_mul_f64 v[182:183], v[144:145], v[150:151]
	v_fma_f64 v[178:179], v[140:141], v[148:149], -v[178:179]
	v_fma_f64 v[137:138], v[142:143], v[148:149], v[137:138]
	ds_read_b128 v[140:143], v186 offset:32
	ds_read_b128 v[148:151], v186 offset:48
	s_waitcnt vmcnt(24)
	v_fma_f64 v[144:145], v[144:145], v[152:153], -v[180:181]
	v_fma_f64 v[146:147], v[146:147], v[152:153], v[182:183]
	s_waitcnt vmcnt(22) lgkmcnt(1)
	v_mul_f64 v[184:185], v[142:143], v[154:155]
	v_mul_f64 v[154:155], v[140:141], v[154:155]
	v_add_f64 v[1:2], v[1:2], v[178:179]
	v_add_f64 v[3:4], v[3:4], v[137:138]
	s_waitcnt vmcnt(18) lgkmcnt(0)
	v_mul_f64 v[137:138], v[150:151], v[158:159]
	v_mul_f64 v[152:153], v[148:149], v[158:159]
	v_fma_f64 v[158:159], v[140:141], v[156:157], -v[184:185]
	v_fma_f64 v[154:155], v[142:143], v[156:157], v[154:155]
	v_add_f64 v[144:145], v[1:2], v[144:145]
	v_add_f64 v[146:147], v[3:4], v[146:147]
	ds_read_b128 v[1:4], v186 offset:64
	ds_read_b128 v[140:143], v186 offset:80
	s_waitcnt vmcnt(16)
	v_fma_f64 v[137:138], v[148:149], v[160:161], -v[137:138]
	v_fma_f64 v[148:149], v[150:151], v[160:161], v[152:153]
	s_waitcnt vmcnt(12) lgkmcnt(1)
	v_mul_f64 v[156:157], v[3:4], v[162:163]
	v_mul_f64 v[162:163], v[1:2], v[162:163]
	v_add_f64 v[144:145], v[144:145], v[158:159]
	v_add_f64 v[146:147], v[146:147], v[154:155]
	s_waitcnt vmcnt(10) lgkmcnt(0)
	v_mul_f64 v[150:151], v[142:143], v[164:165]
	v_mul_f64 v[152:153], v[140:141], v[164:165]
	s_waitcnt vmcnt(8)
	v_fma_f64 v[154:155], v[1:2], v[168:169], -v[156:157]
	v_fma_f64 v[156:157], v[3:4], v[168:169], v[162:163]
	v_add_f64 v[137:138], v[144:145], v[137:138]
	v_add_f64 v[148:149], v[146:147], v[148:149]
	ds_read_b128 v[1:4], v186 offset:96
	ds_read_b128 v[144:147], v186 offset:112
	v_fma_f64 v[140:141], v[140:141], v[166:167], -v[150:151]
	v_fma_f64 v[142:143], v[142:143], v[166:167], v[152:153]
	s_waitcnt vmcnt(4) lgkmcnt(1)
	v_mul_f64 v[158:159], v[3:4], v[170:171]
	v_mul_f64 v[160:161], v[1:2], v[170:171]
	v_add_f64 v[137:138], v[137:138], v[154:155]
	v_add_f64 v[148:149], v[148:149], v[156:157]
	s_waitcnt vmcnt(2) lgkmcnt(0)
	v_mul_f64 v[150:151], v[146:147], v[172:173]
	v_mul_f64 v[152:153], v[144:145], v[172:173]
	s_waitcnt vmcnt(0)
	v_fma_f64 v[1:2], v[1:2], v[176:177], -v[158:159]
	v_fma_f64 v[3:4], v[3:4], v[176:177], v[160:161]
	v_add_f64 v[137:138], v[137:138], v[140:141]
	v_add_f64 v[140:141], v[148:149], v[142:143]
	v_fma_f64 v[142:143], v[144:145], v[174:175], -v[150:151]
	v_fma_f64 v[144:145], v[146:147], v[174:175], v[152:153]
	v_add_f64 v[1:2], v[137:138], v[1:2]
	v_add_f64 v[3:4], v[140:141], v[3:4]
	v_mov_b32_e32 v137, s76
	s_mov_b32 s76, s77
	v_add_f64 v[1:2], v[1:2], v[142:143]
	v_add_f64 v[3:4], v[3:4], v[144:145]
	s_andn2_b32 exec_lo, exec_lo, s73
	s_cbranch_execnz .LBB63_249
; %bb.250:
	s_or_b32 exec_lo, exec_lo, s73
.LBB63_251:
	s_or_b32 exec_lo, exec_lo, s5
	v_and_b32_e32 v135, 7, v135
	s_mov_b32 s73, 0
	s_mov_b32 s5, exec_lo
	v_cmpx_ne_u32_e32 0, v135
	s_cbranch_execz .LBB63_255
; %bb.252:
	v_lshlrev_b32_e32 v137, 4, v137
	v_add_nc_u32_e32 v136, 0x400, v137
	.p2align	6
.LBB63_253:                             ; =>This Inner Loop Header: Depth=1
	s_clause 0x3
	buffer_load_dword v144, v137, s[0:3], 0 offen offset:8
	buffer_load_dword v145, v137, s[0:3], 0 offen offset:12
	buffer_load_dword v146, v137, s[0:3], 0 offen
	buffer_load_dword v147, v137, s[0:3], 0 offen offset:4
	ds_read_b128 v[140:143], v136
	v_add_nc_u32_e32 v135, -1, v135
	v_add_nc_u32_e32 v136, 16, v136
	v_add_nc_u32_e32 v137, 16, v137
	v_cmp_eq_u32_e32 vcc_lo, 0, v135
	s_or_b32 s73, vcc_lo, s73
	s_waitcnt vmcnt(2) lgkmcnt(0)
	v_mul_f64 v[148:149], v[142:143], v[144:145]
	v_mul_f64 v[144:145], v[140:141], v[144:145]
	s_waitcnt vmcnt(0)
	v_fma_f64 v[140:141], v[140:141], v[146:147], -v[148:149]
	v_fma_f64 v[142:143], v[142:143], v[146:147], v[144:145]
	v_add_f64 v[1:2], v[1:2], v[140:141]
	v_add_f64 v[3:4], v[3:4], v[142:143]
	s_andn2_b32 exec_lo, exec_lo, s73
	s_cbranch_execnz .LBB63_253
; %bb.254:
	s_or_b32 exec_lo, exec_lo, s73
.LBB63_255:
	s_or_b32 exec_lo, exec_lo, s5
.LBB63_256:
	s_or_b32 exec_lo, exec_lo, s8
	v_mov_b32_e32 v135, 0
	ds_read_b128 v[135:138], v135 offset:704
	s_waitcnt lgkmcnt(0)
	v_mul_f64 v[140:141], v[3:4], v[137:138]
	v_mul_f64 v[137:138], v[1:2], v[137:138]
	v_fma_f64 v[1:2], v[1:2], v[135:136], -v[140:141]
	v_fma_f64 v[3:4], v[3:4], v[135:136], v[137:138]
	buffer_store_dword v2, off, s[0:3], 0 offset:708
	buffer_store_dword v1, off, s[0:3], 0 offset:704
	;; [unrolled: 1-line block ×4, first 2 shown]
.LBB63_257:
	s_or_b32 exec_lo, exec_lo, s6
	v_mov_b32_e32 v4, s29
	v_cmp_lt_u32_e64 s5, 43, v0
	s_clause 0x3
	buffer_load_dword v1, v4, s[0:3], 0 offen
	buffer_load_dword v2, v4, s[0:3], 0 offen offset:4
	buffer_load_dword v3, v4, s[0:3], 0 offen offset:8
	;; [unrolled: 1-line block ×3, first 2 shown]
	s_waitcnt vmcnt(0)
	ds_write_b128 v134, v[1:4]
	s_waitcnt lgkmcnt(0)
	s_waitcnt_vscnt null, 0x0
	s_barrier
	buffer_gl0_inv
	s_and_saveexec_b32 s6, s5
	s_cbranch_execz .LBB63_271
; %bb.258:
	ds_read_b128 v[1:4], v134
	s_andn2_b32 vcc_lo, exec_lo, s7
	s_cbranch_vccnz .LBB63_260
; %bb.259:
	s_clause 0x3
	buffer_load_dword v135, v133, s[0:3], 0 offen offset:8
	buffer_load_dword v136, v133, s[0:3], 0 offen offset:12
	buffer_load_dword v137, v133, s[0:3], 0 offen
	buffer_load_dword v138, v133, s[0:3], 0 offen offset:4
	s_waitcnt vmcnt(2) lgkmcnt(0)
	v_mul_f64 v[140:141], v[3:4], v[135:136]
	v_mul_f64 v[135:136], v[1:2], v[135:136]
	s_waitcnt vmcnt(0)
	v_fma_f64 v[1:2], v[1:2], v[137:138], -v[140:141]
	v_fma_f64 v[3:4], v[3:4], v[137:138], v[135:136]
.LBB63_260:
	s_and_saveexec_b32 s8, s4
	s_cbranch_execz .LBB63_270
; %bb.261:
	v_subrev_nc_u32_e32 v136, 45, v0
	v_mov_b32_e32 v137, 44
	v_subrev_nc_u32_e32 v135, 44, v0
	s_mov_b32 s4, exec_lo
	v_cmpx_lt_u32_e32 6, v136
	s_cbranch_execz .LBB63_265
; %bb.262:
	v_and_b32_e32 v136, -8, v135
	s_movk_i32 s74, 0x6c0
	s_mov_b32 s73, 0
	s_mov_b32 s75, s28
	;; [unrolled: 1-line block ×3, first 2 shown]
.LBB63_263:                             ; =>This Inner Loop Header: Depth=1
	v_mov_b32_e32 v140, s75
	v_mov_b32_e32 v186, s74
	s_add_i32 s77, s76, 8
	s_add_i32 s76, s76, 52
	v_cmp_eq_u32_e32 vcc_lo, s77, v136
	s_clause 0x1f
	buffer_load_dword v137, v140, s[0:3], 0 offen offset:8
	buffer_load_dword v138, v140, s[0:3], 0 offen offset:12
	buffer_load_dword v148, v140, s[0:3], 0 offen
	buffer_load_dword v149, v140, s[0:3], 0 offen offset:4
	buffer_load_dword v150, v140, s[0:3], 0 offen offset:24
	;; [unrolled: 1-line block ×29, first 2 shown]
	ds_read_b128 v[140:143], v186
	ds_read_b128 v[144:147], v186 offset:16
	s_addk_i32 s74, 0x80
	s_addk_i32 s75, 0x80
	s_or_b32 s73, vcc_lo, s73
	s_waitcnt vmcnt(30) lgkmcnt(1)
	v_mul_f64 v[178:179], v[142:143], v[137:138]
	v_mul_f64 v[137:138], v[140:141], v[137:138]
	s_waitcnt vmcnt(26) lgkmcnt(0)
	v_mul_f64 v[180:181], v[146:147], v[150:151]
	v_mul_f64 v[182:183], v[144:145], v[150:151]
	v_fma_f64 v[178:179], v[140:141], v[148:149], -v[178:179]
	v_fma_f64 v[137:138], v[142:143], v[148:149], v[137:138]
	ds_read_b128 v[140:143], v186 offset:32
	ds_read_b128 v[148:151], v186 offset:48
	s_waitcnt vmcnt(24)
	v_fma_f64 v[144:145], v[144:145], v[152:153], -v[180:181]
	v_fma_f64 v[146:147], v[146:147], v[152:153], v[182:183]
	s_waitcnt vmcnt(22) lgkmcnt(1)
	v_mul_f64 v[184:185], v[142:143], v[154:155]
	v_mul_f64 v[154:155], v[140:141], v[154:155]
	v_add_f64 v[1:2], v[1:2], v[178:179]
	v_add_f64 v[3:4], v[3:4], v[137:138]
	s_waitcnt vmcnt(18) lgkmcnt(0)
	v_mul_f64 v[137:138], v[150:151], v[158:159]
	v_mul_f64 v[152:153], v[148:149], v[158:159]
	v_fma_f64 v[158:159], v[140:141], v[156:157], -v[184:185]
	v_fma_f64 v[154:155], v[142:143], v[156:157], v[154:155]
	v_add_f64 v[144:145], v[1:2], v[144:145]
	v_add_f64 v[146:147], v[3:4], v[146:147]
	ds_read_b128 v[1:4], v186 offset:64
	ds_read_b128 v[140:143], v186 offset:80
	s_waitcnt vmcnt(16)
	v_fma_f64 v[137:138], v[148:149], v[160:161], -v[137:138]
	v_fma_f64 v[148:149], v[150:151], v[160:161], v[152:153]
	s_waitcnt vmcnt(12) lgkmcnt(1)
	v_mul_f64 v[156:157], v[3:4], v[162:163]
	v_mul_f64 v[162:163], v[1:2], v[162:163]
	v_add_f64 v[144:145], v[144:145], v[158:159]
	v_add_f64 v[146:147], v[146:147], v[154:155]
	s_waitcnt vmcnt(10) lgkmcnt(0)
	v_mul_f64 v[150:151], v[142:143], v[164:165]
	v_mul_f64 v[152:153], v[140:141], v[164:165]
	s_waitcnt vmcnt(8)
	v_fma_f64 v[154:155], v[1:2], v[168:169], -v[156:157]
	v_fma_f64 v[156:157], v[3:4], v[168:169], v[162:163]
	v_add_f64 v[137:138], v[144:145], v[137:138]
	v_add_f64 v[148:149], v[146:147], v[148:149]
	ds_read_b128 v[1:4], v186 offset:96
	ds_read_b128 v[144:147], v186 offset:112
	v_fma_f64 v[140:141], v[140:141], v[166:167], -v[150:151]
	v_fma_f64 v[142:143], v[142:143], v[166:167], v[152:153]
	s_waitcnt vmcnt(4) lgkmcnt(1)
	v_mul_f64 v[158:159], v[3:4], v[170:171]
	v_mul_f64 v[160:161], v[1:2], v[170:171]
	v_add_f64 v[137:138], v[137:138], v[154:155]
	v_add_f64 v[148:149], v[148:149], v[156:157]
	s_waitcnt vmcnt(2) lgkmcnt(0)
	v_mul_f64 v[150:151], v[146:147], v[172:173]
	v_mul_f64 v[152:153], v[144:145], v[172:173]
	s_waitcnt vmcnt(0)
	v_fma_f64 v[1:2], v[1:2], v[176:177], -v[158:159]
	v_fma_f64 v[3:4], v[3:4], v[176:177], v[160:161]
	v_add_f64 v[137:138], v[137:138], v[140:141]
	v_add_f64 v[140:141], v[148:149], v[142:143]
	v_fma_f64 v[142:143], v[144:145], v[174:175], -v[150:151]
	v_fma_f64 v[144:145], v[146:147], v[174:175], v[152:153]
	v_add_f64 v[1:2], v[137:138], v[1:2]
	v_add_f64 v[3:4], v[140:141], v[3:4]
	v_mov_b32_e32 v137, s76
	s_mov_b32 s76, s77
	v_add_f64 v[1:2], v[1:2], v[142:143]
	v_add_f64 v[3:4], v[3:4], v[144:145]
	s_andn2_b32 exec_lo, exec_lo, s73
	s_cbranch_execnz .LBB63_263
; %bb.264:
	s_or_b32 exec_lo, exec_lo, s73
.LBB63_265:
	s_or_b32 exec_lo, exec_lo, s4
	v_and_b32_e32 v135, 7, v135
	s_mov_b32 s73, 0
	s_mov_b32 s4, exec_lo
	v_cmpx_ne_u32_e32 0, v135
	s_cbranch_execz .LBB63_269
; %bb.266:
	v_lshlrev_b32_e32 v137, 4, v137
	v_add_nc_u32_e32 v136, 0x400, v137
	.p2align	6
.LBB63_267:                             ; =>This Inner Loop Header: Depth=1
	s_clause 0x3
	buffer_load_dword v144, v137, s[0:3], 0 offen offset:8
	buffer_load_dword v145, v137, s[0:3], 0 offen offset:12
	buffer_load_dword v146, v137, s[0:3], 0 offen
	buffer_load_dword v147, v137, s[0:3], 0 offen offset:4
	ds_read_b128 v[140:143], v136
	v_add_nc_u32_e32 v135, -1, v135
	v_add_nc_u32_e32 v136, 16, v136
	v_add_nc_u32_e32 v137, 16, v137
	v_cmp_eq_u32_e32 vcc_lo, 0, v135
	s_or_b32 s73, vcc_lo, s73
	s_waitcnt vmcnt(2) lgkmcnt(0)
	v_mul_f64 v[148:149], v[142:143], v[144:145]
	v_mul_f64 v[144:145], v[140:141], v[144:145]
	s_waitcnt vmcnt(0)
	v_fma_f64 v[140:141], v[140:141], v[146:147], -v[148:149]
	v_fma_f64 v[142:143], v[142:143], v[146:147], v[144:145]
	v_add_f64 v[1:2], v[1:2], v[140:141]
	v_add_f64 v[3:4], v[3:4], v[142:143]
	s_andn2_b32 exec_lo, exec_lo, s73
	s_cbranch_execnz .LBB63_267
; %bb.268:
	s_or_b32 exec_lo, exec_lo, s73
.LBB63_269:
	s_or_b32 exec_lo, exec_lo, s4
.LBB63_270:
	s_or_b32 exec_lo, exec_lo, s8
	v_mov_b32_e32 v135, 0
	ds_read_b128 v[135:138], v135 offset:688
	s_waitcnt lgkmcnt(0)
	v_mul_f64 v[140:141], v[3:4], v[137:138]
	v_mul_f64 v[137:138], v[1:2], v[137:138]
	v_fma_f64 v[1:2], v[1:2], v[135:136], -v[140:141]
	v_fma_f64 v[3:4], v[3:4], v[135:136], v[137:138]
	buffer_store_dword v2, off, s[0:3], 0 offset:692
	buffer_store_dword v1, off, s[0:3], 0 offset:688
	;; [unrolled: 1-line block ×4, first 2 shown]
.LBB63_271:
	s_or_b32 exec_lo, exec_lo, s6
	v_mov_b32_e32 v4, s30
	v_cmp_lt_u32_e64 s4, 42, v0
	s_clause 0x3
	buffer_load_dword v1, v4, s[0:3], 0 offen
	buffer_load_dword v2, v4, s[0:3], 0 offen offset:4
	buffer_load_dword v3, v4, s[0:3], 0 offen offset:8
	;; [unrolled: 1-line block ×3, first 2 shown]
	s_waitcnt vmcnt(0)
	ds_write_b128 v134, v[1:4]
	s_waitcnt lgkmcnt(0)
	s_waitcnt_vscnt null, 0x0
	s_barrier
	buffer_gl0_inv
	s_and_saveexec_b32 s6, s4
	s_cbranch_execz .LBB63_285
; %bb.272:
	ds_read_b128 v[1:4], v134
	s_andn2_b32 vcc_lo, exec_lo, s7
	s_cbranch_vccnz .LBB63_274
; %bb.273:
	s_clause 0x3
	buffer_load_dword v135, v133, s[0:3], 0 offen offset:8
	buffer_load_dword v136, v133, s[0:3], 0 offen offset:12
	buffer_load_dword v137, v133, s[0:3], 0 offen
	buffer_load_dword v138, v133, s[0:3], 0 offen offset:4
	s_waitcnt vmcnt(2) lgkmcnt(0)
	v_mul_f64 v[140:141], v[3:4], v[135:136]
	v_mul_f64 v[135:136], v[1:2], v[135:136]
	s_waitcnt vmcnt(0)
	v_fma_f64 v[1:2], v[1:2], v[137:138], -v[140:141]
	v_fma_f64 v[3:4], v[3:4], v[137:138], v[135:136]
.LBB63_274:
	s_and_saveexec_b32 s8, s5
	s_cbranch_execz .LBB63_284
; %bb.275:
	v_subrev_nc_u32_e32 v136, 44, v0
	v_mov_b32_e32 v137, 43
	v_subrev_nc_u32_e32 v135, 43, v0
	s_mov_b32 s5, exec_lo
	v_cmpx_lt_u32_e32 6, v136
	s_cbranch_execz .LBB63_279
; %bb.276:
	v_and_b32_e32 v136, -8, v135
	s_movk_i32 s74, 0x6b0
	s_mov_b32 s73, 0
	s_mov_b32 s75, s29
	;; [unrolled: 1-line block ×3, first 2 shown]
.LBB63_277:                             ; =>This Inner Loop Header: Depth=1
	v_mov_b32_e32 v140, s75
	v_mov_b32_e32 v186, s74
	s_add_i32 s77, s76, 8
	s_add_i32 s76, s76, 51
	v_cmp_eq_u32_e32 vcc_lo, s77, v136
	s_clause 0x1f
	buffer_load_dword v137, v140, s[0:3], 0 offen offset:8
	buffer_load_dword v138, v140, s[0:3], 0 offen offset:12
	buffer_load_dword v148, v140, s[0:3], 0 offen
	buffer_load_dword v149, v140, s[0:3], 0 offen offset:4
	buffer_load_dword v150, v140, s[0:3], 0 offen offset:24
	;; [unrolled: 1-line block ×29, first 2 shown]
	ds_read_b128 v[140:143], v186
	ds_read_b128 v[144:147], v186 offset:16
	s_addk_i32 s74, 0x80
	s_addk_i32 s75, 0x80
	s_or_b32 s73, vcc_lo, s73
	s_waitcnt vmcnt(30) lgkmcnt(1)
	v_mul_f64 v[178:179], v[142:143], v[137:138]
	v_mul_f64 v[137:138], v[140:141], v[137:138]
	s_waitcnt vmcnt(26) lgkmcnt(0)
	v_mul_f64 v[180:181], v[146:147], v[150:151]
	v_mul_f64 v[182:183], v[144:145], v[150:151]
	v_fma_f64 v[178:179], v[140:141], v[148:149], -v[178:179]
	v_fma_f64 v[137:138], v[142:143], v[148:149], v[137:138]
	ds_read_b128 v[140:143], v186 offset:32
	ds_read_b128 v[148:151], v186 offset:48
	s_waitcnt vmcnt(24)
	v_fma_f64 v[144:145], v[144:145], v[152:153], -v[180:181]
	v_fma_f64 v[146:147], v[146:147], v[152:153], v[182:183]
	s_waitcnt vmcnt(22) lgkmcnt(1)
	v_mul_f64 v[184:185], v[142:143], v[154:155]
	v_mul_f64 v[154:155], v[140:141], v[154:155]
	v_add_f64 v[1:2], v[1:2], v[178:179]
	v_add_f64 v[3:4], v[3:4], v[137:138]
	s_waitcnt vmcnt(18) lgkmcnt(0)
	v_mul_f64 v[137:138], v[150:151], v[158:159]
	v_mul_f64 v[152:153], v[148:149], v[158:159]
	v_fma_f64 v[158:159], v[140:141], v[156:157], -v[184:185]
	v_fma_f64 v[154:155], v[142:143], v[156:157], v[154:155]
	v_add_f64 v[144:145], v[1:2], v[144:145]
	v_add_f64 v[146:147], v[3:4], v[146:147]
	ds_read_b128 v[1:4], v186 offset:64
	ds_read_b128 v[140:143], v186 offset:80
	s_waitcnt vmcnt(16)
	v_fma_f64 v[137:138], v[148:149], v[160:161], -v[137:138]
	v_fma_f64 v[148:149], v[150:151], v[160:161], v[152:153]
	s_waitcnt vmcnt(12) lgkmcnt(1)
	v_mul_f64 v[156:157], v[3:4], v[162:163]
	v_mul_f64 v[162:163], v[1:2], v[162:163]
	v_add_f64 v[144:145], v[144:145], v[158:159]
	v_add_f64 v[146:147], v[146:147], v[154:155]
	s_waitcnt vmcnt(10) lgkmcnt(0)
	v_mul_f64 v[150:151], v[142:143], v[164:165]
	v_mul_f64 v[152:153], v[140:141], v[164:165]
	s_waitcnt vmcnt(8)
	v_fma_f64 v[154:155], v[1:2], v[168:169], -v[156:157]
	v_fma_f64 v[156:157], v[3:4], v[168:169], v[162:163]
	v_add_f64 v[137:138], v[144:145], v[137:138]
	v_add_f64 v[148:149], v[146:147], v[148:149]
	ds_read_b128 v[1:4], v186 offset:96
	ds_read_b128 v[144:147], v186 offset:112
	v_fma_f64 v[140:141], v[140:141], v[166:167], -v[150:151]
	v_fma_f64 v[142:143], v[142:143], v[166:167], v[152:153]
	s_waitcnt vmcnt(4) lgkmcnt(1)
	v_mul_f64 v[158:159], v[3:4], v[170:171]
	v_mul_f64 v[160:161], v[1:2], v[170:171]
	v_add_f64 v[137:138], v[137:138], v[154:155]
	v_add_f64 v[148:149], v[148:149], v[156:157]
	s_waitcnt vmcnt(2) lgkmcnt(0)
	v_mul_f64 v[150:151], v[146:147], v[172:173]
	v_mul_f64 v[152:153], v[144:145], v[172:173]
	s_waitcnt vmcnt(0)
	v_fma_f64 v[1:2], v[1:2], v[176:177], -v[158:159]
	v_fma_f64 v[3:4], v[3:4], v[176:177], v[160:161]
	v_add_f64 v[137:138], v[137:138], v[140:141]
	v_add_f64 v[140:141], v[148:149], v[142:143]
	v_fma_f64 v[142:143], v[144:145], v[174:175], -v[150:151]
	v_fma_f64 v[144:145], v[146:147], v[174:175], v[152:153]
	v_add_f64 v[1:2], v[137:138], v[1:2]
	v_add_f64 v[3:4], v[140:141], v[3:4]
	v_mov_b32_e32 v137, s76
	s_mov_b32 s76, s77
	v_add_f64 v[1:2], v[1:2], v[142:143]
	v_add_f64 v[3:4], v[3:4], v[144:145]
	s_andn2_b32 exec_lo, exec_lo, s73
	s_cbranch_execnz .LBB63_277
; %bb.278:
	s_or_b32 exec_lo, exec_lo, s73
.LBB63_279:
	s_or_b32 exec_lo, exec_lo, s5
	v_and_b32_e32 v135, 7, v135
	s_mov_b32 s73, 0
	s_mov_b32 s5, exec_lo
	v_cmpx_ne_u32_e32 0, v135
	s_cbranch_execz .LBB63_283
; %bb.280:
	v_lshlrev_b32_e32 v137, 4, v137
	v_add_nc_u32_e32 v136, 0x400, v137
	.p2align	6
.LBB63_281:                             ; =>This Inner Loop Header: Depth=1
	s_clause 0x3
	buffer_load_dword v144, v137, s[0:3], 0 offen offset:8
	buffer_load_dword v145, v137, s[0:3], 0 offen offset:12
	buffer_load_dword v146, v137, s[0:3], 0 offen
	buffer_load_dword v147, v137, s[0:3], 0 offen offset:4
	ds_read_b128 v[140:143], v136
	v_add_nc_u32_e32 v135, -1, v135
	v_add_nc_u32_e32 v136, 16, v136
	v_add_nc_u32_e32 v137, 16, v137
	v_cmp_eq_u32_e32 vcc_lo, 0, v135
	s_or_b32 s73, vcc_lo, s73
	s_waitcnt vmcnt(2) lgkmcnt(0)
	v_mul_f64 v[148:149], v[142:143], v[144:145]
	v_mul_f64 v[144:145], v[140:141], v[144:145]
	s_waitcnt vmcnt(0)
	v_fma_f64 v[140:141], v[140:141], v[146:147], -v[148:149]
	v_fma_f64 v[142:143], v[142:143], v[146:147], v[144:145]
	v_add_f64 v[1:2], v[1:2], v[140:141]
	v_add_f64 v[3:4], v[3:4], v[142:143]
	s_andn2_b32 exec_lo, exec_lo, s73
	s_cbranch_execnz .LBB63_281
; %bb.282:
	s_or_b32 exec_lo, exec_lo, s73
.LBB63_283:
	s_or_b32 exec_lo, exec_lo, s5
.LBB63_284:
	s_or_b32 exec_lo, exec_lo, s8
	v_mov_b32_e32 v135, 0
	ds_read_b128 v[135:138], v135 offset:672
	s_waitcnt lgkmcnt(0)
	v_mul_f64 v[140:141], v[3:4], v[137:138]
	v_mul_f64 v[137:138], v[1:2], v[137:138]
	v_fma_f64 v[1:2], v[1:2], v[135:136], -v[140:141]
	v_fma_f64 v[3:4], v[3:4], v[135:136], v[137:138]
	buffer_store_dword v2, off, s[0:3], 0 offset:676
	buffer_store_dword v1, off, s[0:3], 0 offset:672
	buffer_store_dword v4, off, s[0:3], 0 offset:684
	buffer_store_dword v3, off, s[0:3], 0 offset:680
.LBB63_285:
	s_or_b32 exec_lo, exec_lo, s6
	v_mov_b32_e32 v4, s31
	v_cmp_lt_u32_e64 s5, 41, v0
	s_clause 0x3
	buffer_load_dword v1, v4, s[0:3], 0 offen
	buffer_load_dword v2, v4, s[0:3], 0 offen offset:4
	buffer_load_dword v3, v4, s[0:3], 0 offen offset:8
	;; [unrolled: 1-line block ×3, first 2 shown]
	s_waitcnt vmcnt(0)
	ds_write_b128 v134, v[1:4]
	s_waitcnt lgkmcnt(0)
	s_waitcnt_vscnt null, 0x0
	s_barrier
	buffer_gl0_inv
	s_and_saveexec_b32 s6, s5
	s_cbranch_execz .LBB63_299
; %bb.286:
	ds_read_b128 v[1:4], v134
	s_andn2_b32 vcc_lo, exec_lo, s7
	s_cbranch_vccnz .LBB63_288
; %bb.287:
	s_clause 0x3
	buffer_load_dword v135, v133, s[0:3], 0 offen offset:8
	buffer_load_dword v136, v133, s[0:3], 0 offen offset:12
	buffer_load_dword v137, v133, s[0:3], 0 offen
	buffer_load_dword v138, v133, s[0:3], 0 offen offset:4
	s_waitcnt vmcnt(2) lgkmcnt(0)
	v_mul_f64 v[140:141], v[3:4], v[135:136]
	v_mul_f64 v[135:136], v[1:2], v[135:136]
	s_waitcnt vmcnt(0)
	v_fma_f64 v[1:2], v[1:2], v[137:138], -v[140:141]
	v_fma_f64 v[3:4], v[3:4], v[137:138], v[135:136]
.LBB63_288:
	s_and_saveexec_b32 s8, s4
	s_cbranch_execz .LBB63_298
; %bb.289:
	v_subrev_nc_u32_e32 v136, 43, v0
	v_mov_b32_e32 v137, 42
	v_subrev_nc_u32_e32 v135, 42, v0
	s_mov_b32 s4, exec_lo
	v_cmpx_lt_u32_e32 6, v136
	s_cbranch_execz .LBB63_293
; %bb.290:
	v_and_b32_e32 v136, -8, v135
	s_movk_i32 s74, 0x6a0
	s_mov_b32 s73, 0
	s_mov_b32 s75, s30
	;; [unrolled: 1-line block ×3, first 2 shown]
.LBB63_291:                             ; =>This Inner Loop Header: Depth=1
	v_mov_b32_e32 v140, s75
	v_mov_b32_e32 v186, s74
	s_add_i32 s77, s76, 8
	s_add_i32 s76, s76, 50
	v_cmp_eq_u32_e32 vcc_lo, s77, v136
	s_clause 0x1f
	buffer_load_dword v137, v140, s[0:3], 0 offen offset:8
	buffer_load_dword v138, v140, s[0:3], 0 offen offset:12
	buffer_load_dword v148, v140, s[0:3], 0 offen
	buffer_load_dword v149, v140, s[0:3], 0 offen offset:4
	buffer_load_dword v150, v140, s[0:3], 0 offen offset:24
	;; [unrolled: 1-line block ×29, first 2 shown]
	ds_read_b128 v[140:143], v186
	ds_read_b128 v[144:147], v186 offset:16
	s_addk_i32 s74, 0x80
	s_addk_i32 s75, 0x80
	s_or_b32 s73, vcc_lo, s73
	s_waitcnt vmcnt(30) lgkmcnt(1)
	v_mul_f64 v[178:179], v[142:143], v[137:138]
	v_mul_f64 v[137:138], v[140:141], v[137:138]
	s_waitcnt vmcnt(26) lgkmcnt(0)
	v_mul_f64 v[180:181], v[146:147], v[150:151]
	v_mul_f64 v[182:183], v[144:145], v[150:151]
	v_fma_f64 v[178:179], v[140:141], v[148:149], -v[178:179]
	v_fma_f64 v[137:138], v[142:143], v[148:149], v[137:138]
	ds_read_b128 v[140:143], v186 offset:32
	ds_read_b128 v[148:151], v186 offset:48
	s_waitcnt vmcnt(24)
	v_fma_f64 v[144:145], v[144:145], v[152:153], -v[180:181]
	v_fma_f64 v[146:147], v[146:147], v[152:153], v[182:183]
	s_waitcnt vmcnt(22) lgkmcnt(1)
	v_mul_f64 v[184:185], v[142:143], v[154:155]
	v_mul_f64 v[154:155], v[140:141], v[154:155]
	v_add_f64 v[1:2], v[1:2], v[178:179]
	v_add_f64 v[3:4], v[3:4], v[137:138]
	s_waitcnt vmcnt(18) lgkmcnt(0)
	v_mul_f64 v[137:138], v[150:151], v[158:159]
	v_mul_f64 v[152:153], v[148:149], v[158:159]
	v_fma_f64 v[158:159], v[140:141], v[156:157], -v[184:185]
	v_fma_f64 v[154:155], v[142:143], v[156:157], v[154:155]
	v_add_f64 v[144:145], v[1:2], v[144:145]
	v_add_f64 v[146:147], v[3:4], v[146:147]
	ds_read_b128 v[1:4], v186 offset:64
	ds_read_b128 v[140:143], v186 offset:80
	s_waitcnt vmcnt(16)
	v_fma_f64 v[137:138], v[148:149], v[160:161], -v[137:138]
	v_fma_f64 v[148:149], v[150:151], v[160:161], v[152:153]
	s_waitcnt vmcnt(12) lgkmcnt(1)
	v_mul_f64 v[156:157], v[3:4], v[162:163]
	v_mul_f64 v[162:163], v[1:2], v[162:163]
	v_add_f64 v[144:145], v[144:145], v[158:159]
	v_add_f64 v[146:147], v[146:147], v[154:155]
	s_waitcnt vmcnt(10) lgkmcnt(0)
	v_mul_f64 v[150:151], v[142:143], v[164:165]
	v_mul_f64 v[152:153], v[140:141], v[164:165]
	s_waitcnt vmcnt(8)
	v_fma_f64 v[154:155], v[1:2], v[168:169], -v[156:157]
	v_fma_f64 v[156:157], v[3:4], v[168:169], v[162:163]
	v_add_f64 v[137:138], v[144:145], v[137:138]
	v_add_f64 v[148:149], v[146:147], v[148:149]
	ds_read_b128 v[1:4], v186 offset:96
	ds_read_b128 v[144:147], v186 offset:112
	v_fma_f64 v[140:141], v[140:141], v[166:167], -v[150:151]
	v_fma_f64 v[142:143], v[142:143], v[166:167], v[152:153]
	s_waitcnt vmcnt(4) lgkmcnt(1)
	v_mul_f64 v[158:159], v[3:4], v[170:171]
	v_mul_f64 v[160:161], v[1:2], v[170:171]
	v_add_f64 v[137:138], v[137:138], v[154:155]
	v_add_f64 v[148:149], v[148:149], v[156:157]
	s_waitcnt vmcnt(2) lgkmcnt(0)
	v_mul_f64 v[150:151], v[146:147], v[172:173]
	v_mul_f64 v[152:153], v[144:145], v[172:173]
	s_waitcnt vmcnt(0)
	v_fma_f64 v[1:2], v[1:2], v[176:177], -v[158:159]
	v_fma_f64 v[3:4], v[3:4], v[176:177], v[160:161]
	v_add_f64 v[137:138], v[137:138], v[140:141]
	v_add_f64 v[140:141], v[148:149], v[142:143]
	v_fma_f64 v[142:143], v[144:145], v[174:175], -v[150:151]
	v_fma_f64 v[144:145], v[146:147], v[174:175], v[152:153]
	v_add_f64 v[1:2], v[137:138], v[1:2]
	v_add_f64 v[3:4], v[140:141], v[3:4]
	v_mov_b32_e32 v137, s76
	s_mov_b32 s76, s77
	v_add_f64 v[1:2], v[1:2], v[142:143]
	v_add_f64 v[3:4], v[3:4], v[144:145]
	s_andn2_b32 exec_lo, exec_lo, s73
	s_cbranch_execnz .LBB63_291
; %bb.292:
	s_or_b32 exec_lo, exec_lo, s73
.LBB63_293:
	s_or_b32 exec_lo, exec_lo, s4
	v_and_b32_e32 v135, 7, v135
	s_mov_b32 s73, 0
	s_mov_b32 s4, exec_lo
	v_cmpx_ne_u32_e32 0, v135
	s_cbranch_execz .LBB63_297
; %bb.294:
	v_lshlrev_b32_e32 v137, 4, v137
	v_add_nc_u32_e32 v136, 0x400, v137
	.p2align	6
.LBB63_295:                             ; =>This Inner Loop Header: Depth=1
	s_clause 0x3
	buffer_load_dword v144, v137, s[0:3], 0 offen offset:8
	buffer_load_dword v145, v137, s[0:3], 0 offen offset:12
	buffer_load_dword v146, v137, s[0:3], 0 offen
	buffer_load_dword v147, v137, s[0:3], 0 offen offset:4
	ds_read_b128 v[140:143], v136
	v_add_nc_u32_e32 v135, -1, v135
	v_add_nc_u32_e32 v136, 16, v136
	v_add_nc_u32_e32 v137, 16, v137
	v_cmp_eq_u32_e32 vcc_lo, 0, v135
	s_or_b32 s73, vcc_lo, s73
	s_waitcnt vmcnt(2) lgkmcnt(0)
	v_mul_f64 v[148:149], v[142:143], v[144:145]
	v_mul_f64 v[144:145], v[140:141], v[144:145]
	s_waitcnt vmcnt(0)
	v_fma_f64 v[140:141], v[140:141], v[146:147], -v[148:149]
	v_fma_f64 v[142:143], v[142:143], v[146:147], v[144:145]
	v_add_f64 v[1:2], v[1:2], v[140:141]
	v_add_f64 v[3:4], v[3:4], v[142:143]
	s_andn2_b32 exec_lo, exec_lo, s73
	s_cbranch_execnz .LBB63_295
; %bb.296:
	s_or_b32 exec_lo, exec_lo, s73
.LBB63_297:
	s_or_b32 exec_lo, exec_lo, s4
.LBB63_298:
	s_or_b32 exec_lo, exec_lo, s8
	v_mov_b32_e32 v135, 0
	ds_read_b128 v[135:138], v135 offset:656
	s_waitcnt lgkmcnt(0)
	v_mul_f64 v[140:141], v[3:4], v[137:138]
	v_mul_f64 v[137:138], v[1:2], v[137:138]
	v_fma_f64 v[1:2], v[1:2], v[135:136], -v[140:141]
	v_fma_f64 v[3:4], v[3:4], v[135:136], v[137:138]
	buffer_store_dword v2, off, s[0:3], 0 offset:660
	buffer_store_dword v1, off, s[0:3], 0 offset:656
	;; [unrolled: 1-line block ×4, first 2 shown]
.LBB63_299:
	s_or_b32 exec_lo, exec_lo, s6
	v_mov_b32_e32 v4, s33
	v_cmp_lt_u32_e64 s4, 40, v0
	s_clause 0x3
	buffer_load_dword v1, v4, s[0:3], 0 offen
	buffer_load_dword v2, v4, s[0:3], 0 offen offset:4
	buffer_load_dword v3, v4, s[0:3], 0 offen offset:8
	;; [unrolled: 1-line block ×3, first 2 shown]
	s_waitcnt vmcnt(0)
	ds_write_b128 v134, v[1:4]
	s_waitcnt lgkmcnt(0)
	s_waitcnt_vscnt null, 0x0
	s_barrier
	buffer_gl0_inv
	s_and_saveexec_b32 s6, s4
	s_cbranch_execz .LBB63_313
; %bb.300:
	ds_read_b128 v[1:4], v134
	s_andn2_b32 vcc_lo, exec_lo, s7
	s_cbranch_vccnz .LBB63_302
; %bb.301:
	s_clause 0x3
	buffer_load_dword v135, v133, s[0:3], 0 offen offset:8
	buffer_load_dword v136, v133, s[0:3], 0 offen offset:12
	buffer_load_dword v137, v133, s[0:3], 0 offen
	buffer_load_dword v138, v133, s[0:3], 0 offen offset:4
	s_waitcnt vmcnt(2) lgkmcnt(0)
	v_mul_f64 v[140:141], v[3:4], v[135:136]
	v_mul_f64 v[135:136], v[1:2], v[135:136]
	s_waitcnt vmcnt(0)
	v_fma_f64 v[1:2], v[1:2], v[137:138], -v[140:141]
	v_fma_f64 v[3:4], v[3:4], v[137:138], v[135:136]
.LBB63_302:
	s_and_saveexec_b32 s8, s5
	s_cbranch_execz .LBB63_312
; %bb.303:
	v_subrev_nc_u32_e32 v136, 42, v0
	v_mov_b32_e32 v137, 41
	v_subrev_nc_u32_e32 v135, 41, v0
	s_mov_b32 s5, exec_lo
	v_cmpx_lt_u32_e32 6, v136
	s_cbranch_execz .LBB63_307
; %bb.304:
	v_and_b32_e32 v136, -8, v135
	s_movk_i32 s74, 0x690
	s_mov_b32 s73, 0
	s_mov_b32 s75, s31
	;; [unrolled: 1-line block ×3, first 2 shown]
.LBB63_305:                             ; =>This Inner Loop Header: Depth=1
	v_mov_b32_e32 v140, s75
	v_mov_b32_e32 v186, s74
	s_add_i32 s77, s76, 8
	s_add_i32 s76, s76, 49
	v_cmp_eq_u32_e32 vcc_lo, s77, v136
	s_clause 0x1f
	buffer_load_dword v137, v140, s[0:3], 0 offen offset:8
	buffer_load_dword v138, v140, s[0:3], 0 offen offset:12
	buffer_load_dword v148, v140, s[0:3], 0 offen
	buffer_load_dword v149, v140, s[0:3], 0 offen offset:4
	buffer_load_dword v150, v140, s[0:3], 0 offen offset:24
	;; [unrolled: 1-line block ×29, first 2 shown]
	ds_read_b128 v[140:143], v186
	ds_read_b128 v[144:147], v186 offset:16
	s_addk_i32 s74, 0x80
	s_addk_i32 s75, 0x80
	s_or_b32 s73, vcc_lo, s73
	s_waitcnt vmcnt(30) lgkmcnt(1)
	v_mul_f64 v[178:179], v[142:143], v[137:138]
	v_mul_f64 v[137:138], v[140:141], v[137:138]
	s_waitcnt vmcnt(26) lgkmcnt(0)
	v_mul_f64 v[180:181], v[146:147], v[150:151]
	v_mul_f64 v[182:183], v[144:145], v[150:151]
	v_fma_f64 v[178:179], v[140:141], v[148:149], -v[178:179]
	v_fma_f64 v[137:138], v[142:143], v[148:149], v[137:138]
	ds_read_b128 v[140:143], v186 offset:32
	ds_read_b128 v[148:151], v186 offset:48
	s_waitcnt vmcnt(24)
	v_fma_f64 v[144:145], v[144:145], v[152:153], -v[180:181]
	v_fma_f64 v[146:147], v[146:147], v[152:153], v[182:183]
	s_waitcnt vmcnt(22) lgkmcnt(1)
	v_mul_f64 v[184:185], v[142:143], v[154:155]
	v_mul_f64 v[154:155], v[140:141], v[154:155]
	v_add_f64 v[1:2], v[1:2], v[178:179]
	v_add_f64 v[3:4], v[3:4], v[137:138]
	s_waitcnt vmcnt(18) lgkmcnt(0)
	v_mul_f64 v[137:138], v[150:151], v[158:159]
	v_mul_f64 v[152:153], v[148:149], v[158:159]
	v_fma_f64 v[158:159], v[140:141], v[156:157], -v[184:185]
	v_fma_f64 v[154:155], v[142:143], v[156:157], v[154:155]
	v_add_f64 v[144:145], v[1:2], v[144:145]
	v_add_f64 v[146:147], v[3:4], v[146:147]
	ds_read_b128 v[1:4], v186 offset:64
	ds_read_b128 v[140:143], v186 offset:80
	s_waitcnt vmcnt(16)
	v_fma_f64 v[137:138], v[148:149], v[160:161], -v[137:138]
	v_fma_f64 v[148:149], v[150:151], v[160:161], v[152:153]
	s_waitcnt vmcnt(12) lgkmcnt(1)
	v_mul_f64 v[156:157], v[3:4], v[162:163]
	v_mul_f64 v[162:163], v[1:2], v[162:163]
	v_add_f64 v[144:145], v[144:145], v[158:159]
	v_add_f64 v[146:147], v[146:147], v[154:155]
	s_waitcnt vmcnt(10) lgkmcnt(0)
	v_mul_f64 v[150:151], v[142:143], v[164:165]
	v_mul_f64 v[152:153], v[140:141], v[164:165]
	s_waitcnt vmcnt(8)
	v_fma_f64 v[154:155], v[1:2], v[168:169], -v[156:157]
	v_fma_f64 v[156:157], v[3:4], v[168:169], v[162:163]
	v_add_f64 v[137:138], v[144:145], v[137:138]
	v_add_f64 v[148:149], v[146:147], v[148:149]
	ds_read_b128 v[1:4], v186 offset:96
	ds_read_b128 v[144:147], v186 offset:112
	v_fma_f64 v[140:141], v[140:141], v[166:167], -v[150:151]
	v_fma_f64 v[142:143], v[142:143], v[166:167], v[152:153]
	s_waitcnt vmcnt(4) lgkmcnt(1)
	v_mul_f64 v[158:159], v[3:4], v[170:171]
	v_mul_f64 v[160:161], v[1:2], v[170:171]
	v_add_f64 v[137:138], v[137:138], v[154:155]
	v_add_f64 v[148:149], v[148:149], v[156:157]
	s_waitcnt vmcnt(2) lgkmcnt(0)
	v_mul_f64 v[150:151], v[146:147], v[172:173]
	v_mul_f64 v[152:153], v[144:145], v[172:173]
	s_waitcnt vmcnt(0)
	v_fma_f64 v[1:2], v[1:2], v[176:177], -v[158:159]
	v_fma_f64 v[3:4], v[3:4], v[176:177], v[160:161]
	v_add_f64 v[137:138], v[137:138], v[140:141]
	v_add_f64 v[140:141], v[148:149], v[142:143]
	v_fma_f64 v[142:143], v[144:145], v[174:175], -v[150:151]
	v_fma_f64 v[144:145], v[146:147], v[174:175], v[152:153]
	v_add_f64 v[1:2], v[137:138], v[1:2]
	v_add_f64 v[3:4], v[140:141], v[3:4]
	v_mov_b32_e32 v137, s76
	s_mov_b32 s76, s77
	v_add_f64 v[1:2], v[1:2], v[142:143]
	v_add_f64 v[3:4], v[3:4], v[144:145]
	s_andn2_b32 exec_lo, exec_lo, s73
	s_cbranch_execnz .LBB63_305
; %bb.306:
	s_or_b32 exec_lo, exec_lo, s73
.LBB63_307:
	s_or_b32 exec_lo, exec_lo, s5
	v_and_b32_e32 v135, 7, v135
	s_mov_b32 s73, 0
	s_mov_b32 s5, exec_lo
	v_cmpx_ne_u32_e32 0, v135
	s_cbranch_execz .LBB63_311
; %bb.308:
	v_lshlrev_b32_e32 v137, 4, v137
	v_add_nc_u32_e32 v136, 0x400, v137
	.p2align	6
.LBB63_309:                             ; =>This Inner Loop Header: Depth=1
	s_clause 0x3
	buffer_load_dword v144, v137, s[0:3], 0 offen offset:8
	buffer_load_dword v145, v137, s[0:3], 0 offen offset:12
	buffer_load_dword v146, v137, s[0:3], 0 offen
	buffer_load_dword v147, v137, s[0:3], 0 offen offset:4
	ds_read_b128 v[140:143], v136
	v_add_nc_u32_e32 v135, -1, v135
	v_add_nc_u32_e32 v136, 16, v136
	v_add_nc_u32_e32 v137, 16, v137
	v_cmp_eq_u32_e32 vcc_lo, 0, v135
	s_or_b32 s73, vcc_lo, s73
	s_waitcnt vmcnt(2) lgkmcnt(0)
	v_mul_f64 v[148:149], v[142:143], v[144:145]
	v_mul_f64 v[144:145], v[140:141], v[144:145]
	s_waitcnt vmcnt(0)
	v_fma_f64 v[140:141], v[140:141], v[146:147], -v[148:149]
	v_fma_f64 v[142:143], v[142:143], v[146:147], v[144:145]
	v_add_f64 v[1:2], v[1:2], v[140:141]
	v_add_f64 v[3:4], v[3:4], v[142:143]
	s_andn2_b32 exec_lo, exec_lo, s73
	s_cbranch_execnz .LBB63_309
; %bb.310:
	s_or_b32 exec_lo, exec_lo, s73
.LBB63_311:
	s_or_b32 exec_lo, exec_lo, s5
.LBB63_312:
	s_or_b32 exec_lo, exec_lo, s8
	v_mov_b32_e32 v135, 0
	ds_read_b128 v[135:138], v135 offset:640
	s_waitcnt lgkmcnt(0)
	v_mul_f64 v[140:141], v[3:4], v[137:138]
	v_mul_f64 v[137:138], v[1:2], v[137:138]
	v_fma_f64 v[1:2], v[1:2], v[135:136], -v[140:141]
	v_fma_f64 v[3:4], v[3:4], v[135:136], v[137:138]
	buffer_store_dword v2, off, s[0:3], 0 offset:644
	buffer_store_dword v1, off, s[0:3], 0 offset:640
	;; [unrolled: 1-line block ×4, first 2 shown]
.LBB63_313:
	s_or_b32 exec_lo, exec_lo, s6
	v_mov_b32_e32 v4, s34
	v_cmp_lt_u32_e64 s5, 39, v0
	s_clause 0x3
	buffer_load_dword v1, v4, s[0:3], 0 offen
	buffer_load_dword v2, v4, s[0:3], 0 offen offset:4
	buffer_load_dword v3, v4, s[0:3], 0 offen offset:8
	;; [unrolled: 1-line block ×3, first 2 shown]
	s_waitcnt vmcnt(0)
	ds_write_b128 v134, v[1:4]
	s_waitcnt lgkmcnt(0)
	s_waitcnt_vscnt null, 0x0
	s_barrier
	buffer_gl0_inv
	s_and_saveexec_b32 s6, s5
	s_cbranch_execz .LBB63_327
; %bb.314:
	ds_read_b128 v[1:4], v134
	s_andn2_b32 vcc_lo, exec_lo, s7
	s_cbranch_vccnz .LBB63_316
; %bb.315:
	s_clause 0x3
	buffer_load_dword v135, v133, s[0:3], 0 offen offset:8
	buffer_load_dword v136, v133, s[0:3], 0 offen offset:12
	buffer_load_dword v137, v133, s[0:3], 0 offen
	buffer_load_dword v138, v133, s[0:3], 0 offen offset:4
	s_waitcnt vmcnt(2) lgkmcnt(0)
	v_mul_f64 v[140:141], v[3:4], v[135:136]
	v_mul_f64 v[135:136], v[1:2], v[135:136]
	s_waitcnt vmcnt(0)
	v_fma_f64 v[1:2], v[1:2], v[137:138], -v[140:141]
	v_fma_f64 v[3:4], v[3:4], v[137:138], v[135:136]
.LBB63_316:
	s_and_saveexec_b32 s8, s4
	s_cbranch_execz .LBB63_326
; %bb.317:
	v_subrev_nc_u32_e32 v135, 41, v0
	v_cmp_lt_u32_e32 vcc_lo, 6, v135
	v_mov_b32_e32 v135, 40
	s_and_saveexec_b32 s4, vcc_lo
	s_cbranch_execz .LBB63_321
; %bb.318:
	v_and_b32_e32 v135, 56, v0
	s_mov_b32 s73, 40
	s_movk_i32 s75, 0x680
	s_mov_b32 s74, 0
	s_mov_b32 s76, s33
.LBB63_319:                             ; =>This Inner Loop Header: Depth=1
	v_mov_b32_e32 v138, s76
	s_add_i32 s73, s73, 8
	s_addk_i32 s76, 0x80
	v_cmp_eq_u32_e32 vcc_lo, s73, v135
	s_clause 0x1f
	buffer_load_dword v136, v138, s[0:3], 0 offen offset:8
	buffer_load_dword v137, v138, s[0:3], 0 offen offset:12
	buffer_load_dword v148, v138, s[0:3], 0 offen
	buffer_load_dword v149, v138, s[0:3], 0 offen offset:4
	buffer_load_dword v150, v138, s[0:3], 0 offen offset:24
	;; [unrolled: 1-line block ×29, first 2 shown]
	v_mov_b32_e32 v138, s75
	s_addk_i32 s75, 0x80
	s_or_b32 s74, vcc_lo, s74
	ds_read_b128 v[140:143], v138
	ds_read_b128 v[144:147], v138 offset:16
	s_waitcnt vmcnt(30) lgkmcnt(1)
	v_mul_f64 v[178:179], v[142:143], v[136:137]
	v_mul_f64 v[136:137], v[140:141], v[136:137]
	s_waitcnt vmcnt(26) lgkmcnt(0)
	v_mul_f64 v[180:181], v[146:147], v[150:151]
	v_mul_f64 v[182:183], v[144:145], v[150:151]
	v_fma_f64 v[178:179], v[140:141], v[148:149], -v[178:179]
	v_fma_f64 v[136:137], v[142:143], v[148:149], v[136:137]
	ds_read_b128 v[140:143], v138 offset:32
	ds_read_b128 v[148:151], v138 offset:48
	s_waitcnt vmcnt(24)
	v_fma_f64 v[144:145], v[144:145], v[152:153], -v[180:181]
	v_fma_f64 v[146:147], v[146:147], v[152:153], v[182:183]
	s_waitcnt vmcnt(22) lgkmcnt(1)
	v_mul_f64 v[184:185], v[142:143], v[154:155]
	v_mul_f64 v[154:155], v[140:141], v[154:155]
	v_add_f64 v[1:2], v[1:2], v[178:179]
	v_add_f64 v[3:4], v[3:4], v[136:137]
	s_waitcnt vmcnt(18) lgkmcnt(0)
	v_mul_f64 v[136:137], v[150:151], v[158:159]
	v_mul_f64 v[152:153], v[148:149], v[158:159]
	v_fma_f64 v[158:159], v[140:141], v[156:157], -v[184:185]
	v_fma_f64 v[154:155], v[142:143], v[156:157], v[154:155]
	v_add_f64 v[144:145], v[1:2], v[144:145]
	v_add_f64 v[146:147], v[3:4], v[146:147]
	ds_read_b128 v[1:4], v138 offset:64
	ds_read_b128 v[140:143], v138 offset:80
	s_waitcnt vmcnt(16)
	v_fma_f64 v[136:137], v[148:149], v[160:161], -v[136:137]
	v_fma_f64 v[148:149], v[150:151], v[160:161], v[152:153]
	s_waitcnt vmcnt(12) lgkmcnt(1)
	v_mul_f64 v[156:157], v[3:4], v[162:163]
	v_mul_f64 v[162:163], v[1:2], v[162:163]
	v_add_f64 v[144:145], v[144:145], v[158:159]
	v_add_f64 v[146:147], v[146:147], v[154:155]
	s_waitcnt vmcnt(10) lgkmcnt(0)
	v_mul_f64 v[150:151], v[142:143], v[164:165]
	v_mul_f64 v[152:153], v[140:141], v[164:165]
	s_waitcnt vmcnt(8)
	v_fma_f64 v[154:155], v[1:2], v[168:169], -v[156:157]
	v_fma_f64 v[156:157], v[3:4], v[168:169], v[162:163]
	v_add_f64 v[136:137], v[144:145], v[136:137]
	v_add_f64 v[148:149], v[146:147], v[148:149]
	ds_read_b128 v[1:4], v138 offset:96
	ds_read_b128 v[144:147], v138 offset:112
	v_fma_f64 v[140:141], v[140:141], v[166:167], -v[150:151]
	v_fma_f64 v[142:143], v[142:143], v[166:167], v[152:153]
	s_waitcnt vmcnt(4) lgkmcnt(1)
	v_mul_f64 v[158:159], v[3:4], v[170:171]
	v_mul_f64 v[160:161], v[1:2], v[170:171]
	v_add_f64 v[136:137], v[136:137], v[154:155]
	v_add_f64 v[148:149], v[148:149], v[156:157]
	s_waitcnt vmcnt(2) lgkmcnt(0)
	v_mul_f64 v[150:151], v[146:147], v[172:173]
	v_mul_f64 v[152:153], v[144:145], v[172:173]
	s_waitcnt vmcnt(0)
	v_fma_f64 v[1:2], v[1:2], v[176:177], -v[158:159]
	v_fma_f64 v[3:4], v[3:4], v[176:177], v[160:161]
	v_add_f64 v[136:137], v[136:137], v[140:141]
	v_add_f64 v[140:141], v[148:149], v[142:143]
	v_fma_f64 v[142:143], v[144:145], v[174:175], -v[150:151]
	v_fma_f64 v[144:145], v[146:147], v[174:175], v[152:153]
	v_add_f64 v[1:2], v[136:137], v[1:2]
	v_add_f64 v[3:4], v[140:141], v[3:4]
	;; [unrolled: 1-line block ×4, first 2 shown]
	s_andn2_b32 exec_lo, exec_lo, s74
	s_cbranch_execnz .LBB63_319
; %bb.320:
	s_or_b32 exec_lo, exec_lo, s74
.LBB63_321:
	s_or_b32 exec_lo, exec_lo, s4
	v_and_b32_e32 v136, 7, v0
	s_mov_b32 s73, 0
	s_mov_b32 s4, exec_lo
	v_cmpx_ne_u32_e32 0, v136
	s_cbranch_execz .LBB63_325
; %bb.322:
	v_lshlrev_b32_e32 v137, 4, v135
	v_or_b32_e32 v135, 0x400, v137
	.p2align	6
.LBB63_323:                             ; =>This Inner Loop Header: Depth=1
	s_clause 0x3
	buffer_load_dword v144, v137, s[0:3], 0 offen offset:8
	buffer_load_dword v145, v137, s[0:3], 0 offen offset:12
	buffer_load_dword v146, v137, s[0:3], 0 offen
	buffer_load_dword v147, v137, s[0:3], 0 offen offset:4
	ds_read_b128 v[140:143], v135
	v_add_nc_u32_e32 v136, -1, v136
	v_add_nc_u32_e32 v135, 16, v135
	v_add_nc_u32_e32 v137, 16, v137
	v_cmp_eq_u32_e32 vcc_lo, 0, v136
	s_or_b32 s73, vcc_lo, s73
	s_waitcnt vmcnt(2) lgkmcnt(0)
	v_mul_f64 v[148:149], v[142:143], v[144:145]
	v_mul_f64 v[144:145], v[140:141], v[144:145]
	s_waitcnt vmcnt(0)
	v_fma_f64 v[140:141], v[140:141], v[146:147], -v[148:149]
	v_fma_f64 v[142:143], v[142:143], v[146:147], v[144:145]
	v_add_f64 v[1:2], v[1:2], v[140:141]
	v_add_f64 v[3:4], v[3:4], v[142:143]
	s_andn2_b32 exec_lo, exec_lo, s73
	s_cbranch_execnz .LBB63_323
; %bb.324:
	s_or_b32 exec_lo, exec_lo, s73
.LBB63_325:
	s_or_b32 exec_lo, exec_lo, s4
.LBB63_326:
	s_or_b32 exec_lo, exec_lo, s8
	v_mov_b32_e32 v135, 0
	ds_read_b128 v[135:138], v135 offset:624
	s_waitcnt lgkmcnt(0)
	v_mul_f64 v[140:141], v[3:4], v[137:138]
	v_mul_f64 v[137:138], v[1:2], v[137:138]
	v_fma_f64 v[1:2], v[1:2], v[135:136], -v[140:141]
	v_fma_f64 v[3:4], v[3:4], v[135:136], v[137:138]
	buffer_store_dword v2, off, s[0:3], 0 offset:628
	buffer_store_dword v1, off, s[0:3], 0 offset:624
	;; [unrolled: 1-line block ×4, first 2 shown]
.LBB63_327:
	s_or_b32 exec_lo, exec_lo, s6
	v_mov_b32_e32 v4, s35
	v_cmp_lt_u32_e64 s4, 38, v0
	s_clause 0x3
	buffer_load_dword v1, v4, s[0:3], 0 offen
	buffer_load_dword v2, v4, s[0:3], 0 offen offset:4
	buffer_load_dword v3, v4, s[0:3], 0 offen offset:8
	;; [unrolled: 1-line block ×3, first 2 shown]
	s_waitcnt vmcnt(0)
	ds_write_b128 v134, v[1:4]
	s_waitcnt lgkmcnt(0)
	s_waitcnt_vscnt null, 0x0
	s_barrier
	buffer_gl0_inv
	s_and_saveexec_b32 s6, s4
	s_cbranch_execz .LBB63_341
; %bb.328:
	ds_read_b128 v[1:4], v134
	s_andn2_b32 vcc_lo, exec_lo, s7
	s_cbranch_vccnz .LBB63_330
; %bb.329:
	s_clause 0x3
	buffer_load_dword v135, v133, s[0:3], 0 offen offset:8
	buffer_load_dword v136, v133, s[0:3], 0 offen offset:12
	buffer_load_dword v137, v133, s[0:3], 0 offen
	buffer_load_dword v138, v133, s[0:3], 0 offen offset:4
	s_waitcnt vmcnt(2) lgkmcnt(0)
	v_mul_f64 v[140:141], v[3:4], v[135:136]
	v_mul_f64 v[135:136], v[1:2], v[135:136]
	s_waitcnt vmcnt(0)
	v_fma_f64 v[1:2], v[1:2], v[137:138], -v[140:141]
	v_fma_f64 v[3:4], v[3:4], v[137:138], v[135:136]
.LBB63_330:
	s_and_saveexec_b32 s8, s5
	s_cbranch_execz .LBB63_340
; %bb.331:
	v_subrev_nc_u32_e32 v136, 40, v0
	v_mov_b32_e32 v137, 39
	v_subrev_nc_u32_e32 v135, 39, v0
	s_mov_b32 s5, exec_lo
	v_cmpx_lt_u32_e32 6, v136
	s_cbranch_execz .LBB63_335
; %bb.332:
	v_and_b32_e32 v136, -8, v135
	s_movk_i32 s74, 0x670
	s_mov_b32 s73, 0
	s_mov_b32 s75, s34
	;; [unrolled: 1-line block ×3, first 2 shown]
.LBB63_333:                             ; =>This Inner Loop Header: Depth=1
	v_mov_b32_e32 v140, s75
	v_mov_b32_e32 v186, s74
	s_add_i32 s77, s76, 8
	s_add_i32 s76, s76, 47
	v_cmp_eq_u32_e32 vcc_lo, s77, v136
	s_clause 0x1f
	buffer_load_dword v137, v140, s[0:3], 0 offen offset:8
	buffer_load_dword v138, v140, s[0:3], 0 offen offset:12
	buffer_load_dword v148, v140, s[0:3], 0 offen
	buffer_load_dword v149, v140, s[0:3], 0 offen offset:4
	buffer_load_dword v150, v140, s[0:3], 0 offen offset:24
	;; [unrolled: 1-line block ×29, first 2 shown]
	ds_read_b128 v[140:143], v186
	ds_read_b128 v[144:147], v186 offset:16
	s_addk_i32 s74, 0x80
	s_addk_i32 s75, 0x80
	s_or_b32 s73, vcc_lo, s73
	s_waitcnt vmcnt(30) lgkmcnt(1)
	v_mul_f64 v[178:179], v[142:143], v[137:138]
	v_mul_f64 v[137:138], v[140:141], v[137:138]
	s_waitcnt vmcnt(26) lgkmcnt(0)
	v_mul_f64 v[180:181], v[146:147], v[150:151]
	v_mul_f64 v[182:183], v[144:145], v[150:151]
	v_fma_f64 v[178:179], v[140:141], v[148:149], -v[178:179]
	v_fma_f64 v[137:138], v[142:143], v[148:149], v[137:138]
	ds_read_b128 v[140:143], v186 offset:32
	ds_read_b128 v[148:151], v186 offset:48
	s_waitcnt vmcnt(24)
	v_fma_f64 v[144:145], v[144:145], v[152:153], -v[180:181]
	v_fma_f64 v[146:147], v[146:147], v[152:153], v[182:183]
	s_waitcnt vmcnt(22) lgkmcnt(1)
	v_mul_f64 v[184:185], v[142:143], v[154:155]
	v_mul_f64 v[154:155], v[140:141], v[154:155]
	v_add_f64 v[1:2], v[1:2], v[178:179]
	v_add_f64 v[3:4], v[3:4], v[137:138]
	s_waitcnt vmcnt(18) lgkmcnt(0)
	v_mul_f64 v[137:138], v[150:151], v[158:159]
	v_mul_f64 v[152:153], v[148:149], v[158:159]
	v_fma_f64 v[158:159], v[140:141], v[156:157], -v[184:185]
	v_fma_f64 v[154:155], v[142:143], v[156:157], v[154:155]
	v_add_f64 v[144:145], v[1:2], v[144:145]
	v_add_f64 v[146:147], v[3:4], v[146:147]
	ds_read_b128 v[1:4], v186 offset:64
	ds_read_b128 v[140:143], v186 offset:80
	s_waitcnt vmcnt(16)
	v_fma_f64 v[137:138], v[148:149], v[160:161], -v[137:138]
	v_fma_f64 v[148:149], v[150:151], v[160:161], v[152:153]
	s_waitcnt vmcnt(12) lgkmcnt(1)
	v_mul_f64 v[156:157], v[3:4], v[162:163]
	v_mul_f64 v[162:163], v[1:2], v[162:163]
	v_add_f64 v[144:145], v[144:145], v[158:159]
	v_add_f64 v[146:147], v[146:147], v[154:155]
	s_waitcnt vmcnt(10) lgkmcnt(0)
	v_mul_f64 v[150:151], v[142:143], v[164:165]
	v_mul_f64 v[152:153], v[140:141], v[164:165]
	s_waitcnt vmcnt(8)
	v_fma_f64 v[154:155], v[1:2], v[168:169], -v[156:157]
	v_fma_f64 v[156:157], v[3:4], v[168:169], v[162:163]
	v_add_f64 v[137:138], v[144:145], v[137:138]
	v_add_f64 v[148:149], v[146:147], v[148:149]
	ds_read_b128 v[1:4], v186 offset:96
	ds_read_b128 v[144:147], v186 offset:112
	v_fma_f64 v[140:141], v[140:141], v[166:167], -v[150:151]
	v_fma_f64 v[142:143], v[142:143], v[166:167], v[152:153]
	s_waitcnt vmcnt(4) lgkmcnt(1)
	v_mul_f64 v[158:159], v[3:4], v[170:171]
	v_mul_f64 v[160:161], v[1:2], v[170:171]
	v_add_f64 v[137:138], v[137:138], v[154:155]
	v_add_f64 v[148:149], v[148:149], v[156:157]
	s_waitcnt vmcnt(2) lgkmcnt(0)
	v_mul_f64 v[150:151], v[146:147], v[172:173]
	v_mul_f64 v[152:153], v[144:145], v[172:173]
	s_waitcnt vmcnt(0)
	v_fma_f64 v[1:2], v[1:2], v[176:177], -v[158:159]
	v_fma_f64 v[3:4], v[3:4], v[176:177], v[160:161]
	v_add_f64 v[137:138], v[137:138], v[140:141]
	v_add_f64 v[140:141], v[148:149], v[142:143]
	v_fma_f64 v[142:143], v[144:145], v[174:175], -v[150:151]
	v_fma_f64 v[144:145], v[146:147], v[174:175], v[152:153]
	v_add_f64 v[1:2], v[137:138], v[1:2]
	v_add_f64 v[3:4], v[140:141], v[3:4]
	v_mov_b32_e32 v137, s76
	s_mov_b32 s76, s77
	v_add_f64 v[1:2], v[1:2], v[142:143]
	v_add_f64 v[3:4], v[3:4], v[144:145]
	s_andn2_b32 exec_lo, exec_lo, s73
	s_cbranch_execnz .LBB63_333
; %bb.334:
	s_or_b32 exec_lo, exec_lo, s73
.LBB63_335:
	s_or_b32 exec_lo, exec_lo, s5
	v_and_b32_e32 v135, 7, v135
	s_mov_b32 s73, 0
	s_mov_b32 s5, exec_lo
	v_cmpx_ne_u32_e32 0, v135
	s_cbranch_execz .LBB63_339
; %bb.336:
	v_lshlrev_b32_e32 v137, 4, v137
	v_add_nc_u32_e32 v136, 0x400, v137
	.p2align	6
.LBB63_337:                             ; =>This Inner Loop Header: Depth=1
	s_clause 0x3
	buffer_load_dword v144, v137, s[0:3], 0 offen offset:8
	buffer_load_dword v145, v137, s[0:3], 0 offen offset:12
	buffer_load_dword v146, v137, s[0:3], 0 offen
	buffer_load_dword v147, v137, s[0:3], 0 offen offset:4
	ds_read_b128 v[140:143], v136
	v_add_nc_u32_e32 v135, -1, v135
	v_add_nc_u32_e32 v136, 16, v136
	v_add_nc_u32_e32 v137, 16, v137
	v_cmp_eq_u32_e32 vcc_lo, 0, v135
	s_or_b32 s73, vcc_lo, s73
	s_waitcnt vmcnt(2) lgkmcnt(0)
	v_mul_f64 v[148:149], v[142:143], v[144:145]
	v_mul_f64 v[144:145], v[140:141], v[144:145]
	s_waitcnt vmcnt(0)
	v_fma_f64 v[140:141], v[140:141], v[146:147], -v[148:149]
	v_fma_f64 v[142:143], v[142:143], v[146:147], v[144:145]
	v_add_f64 v[1:2], v[1:2], v[140:141]
	v_add_f64 v[3:4], v[3:4], v[142:143]
	s_andn2_b32 exec_lo, exec_lo, s73
	s_cbranch_execnz .LBB63_337
; %bb.338:
	s_or_b32 exec_lo, exec_lo, s73
.LBB63_339:
	s_or_b32 exec_lo, exec_lo, s5
.LBB63_340:
	s_or_b32 exec_lo, exec_lo, s8
	v_mov_b32_e32 v135, 0
	ds_read_b128 v[135:138], v135 offset:608
	s_waitcnt lgkmcnt(0)
	v_mul_f64 v[140:141], v[3:4], v[137:138]
	v_mul_f64 v[137:138], v[1:2], v[137:138]
	v_fma_f64 v[1:2], v[1:2], v[135:136], -v[140:141]
	v_fma_f64 v[3:4], v[3:4], v[135:136], v[137:138]
	buffer_store_dword v2, off, s[0:3], 0 offset:612
	buffer_store_dword v1, off, s[0:3], 0 offset:608
	;; [unrolled: 1-line block ×4, first 2 shown]
.LBB63_341:
	s_or_b32 exec_lo, exec_lo, s6
	v_mov_b32_e32 v4, s36
	v_cmp_lt_u32_e64 s5, 37, v0
	s_clause 0x3
	buffer_load_dword v1, v4, s[0:3], 0 offen
	buffer_load_dword v2, v4, s[0:3], 0 offen offset:4
	buffer_load_dword v3, v4, s[0:3], 0 offen offset:8
	buffer_load_dword v4, v4, s[0:3], 0 offen offset:12
	s_waitcnt vmcnt(0)
	ds_write_b128 v134, v[1:4]
	s_waitcnt lgkmcnt(0)
	s_waitcnt_vscnt null, 0x0
	s_barrier
	buffer_gl0_inv
	s_and_saveexec_b32 s6, s5
	s_cbranch_execz .LBB63_355
; %bb.342:
	ds_read_b128 v[1:4], v134
	s_andn2_b32 vcc_lo, exec_lo, s7
	s_cbranch_vccnz .LBB63_344
; %bb.343:
	s_clause 0x3
	buffer_load_dword v135, v133, s[0:3], 0 offen offset:8
	buffer_load_dword v136, v133, s[0:3], 0 offen offset:12
	buffer_load_dword v137, v133, s[0:3], 0 offen
	buffer_load_dword v138, v133, s[0:3], 0 offen offset:4
	s_waitcnt vmcnt(2) lgkmcnt(0)
	v_mul_f64 v[140:141], v[3:4], v[135:136]
	v_mul_f64 v[135:136], v[1:2], v[135:136]
	s_waitcnt vmcnt(0)
	v_fma_f64 v[1:2], v[1:2], v[137:138], -v[140:141]
	v_fma_f64 v[3:4], v[3:4], v[137:138], v[135:136]
.LBB63_344:
	s_and_saveexec_b32 s8, s4
	s_cbranch_execz .LBB63_354
; %bb.345:
	v_subrev_nc_u32_e32 v136, 39, v0
	v_mov_b32_e32 v137, 38
	v_subrev_nc_u32_e32 v135, 38, v0
	s_mov_b32 s4, exec_lo
	v_cmpx_lt_u32_e32 6, v136
	s_cbranch_execz .LBB63_349
; %bb.346:
	v_and_b32_e32 v136, -8, v135
	s_movk_i32 s74, 0x660
	s_mov_b32 s73, 0
	s_mov_b32 s75, s35
	;; [unrolled: 1-line block ×3, first 2 shown]
.LBB63_347:                             ; =>This Inner Loop Header: Depth=1
	v_mov_b32_e32 v140, s75
	v_mov_b32_e32 v186, s74
	s_add_i32 s77, s76, 8
	s_add_i32 s76, s76, 46
	v_cmp_eq_u32_e32 vcc_lo, s77, v136
	s_clause 0x1f
	buffer_load_dword v137, v140, s[0:3], 0 offen offset:8
	buffer_load_dword v138, v140, s[0:3], 0 offen offset:12
	buffer_load_dword v148, v140, s[0:3], 0 offen
	buffer_load_dword v149, v140, s[0:3], 0 offen offset:4
	buffer_load_dword v150, v140, s[0:3], 0 offen offset:24
	;; [unrolled: 1-line block ×29, first 2 shown]
	ds_read_b128 v[140:143], v186
	ds_read_b128 v[144:147], v186 offset:16
	s_addk_i32 s74, 0x80
	s_addk_i32 s75, 0x80
	s_or_b32 s73, vcc_lo, s73
	s_waitcnt vmcnt(30) lgkmcnt(1)
	v_mul_f64 v[178:179], v[142:143], v[137:138]
	v_mul_f64 v[137:138], v[140:141], v[137:138]
	s_waitcnt vmcnt(26) lgkmcnt(0)
	v_mul_f64 v[180:181], v[146:147], v[150:151]
	v_mul_f64 v[182:183], v[144:145], v[150:151]
	v_fma_f64 v[178:179], v[140:141], v[148:149], -v[178:179]
	v_fma_f64 v[137:138], v[142:143], v[148:149], v[137:138]
	ds_read_b128 v[140:143], v186 offset:32
	ds_read_b128 v[148:151], v186 offset:48
	s_waitcnt vmcnt(24)
	v_fma_f64 v[144:145], v[144:145], v[152:153], -v[180:181]
	v_fma_f64 v[146:147], v[146:147], v[152:153], v[182:183]
	s_waitcnt vmcnt(22) lgkmcnt(1)
	v_mul_f64 v[184:185], v[142:143], v[154:155]
	v_mul_f64 v[154:155], v[140:141], v[154:155]
	v_add_f64 v[1:2], v[1:2], v[178:179]
	v_add_f64 v[3:4], v[3:4], v[137:138]
	s_waitcnt vmcnt(18) lgkmcnt(0)
	v_mul_f64 v[137:138], v[150:151], v[158:159]
	v_mul_f64 v[152:153], v[148:149], v[158:159]
	v_fma_f64 v[158:159], v[140:141], v[156:157], -v[184:185]
	v_fma_f64 v[154:155], v[142:143], v[156:157], v[154:155]
	v_add_f64 v[144:145], v[1:2], v[144:145]
	v_add_f64 v[146:147], v[3:4], v[146:147]
	ds_read_b128 v[1:4], v186 offset:64
	ds_read_b128 v[140:143], v186 offset:80
	s_waitcnt vmcnt(16)
	v_fma_f64 v[137:138], v[148:149], v[160:161], -v[137:138]
	v_fma_f64 v[148:149], v[150:151], v[160:161], v[152:153]
	s_waitcnt vmcnt(12) lgkmcnt(1)
	v_mul_f64 v[156:157], v[3:4], v[162:163]
	v_mul_f64 v[162:163], v[1:2], v[162:163]
	v_add_f64 v[144:145], v[144:145], v[158:159]
	v_add_f64 v[146:147], v[146:147], v[154:155]
	s_waitcnt vmcnt(10) lgkmcnt(0)
	v_mul_f64 v[150:151], v[142:143], v[164:165]
	v_mul_f64 v[152:153], v[140:141], v[164:165]
	s_waitcnt vmcnt(8)
	v_fma_f64 v[154:155], v[1:2], v[168:169], -v[156:157]
	v_fma_f64 v[156:157], v[3:4], v[168:169], v[162:163]
	v_add_f64 v[137:138], v[144:145], v[137:138]
	v_add_f64 v[148:149], v[146:147], v[148:149]
	ds_read_b128 v[1:4], v186 offset:96
	ds_read_b128 v[144:147], v186 offset:112
	v_fma_f64 v[140:141], v[140:141], v[166:167], -v[150:151]
	v_fma_f64 v[142:143], v[142:143], v[166:167], v[152:153]
	s_waitcnt vmcnt(4) lgkmcnt(1)
	v_mul_f64 v[158:159], v[3:4], v[170:171]
	v_mul_f64 v[160:161], v[1:2], v[170:171]
	v_add_f64 v[137:138], v[137:138], v[154:155]
	v_add_f64 v[148:149], v[148:149], v[156:157]
	s_waitcnt vmcnt(2) lgkmcnt(0)
	v_mul_f64 v[150:151], v[146:147], v[172:173]
	v_mul_f64 v[152:153], v[144:145], v[172:173]
	s_waitcnt vmcnt(0)
	v_fma_f64 v[1:2], v[1:2], v[176:177], -v[158:159]
	v_fma_f64 v[3:4], v[3:4], v[176:177], v[160:161]
	v_add_f64 v[137:138], v[137:138], v[140:141]
	v_add_f64 v[140:141], v[148:149], v[142:143]
	v_fma_f64 v[142:143], v[144:145], v[174:175], -v[150:151]
	v_fma_f64 v[144:145], v[146:147], v[174:175], v[152:153]
	v_add_f64 v[1:2], v[137:138], v[1:2]
	v_add_f64 v[3:4], v[140:141], v[3:4]
	v_mov_b32_e32 v137, s76
	s_mov_b32 s76, s77
	v_add_f64 v[1:2], v[1:2], v[142:143]
	v_add_f64 v[3:4], v[3:4], v[144:145]
	s_andn2_b32 exec_lo, exec_lo, s73
	s_cbranch_execnz .LBB63_347
; %bb.348:
	s_or_b32 exec_lo, exec_lo, s73
.LBB63_349:
	s_or_b32 exec_lo, exec_lo, s4
	v_and_b32_e32 v135, 7, v135
	s_mov_b32 s73, 0
	s_mov_b32 s4, exec_lo
	v_cmpx_ne_u32_e32 0, v135
	s_cbranch_execz .LBB63_353
; %bb.350:
	v_lshlrev_b32_e32 v137, 4, v137
	v_add_nc_u32_e32 v136, 0x400, v137
	.p2align	6
.LBB63_351:                             ; =>This Inner Loop Header: Depth=1
	s_clause 0x3
	buffer_load_dword v144, v137, s[0:3], 0 offen offset:8
	buffer_load_dword v145, v137, s[0:3], 0 offen offset:12
	buffer_load_dword v146, v137, s[0:3], 0 offen
	buffer_load_dword v147, v137, s[0:3], 0 offen offset:4
	ds_read_b128 v[140:143], v136
	v_add_nc_u32_e32 v135, -1, v135
	v_add_nc_u32_e32 v136, 16, v136
	v_add_nc_u32_e32 v137, 16, v137
	v_cmp_eq_u32_e32 vcc_lo, 0, v135
	s_or_b32 s73, vcc_lo, s73
	s_waitcnt vmcnt(2) lgkmcnt(0)
	v_mul_f64 v[148:149], v[142:143], v[144:145]
	v_mul_f64 v[144:145], v[140:141], v[144:145]
	s_waitcnt vmcnt(0)
	v_fma_f64 v[140:141], v[140:141], v[146:147], -v[148:149]
	v_fma_f64 v[142:143], v[142:143], v[146:147], v[144:145]
	v_add_f64 v[1:2], v[1:2], v[140:141]
	v_add_f64 v[3:4], v[3:4], v[142:143]
	s_andn2_b32 exec_lo, exec_lo, s73
	s_cbranch_execnz .LBB63_351
; %bb.352:
	s_or_b32 exec_lo, exec_lo, s73
.LBB63_353:
	s_or_b32 exec_lo, exec_lo, s4
.LBB63_354:
	s_or_b32 exec_lo, exec_lo, s8
	v_mov_b32_e32 v135, 0
	ds_read_b128 v[135:138], v135 offset:592
	s_waitcnt lgkmcnt(0)
	v_mul_f64 v[140:141], v[3:4], v[137:138]
	v_mul_f64 v[137:138], v[1:2], v[137:138]
	v_fma_f64 v[1:2], v[1:2], v[135:136], -v[140:141]
	v_fma_f64 v[3:4], v[3:4], v[135:136], v[137:138]
	buffer_store_dword v2, off, s[0:3], 0 offset:596
	buffer_store_dword v1, off, s[0:3], 0 offset:592
	;; [unrolled: 1-line block ×4, first 2 shown]
.LBB63_355:
	s_or_b32 exec_lo, exec_lo, s6
	v_mov_b32_e32 v4, s37
	v_cmp_lt_u32_e64 s4, 36, v0
	s_clause 0x3
	buffer_load_dword v1, v4, s[0:3], 0 offen
	buffer_load_dword v2, v4, s[0:3], 0 offen offset:4
	buffer_load_dword v3, v4, s[0:3], 0 offen offset:8
	;; [unrolled: 1-line block ×3, first 2 shown]
	s_waitcnt vmcnt(0)
	ds_write_b128 v134, v[1:4]
	s_waitcnt lgkmcnt(0)
	s_waitcnt_vscnt null, 0x0
	s_barrier
	buffer_gl0_inv
	s_and_saveexec_b32 s6, s4
	s_cbranch_execz .LBB63_369
; %bb.356:
	ds_read_b128 v[1:4], v134
	s_andn2_b32 vcc_lo, exec_lo, s7
	s_cbranch_vccnz .LBB63_358
; %bb.357:
	s_clause 0x3
	buffer_load_dword v135, v133, s[0:3], 0 offen offset:8
	buffer_load_dword v136, v133, s[0:3], 0 offen offset:12
	buffer_load_dword v137, v133, s[0:3], 0 offen
	buffer_load_dword v138, v133, s[0:3], 0 offen offset:4
	s_waitcnt vmcnt(2) lgkmcnt(0)
	v_mul_f64 v[140:141], v[3:4], v[135:136]
	v_mul_f64 v[135:136], v[1:2], v[135:136]
	s_waitcnt vmcnt(0)
	v_fma_f64 v[1:2], v[1:2], v[137:138], -v[140:141]
	v_fma_f64 v[3:4], v[3:4], v[137:138], v[135:136]
.LBB63_358:
	s_and_saveexec_b32 s8, s5
	s_cbranch_execz .LBB63_368
; %bb.359:
	v_subrev_nc_u32_e32 v136, 38, v0
	v_mov_b32_e32 v137, 37
	v_subrev_nc_u32_e32 v135, 37, v0
	s_mov_b32 s5, exec_lo
	v_cmpx_lt_u32_e32 6, v136
	s_cbranch_execz .LBB63_363
; %bb.360:
	v_and_b32_e32 v136, -8, v135
	s_movk_i32 s74, 0x650
	s_mov_b32 s73, 0
	s_mov_b32 s75, s36
	;; [unrolled: 1-line block ×3, first 2 shown]
.LBB63_361:                             ; =>This Inner Loop Header: Depth=1
	v_mov_b32_e32 v140, s75
	v_mov_b32_e32 v186, s74
	s_add_i32 s77, s76, 8
	s_add_i32 s76, s76, 45
	v_cmp_eq_u32_e32 vcc_lo, s77, v136
	s_clause 0x1f
	buffer_load_dword v137, v140, s[0:3], 0 offen offset:8
	buffer_load_dword v138, v140, s[0:3], 0 offen offset:12
	buffer_load_dword v148, v140, s[0:3], 0 offen
	buffer_load_dword v149, v140, s[0:3], 0 offen offset:4
	buffer_load_dword v150, v140, s[0:3], 0 offen offset:24
	;; [unrolled: 1-line block ×29, first 2 shown]
	ds_read_b128 v[140:143], v186
	ds_read_b128 v[144:147], v186 offset:16
	s_addk_i32 s74, 0x80
	s_addk_i32 s75, 0x80
	s_or_b32 s73, vcc_lo, s73
	s_waitcnt vmcnt(30) lgkmcnt(1)
	v_mul_f64 v[178:179], v[142:143], v[137:138]
	v_mul_f64 v[137:138], v[140:141], v[137:138]
	s_waitcnt vmcnt(26) lgkmcnt(0)
	v_mul_f64 v[180:181], v[146:147], v[150:151]
	v_mul_f64 v[182:183], v[144:145], v[150:151]
	v_fma_f64 v[178:179], v[140:141], v[148:149], -v[178:179]
	v_fma_f64 v[137:138], v[142:143], v[148:149], v[137:138]
	ds_read_b128 v[140:143], v186 offset:32
	ds_read_b128 v[148:151], v186 offset:48
	s_waitcnt vmcnt(24)
	v_fma_f64 v[144:145], v[144:145], v[152:153], -v[180:181]
	v_fma_f64 v[146:147], v[146:147], v[152:153], v[182:183]
	s_waitcnt vmcnt(22) lgkmcnt(1)
	v_mul_f64 v[184:185], v[142:143], v[154:155]
	v_mul_f64 v[154:155], v[140:141], v[154:155]
	v_add_f64 v[1:2], v[1:2], v[178:179]
	v_add_f64 v[3:4], v[3:4], v[137:138]
	s_waitcnt vmcnt(18) lgkmcnt(0)
	v_mul_f64 v[137:138], v[150:151], v[158:159]
	v_mul_f64 v[152:153], v[148:149], v[158:159]
	v_fma_f64 v[158:159], v[140:141], v[156:157], -v[184:185]
	v_fma_f64 v[154:155], v[142:143], v[156:157], v[154:155]
	v_add_f64 v[144:145], v[1:2], v[144:145]
	v_add_f64 v[146:147], v[3:4], v[146:147]
	ds_read_b128 v[1:4], v186 offset:64
	ds_read_b128 v[140:143], v186 offset:80
	s_waitcnt vmcnt(16)
	v_fma_f64 v[137:138], v[148:149], v[160:161], -v[137:138]
	v_fma_f64 v[148:149], v[150:151], v[160:161], v[152:153]
	s_waitcnt vmcnt(12) lgkmcnt(1)
	v_mul_f64 v[156:157], v[3:4], v[162:163]
	v_mul_f64 v[162:163], v[1:2], v[162:163]
	v_add_f64 v[144:145], v[144:145], v[158:159]
	v_add_f64 v[146:147], v[146:147], v[154:155]
	s_waitcnt vmcnt(10) lgkmcnt(0)
	v_mul_f64 v[150:151], v[142:143], v[164:165]
	v_mul_f64 v[152:153], v[140:141], v[164:165]
	s_waitcnt vmcnt(8)
	v_fma_f64 v[154:155], v[1:2], v[168:169], -v[156:157]
	v_fma_f64 v[156:157], v[3:4], v[168:169], v[162:163]
	v_add_f64 v[137:138], v[144:145], v[137:138]
	v_add_f64 v[148:149], v[146:147], v[148:149]
	ds_read_b128 v[1:4], v186 offset:96
	ds_read_b128 v[144:147], v186 offset:112
	v_fma_f64 v[140:141], v[140:141], v[166:167], -v[150:151]
	v_fma_f64 v[142:143], v[142:143], v[166:167], v[152:153]
	s_waitcnt vmcnt(4) lgkmcnt(1)
	v_mul_f64 v[158:159], v[3:4], v[170:171]
	v_mul_f64 v[160:161], v[1:2], v[170:171]
	v_add_f64 v[137:138], v[137:138], v[154:155]
	v_add_f64 v[148:149], v[148:149], v[156:157]
	s_waitcnt vmcnt(2) lgkmcnt(0)
	v_mul_f64 v[150:151], v[146:147], v[172:173]
	v_mul_f64 v[152:153], v[144:145], v[172:173]
	s_waitcnt vmcnt(0)
	v_fma_f64 v[1:2], v[1:2], v[176:177], -v[158:159]
	v_fma_f64 v[3:4], v[3:4], v[176:177], v[160:161]
	v_add_f64 v[137:138], v[137:138], v[140:141]
	v_add_f64 v[140:141], v[148:149], v[142:143]
	v_fma_f64 v[142:143], v[144:145], v[174:175], -v[150:151]
	v_fma_f64 v[144:145], v[146:147], v[174:175], v[152:153]
	v_add_f64 v[1:2], v[137:138], v[1:2]
	v_add_f64 v[3:4], v[140:141], v[3:4]
	v_mov_b32_e32 v137, s76
	s_mov_b32 s76, s77
	v_add_f64 v[1:2], v[1:2], v[142:143]
	v_add_f64 v[3:4], v[3:4], v[144:145]
	s_andn2_b32 exec_lo, exec_lo, s73
	s_cbranch_execnz .LBB63_361
; %bb.362:
	s_or_b32 exec_lo, exec_lo, s73
.LBB63_363:
	s_or_b32 exec_lo, exec_lo, s5
	v_and_b32_e32 v135, 7, v135
	s_mov_b32 s73, 0
	s_mov_b32 s5, exec_lo
	v_cmpx_ne_u32_e32 0, v135
	s_cbranch_execz .LBB63_367
; %bb.364:
	v_lshlrev_b32_e32 v137, 4, v137
	v_add_nc_u32_e32 v136, 0x400, v137
	.p2align	6
.LBB63_365:                             ; =>This Inner Loop Header: Depth=1
	s_clause 0x3
	buffer_load_dword v144, v137, s[0:3], 0 offen offset:8
	buffer_load_dword v145, v137, s[0:3], 0 offen offset:12
	buffer_load_dword v146, v137, s[0:3], 0 offen
	buffer_load_dword v147, v137, s[0:3], 0 offen offset:4
	ds_read_b128 v[140:143], v136
	v_add_nc_u32_e32 v135, -1, v135
	v_add_nc_u32_e32 v136, 16, v136
	v_add_nc_u32_e32 v137, 16, v137
	v_cmp_eq_u32_e32 vcc_lo, 0, v135
	s_or_b32 s73, vcc_lo, s73
	s_waitcnt vmcnt(2) lgkmcnt(0)
	v_mul_f64 v[148:149], v[142:143], v[144:145]
	v_mul_f64 v[144:145], v[140:141], v[144:145]
	s_waitcnt vmcnt(0)
	v_fma_f64 v[140:141], v[140:141], v[146:147], -v[148:149]
	v_fma_f64 v[142:143], v[142:143], v[146:147], v[144:145]
	v_add_f64 v[1:2], v[1:2], v[140:141]
	v_add_f64 v[3:4], v[3:4], v[142:143]
	s_andn2_b32 exec_lo, exec_lo, s73
	s_cbranch_execnz .LBB63_365
; %bb.366:
	s_or_b32 exec_lo, exec_lo, s73
.LBB63_367:
	s_or_b32 exec_lo, exec_lo, s5
.LBB63_368:
	s_or_b32 exec_lo, exec_lo, s8
	v_mov_b32_e32 v135, 0
	ds_read_b128 v[135:138], v135 offset:576
	s_waitcnt lgkmcnt(0)
	v_mul_f64 v[140:141], v[3:4], v[137:138]
	v_mul_f64 v[137:138], v[1:2], v[137:138]
	v_fma_f64 v[1:2], v[1:2], v[135:136], -v[140:141]
	v_fma_f64 v[3:4], v[3:4], v[135:136], v[137:138]
	buffer_store_dword v2, off, s[0:3], 0 offset:580
	buffer_store_dword v1, off, s[0:3], 0 offset:576
	buffer_store_dword v4, off, s[0:3], 0 offset:588
	buffer_store_dword v3, off, s[0:3], 0 offset:584
.LBB63_369:
	s_or_b32 exec_lo, exec_lo, s6
	v_mov_b32_e32 v4, s38
	v_cmp_lt_u32_e64 s5, 35, v0
	s_clause 0x3
	buffer_load_dword v1, v4, s[0:3], 0 offen
	buffer_load_dword v2, v4, s[0:3], 0 offen offset:4
	buffer_load_dword v3, v4, s[0:3], 0 offen offset:8
	;; [unrolled: 1-line block ×3, first 2 shown]
	s_waitcnt vmcnt(0)
	ds_write_b128 v134, v[1:4]
	s_waitcnt lgkmcnt(0)
	s_waitcnt_vscnt null, 0x0
	s_barrier
	buffer_gl0_inv
	s_and_saveexec_b32 s6, s5
	s_cbranch_execz .LBB63_383
; %bb.370:
	ds_read_b128 v[1:4], v134
	s_andn2_b32 vcc_lo, exec_lo, s7
	s_cbranch_vccnz .LBB63_372
; %bb.371:
	s_clause 0x3
	buffer_load_dword v135, v133, s[0:3], 0 offen offset:8
	buffer_load_dword v136, v133, s[0:3], 0 offen offset:12
	buffer_load_dword v137, v133, s[0:3], 0 offen
	buffer_load_dword v138, v133, s[0:3], 0 offen offset:4
	s_waitcnt vmcnt(2) lgkmcnt(0)
	v_mul_f64 v[140:141], v[3:4], v[135:136]
	v_mul_f64 v[135:136], v[1:2], v[135:136]
	s_waitcnt vmcnt(0)
	v_fma_f64 v[1:2], v[1:2], v[137:138], -v[140:141]
	v_fma_f64 v[3:4], v[3:4], v[137:138], v[135:136]
.LBB63_372:
	s_and_saveexec_b32 s8, s4
	s_cbranch_execz .LBB63_382
; %bb.373:
	v_subrev_nc_u32_e32 v136, 37, v0
	v_mov_b32_e32 v137, 36
	v_subrev_nc_u32_e32 v135, 36, v0
	s_mov_b32 s4, exec_lo
	v_cmpx_lt_u32_e32 6, v136
	s_cbranch_execz .LBB63_377
; %bb.374:
	v_and_b32_e32 v136, -8, v135
	s_movk_i32 s74, 0x640
	s_mov_b32 s73, 0
	s_mov_b32 s75, s37
	;; [unrolled: 1-line block ×3, first 2 shown]
.LBB63_375:                             ; =>This Inner Loop Header: Depth=1
	v_mov_b32_e32 v140, s75
	v_mov_b32_e32 v186, s74
	s_add_i32 s77, s76, 8
	s_add_i32 s76, s76, 44
	v_cmp_eq_u32_e32 vcc_lo, s77, v136
	s_clause 0x1f
	buffer_load_dword v137, v140, s[0:3], 0 offen offset:8
	buffer_load_dword v138, v140, s[0:3], 0 offen offset:12
	buffer_load_dword v148, v140, s[0:3], 0 offen
	buffer_load_dword v149, v140, s[0:3], 0 offen offset:4
	buffer_load_dword v150, v140, s[0:3], 0 offen offset:24
	;; [unrolled: 1-line block ×29, first 2 shown]
	ds_read_b128 v[140:143], v186
	ds_read_b128 v[144:147], v186 offset:16
	s_addk_i32 s74, 0x80
	s_addk_i32 s75, 0x80
	s_or_b32 s73, vcc_lo, s73
	s_waitcnt vmcnt(30) lgkmcnt(1)
	v_mul_f64 v[178:179], v[142:143], v[137:138]
	v_mul_f64 v[137:138], v[140:141], v[137:138]
	s_waitcnt vmcnt(26) lgkmcnt(0)
	v_mul_f64 v[180:181], v[146:147], v[150:151]
	v_mul_f64 v[182:183], v[144:145], v[150:151]
	v_fma_f64 v[178:179], v[140:141], v[148:149], -v[178:179]
	v_fma_f64 v[137:138], v[142:143], v[148:149], v[137:138]
	ds_read_b128 v[140:143], v186 offset:32
	ds_read_b128 v[148:151], v186 offset:48
	s_waitcnt vmcnt(24)
	v_fma_f64 v[144:145], v[144:145], v[152:153], -v[180:181]
	v_fma_f64 v[146:147], v[146:147], v[152:153], v[182:183]
	s_waitcnt vmcnt(22) lgkmcnt(1)
	v_mul_f64 v[184:185], v[142:143], v[154:155]
	v_mul_f64 v[154:155], v[140:141], v[154:155]
	v_add_f64 v[1:2], v[1:2], v[178:179]
	v_add_f64 v[3:4], v[3:4], v[137:138]
	s_waitcnt vmcnt(18) lgkmcnt(0)
	v_mul_f64 v[137:138], v[150:151], v[158:159]
	v_mul_f64 v[152:153], v[148:149], v[158:159]
	v_fma_f64 v[158:159], v[140:141], v[156:157], -v[184:185]
	v_fma_f64 v[154:155], v[142:143], v[156:157], v[154:155]
	v_add_f64 v[144:145], v[1:2], v[144:145]
	v_add_f64 v[146:147], v[3:4], v[146:147]
	ds_read_b128 v[1:4], v186 offset:64
	ds_read_b128 v[140:143], v186 offset:80
	s_waitcnt vmcnt(16)
	v_fma_f64 v[137:138], v[148:149], v[160:161], -v[137:138]
	v_fma_f64 v[148:149], v[150:151], v[160:161], v[152:153]
	s_waitcnt vmcnt(12) lgkmcnt(1)
	v_mul_f64 v[156:157], v[3:4], v[162:163]
	v_mul_f64 v[162:163], v[1:2], v[162:163]
	v_add_f64 v[144:145], v[144:145], v[158:159]
	v_add_f64 v[146:147], v[146:147], v[154:155]
	s_waitcnt vmcnt(10) lgkmcnt(0)
	v_mul_f64 v[150:151], v[142:143], v[164:165]
	v_mul_f64 v[152:153], v[140:141], v[164:165]
	s_waitcnt vmcnt(8)
	v_fma_f64 v[154:155], v[1:2], v[168:169], -v[156:157]
	v_fma_f64 v[156:157], v[3:4], v[168:169], v[162:163]
	v_add_f64 v[137:138], v[144:145], v[137:138]
	v_add_f64 v[148:149], v[146:147], v[148:149]
	ds_read_b128 v[1:4], v186 offset:96
	ds_read_b128 v[144:147], v186 offset:112
	v_fma_f64 v[140:141], v[140:141], v[166:167], -v[150:151]
	v_fma_f64 v[142:143], v[142:143], v[166:167], v[152:153]
	s_waitcnt vmcnt(4) lgkmcnt(1)
	v_mul_f64 v[158:159], v[3:4], v[170:171]
	v_mul_f64 v[160:161], v[1:2], v[170:171]
	v_add_f64 v[137:138], v[137:138], v[154:155]
	v_add_f64 v[148:149], v[148:149], v[156:157]
	s_waitcnt vmcnt(2) lgkmcnt(0)
	v_mul_f64 v[150:151], v[146:147], v[172:173]
	v_mul_f64 v[152:153], v[144:145], v[172:173]
	s_waitcnt vmcnt(0)
	v_fma_f64 v[1:2], v[1:2], v[176:177], -v[158:159]
	v_fma_f64 v[3:4], v[3:4], v[176:177], v[160:161]
	v_add_f64 v[137:138], v[137:138], v[140:141]
	v_add_f64 v[140:141], v[148:149], v[142:143]
	v_fma_f64 v[142:143], v[144:145], v[174:175], -v[150:151]
	v_fma_f64 v[144:145], v[146:147], v[174:175], v[152:153]
	v_add_f64 v[1:2], v[137:138], v[1:2]
	v_add_f64 v[3:4], v[140:141], v[3:4]
	v_mov_b32_e32 v137, s76
	s_mov_b32 s76, s77
	v_add_f64 v[1:2], v[1:2], v[142:143]
	v_add_f64 v[3:4], v[3:4], v[144:145]
	s_andn2_b32 exec_lo, exec_lo, s73
	s_cbranch_execnz .LBB63_375
; %bb.376:
	s_or_b32 exec_lo, exec_lo, s73
.LBB63_377:
	s_or_b32 exec_lo, exec_lo, s4
	v_and_b32_e32 v135, 7, v135
	s_mov_b32 s73, 0
	s_mov_b32 s4, exec_lo
	v_cmpx_ne_u32_e32 0, v135
	s_cbranch_execz .LBB63_381
; %bb.378:
	v_lshlrev_b32_e32 v137, 4, v137
	v_add_nc_u32_e32 v136, 0x400, v137
	.p2align	6
.LBB63_379:                             ; =>This Inner Loop Header: Depth=1
	s_clause 0x3
	buffer_load_dword v144, v137, s[0:3], 0 offen offset:8
	buffer_load_dword v145, v137, s[0:3], 0 offen offset:12
	buffer_load_dword v146, v137, s[0:3], 0 offen
	buffer_load_dword v147, v137, s[0:3], 0 offen offset:4
	ds_read_b128 v[140:143], v136
	v_add_nc_u32_e32 v135, -1, v135
	v_add_nc_u32_e32 v136, 16, v136
	v_add_nc_u32_e32 v137, 16, v137
	v_cmp_eq_u32_e32 vcc_lo, 0, v135
	s_or_b32 s73, vcc_lo, s73
	s_waitcnt vmcnt(2) lgkmcnt(0)
	v_mul_f64 v[148:149], v[142:143], v[144:145]
	v_mul_f64 v[144:145], v[140:141], v[144:145]
	s_waitcnt vmcnt(0)
	v_fma_f64 v[140:141], v[140:141], v[146:147], -v[148:149]
	v_fma_f64 v[142:143], v[142:143], v[146:147], v[144:145]
	v_add_f64 v[1:2], v[1:2], v[140:141]
	v_add_f64 v[3:4], v[3:4], v[142:143]
	s_andn2_b32 exec_lo, exec_lo, s73
	s_cbranch_execnz .LBB63_379
; %bb.380:
	s_or_b32 exec_lo, exec_lo, s73
.LBB63_381:
	s_or_b32 exec_lo, exec_lo, s4
.LBB63_382:
	s_or_b32 exec_lo, exec_lo, s8
	v_mov_b32_e32 v135, 0
	ds_read_b128 v[135:138], v135 offset:560
	s_waitcnt lgkmcnt(0)
	v_mul_f64 v[140:141], v[3:4], v[137:138]
	v_mul_f64 v[137:138], v[1:2], v[137:138]
	v_fma_f64 v[1:2], v[1:2], v[135:136], -v[140:141]
	v_fma_f64 v[3:4], v[3:4], v[135:136], v[137:138]
	buffer_store_dword v2, off, s[0:3], 0 offset:564
	buffer_store_dword v1, off, s[0:3], 0 offset:560
	buffer_store_dword v4, off, s[0:3], 0 offset:572
	buffer_store_dword v3, off, s[0:3], 0 offset:568
.LBB63_383:
	s_or_b32 exec_lo, exec_lo, s6
	v_mov_b32_e32 v4, s39
	v_cmp_lt_u32_e64 s4, 34, v0
	s_clause 0x3
	buffer_load_dword v1, v4, s[0:3], 0 offen
	buffer_load_dword v2, v4, s[0:3], 0 offen offset:4
	buffer_load_dword v3, v4, s[0:3], 0 offen offset:8
	buffer_load_dword v4, v4, s[0:3], 0 offen offset:12
	s_waitcnt vmcnt(0)
	ds_write_b128 v134, v[1:4]
	s_waitcnt lgkmcnt(0)
	s_waitcnt_vscnt null, 0x0
	s_barrier
	buffer_gl0_inv
	s_and_saveexec_b32 s6, s4
	s_cbranch_execz .LBB63_397
; %bb.384:
	ds_read_b128 v[1:4], v134
	s_andn2_b32 vcc_lo, exec_lo, s7
	s_cbranch_vccnz .LBB63_386
; %bb.385:
	s_clause 0x3
	buffer_load_dword v135, v133, s[0:3], 0 offen offset:8
	buffer_load_dword v136, v133, s[0:3], 0 offen offset:12
	buffer_load_dword v137, v133, s[0:3], 0 offen
	buffer_load_dword v138, v133, s[0:3], 0 offen offset:4
	s_waitcnt vmcnt(2) lgkmcnt(0)
	v_mul_f64 v[140:141], v[3:4], v[135:136]
	v_mul_f64 v[135:136], v[1:2], v[135:136]
	s_waitcnt vmcnt(0)
	v_fma_f64 v[1:2], v[1:2], v[137:138], -v[140:141]
	v_fma_f64 v[3:4], v[3:4], v[137:138], v[135:136]
.LBB63_386:
	s_and_saveexec_b32 s8, s5
	s_cbranch_execz .LBB63_396
; %bb.387:
	v_subrev_nc_u32_e32 v136, 36, v0
	v_mov_b32_e32 v137, 35
	v_subrev_nc_u32_e32 v135, 35, v0
	s_mov_b32 s5, exec_lo
	v_cmpx_lt_u32_e32 6, v136
	s_cbranch_execz .LBB63_391
; %bb.388:
	v_and_b32_e32 v136, -8, v135
	s_movk_i32 s74, 0x630
	s_mov_b32 s73, 0
	s_mov_b32 s75, s38
	;; [unrolled: 1-line block ×3, first 2 shown]
.LBB63_389:                             ; =>This Inner Loop Header: Depth=1
	v_mov_b32_e32 v140, s75
	v_mov_b32_e32 v186, s74
	s_add_i32 s77, s76, 8
	s_add_i32 s76, s76, 43
	v_cmp_eq_u32_e32 vcc_lo, s77, v136
	s_clause 0x1f
	buffer_load_dword v137, v140, s[0:3], 0 offen offset:8
	buffer_load_dword v138, v140, s[0:3], 0 offen offset:12
	buffer_load_dword v148, v140, s[0:3], 0 offen
	buffer_load_dword v149, v140, s[0:3], 0 offen offset:4
	buffer_load_dword v150, v140, s[0:3], 0 offen offset:24
	;; [unrolled: 1-line block ×29, first 2 shown]
	ds_read_b128 v[140:143], v186
	ds_read_b128 v[144:147], v186 offset:16
	s_addk_i32 s74, 0x80
	s_addk_i32 s75, 0x80
	s_or_b32 s73, vcc_lo, s73
	s_waitcnt vmcnt(30) lgkmcnt(1)
	v_mul_f64 v[178:179], v[142:143], v[137:138]
	v_mul_f64 v[137:138], v[140:141], v[137:138]
	s_waitcnt vmcnt(26) lgkmcnt(0)
	v_mul_f64 v[180:181], v[146:147], v[150:151]
	v_mul_f64 v[182:183], v[144:145], v[150:151]
	v_fma_f64 v[178:179], v[140:141], v[148:149], -v[178:179]
	v_fma_f64 v[137:138], v[142:143], v[148:149], v[137:138]
	ds_read_b128 v[140:143], v186 offset:32
	ds_read_b128 v[148:151], v186 offset:48
	s_waitcnt vmcnt(24)
	v_fma_f64 v[144:145], v[144:145], v[152:153], -v[180:181]
	v_fma_f64 v[146:147], v[146:147], v[152:153], v[182:183]
	s_waitcnt vmcnt(22) lgkmcnt(1)
	v_mul_f64 v[184:185], v[142:143], v[154:155]
	v_mul_f64 v[154:155], v[140:141], v[154:155]
	v_add_f64 v[1:2], v[1:2], v[178:179]
	v_add_f64 v[3:4], v[3:4], v[137:138]
	s_waitcnt vmcnt(18) lgkmcnt(0)
	v_mul_f64 v[137:138], v[150:151], v[158:159]
	v_mul_f64 v[152:153], v[148:149], v[158:159]
	v_fma_f64 v[158:159], v[140:141], v[156:157], -v[184:185]
	v_fma_f64 v[154:155], v[142:143], v[156:157], v[154:155]
	v_add_f64 v[144:145], v[1:2], v[144:145]
	v_add_f64 v[146:147], v[3:4], v[146:147]
	ds_read_b128 v[1:4], v186 offset:64
	ds_read_b128 v[140:143], v186 offset:80
	s_waitcnt vmcnt(16)
	v_fma_f64 v[137:138], v[148:149], v[160:161], -v[137:138]
	v_fma_f64 v[148:149], v[150:151], v[160:161], v[152:153]
	s_waitcnt vmcnt(12) lgkmcnt(1)
	v_mul_f64 v[156:157], v[3:4], v[162:163]
	v_mul_f64 v[162:163], v[1:2], v[162:163]
	v_add_f64 v[144:145], v[144:145], v[158:159]
	v_add_f64 v[146:147], v[146:147], v[154:155]
	s_waitcnt vmcnt(10) lgkmcnt(0)
	v_mul_f64 v[150:151], v[142:143], v[164:165]
	v_mul_f64 v[152:153], v[140:141], v[164:165]
	s_waitcnt vmcnt(8)
	v_fma_f64 v[154:155], v[1:2], v[168:169], -v[156:157]
	v_fma_f64 v[156:157], v[3:4], v[168:169], v[162:163]
	v_add_f64 v[137:138], v[144:145], v[137:138]
	v_add_f64 v[148:149], v[146:147], v[148:149]
	ds_read_b128 v[1:4], v186 offset:96
	ds_read_b128 v[144:147], v186 offset:112
	v_fma_f64 v[140:141], v[140:141], v[166:167], -v[150:151]
	v_fma_f64 v[142:143], v[142:143], v[166:167], v[152:153]
	s_waitcnt vmcnt(4) lgkmcnt(1)
	v_mul_f64 v[158:159], v[3:4], v[170:171]
	v_mul_f64 v[160:161], v[1:2], v[170:171]
	v_add_f64 v[137:138], v[137:138], v[154:155]
	v_add_f64 v[148:149], v[148:149], v[156:157]
	s_waitcnt vmcnt(2) lgkmcnt(0)
	v_mul_f64 v[150:151], v[146:147], v[172:173]
	v_mul_f64 v[152:153], v[144:145], v[172:173]
	s_waitcnt vmcnt(0)
	v_fma_f64 v[1:2], v[1:2], v[176:177], -v[158:159]
	v_fma_f64 v[3:4], v[3:4], v[176:177], v[160:161]
	v_add_f64 v[137:138], v[137:138], v[140:141]
	v_add_f64 v[140:141], v[148:149], v[142:143]
	v_fma_f64 v[142:143], v[144:145], v[174:175], -v[150:151]
	v_fma_f64 v[144:145], v[146:147], v[174:175], v[152:153]
	v_add_f64 v[1:2], v[137:138], v[1:2]
	v_add_f64 v[3:4], v[140:141], v[3:4]
	v_mov_b32_e32 v137, s76
	s_mov_b32 s76, s77
	v_add_f64 v[1:2], v[1:2], v[142:143]
	v_add_f64 v[3:4], v[3:4], v[144:145]
	s_andn2_b32 exec_lo, exec_lo, s73
	s_cbranch_execnz .LBB63_389
; %bb.390:
	s_or_b32 exec_lo, exec_lo, s73
.LBB63_391:
	s_or_b32 exec_lo, exec_lo, s5
	v_and_b32_e32 v135, 7, v135
	s_mov_b32 s73, 0
	s_mov_b32 s5, exec_lo
	v_cmpx_ne_u32_e32 0, v135
	s_cbranch_execz .LBB63_395
; %bb.392:
	v_lshlrev_b32_e32 v137, 4, v137
	v_add_nc_u32_e32 v136, 0x400, v137
	.p2align	6
.LBB63_393:                             ; =>This Inner Loop Header: Depth=1
	s_clause 0x3
	buffer_load_dword v144, v137, s[0:3], 0 offen offset:8
	buffer_load_dword v145, v137, s[0:3], 0 offen offset:12
	buffer_load_dword v146, v137, s[0:3], 0 offen
	buffer_load_dword v147, v137, s[0:3], 0 offen offset:4
	ds_read_b128 v[140:143], v136
	v_add_nc_u32_e32 v135, -1, v135
	v_add_nc_u32_e32 v136, 16, v136
	v_add_nc_u32_e32 v137, 16, v137
	v_cmp_eq_u32_e32 vcc_lo, 0, v135
	s_or_b32 s73, vcc_lo, s73
	s_waitcnt vmcnt(2) lgkmcnt(0)
	v_mul_f64 v[148:149], v[142:143], v[144:145]
	v_mul_f64 v[144:145], v[140:141], v[144:145]
	s_waitcnt vmcnt(0)
	v_fma_f64 v[140:141], v[140:141], v[146:147], -v[148:149]
	v_fma_f64 v[142:143], v[142:143], v[146:147], v[144:145]
	v_add_f64 v[1:2], v[1:2], v[140:141]
	v_add_f64 v[3:4], v[3:4], v[142:143]
	s_andn2_b32 exec_lo, exec_lo, s73
	s_cbranch_execnz .LBB63_393
; %bb.394:
	s_or_b32 exec_lo, exec_lo, s73
.LBB63_395:
	s_or_b32 exec_lo, exec_lo, s5
.LBB63_396:
	s_or_b32 exec_lo, exec_lo, s8
	v_mov_b32_e32 v135, 0
	ds_read_b128 v[135:138], v135 offset:544
	s_waitcnt lgkmcnt(0)
	v_mul_f64 v[140:141], v[3:4], v[137:138]
	v_mul_f64 v[137:138], v[1:2], v[137:138]
	v_fma_f64 v[1:2], v[1:2], v[135:136], -v[140:141]
	v_fma_f64 v[3:4], v[3:4], v[135:136], v[137:138]
	buffer_store_dword v2, off, s[0:3], 0 offset:548
	buffer_store_dword v1, off, s[0:3], 0 offset:544
	;; [unrolled: 1-line block ×4, first 2 shown]
.LBB63_397:
	s_or_b32 exec_lo, exec_lo, s6
	v_mov_b32_e32 v4, s40
	v_cmp_lt_u32_e64 s5, 33, v0
	s_clause 0x3
	buffer_load_dword v1, v4, s[0:3], 0 offen
	buffer_load_dword v2, v4, s[0:3], 0 offen offset:4
	buffer_load_dword v3, v4, s[0:3], 0 offen offset:8
	;; [unrolled: 1-line block ×3, first 2 shown]
	s_waitcnt vmcnt(0)
	ds_write_b128 v134, v[1:4]
	s_waitcnt lgkmcnt(0)
	s_waitcnt_vscnt null, 0x0
	s_barrier
	buffer_gl0_inv
	s_and_saveexec_b32 s6, s5
	s_cbranch_execz .LBB63_411
; %bb.398:
	ds_read_b128 v[1:4], v134
	s_andn2_b32 vcc_lo, exec_lo, s7
	s_cbranch_vccnz .LBB63_400
; %bb.399:
	s_clause 0x3
	buffer_load_dword v135, v133, s[0:3], 0 offen offset:8
	buffer_load_dword v136, v133, s[0:3], 0 offen offset:12
	buffer_load_dword v137, v133, s[0:3], 0 offen
	buffer_load_dword v138, v133, s[0:3], 0 offen offset:4
	s_waitcnt vmcnt(2) lgkmcnt(0)
	v_mul_f64 v[140:141], v[3:4], v[135:136]
	v_mul_f64 v[135:136], v[1:2], v[135:136]
	s_waitcnt vmcnt(0)
	v_fma_f64 v[1:2], v[1:2], v[137:138], -v[140:141]
	v_fma_f64 v[3:4], v[3:4], v[137:138], v[135:136]
.LBB63_400:
	s_and_saveexec_b32 s8, s4
	s_cbranch_execz .LBB63_410
; %bb.401:
	v_subrev_nc_u32_e32 v136, 35, v0
	v_mov_b32_e32 v137, 34
	v_subrev_nc_u32_e32 v135, 34, v0
	s_mov_b32 s4, exec_lo
	v_cmpx_lt_u32_e32 6, v136
	s_cbranch_execz .LBB63_405
; %bb.402:
	v_and_b32_e32 v136, -8, v135
	s_movk_i32 s74, 0x620
	s_mov_b32 s73, 0
	s_mov_b32 s75, s39
	;; [unrolled: 1-line block ×3, first 2 shown]
.LBB63_403:                             ; =>This Inner Loop Header: Depth=1
	v_mov_b32_e32 v140, s75
	v_mov_b32_e32 v186, s74
	s_add_i32 s77, s76, 8
	s_add_i32 s76, s76, 42
	v_cmp_eq_u32_e32 vcc_lo, s77, v136
	s_clause 0x1f
	buffer_load_dword v137, v140, s[0:3], 0 offen offset:8
	buffer_load_dword v138, v140, s[0:3], 0 offen offset:12
	buffer_load_dword v148, v140, s[0:3], 0 offen
	buffer_load_dword v149, v140, s[0:3], 0 offen offset:4
	buffer_load_dword v150, v140, s[0:3], 0 offen offset:24
	;; [unrolled: 1-line block ×29, first 2 shown]
	ds_read_b128 v[140:143], v186
	ds_read_b128 v[144:147], v186 offset:16
	s_addk_i32 s74, 0x80
	s_addk_i32 s75, 0x80
	s_or_b32 s73, vcc_lo, s73
	s_waitcnt vmcnt(30) lgkmcnt(1)
	v_mul_f64 v[178:179], v[142:143], v[137:138]
	v_mul_f64 v[137:138], v[140:141], v[137:138]
	s_waitcnt vmcnt(26) lgkmcnt(0)
	v_mul_f64 v[180:181], v[146:147], v[150:151]
	v_mul_f64 v[182:183], v[144:145], v[150:151]
	v_fma_f64 v[178:179], v[140:141], v[148:149], -v[178:179]
	v_fma_f64 v[137:138], v[142:143], v[148:149], v[137:138]
	ds_read_b128 v[140:143], v186 offset:32
	ds_read_b128 v[148:151], v186 offset:48
	s_waitcnt vmcnt(24)
	v_fma_f64 v[144:145], v[144:145], v[152:153], -v[180:181]
	v_fma_f64 v[146:147], v[146:147], v[152:153], v[182:183]
	s_waitcnt vmcnt(22) lgkmcnt(1)
	v_mul_f64 v[184:185], v[142:143], v[154:155]
	v_mul_f64 v[154:155], v[140:141], v[154:155]
	v_add_f64 v[1:2], v[1:2], v[178:179]
	v_add_f64 v[3:4], v[3:4], v[137:138]
	s_waitcnt vmcnt(18) lgkmcnt(0)
	v_mul_f64 v[137:138], v[150:151], v[158:159]
	v_mul_f64 v[152:153], v[148:149], v[158:159]
	v_fma_f64 v[158:159], v[140:141], v[156:157], -v[184:185]
	v_fma_f64 v[154:155], v[142:143], v[156:157], v[154:155]
	v_add_f64 v[144:145], v[1:2], v[144:145]
	v_add_f64 v[146:147], v[3:4], v[146:147]
	ds_read_b128 v[1:4], v186 offset:64
	ds_read_b128 v[140:143], v186 offset:80
	s_waitcnt vmcnt(16)
	v_fma_f64 v[137:138], v[148:149], v[160:161], -v[137:138]
	v_fma_f64 v[148:149], v[150:151], v[160:161], v[152:153]
	s_waitcnt vmcnt(12) lgkmcnt(1)
	v_mul_f64 v[156:157], v[3:4], v[162:163]
	v_mul_f64 v[162:163], v[1:2], v[162:163]
	v_add_f64 v[144:145], v[144:145], v[158:159]
	v_add_f64 v[146:147], v[146:147], v[154:155]
	s_waitcnt vmcnt(10) lgkmcnt(0)
	v_mul_f64 v[150:151], v[142:143], v[164:165]
	v_mul_f64 v[152:153], v[140:141], v[164:165]
	s_waitcnt vmcnt(8)
	v_fma_f64 v[154:155], v[1:2], v[168:169], -v[156:157]
	v_fma_f64 v[156:157], v[3:4], v[168:169], v[162:163]
	v_add_f64 v[137:138], v[144:145], v[137:138]
	v_add_f64 v[148:149], v[146:147], v[148:149]
	ds_read_b128 v[1:4], v186 offset:96
	ds_read_b128 v[144:147], v186 offset:112
	v_fma_f64 v[140:141], v[140:141], v[166:167], -v[150:151]
	v_fma_f64 v[142:143], v[142:143], v[166:167], v[152:153]
	s_waitcnt vmcnt(4) lgkmcnt(1)
	v_mul_f64 v[158:159], v[3:4], v[170:171]
	v_mul_f64 v[160:161], v[1:2], v[170:171]
	v_add_f64 v[137:138], v[137:138], v[154:155]
	v_add_f64 v[148:149], v[148:149], v[156:157]
	s_waitcnt vmcnt(2) lgkmcnt(0)
	v_mul_f64 v[150:151], v[146:147], v[172:173]
	v_mul_f64 v[152:153], v[144:145], v[172:173]
	s_waitcnt vmcnt(0)
	v_fma_f64 v[1:2], v[1:2], v[176:177], -v[158:159]
	v_fma_f64 v[3:4], v[3:4], v[176:177], v[160:161]
	v_add_f64 v[137:138], v[137:138], v[140:141]
	v_add_f64 v[140:141], v[148:149], v[142:143]
	v_fma_f64 v[142:143], v[144:145], v[174:175], -v[150:151]
	v_fma_f64 v[144:145], v[146:147], v[174:175], v[152:153]
	v_add_f64 v[1:2], v[137:138], v[1:2]
	v_add_f64 v[3:4], v[140:141], v[3:4]
	v_mov_b32_e32 v137, s76
	s_mov_b32 s76, s77
	v_add_f64 v[1:2], v[1:2], v[142:143]
	v_add_f64 v[3:4], v[3:4], v[144:145]
	s_andn2_b32 exec_lo, exec_lo, s73
	s_cbranch_execnz .LBB63_403
; %bb.404:
	s_or_b32 exec_lo, exec_lo, s73
.LBB63_405:
	s_or_b32 exec_lo, exec_lo, s4
	v_and_b32_e32 v135, 7, v135
	s_mov_b32 s73, 0
	s_mov_b32 s4, exec_lo
	v_cmpx_ne_u32_e32 0, v135
	s_cbranch_execz .LBB63_409
; %bb.406:
	v_lshlrev_b32_e32 v137, 4, v137
	v_add_nc_u32_e32 v136, 0x400, v137
	.p2align	6
.LBB63_407:                             ; =>This Inner Loop Header: Depth=1
	s_clause 0x3
	buffer_load_dword v144, v137, s[0:3], 0 offen offset:8
	buffer_load_dword v145, v137, s[0:3], 0 offen offset:12
	buffer_load_dword v146, v137, s[0:3], 0 offen
	buffer_load_dword v147, v137, s[0:3], 0 offen offset:4
	ds_read_b128 v[140:143], v136
	v_add_nc_u32_e32 v135, -1, v135
	v_add_nc_u32_e32 v136, 16, v136
	v_add_nc_u32_e32 v137, 16, v137
	v_cmp_eq_u32_e32 vcc_lo, 0, v135
	s_or_b32 s73, vcc_lo, s73
	s_waitcnt vmcnt(2) lgkmcnt(0)
	v_mul_f64 v[148:149], v[142:143], v[144:145]
	v_mul_f64 v[144:145], v[140:141], v[144:145]
	s_waitcnt vmcnt(0)
	v_fma_f64 v[140:141], v[140:141], v[146:147], -v[148:149]
	v_fma_f64 v[142:143], v[142:143], v[146:147], v[144:145]
	v_add_f64 v[1:2], v[1:2], v[140:141]
	v_add_f64 v[3:4], v[3:4], v[142:143]
	s_andn2_b32 exec_lo, exec_lo, s73
	s_cbranch_execnz .LBB63_407
; %bb.408:
	s_or_b32 exec_lo, exec_lo, s73
.LBB63_409:
	s_or_b32 exec_lo, exec_lo, s4
.LBB63_410:
	s_or_b32 exec_lo, exec_lo, s8
	v_mov_b32_e32 v135, 0
	ds_read_b128 v[135:138], v135 offset:528
	s_waitcnt lgkmcnt(0)
	v_mul_f64 v[140:141], v[3:4], v[137:138]
	v_mul_f64 v[137:138], v[1:2], v[137:138]
	v_fma_f64 v[1:2], v[1:2], v[135:136], -v[140:141]
	v_fma_f64 v[3:4], v[3:4], v[135:136], v[137:138]
	buffer_store_dword v2, off, s[0:3], 0 offset:532
	buffer_store_dword v1, off, s[0:3], 0 offset:528
	;; [unrolled: 1-line block ×4, first 2 shown]
.LBB63_411:
	s_or_b32 exec_lo, exec_lo, s6
	v_mov_b32_e32 v4, s41
	v_cmp_lt_u32_e64 s4, 32, v0
	s_clause 0x3
	buffer_load_dword v1, v4, s[0:3], 0 offen
	buffer_load_dword v2, v4, s[0:3], 0 offen offset:4
	buffer_load_dword v3, v4, s[0:3], 0 offen offset:8
	;; [unrolled: 1-line block ×3, first 2 shown]
	s_waitcnt vmcnt(0)
	ds_write_b128 v134, v[1:4]
	s_waitcnt lgkmcnt(0)
	s_waitcnt_vscnt null, 0x0
	s_barrier
	buffer_gl0_inv
	s_and_saveexec_b32 s6, s4
	s_cbranch_execz .LBB63_425
; %bb.412:
	ds_read_b128 v[1:4], v134
	s_andn2_b32 vcc_lo, exec_lo, s7
	s_cbranch_vccnz .LBB63_414
; %bb.413:
	s_clause 0x3
	buffer_load_dword v135, v133, s[0:3], 0 offen offset:8
	buffer_load_dword v136, v133, s[0:3], 0 offen offset:12
	buffer_load_dword v137, v133, s[0:3], 0 offen
	buffer_load_dword v138, v133, s[0:3], 0 offen offset:4
	s_waitcnt vmcnt(2) lgkmcnt(0)
	v_mul_f64 v[140:141], v[3:4], v[135:136]
	v_mul_f64 v[135:136], v[1:2], v[135:136]
	s_waitcnt vmcnt(0)
	v_fma_f64 v[1:2], v[1:2], v[137:138], -v[140:141]
	v_fma_f64 v[3:4], v[3:4], v[137:138], v[135:136]
.LBB63_414:
	s_and_saveexec_b32 s8, s5
	s_cbranch_execz .LBB63_424
; %bb.415:
	v_subrev_nc_u32_e32 v136, 34, v0
	v_mov_b32_e32 v137, 33
	v_subrev_nc_u32_e32 v135, 33, v0
	s_mov_b32 s5, exec_lo
	v_cmpx_lt_u32_e32 6, v136
	s_cbranch_execz .LBB63_419
; %bb.416:
	v_and_b32_e32 v136, -8, v135
	s_movk_i32 s74, 0x610
	s_mov_b32 s73, 0
	s_mov_b32 s75, s40
	;; [unrolled: 1-line block ×3, first 2 shown]
.LBB63_417:                             ; =>This Inner Loop Header: Depth=1
	v_mov_b32_e32 v140, s75
	v_mov_b32_e32 v186, s74
	s_add_i32 s77, s76, 8
	s_add_i32 s76, s76, 41
	v_cmp_eq_u32_e32 vcc_lo, s77, v136
	s_clause 0x1f
	buffer_load_dword v137, v140, s[0:3], 0 offen offset:8
	buffer_load_dword v138, v140, s[0:3], 0 offen offset:12
	buffer_load_dword v148, v140, s[0:3], 0 offen
	buffer_load_dword v149, v140, s[0:3], 0 offen offset:4
	buffer_load_dword v150, v140, s[0:3], 0 offen offset:24
	;; [unrolled: 1-line block ×29, first 2 shown]
	ds_read_b128 v[140:143], v186
	ds_read_b128 v[144:147], v186 offset:16
	s_addk_i32 s74, 0x80
	s_addk_i32 s75, 0x80
	s_or_b32 s73, vcc_lo, s73
	s_waitcnt vmcnt(30) lgkmcnt(1)
	v_mul_f64 v[178:179], v[142:143], v[137:138]
	v_mul_f64 v[137:138], v[140:141], v[137:138]
	s_waitcnt vmcnt(26) lgkmcnt(0)
	v_mul_f64 v[180:181], v[146:147], v[150:151]
	v_mul_f64 v[182:183], v[144:145], v[150:151]
	v_fma_f64 v[178:179], v[140:141], v[148:149], -v[178:179]
	v_fma_f64 v[137:138], v[142:143], v[148:149], v[137:138]
	ds_read_b128 v[140:143], v186 offset:32
	ds_read_b128 v[148:151], v186 offset:48
	s_waitcnt vmcnt(24)
	v_fma_f64 v[144:145], v[144:145], v[152:153], -v[180:181]
	v_fma_f64 v[146:147], v[146:147], v[152:153], v[182:183]
	s_waitcnt vmcnt(22) lgkmcnt(1)
	v_mul_f64 v[184:185], v[142:143], v[154:155]
	v_mul_f64 v[154:155], v[140:141], v[154:155]
	v_add_f64 v[1:2], v[1:2], v[178:179]
	v_add_f64 v[3:4], v[3:4], v[137:138]
	s_waitcnt vmcnt(18) lgkmcnt(0)
	v_mul_f64 v[137:138], v[150:151], v[158:159]
	v_mul_f64 v[152:153], v[148:149], v[158:159]
	v_fma_f64 v[158:159], v[140:141], v[156:157], -v[184:185]
	v_fma_f64 v[154:155], v[142:143], v[156:157], v[154:155]
	v_add_f64 v[144:145], v[1:2], v[144:145]
	v_add_f64 v[146:147], v[3:4], v[146:147]
	ds_read_b128 v[1:4], v186 offset:64
	ds_read_b128 v[140:143], v186 offset:80
	s_waitcnt vmcnt(16)
	v_fma_f64 v[137:138], v[148:149], v[160:161], -v[137:138]
	v_fma_f64 v[148:149], v[150:151], v[160:161], v[152:153]
	s_waitcnt vmcnt(12) lgkmcnt(1)
	v_mul_f64 v[156:157], v[3:4], v[162:163]
	v_mul_f64 v[162:163], v[1:2], v[162:163]
	v_add_f64 v[144:145], v[144:145], v[158:159]
	v_add_f64 v[146:147], v[146:147], v[154:155]
	s_waitcnt vmcnt(10) lgkmcnt(0)
	v_mul_f64 v[150:151], v[142:143], v[164:165]
	v_mul_f64 v[152:153], v[140:141], v[164:165]
	s_waitcnt vmcnt(8)
	v_fma_f64 v[154:155], v[1:2], v[168:169], -v[156:157]
	v_fma_f64 v[156:157], v[3:4], v[168:169], v[162:163]
	v_add_f64 v[137:138], v[144:145], v[137:138]
	v_add_f64 v[148:149], v[146:147], v[148:149]
	ds_read_b128 v[1:4], v186 offset:96
	ds_read_b128 v[144:147], v186 offset:112
	v_fma_f64 v[140:141], v[140:141], v[166:167], -v[150:151]
	v_fma_f64 v[142:143], v[142:143], v[166:167], v[152:153]
	s_waitcnt vmcnt(4) lgkmcnt(1)
	v_mul_f64 v[158:159], v[3:4], v[170:171]
	v_mul_f64 v[160:161], v[1:2], v[170:171]
	v_add_f64 v[137:138], v[137:138], v[154:155]
	v_add_f64 v[148:149], v[148:149], v[156:157]
	s_waitcnt vmcnt(2) lgkmcnt(0)
	v_mul_f64 v[150:151], v[146:147], v[172:173]
	v_mul_f64 v[152:153], v[144:145], v[172:173]
	s_waitcnt vmcnt(0)
	v_fma_f64 v[1:2], v[1:2], v[176:177], -v[158:159]
	v_fma_f64 v[3:4], v[3:4], v[176:177], v[160:161]
	v_add_f64 v[137:138], v[137:138], v[140:141]
	v_add_f64 v[140:141], v[148:149], v[142:143]
	v_fma_f64 v[142:143], v[144:145], v[174:175], -v[150:151]
	v_fma_f64 v[144:145], v[146:147], v[174:175], v[152:153]
	v_add_f64 v[1:2], v[137:138], v[1:2]
	v_add_f64 v[3:4], v[140:141], v[3:4]
	v_mov_b32_e32 v137, s76
	s_mov_b32 s76, s77
	v_add_f64 v[1:2], v[1:2], v[142:143]
	v_add_f64 v[3:4], v[3:4], v[144:145]
	s_andn2_b32 exec_lo, exec_lo, s73
	s_cbranch_execnz .LBB63_417
; %bb.418:
	s_or_b32 exec_lo, exec_lo, s73
.LBB63_419:
	s_or_b32 exec_lo, exec_lo, s5
	v_and_b32_e32 v135, 7, v135
	s_mov_b32 s73, 0
	s_mov_b32 s5, exec_lo
	v_cmpx_ne_u32_e32 0, v135
	s_cbranch_execz .LBB63_423
; %bb.420:
	v_lshlrev_b32_e32 v137, 4, v137
	v_add_nc_u32_e32 v136, 0x400, v137
	.p2align	6
.LBB63_421:                             ; =>This Inner Loop Header: Depth=1
	s_clause 0x3
	buffer_load_dword v144, v137, s[0:3], 0 offen offset:8
	buffer_load_dword v145, v137, s[0:3], 0 offen offset:12
	buffer_load_dword v146, v137, s[0:3], 0 offen
	buffer_load_dword v147, v137, s[0:3], 0 offen offset:4
	ds_read_b128 v[140:143], v136
	v_add_nc_u32_e32 v135, -1, v135
	v_add_nc_u32_e32 v136, 16, v136
	v_add_nc_u32_e32 v137, 16, v137
	v_cmp_eq_u32_e32 vcc_lo, 0, v135
	s_or_b32 s73, vcc_lo, s73
	s_waitcnt vmcnt(2) lgkmcnt(0)
	v_mul_f64 v[148:149], v[142:143], v[144:145]
	v_mul_f64 v[144:145], v[140:141], v[144:145]
	s_waitcnt vmcnt(0)
	v_fma_f64 v[140:141], v[140:141], v[146:147], -v[148:149]
	v_fma_f64 v[142:143], v[142:143], v[146:147], v[144:145]
	v_add_f64 v[1:2], v[1:2], v[140:141]
	v_add_f64 v[3:4], v[3:4], v[142:143]
	s_andn2_b32 exec_lo, exec_lo, s73
	s_cbranch_execnz .LBB63_421
; %bb.422:
	s_or_b32 exec_lo, exec_lo, s73
.LBB63_423:
	s_or_b32 exec_lo, exec_lo, s5
.LBB63_424:
	s_or_b32 exec_lo, exec_lo, s8
	v_mov_b32_e32 v135, 0
	ds_read_b128 v[135:138], v135 offset:512
	s_waitcnt lgkmcnt(0)
	v_mul_f64 v[140:141], v[3:4], v[137:138]
	v_mul_f64 v[137:138], v[1:2], v[137:138]
	v_fma_f64 v[1:2], v[1:2], v[135:136], -v[140:141]
	v_fma_f64 v[3:4], v[3:4], v[135:136], v[137:138]
	buffer_store_dword v2, off, s[0:3], 0 offset:516
	buffer_store_dword v1, off, s[0:3], 0 offset:512
	;; [unrolled: 1-line block ×4, first 2 shown]
.LBB63_425:
	s_or_b32 exec_lo, exec_lo, s6
	v_mov_b32_e32 v4, s42
	v_cmp_lt_u32_e64 s5, 31, v0
	s_clause 0x3
	buffer_load_dword v1, v4, s[0:3], 0 offen
	buffer_load_dword v2, v4, s[0:3], 0 offen offset:4
	buffer_load_dword v3, v4, s[0:3], 0 offen offset:8
	;; [unrolled: 1-line block ×3, first 2 shown]
	s_waitcnt vmcnt(0)
	ds_write_b128 v134, v[1:4]
	s_waitcnt lgkmcnt(0)
	s_waitcnt_vscnt null, 0x0
	s_barrier
	buffer_gl0_inv
	s_and_saveexec_b32 s6, s5
	s_cbranch_execz .LBB63_439
; %bb.426:
	ds_read_b128 v[1:4], v134
	s_andn2_b32 vcc_lo, exec_lo, s7
	s_cbranch_vccnz .LBB63_428
; %bb.427:
	s_clause 0x3
	buffer_load_dword v135, v133, s[0:3], 0 offen offset:8
	buffer_load_dword v136, v133, s[0:3], 0 offen offset:12
	buffer_load_dword v137, v133, s[0:3], 0 offen
	buffer_load_dword v138, v133, s[0:3], 0 offen offset:4
	s_waitcnt vmcnt(2) lgkmcnt(0)
	v_mul_f64 v[140:141], v[3:4], v[135:136]
	v_mul_f64 v[135:136], v[1:2], v[135:136]
	s_waitcnt vmcnt(0)
	v_fma_f64 v[1:2], v[1:2], v[137:138], -v[140:141]
	v_fma_f64 v[3:4], v[3:4], v[137:138], v[135:136]
.LBB63_428:
	s_and_saveexec_b32 s8, s4
	s_cbranch_execz .LBB63_438
; %bb.429:
	v_subrev_nc_u32_e32 v135, 33, v0
	v_cmp_lt_u32_e32 vcc_lo, 6, v135
	v_mov_b32_e32 v135, 32
	s_and_saveexec_b32 s4, vcc_lo
	s_cbranch_execz .LBB63_433
; %bb.430:
	v_and_b32_e32 v135, 56, v0
	s_mov_b32 s73, 32
	s_movk_i32 s75, 0x600
	s_mov_b32 s74, 0
	s_mov_b32 s76, s41
.LBB63_431:                             ; =>This Inner Loop Header: Depth=1
	v_mov_b32_e32 v138, s76
	s_add_i32 s73, s73, 8
	s_addk_i32 s76, 0x80
	v_cmp_eq_u32_e32 vcc_lo, s73, v135
	s_clause 0x1f
	buffer_load_dword v136, v138, s[0:3], 0 offen offset:8
	buffer_load_dword v137, v138, s[0:3], 0 offen offset:12
	buffer_load_dword v148, v138, s[0:3], 0 offen
	buffer_load_dword v149, v138, s[0:3], 0 offen offset:4
	buffer_load_dword v150, v138, s[0:3], 0 offen offset:24
	;; [unrolled: 1-line block ×29, first 2 shown]
	v_mov_b32_e32 v138, s75
	s_addk_i32 s75, 0x80
	s_or_b32 s74, vcc_lo, s74
	ds_read_b128 v[140:143], v138
	ds_read_b128 v[144:147], v138 offset:16
	s_waitcnt vmcnt(30) lgkmcnt(1)
	v_mul_f64 v[178:179], v[142:143], v[136:137]
	v_mul_f64 v[136:137], v[140:141], v[136:137]
	s_waitcnt vmcnt(26) lgkmcnt(0)
	v_mul_f64 v[180:181], v[146:147], v[150:151]
	v_mul_f64 v[182:183], v[144:145], v[150:151]
	v_fma_f64 v[178:179], v[140:141], v[148:149], -v[178:179]
	v_fma_f64 v[136:137], v[142:143], v[148:149], v[136:137]
	ds_read_b128 v[140:143], v138 offset:32
	ds_read_b128 v[148:151], v138 offset:48
	s_waitcnt vmcnt(24)
	v_fma_f64 v[144:145], v[144:145], v[152:153], -v[180:181]
	v_fma_f64 v[146:147], v[146:147], v[152:153], v[182:183]
	s_waitcnt vmcnt(22) lgkmcnt(1)
	v_mul_f64 v[184:185], v[142:143], v[154:155]
	v_mul_f64 v[154:155], v[140:141], v[154:155]
	v_add_f64 v[1:2], v[1:2], v[178:179]
	v_add_f64 v[3:4], v[3:4], v[136:137]
	s_waitcnt vmcnt(18) lgkmcnt(0)
	v_mul_f64 v[136:137], v[150:151], v[158:159]
	v_mul_f64 v[152:153], v[148:149], v[158:159]
	v_fma_f64 v[158:159], v[140:141], v[156:157], -v[184:185]
	v_fma_f64 v[154:155], v[142:143], v[156:157], v[154:155]
	v_add_f64 v[144:145], v[1:2], v[144:145]
	v_add_f64 v[146:147], v[3:4], v[146:147]
	ds_read_b128 v[1:4], v138 offset:64
	ds_read_b128 v[140:143], v138 offset:80
	s_waitcnt vmcnt(16)
	v_fma_f64 v[136:137], v[148:149], v[160:161], -v[136:137]
	v_fma_f64 v[148:149], v[150:151], v[160:161], v[152:153]
	s_waitcnt vmcnt(12) lgkmcnt(1)
	v_mul_f64 v[156:157], v[3:4], v[162:163]
	v_mul_f64 v[162:163], v[1:2], v[162:163]
	v_add_f64 v[144:145], v[144:145], v[158:159]
	v_add_f64 v[146:147], v[146:147], v[154:155]
	s_waitcnt vmcnt(10) lgkmcnt(0)
	v_mul_f64 v[150:151], v[142:143], v[164:165]
	v_mul_f64 v[152:153], v[140:141], v[164:165]
	s_waitcnt vmcnt(8)
	v_fma_f64 v[154:155], v[1:2], v[168:169], -v[156:157]
	v_fma_f64 v[156:157], v[3:4], v[168:169], v[162:163]
	v_add_f64 v[136:137], v[144:145], v[136:137]
	v_add_f64 v[148:149], v[146:147], v[148:149]
	ds_read_b128 v[1:4], v138 offset:96
	ds_read_b128 v[144:147], v138 offset:112
	v_fma_f64 v[140:141], v[140:141], v[166:167], -v[150:151]
	v_fma_f64 v[142:143], v[142:143], v[166:167], v[152:153]
	s_waitcnt vmcnt(4) lgkmcnt(1)
	v_mul_f64 v[158:159], v[3:4], v[170:171]
	v_mul_f64 v[160:161], v[1:2], v[170:171]
	v_add_f64 v[136:137], v[136:137], v[154:155]
	v_add_f64 v[148:149], v[148:149], v[156:157]
	s_waitcnt vmcnt(2) lgkmcnt(0)
	v_mul_f64 v[150:151], v[146:147], v[172:173]
	v_mul_f64 v[152:153], v[144:145], v[172:173]
	s_waitcnt vmcnt(0)
	v_fma_f64 v[1:2], v[1:2], v[176:177], -v[158:159]
	v_fma_f64 v[3:4], v[3:4], v[176:177], v[160:161]
	v_add_f64 v[136:137], v[136:137], v[140:141]
	v_add_f64 v[140:141], v[148:149], v[142:143]
	v_fma_f64 v[142:143], v[144:145], v[174:175], -v[150:151]
	v_fma_f64 v[144:145], v[146:147], v[174:175], v[152:153]
	v_add_f64 v[1:2], v[136:137], v[1:2]
	v_add_f64 v[3:4], v[140:141], v[3:4]
	;; [unrolled: 1-line block ×4, first 2 shown]
	s_andn2_b32 exec_lo, exec_lo, s74
	s_cbranch_execnz .LBB63_431
; %bb.432:
	s_or_b32 exec_lo, exec_lo, s74
.LBB63_433:
	s_or_b32 exec_lo, exec_lo, s4
	v_and_b32_e32 v136, 7, v0
	s_mov_b32 s73, 0
	s_mov_b32 s4, exec_lo
	v_cmpx_ne_u32_e32 0, v136
	s_cbranch_execz .LBB63_437
; %bb.434:
	v_lshlrev_b32_e32 v137, 4, v135
	v_or_b32_e32 v135, 0x400, v137
	.p2align	6
.LBB63_435:                             ; =>This Inner Loop Header: Depth=1
	s_clause 0x3
	buffer_load_dword v144, v137, s[0:3], 0 offen offset:8
	buffer_load_dword v145, v137, s[0:3], 0 offen offset:12
	buffer_load_dword v146, v137, s[0:3], 0 offen
	buffer_load_dword v147, v137, s[0:3], 0 offen offset:4
	ds_read_b128 v[140:143], v135
	v_add_nc_u32_e32 v136, -1, v136
	v_add_nc_u32_e32 v135, 16, v135
	v_add_nc_u32_e32 v137, 16, v137
	v_cmp_eq_u32_e32 vcc_lo, 0, v136
	s_or_b32 s73, vcc_lo, s73
	s_waitcnt vmcnt(2) lgkmcnt(0)
	v_mul_f64 v[148:149], v[142:143], v[144:145]
	v_mul_f64 v[144:145], v[140:141], v[144:145]
	s_waitcnt vmcnt(0)
	v_fma_f64 v[140:141], v[140:141], v[146:147], -v[148:149]
	v_fma_f64 v[142:143], v[142:143], v[146:147], v[144:145]
	v_add_f64 v[1:2], v[1:2], v[140:141]
	v_add_f64 v[3:4], v[3:4], v[142:143]
	s_andn2_b32 exec_lo, exec_lo, s73
	s_cbranch_execnz .LBB63_435
; %bb.436:
	s_or_b32 exec_lo, exec_lo, s73
.LBB63_437:
	s_or_b32 exec_lo, exec_lo, s4
.LBB63_438:
	s_or_b32 exec_lo, exec_lo, s8
	v_mov_b32_e32 v135, 0
	ds_read_b128 v[135:138], v135 offset:496
	s_waitcnt lgkmcnt(0)
	v_mul_f64 v[140:141], v[3:4], v[137:138]
	v_mul_f64 v[137:138], v[1:2], v[137:138]
	v_fma_f64 v[1:2], v[1:2], v[135:136], -v[140:141]
	v_fma_f64 v[3:4], v[3:4], v[135:136], v[137:138]
	buffer_store_dword v2, off, s[0:3], 0 offset:500
	buffer_store_dword v1, off, s[0:3], 0 offset:496
	;; [unrolled: 1-line block ×4, first 2 shown]
.LBB63_439:
	s_or_b32 exec_lo, exec_lo, s6
	v_mov_b32_e32 v4, s43
	v_cmp_lt_u32_e64 s4, 30, v0
	s_clause 0x3
	buffer_load_dword v1, v4, s[0:3], 0 offen
	buffer_load_dword v2, v4, s[0:3], 0 offen offset:4
	buffer_load_dword v3, v4, s[0:3], 0 offen offset:8
	;; [unrolled: 1-line block ×3, first 2 shown]
	s_waitcnt vmcnt(0)
	ds_write_b128 v134, v[1:4]
	s_waitcnt lgkmcnt(0)
	s_waitcnt_vscnt null, 0x0
	s_barrier
	buffer_gl0_inv
	s_and_saveexec_b32 s6, s4
	s_cbranch_execz .LBB63_453
; %bb.440:
	ds_read_b128 v[1:4], v134
	s_andn2_b32 vcc_lo, exec_lo, s7
	s_cbranch_vccnz .LBB63_442
; %bb.441:
	s_clause 0x3
	buffer_load_dword v135, v133, s[0:3], 0 offen offset:8
	buffer_load_dword v136, v133, s[0:3], 0 offen offset:12
	buffer_load_dword v137, v133, s[0:3], 0 offen
	buffer_load_dword v138, v133, s[0:3], 0 offen offset:4
	s_waitcnt vmcnt(2) lgkmcnt(0)
	v_mul_f64 v[140:141], v[3:4], v[135:136]
	v_mul_f64 v[135:136], v[1:2], v[135:136]
	s_waitcnt vmcnt(0)
	v_fma_f64 v[1:2], v[1:2], v[137:138], -v[140:141]
	v_fma_f64 v[3:4], v[3:4], v[137:138], v[135:136]
.LBB63_442:
	s_and_saveexec_b32 s8, s5
	s_cbranch_execz .LBB63_452
; %bb.443:
	v_subrev_nc_u32_e32 v136, 32, v0
	v_mov_b32_e32 v137, 31
	v_subrev_nc_u32_e32 v135, 31, v0
	s_mov_b32 s5, exec_lo
	v_cmpx_lt_u32_e32 6, v136
	s_cbranch_execz .LBB63_447
; %bb.444:
	v_and_b32_e32 v136, -8, v135
	s_movk_i32 s74, 0x5f0
	s_mov_b32 s73, 0
	s_mov_b32 s75, s42
	;; [unrolled: 1-line block ×3, first 2 shown]
.LBB63_445:                             ; =>This Inner Loop Header: Depth=1
	v_mov_b32_e32 v140, s75
	v_mov_b32_e32 v186, s74
	s_add_i32 s77, s76, 8
	s_add_i32 s76, s76, 39
	v_cmp_eq_u32_e32 vcc_lo, s77, v136
	s_clause 0x1f
	buffer_load_dword v137, v140, s[0:3], 0 offen offset:8
	buffer_load_dword v138, v140, s[0:3], 0 offen offset:12
	buffer_load_dword v148, v140, s[0:3], 0 offen
	buffer_load_dword v149, v140, s[0:3], 0 offen offset:4
	buffer_load_dword v150, v140, s[0:3], 0 offen offset:24
	buffer_load_dword v151, v140, s[0:3], 0 offen offset:28
	buffer_load_dword v152, v140, s[0:3], 0 offen offset:16
	buffer_load_dword v153, v140, s[0:3], 0 offen offset:20
	buffer_load_dword v154, v140, s[0:3], 0 offen offset:40
	buffer_load_dword v155, v140, s[0:3], 0 offen offset:44
	buffer_load_dword v156, v140, s[0:3], 0 offen offset:32
	buffer_load_dword v157, v140, s[0:3], 0 offen offset:36
	buffer_load_dword v158, v140, s[0:3], 0 offen offset:56
	buffer_load_dword v159, v140, s[0:3], 0 offen offset:60
	buffer_load_dword v160, v140, s[0:3], 0 offen offset:48
	buffer_load_dword v161, v140, s[0:3], 0 offen offset:52
	buffer_load_dword v163, v140, s[0:3], 0 offen offset:76
	buffer_load_dword v164, v140, s[0:3], 0 offen offset:88
	buffer_load_dword v166, v140, s[0:3], 0 offen offset:80
	buffer_load_dword v162, v140, s[0:3], 0 offen offset:72
	buffer_load_dword v167, v140, s[0:3], 0 offen offset:84
	buffer_load_dword v165, v140, s[0:3], 0 offen offset:92
	buffer_load_dword v169, v140, s[0:3], 0 offen offset:68
	buffer_load_dword v168, v140, s[0:3], 0 offen offset:64
	buffer_load_dword v171, v140, s[0:3], 0 offen offset:108
	buffer_load_dword v172, v140, s[0:3], 0 offen offset:120
	buffer_load_dword v174, v140, s[0:3], 0 offen offset:112
	buffer_load_dword v170, v140, s[0:3], 0 offen offset:104
	buffer_load_dword v175, v140, s[0:3], 0 offen offset:116
	buffer_load_dword v173, v140, s[0:3], 0 offen offset:124
	buffer_load_dword v177, v140, s[0:3], 0 offen offset:100
	buffer_load_dword v176, v140, s[0:3], 0 offen offset:96
	ds_read_b128 v[140:143], v186
	ds_read_b128 v[144:147], v186 offset:16
	s_addk_i32 s74, 0x80
	s_addk_i32 s75, 0x80
	s_or_b32 s73, vcc_lo, s73
	s_waitcnt vmcnt(30) lgkmcnt(1)
	v_mul_f64 v[178:179], v[142:143], v[137:138]
	v_mul_f64 v[137:138], v[140:141], v[137:138]
	s_waitcnt vmcnt(26) lgkmcnt(0)
	v_mul_f64 v[180:181], v[146:147], v[150:151]
	v_mul_f64 v[182:183], v[144:145], v[150:151]
	v_fma_f64 v[178:179], v[140:141], v[148:149], -v[178:179]
	v_fma_f64 v[137:138], v[142:143], v[148:149], v[137:138]
	ds_read_b128 v[140:143], v186 offset:32
	ds_read_b128 v[148:151], v186 offset:48
	s_waitcnt vmcnt(24)
	v_fma_f64 v[144:145], v[144:145], v[152:153], -v[180:181]
	v_fma_f64 v[146:147], v[146:147], v[152:153], v[182:183]
	s_waitcnt vmcnt(22) lgkmcnt(1)
	v_mul_f64 v[184:185], v[142:143], v[154:155]
	v_mul_f64 v[154:155], v[140:141], v[154:155]
	v_add_f64 v[1:2], v[1:2], v[178:179]
	v_add_f64 v[3:4], v[3:4], v[137:138]
	s_waitcnt vmcnt(18) lgkmcnt(0)
	v_mul_f64 v[137:138], v[150:151], v[158:159]
	v_mul_f64 v[152:153], v[148:149], v[158:159]
	v_fma_f64 v[158:159], v[140:141], v[156:157], -v[184:185]
	v_fma_f64 v[154:155], v[142:143], v[156:157], v[154:155]
	v_add_f64 v[144:145], v[1:2], v[144:145]
	v_add_f64 v[146:147], v[3:4], v[146:147]
	ds_read_b128 v[1:4], v186 offset:64
	ds_read_b128 v[140:143], v186 offset:80
	s_waitcnt vmcnt(16)
	v_fma_f64 v[137:138], v[148:149], v[160:161], -v[137:138]
	v_fma_f64 v[148:149], v[150:151], v[160:161], v[152:153]
	s_waitcnt vmcnt(12) lgkmcnt(1)
	v_mul_f64 v[156:157], v[3:4], v[162:163]
	v_mul_f64 v[162:163], v[1:2], v[162:163]
	v_add_f64 v[144:145], v[144:145], v[158:159]
	v_add_f64 v[146:147], v[146:147], v[154:155]
	s_waitcnt vmcnt(10) lgkmcnt(0)
	v_mul_f64 v[150:151], v[142:143], v[164:165]
	v_mul_f64 v[152:153], v[140:141], v[164:165]
	s_waitcnt vmcnt(8)
	v_fma_f64 v[154:155], v[1:2], v[168:169], -v[156:157]
	v_fma_f64 v[156:157], v[3:4], v[168:169], v[162:163]
	v_add_f64 v[137:138], v[144:145], v[137:138]
	v_add_f64 v[148:149], v[146:147], v[148:149]
	ds_read_b128 v[1:4], v186 offset:96
	ds_read_b128 v[144:147], v186 offset:112
	v_fma_f64 v[140:141], v[140:141], v[166:167], -v[150:151]
	v_fma_f64 v[142:143], v[142:143], v[166:167], v[152:153]
	s_waitcnt vmcnt(4) lgkmcnt(1)
	v_mul_f64 v[158:159], v[3:4], v[170:171]
	v_mul_f64 v[160:161], v[1:2], v[170:171]
	v_add_f64 v[137:138], v[137:138], v[154:155]
	v_add_f64 v[148:149], v[148:149], v[156:157]
	s_waitcnt vmcnt(2) lgkmcnt(0)
	v_mul_f64 v[150:151], v[146:147], v[172:173]
	v_mul_f64 v[152:153], v[144:145], v[172:173]
	s_waitcnt vmcnt(0)
	v_fma_f64 v[1:2], v[1:2], v[176:177], -v[158:159]
	v_fma_f64 v[3:4], v[3:4], v[176:177], v[160:161]
	v_add_f64 v[137:138], v[137:138], v[140:141]
	v_add_f64 v[140:141], v[148:149], v[142:143]
	v_fma_f64 v[142:143], v[144:145], v[174:175], -v[150:151]
	v_fma_f64 v[144:145], v[146:147], v[174:175], v[152:153]
	v_add_f64 v[1:2], v[137:138], v[1:2]
	v_add_f64 v[3:4], v[140:141], v[3:4]
	v_mov_b32_e32 v137, s76
	s_mov_b32 s76, s77
	v_add_f64 v[1:2], v[1:2], v[142:143]
	v_add_f64 v[3:4], v[3:4], v[144:145]
	s_andn2_b32 exec_lo, exec_lo, s73
	s_cbranch_execnz .LBB63_445
; %bb.446:
	s_or_b32 exec_lo, exec_lo, s73
.LBB63_447:
	s_or_b32 exec_lo, exec_lo, s5
	v_and_b32_e32 v135, 7, v135
	s_mov_b32 s73, 0
	s_mov_b32 s5, exec_lo
	v_cmpx_ne_u32_e32 0, v135
	s_cbranch_execz .LBB63_451
; %bb.448:
	v_lshlrev_b32_e32 v137, 4, v137
	v_add_nc_u32_e32 v136, 0x400, v137
	.p2align	6
.LBB63_449:                             ; =>This Inner Loop Header: Depth=1
	s_clause 0x3
	buffer_load_dword v144, v137, s[0:3], 0 offen offset:8
	buffer_load_dword v145, v137, s[0:3], 0 offen offset:12
	buffer_load_dword v146, v137, s[0:3], 0 offen
	buffer_load_dword v147, v137, s[0:3], 0 offen offset:4
	ds_read_b128 v[140:143], v136
	v_add_nc_u32_e32 v135, -1, v135
	v_add_nc_u32_e32 v136, 16, v136
	v_add_nc_u32_e32 v137, 16, v137
	v_cmp_eq_u32_e32 vcc_lo, 0, v135
	s_or_b32 s73, vcc_lo, s73
	s_waitcnt vmcnt(2) lgkmcnt(0)
	v_mul_f64 v[148:149], v[142:143], v[144:145]
	v_mul_f64 v[144:145], v[140:141], v[144:145]
	s_waitcnt vmcnt(0)
	v_fma_f64 v[140:141], v[140:141], v[146:147], -v[148:149]
	v_fma_f64 v[142:143], v[142:143], v[146:147], v[144:145]
	v_add_f64 v[1:2], v[1:2], v[140:141]
	v_add_f64 v[3:4], v[3:4], v[142:143]
	s_andn2_b32 exec_lo, exec_lo, s73
	s_cbranch_execnz .LBB63_449
; %bb.450:
	s_or_b32 exec_lo, exec_lo, s73
.LBB63_451:
	s_or_b32 exec_lo, exec_lo, s5
.LBB63_452:
	s_or_b32 exec_lo, exec_lo, s8
	v_mov_b32_e32 v135, 0
	ds_read_b128 v[135:138], v135 offset:480
	s_waitcnt lgkmcnt(0)
	v_mul_f64 v[140:141], v[3:4], v[137:138]
	v_mul_f64 v[137:138], v[1:2], v[137:138]
	v_fma_f64 v[1:2], v[1:2], v[135:136], -v[140:141]
	v_fma_f64 v[3:4], v[3:4], v[135:136], v[137:138]
	buffer_store_dword v2, off, s[0:3], 0 offset:484
	buffer_store_dword v1, off, s[0:3], 0 offset:480
	;; [unrolled: 1-line block ×4, first 2 shown]
.LBB63_453:
	s_or_b32 exec_lo, exec_lo, s6
	v_mov_b32_e32 v4, s44
	v_cmp_lt_u32_e64 s5, 29, v0
	s_clause 0x3
	buffer_load_dword v1, v4, s[0:3], 0 offen
	buffer_load_dword v2, v4, s[0:3], 0 offen offset:4
	buffer_load_dword v3, v4, s[0:3], 0 offen offset:8
	;; [unrolled: 1-line block ×3, first 2 shown]
	s_waitcnt vmcnt(0)
	ds_write_b128 v134, v[1:4]
	s_waitcnt lgkmcnt(0)
	s_waitcnt_vscnt null, 0x0
	s_barrier
	buffer_gl0_inv
	s_and_saveexec_b32 s6, s5
	s_cbranch_execz .LBB63_467
; %bb.454:
	ds_read_b128 v[1:4], v134
	s_andn2_b32 vcc_lo, exec_lo, s7
	s_cbranch_vccnz .LBB63_456
; %bb.455:
	s_clause 0x3
	buffer_load_dword v135, v133, s[0:3], 0 offen offset:8
	buffer_load_dword v136, v133, s[0:3], 0 offen offset:12
	buffer_load_dword v137, v133, s[0:3], 0 offen
	buffer_load_dword v138, v133, s[0:3], 0 offen offset:4
	s_waitcnt vmcnt(2) lgkmcnt(0)
	v_mul_f64 v[140:141], v[3:4], v[135:136]
	v_mul_f64 v[135:136], v[1:2], v[135:136]
	s_waitcnt vmcnt(0)
	v_fma_f64 v[1:2], v[1:2], v[137:138], -v[140:141]
	v_fma_f64 v[3:4], v[3:4], v[137:138], v[135:136]
.LBB63_456:
	s_and_saveexec_b32 s8, s4
	s_cbranch_execz .LBB63_466
; %bb.457:
	v_subrev_nc_u32_e32 v136, 31, v0
	v_mov_b32_e32 v137, 30
	v_subrev_nc_u32_e32 v135, 30, v0
	s_mov_b32 s4, exec_lo
	v_cmpx_lt_u32_e32 6, v136
	s_cbranch_execz .LBB63_461
; %bb.458:
	v_and_b32_e32 v136, -8, v135
	s_movk_i32 s74, 0x5e0
	s_mov_b32 s73, 0
	s_mov_b32 s75, s43
	;; [unrolled: 1-line block ×3, first 2 shown]
.LBB63_459:                             ; =>This Inner Loop Header: Depth=1
	v_mov_b32_e32 v140, s75
	v_mov_b32_e32 v186, s74
	s_add_i32 s77, s76, 8
	s_add_i32 s76, s76, 38
	v_cmp_eq_u32_e32 vcc_lo, s77, v136
	s_clause 0x1f
	buffer_load_dword v137, v140, s[0:3], 0 offen offset:8
	buffer_load_dword v138, v140, s[0:3], 0 offen offset:12
	buffer_load_dword v148, v140, s[0:3], 0 offen
	buffer_load_dword v149, v140, s[0:3], 0 offen offset:4
	buffer_load_dword v150, v140, s[0:3], 0 offen offset:24
	;; [unrolled: 1-line block ×29, first 2 shown]
	ds_read_b128 v[140:143], v186
	ds_read_b128 v[144:147], v186 offset:16
	s_addk_i32 s74, 0x80
	s_addk_i32 s75, 0x80
	s_or_b32 s73, vcc_lo, s73
	s_waitcnt vmcnt(30) lgkmcnt(1)
	v_mul_f64 v[178:179], v[142:143], v[137:138]
	v_mul_f64 v[137:138], v[140:141], v[137:138]
	s_waitcnt vmcnt(26) lgkmcnt(0)
	v_mul_f64 v[180:181], v[146:147], v[150:151]
	v_mul_f64 v[182:183], v[144:145], v[150:151]
	v_fma_f64 v[178:179], v[140:141], v[148:149], -v[178:179]
	v_fma_f64 v[137:138], v[142:143], v[148:149], v[137:138]
	ds_read_b128 v[140:143], v186 offset:32
	ds_read_b128 v[148:151], v186 offset:48
	s_waitcnt vmcnt(24)
	v_fma_f64 v[144:145], v[144:145], v[152:153], -v[180:181]
	v_fma_f64 v[146:147], v[146:147], v[152:153], v[182:183]
	s_waitcnt vmcnt(22) lgkmcnt(1)
	v_mul_f64 v[184:185], v[142:143], v[154:155]
	v_mul_f64 v[154:155], v[140:141], v[154:155]
	v_add_f64 v[1:2], v[1:2], v[178:179]
	v_add_f64 v[3:4], v[3:4], v[137:138]
	s_waitcnt vmcnt(18) lgkmcnt(0)
	v_mul_f64 v[137:138], v[150:151], v[158:159]
	v_mul_f64 v[152:153], v[148:149], v[158:159]
	v_fma_f64 v[158:159], v[140:141], v[156:157], -v[184:185]
	v_fma_f64 v[154:155], v[142:143], v[156:157], v[154:155]
	v_add_f64 v[144:145], v[1:2], v[144:145]
	v_add_f64 v[146:147], v[3:4], v[146:147]
	ds_read_b128 v[1:4], v186 offset:64
	ds_read_b128 v[140:143], v186 offset:80
	s_waitcnt vmcnt(16)
	v_fma_f64 v[137:138], v[148:149], v[160:161], -v[137:138]
	v_fma_f64 v[148:149], v[150:151], v[160:161], v[152:153]
	s_waitcnt vmcnt(12) lgkmcnt(1)
	v_mul_f64 v[156:157], v[3:4], v[162:163]
	v_mul_f64 v[162:163], v[1:2], v[162:163]
	v_add_f64 v[144:145], v[144:145], v[158:159]
	v_add_f64 v[146:147], v[146:147], v[154:155]
	s_waitcnt vmcnt(10) lgkmcnt(0)
	v_mul_f64 v[150:151], v[142:143], v[164:165]
	v_mul_f64 v[152:153], v[140:141], v[164:165]
	s_waitcnt vmcnt(8)
	v_fma_f64 v[154:155], v[1:2], v[168:169], -v[156:157]
	v_fma_f64 v[156:157], v[3:4], v[168:169], v[162:163]
	v_add_f64 v[137:138], v[144:145], v[137:138]
	v_add_f64 v[148:149], v[146:147], v[148:149]
	ds_read_b128 v[1:4], v186 offset:96
	ds_read_b128 v[144:147], v186 offset:112
	v_fma_f64 v[140:141], v[140:141], v[166:167], -v[150:151]
	v_fma_f64 v[142:143], v[142:143], v[166:167], v[152:153]
	s_waitcnt vmcnt(4) lgkmcnt(1)
	v_mul_f64 v[158:159], v[3:4], v[170:171]
	v_mul_f64 v[160:161], v[1:2], v[170:171]
	v_add_f64 v[137:138], v[137:138], v[154:155]
	v_add_f64 v[148:149], v[148:149], v[156:157]
	s_waitcnt vmcnt(2) lgkmcnt(0)
	v_mul_f64 v[150:151], v[146:147], v[172:173]
	v_mul_f64 v[152:153], v[144:145], v[172:173]
	s_waitcnt vmcnt(0)
	v_fma_f64 v[1:2], v[1:2], v[176:177], -v[158:159]
	v_fma_f64 v[3:4], v[3:4], v[176:177], v[160:161]
	v_add_f64 v[137:138], v[137:138], v[140:141]
	v_add_f64 v[140:141], v[148:149], v[142:143]
	v_fma_f64 v[142:143], v[144:145], v[174:175], -v[150:151]
	v_fma_f64 v[144:145], v[146:147], v[174:175], v[152:153]
	v_add_f64 v[1:2], v[137:138], v[1:2]
	v_add_f64 v[3:4], v[140:141], v[3:4]
	v_mov_b32_e32 v137, s76
	s_mov_b32 s76, s77
	v_add_f64 v[1:2], v[1:2], v[142:143]
	v_add_f64 v[3:4], v[3:4], v[144:145]
	s_andn2_b32 exec_lo, exec_lo, s73
	s_cbranch_execnz .LBB63_459
; %bb.460:
	s_or_b32 exec_lo, exec_lo, s73
.LBB63_461:
	s_or_b32 exec_lo, exec_lo, s4
	v_and_b32_e32 v135, 7, v135
	s_mov_b32 s73, 0
	s_mov_b32 s4, exec_lo
	v_cmpx_ne_u32_e32 0, v135
	s_cbranch_execz .LBB63_465
; %bb.462:
	v_lshlrev_b32_e32 v137, 4, v137
	v_add_nc_u32_e32 v136, 0x400, v137
	.p2align	6
.LBB63_463:                             ; =>This Inner Loop Header: Depth=1
	s_clause 0x3
	buffer_load_dword v144, v137, s[0:3], 0 offen offset:8
	buffer_load_dword v145, v137, s[0:3], 0 offen offset:12
	buffer_load_dword v146, v137, s[0:3], 0 offen
	buffer_load_dword v147, v137, s[0:3], 0 offen offset:4
	ds_read_b128 v[140:143], v136
	v_add_nc_u32_e32 v135, -1, v135
	v_add_nc_u32_e32 v136, 16, v136
	v_add_nc_u32_e32 v137, 16, v137
	v_cmp_eq_u32_e32 vcc_lo, 0, v135
	s_or_b32 s73, vcc_lo, s73
	s_waitcnt vmcnt(2) lgkmcnt(0)
	v_mul_f64 v[148:149], v[142:143], v[144:145]
	v_mul_f64 v[144:145], v[140:141], v[144:145]
	s_waitcnt vmcnt(0)
	v_fma_f64 v[140:141], v[140:141], v[146:147], -v[148:149]
	v_fma_f64 v[142:143], v[142:143], v[146:147], v[144:145]
	v_add_f64 v[1:2], v[1:2], v[140:141]
	v_add_f64 v[3:4], v[3:4], v[142:143]
	s_andn2_b32 exec_lo, exec_lo, s73
	s_cbranch_execnz .LBB63_463
; %bb.464:
	s_or_b32 exec_lo, exec_lo, s73
.LBB63_465:
	s_or_b32 exec_lo, exec_lo, s4
.LBB63_466:
	s_or_b32 exec_lo, exec_lo, s8
	v_mov_b32_e32 v135, 0
	ds_read_b128 v[135:138], v135 offset:464
	s_waitcnt lgkmcnt(0)
	v_mul_f64 v[140:141], v[3:4], v[137:138]
	v_mul_f64 v[137:138], v[1:2], v[137:138]
	v_fma_f64 v[1:2], v[1:2], v[135:136], -v[140:141]
	v_fma_f64 v[3:4], v[3:4], v[135:136], v[137:138]
	buffer_store_dword v2, off, s[0:3], 0 offset:468
	buffer_store_dword v1, off, s[0:3], 0 offset:464
	;; [unrolled: 1-line block ×4, first 2 shown]
.LBB63_467:
	s_or_b32 exec_lo, exec_lo, s6
	v_mov_b32_e32 v4, s45
	v_cmp_lt_u32_e64 s4, 28, v0
	s_clause 0x3
	buffer_load_dword v1, v4, s[0:3], 0 offen
	buffer_load_dword v2, v4, s[0:3], 0 offen offset:4
	buffer_load_dword v3, v4, s[0:3], 0 offen offset:8
	;; [unrolled: 1-line block ×3, first 2 shown]
	s_waitcnt vmcnt(0)
	ds_write_b128 v134, v[1:4]
	s_waitcnt lgkmcnt(0)
	s_waitcnt_vscnt null, 0x0
	s_barrier
	buffer_gl0_inv
	s_and_saveexec_b32 s6, s4
	s_cbranch_execz .LBB63_481
; %bb.468:
	ds_read_b128 v[1:4], v134
	s_andn2_b32 vcc_lo, exec_lo, s7
	s_cbranch_vccnz .LBB63_470
; %bb.469:
	s_clause 0x3
	buffer_load_dword v135, v133, s[0:3], 0 offen offset:8
	buffer_load_dword v136, v133, s[0:3], 0 offen offset:12
	buffer_load_dword v137, v133, s[0:3], 0 offen
	buffer_load_dword v138, v133, s[0:3], 0 offen offset:4
	s_waitcnt vmcnt(2) lgkmcnt(0)
	v_mul_f64 v[140:141], v[3:4], v[135:136]
	v_mul_f64 v[135:136], v[1:2], v[135:136]
	s_waitcnt vmcnt(0)
	v_fma_f64 v[1:2], v[1:2], v[137:138], -v[140:141]
	v_fma_f64 v[3:4], v[3:4], v[137:138], v[135:136]
.LBB63_470:
	s_and_saveexec_b32 s8, s5
	s_cbranch_execz .LBB63_480
; %bb.471:
	v_subrev_nc_u32_e32 v136, 30, v0
	v_mov_b32_e32 v137, 29
	v_subrev_nc_u32_e32 v135, 29, v0
	s_mov_b32 s5, exec_lo
	v_cmpx_lt_u32_e32 6, v136
	s_cbranch_execz .LBB63_475
; %bb.472:
	v_and_b32_e32 v136, -8, v135
	s_movk_i32 s74, 0x5d0
	s_mov_b32 s73, 0
	s_mov_b32 s75, s44
	;; [unrolled: 1-line block ×3, first 2 shown]
.LBB63_473:                             ; =>This Inner Loop Header: Depth=1
	v_mov_b32_e32 v140, s75
	v_mov_b32_e32 v186, s74
	s_add_i32 s77, s76, 8
	s_add_i32 s76, s76, 37
	v_cmp_eq_u32_e32 vcc_lo, s77, v136
	s_clause 0x1f
	buffer_load_dword v137, v140, s[0:3], 0 offen offset:8
	buffer_load_dword v138, v140, s[0:3], 0 offen offset:12
	buffer_load_dword v148, v140, s[0:3], 0 offen
	buffer_load_dword v149, v140, s[0:3], 0 offen offset:4
	buffer_load_dword v150, v140, s[0:3], 0 offen offset:24
	;; [unrolled: 1-line block ×29, first 2 shown]
	ds_read_b128 v[140:143], v186
	ds_read_b128 v[144:147], v186 offset:16
	s_addk_i32 s74, 0x80
	s_addk_i32 s75, 0x80
	s_or_b32 s73, vcc_lo, s73
	s_waitcnt vmcnt(30) lgkmcnt(1)
	v_mul_f64 v[178:179], v[142:143], v[137:138]
	v_mul_f64 v[137:138], v[140:141], v[137:138]
	s_waitcnt vmcnt(26) lgkmcnt(0)
	v_mul_f64 v[180:181], v[146:147], v[150:151]
	v_mul_f64 v[182:183], v[144:145], v[150:151]
	v_fma_f64 v[178:179], v[140:141], v[148:149], -v[178:179]
	v_fma_f64 v[137:138], v[142:143], v[148:149], v[137:138]
	ds_read_b128 v[140:143], v186 offset:32
	ds_read_b128 v[148:151], v186 offset:48
	s_waitcnt vmcnt(24)
	v_fma_f64 v[144:145], v[144:145], v[152:153], -v[180:181]
	v_fma_f64 v[146:147], v[146:147], v[152:153], v[182:183]
	s_waitcnt vmcnt(22) lgkmcnt(1)
	v_mul_f64 v[184:185], v[142:143], v[154:155]
	v_mul_f64 v[154:155], v[140:141], v[154:155]
	v_add_f64 v[1:2], v[1:2], v[178:179]
	v_add_f64 v[3:4], v[3:4], v[137:138]
	s_waitcnt vmcnt(18) lgkmcnt(0)
	v_mul_f64 v[137:138], v[150:151], v[158:159]
	v_mul_f64 v[152:153], v[148:149], v[158:159]
	v_fma_f64 v[158:159], v[140:141], v[156:157], -v[184:185]
	v_fma_f64 v[154:155], v[142:143], v[156:157], v[154:155]
	v_add_f64 v[144:145], v[1:2], v[144:145]
	v_add_f64 v[146:147], v[3:4], v[146:147]
	ds_read_b128 v[1:4], v186 offset:64
	ds_read_b128 v[140:143], v186 offset:80
	s_waitcnt vmcnt(16)
	v_fma_f64 v[137:138], v[148:149], v[160:161], -v[137:138]
	v_fma_f64 v[148:149], v[150:151], v[160:161], v[152:153]
	s_waitcnt vmcnt(12) lgkmcnt(1)
	v_mul_f64 v[156:157], v[3:4], v[162:163]
	v_mul_f64 v[162:163], v[1:2], v[162:163]
	v_add_f64 v[144:145], v[144:145], v[158:159]
	v_add_f64 v[146:147], v[146:147], v[154:155]
	s_waitcnt vmcnt(10) lgkmcnt(0)
	v_mul_f64 v[150:151], v[142:143], v[164:165]
	v_mul_f64 v[152:153], v[140:141], v[164:165]
	s_waitcnt vmcnt(8)
	v_fma_f64 v[154:155], v[1:2], v[168:169], -v[156:157]
	v_fma_f64 v[156:157], v[3:4], v[168:169], v[162:163]
	v_add_f64 v[137:138], v[144:145], v[137:138]
	v_add_f64 v[148:149], v[146:147], v[148:149]
	ds_read_b128 v[1:4], v186 offset:96
	ds_read_b128 v[144:147], v186 offset:112
	v_fma_f64 v[140:141], v[140:141], v[166:167], -v[150:151]
	v_fma_f64 v[142:143], v[142:143], v[166:167], v[152:153]
	s_waitcnt vmcnt(4) lgkmcnt(1)
	v_mul_f64 v[158:159], v[3:4], v[170:171]
	v_mul_f64 v[160:161], v[1:2], v[170:171]
	v_add_f64 v[137:138], v[137:138], v[154:155]
	v_add_f64 v[148:149], v[148:149], v[156:157]
	s_waitcnt vmcnt(2) lgkmcnt(0)
	v_mul_f64 v[150:151], v[146:147], v[172:173]
	v_mul_f64 v[152:153], v[144:145], v[172:173]
	s_waitcnt vmcnt(0)
	v_fma_f64 v[1:2], v[1:2], v[176:177], -v[158:159]
	v_fma_f64 v[3:4], v[3:4], v[176:177], v[160:161]
	v_add_f64 v[137:138], v[137:138], v[140:141]
	v_add_f64 v[140:141], v[148:149], v[142:143]
	v_fma_f64 v[142:143], v[144:145], v[174:175], -v[150:151]
	v_fma_f64 v[144:145], v[146:147], v[174:175], v[152:153]
	v_add_f64 v[1:2], v[137:138], v[1:2]
	v_add_f64 v[3:4], v[140:141], v[3:4]
	v_mov_b32_e32 v137, s76
	s_mov_b32 s76, s77
	v_add_f64 v[1:2], v[1:2], v[142:143]
	v_add_f64 v[3:4], v[3:4], v[144:145]
	s_andn2_b32 exec_lo, exec_lo, s73
	s_cbranch_execnz .LBB63_473
; %bb.474:
	s_or_b32 exec_lo, exec_lo, s73
.LBB63_475:
	s_or_b32 exec_lo, exec_lo, s5
	v_and_b32_e32 v135, 7, v135
	s_mov_b32 s73, 0
	s_mov_b32 s5, exec_lo
	v_cmpx_ne_u32_e32 0, v135
	s_cbranch_execz .LBB63_479
; %bb.476:
	v_lshlrev_b32_e32 v137, 4, v137
	v_add_nc_u32_e32 v136, 0x400, v137
	.p2align	6
.LBB63_477:                             ; =>This Inner Loop Header: Depth=1
	s_clause 0x3
	buffer_load_dword v144, v137, s[0:3], 0 offen offset:8
	buffer_load_dword v145, v137, s[0:3], 0 offen offset:12
	buffer_load_dword v146, v137, s[0:3], 0 offen
	buffer_load_dword v147, v137, s[0:3], 0 offen offset:4
	ds_read_b128 v[140:143], v136
	v_add_nc_u32_e32 v135, -1, v135
	v_add_nc_u32_e32 v136, 16, v136
	v_add_nc_u32_e32 v137, 16, v137
	v_cmp_eq_u32_e32 vcc_lo, 0, v135
	s_or_b32 s73, vcc_lo, s73
	s_waitcnt vmcnt(2) lgkmcnt(0)
	v_mul_f64 v[148:149], v[142:143], v[144:145]
	v_mul_f64 v[144:145], v[140:141], v[144:145]
	s_waitcnt vmcnt(0)
	v_fma_f64 v[140:141], v[140:141], v[146:147], -v[148:149]
	v_fma_f64 v[142:143], v[142:143], v[146:147], v[144:145]
	v_add_f64 v[1:2], v[1:2], v[140:141]
	v_add_f64 v[3:4], v[3:4], v[142:143]
	s_andn2_b32 exec_lo, exec_lo, s73
	s_cbranch_execnz .LBB63_477
; %bb.478:
	s_or_b32 exec_lo, exec_lo, s73
.LBB63_479:
	s_or_b32 exec_lo, exec_lo, s5
.LBB63_480:
	s_or_b32 exec_lo, exec_lo, s8
	v_mov_b32_e32 v135, 0
	ds_read_b128 v[135:138], v135 offset:448
	s_waitcnt lgkmcnt(0)
	v_mul_f64 v[140:141], v[3:4], v[137:138]
	v_mul_f64 v[137:138], v[1:2], v[137:138]
	v_fma_f64 v[1:2], v[1:2], v[135:136], -v[140:141]
	v_fma_f64 v[3:4], v[3:4], v[135:136], v[137:138]
	buffer_store_dword v2, off, s[0:3], 0 offset:452
	buffer_store_dword v1, off, s[0:3], 0 offset:448
	;; [unrolled: 1-line block ×4, first 2 shown]
.LBB63_481:
	s_or_b32 exec_lo, exec_lo, s6
	v_mov_b32_e32 v4, s46
	v_cmp_lt_u32_e64 s5, 27, v0
	s_clause 0x3
	buffer_load_dword v1, v4, s[0:3], 0 offen
	buffer_load_dword v2, v4, s[0:3], 0 offen offset:4
	buffer_load_dword v3, v4, s[0:3], 0 offen offset:8
	;; [unrolled: 1-line block ×3, first 2 shown]
	s_waitcnt vmcnt(0)
	ds_write_b128 v134, v[1:4]
	s_waitcnt lgkmcnt(0)
	s_waitcnt_vscnt null, 0x0
	s_barrier
	buffer_gl0_inv
	s_and_saveexec_b32 s6, s5
	s_cbranch_execz .LBB63_495
; %bb.482:
	ds_read_b128 v[1:4], v134
	s_andn2_b32 vcc_lo, exec_lo, s7
	s_cbranch_vccnz .LBB63_484
; %bb.483:
	s_clause 0x3
	buffer_load_dword v135, v133, s[0:3], 0 offen offset:8
	buffer_load_dword v136, v133, s[0:3], 0 offen offset:12
	buffer_load_dword v137, v133, s[0:3], 0 offen
	buffer_load_dword v138, v133, s[0:3], 0 offen offset:4
	s_waitcnt vmcnt(2) lgkmcnt(0)
	v_mul_f64 v[140:141], v[3:4], v[135:136]
	v_mul_f64 v[135:136], v[1:2], v[135:136]
	s_waitcnt vmcnt(0)
	v_fma_f64 v[1:2], v[1:2], v[137:138], -v[140:141]
	v_fma_f64 v[3:4], v[3:4], v[137:138], v[135:136]
.LBB63_484:
	s_and_saveexec_b32 s8, s4
	s_cbranch_execz .LBB63_494
; %bb.485:
	v_subrev_nc_u32_e32 v136, 29, v0
	v_mov_b32_e32 v137, 28
	v_subrev_nc_u32_e32 v135, 28, v0
	s_mov_b32 s4, exec_lo
	v_cmpx_lt_u32_e32 6, v136
	s_cbranch_execz .LBB63_489
; %bb.486:
	v_and_b32_e32 v136, -8, v135
	s_movk_i32 s74, 0x5c0
	s_mov_b32 s73, 0
	s_mov_b32 s75, s45
	;; [unrolled: 1-line block ×3, first 2 shown]
.LBB63_487:                             ; =>This Inner Loop Header: Depth=1
	v_mov_b32_e32 v140, s75
	v_mov_b32_e32 v186, s74
	s_add_i32 s77, s76, 8
	s_add_i32 s76, s76, 36
	v_cmp_eq_u32_e32 vcc_lo, s77, v136
	s_clause 0x1f
	buffer_load_dword v137, v140, s[0:3], 0 offen offset:8
	buffer_load_dword v138, v140, s[0:3], 0 offen offset:12
	buffer_load_dword v148, v140, s[0:3], 0 offen
	buffer_load_dword v149, v140, s[0:3], 0 offen offset:4
	buffer_load_dword v150, v140, s[0:3], 0 offen offset:24
	;; [unrolled: 1-line block ×29, first 2 shown]
	ds_read_b128 v[140:143], v186
	ds_read_b128 v[144:147], v186 offset:16
	s_addk_i32 s74, 0x80
	s_addk_i32 s75, 0x80
	s_or_b32 s73, vcc_lo, s73
	s_waitcnt vmcnt(30) lgkmcnt(1)
	v_mul_f64 v[178:179], v[142:143], v[137:138]
	v_mul_f64 v[137:138], v[140:141], v[137:138]
	s_waitcnt vmcnt(26) lgkmcnt(0)
	v_mul_f64 v[180:181], v[146:147], v[150:151]
	v_mul_f64 v[182:183], v[144:145], v[150:151]
	v_fma_f64 v[178:179], v[140:141], v[148:149], -v[178:179]
	v_fma_f64 v[137:138], v[142:143], v[148:149], v[137:138]
	ds_read_b128 v[140:143], v186 offset:32
	ds_read_b128 v[148:151], v186 offset:48
	s_waitcnt vmcnt(24)
	v_fma_f64 v[144:145], v[144:145], v[152:153], -v[180:181]
	v_fma_f64 v[146:147], v[146:147], v[152:153], v[182:183]
	s_waitcnt vmcnt(22) lgkmcnt(1)
	v_mul_f64 v[184:185], v[142:143], v[154:155]
	v_mul_f64 v[154:155], v[140:141], v[154:155]
	v_add_f64 v[1:2], v[1:2], v[178:179]
	v_add_f64 v[3:4], v[3:4], v[137:138]
	s_waitcnt vmcnt(18) lgkmcnt(0)
	v_mul_f64 v[137:138], v[150:151], v[158:159]
	v_mul_f64 v[152:153], v[148:149], v[158:159]
	v_fma_f64 v[158:159], v[140:141], v[156:157], -v[184:185]
	v_fma_f64 v[154:155], v[142:143], v[156:157], v[154:155]
	v_add_f64 v[144:145], v[1:2], v[144:145]
	v_add_f64 v[146:147], v[3:4], v[146:147]
	ds_read_b128 v[1:4], v186 offset:64
	ds_read_b128 v[140:143], v186 offset:80
	s_waitcnt vmcnt(16)
	v_fma_f64 v[137:138], v[148:149], v[160:161], -v[137:138]
	v_fma_f64 v[148:149], v[150:151], v[160:161], v[152:153]
	s_waitcnt vmcnt(12) lgkmcnt(1)
	v_mul_f64 v[156:157], v[3:4], v[162:163]
	v_mul_f64 v[162:163], v[1:2], v[162:163]
	v_add_f64 v[144:145], v[144:145], v[158:159]
	v_add_f64 v[146:147], v[146:147], v[154:155]
	s_waitcnt vmcnt(10) lgkmcnt(0)
	v_mul_f64 v[150:151], v[142:143], v[164:165]
	v_mul_f64 v[152:153], v[140:141], v[164:165]
	s_waitcnt vmcnt(8)
	v_fma_f64 v[154:155], v[1:2], v[168:169], -v[156:157]
	v_fma_f64 v[156:157], v[3:4], v[168:169], v[162:163]
	v_add_f64 v[137:138], v[144:145], v[137:138]
	v_add_f64 v[148:149], v[146:147], v[148:149]
	ds_read_b128 v[1:4], v186 offset:96
	ds_read_b128 v[144:147], v186 offset:112
	v_fma_f64 v[140:141], v[140:141], v[166:167], -v[150:151]
	v_fma_f64 v[142:143], v[142:143], v[166:167], v[152:153]
	s_waitcnt vmcnt(4) lgkmcnt(1)
	v_mul_f64 v[158:159], v[3:4], v[170:171]
	v_mul_f64 v[160:161], v[1:2], v[170:171]
	v_add_f64 v[137:138], v[137:138], v[154:155]
	v_add_f64 v[148:149], v[148:149], v[156:157]
	s_waitcnt vmcnt(2) lgkmcnt(0)
	v_mul_f64 v[150:151], v[146:147], v[172:173]
	v_mul_f64 v[152:153], v[144:145], v[172:173]
	s_waitcnt vmcnt(0)
	v_fma_f64 v[1:2], v[1:2], v[176:177], -v[158:159]
	v_fma_f64 v[3:4], v[3:4], v[176:177], v[160:161]
	v_add_f64 v[137:138], v[137:138], v[140:141]
	v_add_f64 v[140:141], v[148:149], v[142:143]
	v_fma_f64 v[142:143], v[144:145], v[174:175], -v[150:151]
	v_fma_f64 v[144:145], v[146:147], v[174:175], v[152:153]
	v_add_f64 v[1:2], v[137:138], v[1:2]
	v_add_f64 v[3:4], v[140:141], v[3:4]
	v_mov_b32_e32 v137, s76
	s_mov_b32 s76, s77
	v_add_f64 v[1:2], v[1:2], v[142:143]
	v_add_f64 v[3:4], v[3:4], v[144:145]
	s_andn2_b32 exec_lo, exec_lo, s73
	s_cbranch_execnz .LBB63_487
; %bb.488:
	s_or_b32 exec_lo, exec_lo, s73
.LBB63_489:
	s_or_b32 exec_lo, exec_lo, s4
	v_and_b32_e32 v135, 7, v135
	s_mov_b32 s73, 0
	s_mov_b32 s4, exec_lo
	v_cmpx_ne_u32_e32 0, v135
	s_cbranch_execz .LBB63_493
; %bb.490:
	v_lshlrev_b32_e32 v137, 4, v137
	v_add_nc_u32_e32 v136, 0x400, v137
	.p2align	6
.LBB63_491:                             ; =>This Inner Loop Header: Depth=1
	s_clause 0x3
	buffer_load_dword v144, v137, s[0:3], 0 offen offset:8
	buffer_load_dword v145, v137, s[0:3], 0 offen offset:12
	buffer_load_dword v146, v137, s[0:3], 0 offen
	buffer_load_dword v147, v137, s[0:3], 0 offen offset:4
	ds_read_b128 v[140:143], v136
	v_add_nc_u32_e32 v135, -1, v135
	v_add_nc_u32_e32 v136, 16, v136
	v_add_nc_u32_e32 v137, 16, v137
	v_cmp_eq_u32_e32 vcc_lo, 0, v135
	s_or_b32 s73, vcc_lo, s73
	s_waitcnt vmcnt(2) lgkmcnt(0)
	v_mul_f64 v[148:149], v[142:143], v[144:145]
	v_mul_f64 v[144:145], v[140:141], v[144:145]
	s_waitcnt vmcnt(0)
	v_fma_f64 v[140:141], v[140:141], v[146:147], -v[148:149]
	v_fma_f64 v[142:143], v[142:143], v[146:147], v[144:145]
	v_add_f64 v[1:2], v[1:2], v[140:141]
	v_add_f64 v[3:4], v[3:4], v[142:143]
	s_andn2_b32 exec_lo, exec_lo, s73
	s_cbranch_execnz .LBB63_491
; %bb.492:
	s_or_b32 exec_lo, exec_lo, s73
.LBB63_493:
	s_or_b32 exec_lo, exec_lo, s4
.LBB63_494:
	s_or_b32 exec_lo, exec_lo, s8
	v_mov_b32_e32 v135, 0
	ds_read_b128 v[135:138], v135 offset:432
	s_waitcnt lgkmcnt(0)
	v_mul_f64 v[140:141], v[3:4], v[137:138]
	v_mul_f64 v[137:138], v[1:2], v[137:138]
	v_fma_f64 v[1:2], v[1:2], v[135:136], -v[140:141]
	v_fma_f64 v[3:4], v[3:4], v[135:136], v[137:138]
	buffer_store_dword v2, off, s[0:3], 0 offset:436
	buffer_store_dword v1, off, s[0:3], 0 offset:432
	;; [unrolled: 1-line block ×4, first 2 shown]
.LBB63_495:
	s_or_b32 exec_lo, exec_lo, s6
	v_mov_b32_e32 v4, s47
	v_cmp_lt_u32_e64 s4, 26, v0
	s_clause 0x3
	buffer_load_dword v1, v4, s[0:3], 0 offen
	buffer_load_dword v2, v4, s[0:3], 0 offen offset:4
	buffer_load_dword v3, v4, s[0:3], 0 offen offset:8
	;; [unrolled: 1-line block ×3, first 2 shown]
	s_waitcnt vmcnt(0)
	ds_write_b128 v134, v[1:4]
	s_waitcnt lgkmcnt(0)
	s_waitcnt_vscnt null, 0x0
	s_barrier
	buffer_gl0_inv
	s_and_saveexec_b32 s6, s4
	s_cbranch_execz .LBB63_509
; %bb.496:
	ds_read_b128 v[1:4], v134
	s_andn2_b32 vcc_lo, exec_lo, s7
	s_cbranch_vccnz .LBB63_498
; %bb.497:
	s_clause 0x3
	buffer_load_dword v135, v133, s[0:3], 0 offen offset:8
	buffer_load_dword v136, v133, s[0:3], 0 offen offset:12
	buffer_load_dword v137, v133, s[0:3], 0 offen
	buffer_load_dword v138, v133, s[0:3], 0 offen offset:4
	s_waitcnt vmcnt(2) lgkmcnt(0)
	v_mul_f64 v[140:141], v[3:4], v[135:136]
	v_mul_f64 v[135:136], v[1:2], v[135:136]
	s_waitcnt vmcnt(0)
	v_fma_f64 v[1:2], v[1:2], v[137:138], -v[140:141]
	v_fma_f64 v[3:4], v[3:4], v[137:138], v[135:136]
.LBB63_498:
	s_and_saveexec_b32 s8, s5
	s_cbranch_execz .LBB63_508
; %bb.499:
	v_subrev_nc_u32_e32 v136, 28, v0
	v_mov_b32_e32 v137, 27
	v_subrev_nc_u32_e32 v135, 27, v0
	s_mov_b32 s5, exec_lo
	v_cmpx_lt_u32_e32 6, v136
	s_cbranch_execz .LBB63_503
; %bb.500:
	v_and_b32_e32 v136, -8, v135
	s_movk_i32 s74, 0x5b0
	s_mov_b32 s73, 0
	s_mov_b32 s75, s46
	;; [unrolled: 1-line block ×3, first 2 shown]
.LBB63_501:                             ; =>This Inner Loop Header: Depth=1
	v_mov_b32_e32 v140, s75
	v_mov_b32_e32 v186, s74
	s_add_i32 s77, s76, 8
	s_add_i32 s76, s76, 35
	v_cmp_eq_u32_e32 vcc_lo, s77, v136
	s_clause 0x1f
	buffer_load_dword v137, v140, s[0:3], 0 offen offset:8
	buffer_load_dword v138, v140, s[0:3], 0 offen offset:12
	buffer_load_dword v148, v140, s[0:3], 0 offen
	buffer_load_dword v149, v140, s[0:3], 0 offen offset:4
	buffer_load_dword v150, v140, s[0:3], 0 offen offset:24
	;; [unrolled: 1-line block ×29, first 2 shown]
	ds_read_b128 v[140:143], v186
	ds_read_b128 v[144:147], v186 offset:16
	s_addk_i32 s74, 0x80
	s_addk_i32 s75, 0x80
	s_or_b32 s73, vcc_lo, s73
	s_waitcnt vmcnt(30) lgkmcnt(1)
	v_mul_f64 v[178:179], v[142:143], v[137:138]
	v_mul_f64 v[137:138], v[140:141], v[137:138]
	s_waitcnt vmcnt(26) lgkmcnt(0)
	v_mul_f64 v[180:181], v[146:147], v[150:151]
	v_mul_f64 v[182:183], v[144:145], v[150:151]
	v_fma_f64 v[178:179], v[140:141], v[148:149], -v[178:179]
	v_fma_f64 v[137:138], v[142:143], v[148:149], v[137:138]
	ds_read_b128 v[140:143], v186 offset:32
	ds_read_b128 v[148:151], v186 offset:48
	s_waitcnt vmcnt(24)
	v_fma_f64 v[144:145], v[144:145], v[152:153], -v[180:181]
	v_fma_f64 v[146:147], v[146:147], v[152:153], v[182:183]
	s_waitcnt vmcnt(22) lgkmcnt(1)
	v_mul_f64 v[184:185], v[142:143], v[154:155]
	v_mul_f64 v[154:155], v[140:141], v[154:155]
	v_add_f64 v[1:2], v[1:2], v[178:179]
	v_add_f64 v[3:4], v[3:4], v[137:138]
	s_waitcnt vmcnt(18) lgkmcnt(0)
	v_mul_f64 v[137:138], v[150:151], v[158:159]
	v_mul_f64 v[152:153], v[148:149], v[158:159]
	v_fma_f64 v[158:159], v[140:141], v[156:157], -v[184:185]
	v_fma_f64 v[154:155], v[142:143], v[156:157], v[154:155]
	v_add_f64 v[144:145], v[1:2], v[144:145]
	v_add_f64 v[146:147], v[3:4], v[146:147]
	ds_read_b128 v[1:4], v186 offset:64
	ds_read_b128 v[140:143], v186 offset:80
	s_waitcnt vmcnt(16)
	v_fma_f64 v[137:138], v[148:149], v[160:161], -v[137:138]
	v_fma_f64 v[148:149], v[150:151], v[160:161], v[152:153]
	s_waitcnt vmcnt(12) lgkmcnt(1)
	v_mul_f64 v[156:157], v[3:4], v[162:163]
	v_mul_f64 v[162:163], v[1:2], v[162:163]
	v_add_f64 v[144:145], v[144:145], v[158:159]
	v_add_f64 v[146:147], v[146:147], v[154:155]
	s_waitcnt vmcnt(10) lgkmcnt(0)
	v_mul_f64 v[150:151], v[142:143], v[164:165]
	v_mul_f64 v[152:153], v[140:141], v[164:165]
	s_waitcnt vmcnt(8)
	v_fma_f64 v[154:155], v[1:2], v[168:169], -v[156:157]
	v_fma_f64 v[156:157], v[3:4], v[168:169], v[162:163]
	v_add_f64 v[137:138], v[144:145], v[137:138]
	v_add_f64 v[148:149], v[146:147], v[148:149]
	ds_read_b128 v[1:4], v186 offset:96
	ds_read_b128 v[144:147], v186 offset:112
	v_fma_f64 v[140:141], v[140:141], v[166:167], -v[150:151]
	v_fma_f64 v[142:143], v[142:143], v[166:167], v[152:153]
	s_waitcnt vmcnt(4) lgkmcnt(1)
	v_mul_f64 v[158:159], v[3:4], v[170:171]
	v_mul_f64 v[160:161], v[1:2], v[170:171]
	v_add_f64 v[137:138], v[137:138], v[154:155]
	v_add_f64 v[148:149], v[148:149], v[156:157]
	s_waitcnt vmcnt(2) lgkmcnt(0)
	v_mul_f64 v[150:151], v[146:147], v[172:173]
	v_mul_f64 v[152:153], v[144:145], v[172:173]
	s_waitcnt vmcnt(0)
	v_fma_f64 v[1:2], v[1:2], v[176:177], -v[158:159]
	v_fma_f64 v[3:4], v[3:4], v[176:177], v[160:161]
	v_add_f64 v[137:138], v[137:138], v[140:141]
	v_add_f64 v[140:141], v[148:149], v[142:143]
	v_fma_f64 v[142:143], v[144:145], v[174:175], -v[150:151]
	v_fma_f64 v[144:145], v[146:147], v[174:175], v[152:153]
	v_add_f64 v[1:2], v[137:138], v[1:2]
	v_add_f64 v[3:4], v[140:141], v[3:4]
	v_mov_b32_e32 v137, s76
	s_mov_b32 s76, s77
	v_add_f64 v[1:2], v[1:2], v[142:143]
	v_add_f64 v[3:4], v[3:4], v[144:145]
	s_andn2_b32 exec_lo, exec_lo, s73
	s_cbranch_execnz .LBB63_501
; %bb.502:
	s_or_b32 exec_lo, exec_lo, s73
.LBB63_503:
	s_or_b32 exec_lo, exec_lo, s5
	v_and_b32_e32 v135, 7, v135
	s_mov_b32 s73, 0
	s_mov_b32 s5, exec_lo
	v_cmpx_ne_u32_e32 0, v135
	s_cbranch_execz .LBB63_507
; %bb.504:
	v_lshlrev_b32_e32 v137, 4, v137
	v_add_nc_u32_e32 v136, 0x400, v137
	.p2align	6
.LBB63_505:                             ; =>This Inner Loop Header: Depth=1
	s_clause 0x3
	buffer_load_dword v144, v137, s[0:3], 0 offen offset:8
	buffer_load_dword v145, v137, s[0:3], 0 offen offset:12
	buffer_load_dword v146, v137, s[0:3], 0 offen
	buffer_load_dword v147, v137, s[0:3], 0 offen offset:4
	ds_read_b128 v[140:143], v136
	v_add_nc_u32_e32 v135, -1, v135
	v_add_nc_u32_e32 v136, 16, v136
	v_add_nc_u32_e32 v137, 16, v137
	v_cmp_eq_u32_e32 vcc_lo, 0, v135
	s_or_b32 s73, vcc_lo, s73
	s_waitcnt vmcnt(2) lgkmcnt(0)
	v_mul_f64 v[148:149], v[142:143], v[144:145]
	v_mul_f64 v[144:145], v[140:141], v[144:145]
	s_waitcnt vmcnt(0)
	v_fma_f64 v[140:141], v[140:141], v[146:147], -v[148:149]
	v_fma_f64 v[142:143], v[142:143], v[146:147], v[144:145]
	v_add_f64 v[1:2], v[1:2], v[140:141]
	v_add_f64 v[3:4], v[3:4], v[142:143]
	s_andn2_b32 exec_lo, exec_lo, s73
	s_cbranch_execnz .LBB63_505
; %bb.506:
	s_or_b32 exec_lo, exec_lo, s73
.LBB63_507:
	s_or_b32 exec_lo, exec_lo, s5
.LBB63_508:
	s_or_b32 exec_lo, exec_lo, s8
	v_mov_b32_e32 v135, 0
	ds_read_b128 v[135:138], v135 offset:416
	s_waitcnt lgkmcnt(0)
	v_mul_f64 v[140:141], v[3:4], v[137:138]
	v_mul_f64 v[137:138], v[1:2], v[137:138]
	v_fma_f64 v[1:2], v[1:2], v[135:136], -v[140:141]
	v_fma_f64 v[3:4], v[3:4], v[135:136], v[137:138]
	buffer_store_dword v2, off, s[0:3], 0 offset:420
	buffer_store_dword v1, off, s[0:3], 0 offset:416
	;; [unrolled: 1-line block ×4, first 2 shown]
.LBB63_509:
	s_or_b32 exec_lo, exec_lo, s6
	v_mov_b32_e32 v4, s48
	v_cmp_lt_u32_e64 s5, 25, v0
	s_clause 0x3
	buffer_load_dword v1, v4, s[0:3], 0 offen
	buffer_load_dword v2, v4, s[0:3], 0 offen offset:4
	buffer_load_dword v3, v4, s[0:3], 0 offen offset:8
	;; [unrolled: 1-line block ×3, first 2 shown]
	s_waitcnt vmcnt(0)
	ds_write_b128 v134, v[1:4]
	s_waitcnt lgkmcnt(0)
	s_waitcnt_vscnt null, 0x0
	s_barrier
	buffer_gl0_inv
	s_and_saveexec_b32 s6, s5
	s_cbranch_execz .LBB63_523
; %bb.510:
	ds_read_b128 v[1:4], v134
	s_andn2_b32 vcc_lo, exec_lo, s7
	s_cbranch_vccnz .LBB63_512
; %bb.511:
	s_clause 0x3
	buffer_load_dword v135, v133, s[0:3], 0 offen offset:8
	buffer_load_dword v136, v133, s[0:3], 0 offen offset:12
	buffer_load_dword v137, v133, s[0:3], 0 offen
	buffer_load_dword v138, v133, s[0:3], 0 offen offset:4
	s_waitcnt vmcnt(2) lgkmcnt(0)
	v_mul_f64 v[140:141], v[3:4], v[135:136]
	v_mul_f64 v[135:136], v[1:2], v[135:136]
	s_waitcnt vmcnt(0)
	v_fma_f64 v[1:2], v[1:2], v[137:138], -v[140:141]
	v_fma_f64 v[3:4], v[3:4], v[137:138], v[135:136]
.LBB63_512:
	s_and_saveexec_b32 s8, s4
	s_cbranch_execz .LBB63_522
; %bb.513:
	v_subrev_nc_u32_e32 v136, 27, v0
	v_mov_b32_e32 v137, 26
	v_subrev_nc_u32_e32 v135, 26, v0
	s_mov_b32 s4, exec_lo
	v_cmpx_lt_u32_e32 6, v136
	s_cbranch_execz .LBB63_517
; %bb.514:
	v_and_b32_e32 v136, -8, v135
	s_movk_i32 s74, 0x5a0
	s_mov_b32 s73, 0
	s_mov_b32 s75, s47
	;; [unrolled: 1-line block ×3, first 2 shown]
.LBB63_515:                             ; =>This Inner Loop Header: Depth=1
	v_mov_b32_e32 v140, s75
	v_mov_b32_e32 v186, s74
	s_add_i32 s77, s76, 8
	s_add_i32 s76, s76, 34
	v_cmp_eq_u32_e32 vcc_lo, s77, v136
	s_clause 0x1f
	buffer_load_dword v137, v140, s[0:3], 0 offen offset:8
	buffer_load_dword v138, v140, s[0:3], 0 offen offset:12
	buffer_load_dword v148, v140, s[0:3], 0 offen
	buffer_load_dword v149, v140, s[0:3], 0 offen offset:4
	buffer_load_dword v150, v140, s[0:3], 0 offen offset:24
	;; [unrolled: 1-line block ×29, first 2 shown]
	ds_read_b128 v[140:143], v186
	ds_read_b128 v[144:147], v186 offset:16
	s_addk_i32 s74, 0x80
	s_addk_i32 s75, 0x80
	s_or_b32 s73, vcc_lo, s73
	s_waitcnt vmcnt(30) lgkmcnt(1)
	v_mul_f64 v[178:179], v[142:143], v[137:138]
	v_mul_f64 v[137:138], v[140:141], v[137:138]
	s_waitcnt vmcnt(26) lgkmcnt(0)
	v_mul_f64 v[180:181], v[146:147], v[150:151]
	v_mul_f64 v[182:183], v[144:145], v[150:151]
	v_fma_f64 v[178:179], v[140:141], v[148:149], -v[178:179]
	v_fma_f64 v[137:138], v[142:143], v[148:149], v[137:138]
	ds_read_b128 v[140:143], v186 offset:32
	ds_read_b128 v[148:151], v186 offset:48
	s_waitcnt vmcnt(24)
	v_fma_f64 v[144:145], v[144:145], v[152:153], -v[180:181]
	v_fma_f64 v[146:147], v[146:147], v[152:153], v[182:183]
	s_waitcnt vmcnt(22) lgkmcnt(1)
	v_mul_f64 v[184:185], v[142:143], v[154:155]
	v_mul_f64 v[154:155], v[140:141], v[154:155]
	v_add_f64 v[1:2], v[1:2], v[178:179]
	v_add_f64 v[3:4], v[3:4], v[137:138]
	s_waitcnt vmcnt(18) lgkmcnt(0)
	v_mul_f64 v[137:138], v[150:151], v[158:159]
	v_mul_f64 v[152:153], v[148:149], v[158:159]
	v_fma_f64 v[158:159], v[140:141], v[156:157], -v[184:185]
	v_fma_f64 v[154:155], v[142:143], v[156:157], v[154:155]
	v_add_f64 v[144:145], v[1:2], v[144:145]
	v_add_f64 v[146:147], v[3:4], v[146:147]
	ds_read_b128 v[1:4], v186 offset:64
	ds_read_b128 v[140:143], v186 offset:80
	s_waitcnt vmcnt(16)
	v_fma_f64 v[137:138], v[148:149], v[160:161], -v[137:138]
	v_fma_f64 v[148:149], v[150:151], v[160:161], v[152:153]
	s_waitcnt vmcnt(12) lgkmcnt(1)
	v_mul_f64 v[156:157], v[3:4], v[162:163]
	v_mul_f64 v[162:163], v[1:2], v[162:163]
	v_add_f64 v[144:145], v[144:145], v[158:159]
	v_add_f64 v[146:147], v[146:147], v[154:155]
	s_waitcnt vmcnt(10) lgkmcnt(0)
	v_mul_f64 v[150:151], v[142:143], v[164:165]
	v_mul_f64 v[152:153], v[140:141], v[164:165]
	s_waitcnt vmcnt(8)
	v_fma_f64 v[154:155], v[1:2], v[168:169], -v[156:157]
	v_fma_f64 v[156:157], v[3:4], v[168:169], v[162:163]
	v_add_f64 v[137:138], v[144:145], v[137:138]
	v_add_f64 v[148:149], v[146:147], v[148:149]
	ds_read_b128 v[1:4], v186 offset:96
	ds_read_b128 v[144:147], v186 offset:112
	v_fma_f64 v[140:141], v[140:141], v[166:167], -v[150:151]
	v_fma_f64 v[142:143], v[142:143], v[166:167], v[152:153]
	s_waitcnt vmcnt(4) lgkmcnt(1)
	v_mul_f64 v[158:159], v[3:4], v[170:171]
	v_mul_f64 v[160:161], v[1:2], v[170:171]
	v_add_f64 v[137:138], v[137:138], v[154:155]
	v_add_f64 v[148:149], v[148:149], v[156:157]
	s_waitcnt vmcnt(2) lgkmcnt(0)
	v_mul_f64 v[150:151], v[146:147], v[172:173]
	v_mul_f64 v[152:153], v[144:145], v[172:173]
	s_waitcnt vmcnt(0)
	v_fma_f64 v[1:2], v[1:2], v[176:177], -v[158:159]
	v_fma_f64 v[3:4], v[3:4], v[176:177], v[160:161]
	v_add_f64 v[137:138], v[137:138], v[140:141]
	v_add_f64 v[140:141], v[148:149], v[142:143]
	v_fma_f64 v[142:143], v[144:145], v[174:175], -v[150:151]
	v_fma_f64 v[144:145], v[146:147], v[174:175], v[152:153]
	v_add_f64 v[1:2], v[137:138], v[1:2]
	v_add_f64 v[3:4], v[140:141], v[3:4]
	v_mov_b32_e32 v137, s76
	s_mov_b32 s76, s77
	v_add_f64 v[1:2], v[1:2], v[142:143]
	v_add_f64 v[3:4], v[3:4], v[144:145]
	s_andn2_b32 exec_lo, exec_lo, s73
	s_cbranch_execnz .LBB63_515
; %bb.516:
	s_or_b32 exec_lo, exec_lo, s73
.LBB63_517:
	s_or_b32 exec_lo, exec_lo, s4
	v_and_b32_e32 v135, 7, v135
	s_mov_b32 s73, 0
	s_mov_b32 s4, exec_lo
	v_cmpx_ne_u32_e32 0, v135
	s_cbranch_execz .LBB63_521
; %bb.518:
	v_lshlrev_b32_e32 v137, 4, v137
	v_add_nc_u32_e32 v136, 0x400, v137
	.p2align	6
.LBB63_519:                             ; =>This Inner Loop Header: Depth=1
	s_clause 0x3
	buffer_load_dword v144, v137, s[0:3], 0 offen offset:8
	buffer_load_dword v145, v137, s[0:3], 0 offen offset:12
	buffer_load_dword v146, v137, s[0:3], 0 offen
	buffer_load_dword v147, v137, s[0:3], 0 offen offset:4
	ds_read_b128 v[140:143], v136
	v_add_nc_u32_e32 v135, -1, v135
	v_add_nc_u32_e32 v136, 16, v136
	v_add_nc_u32_e32 v137, 16, v137
	v_cmp_eq_u32_e32 vcc_lo, 0, v135
	s_or_b32 s73, vcc_lo, s73
	s_waitcnt vmcnt(2) lgkmcnt(0)
	v_mul_f64 v[148:149], v[142:143], v[144:145]
	v_mul_f64 v[144:145], v[140:141], v[144:145]
	s_waitcnt vmcnt(0)
	v_fma_f64 v[140:141], v[140:141], v[146:147], -v[148:149]
	v_fma_f64 v[142:143], v[142:143], v[146:147], v[144:145]
	v_add_f64 v[1:2], v[1:2], v[140:141]
	v_add_f64 v[3:4], v[3:4], v[142:143]
	s_andn2_b32 exec_lo, exec_lo, s73
	s_cbranch_execnz .LBB63_519
; %bb.520:
	s_or_b32 exec_lo, exec_lo, s73
.LBB63_521:
	s_or_b32 exec_lo, exec_lo, s4
.LBB63_522:
	s_or_b32 exec_lo, exec_lo, s8
	v_mov_b32_e32 v135, 0
	ds_read_b128 v[135:138], v135 offset:400
	s_waitcnt lgkmcnt(0)
	v_mul_f64 v[140:141], v[3:4], v[137:138]
	v_mul_f64 v[137:138], v[1:2], v[137:138]
	v_fma_f64 v[1:2], v[1:2], v[135:136], -v[140:141]
	v_fma_f64 v[3:4], v[3:4], v[135:136], v[137:138]
	buffer_store_dword v2, off, s[0:3], 0 offset:404
	buffer_store_dword v1, off, s[0:3], 0 offset:400
	;; [unrolled: 1-line block ×4, first 2 shown]
.LBB63_523:
	s_or_b32 exec_lo, exec_lo, s6
	v_mov_b32_e32 v4, s49
	v_cmp_lt_u32_e64 s4, 24, v0
	s_clause 0x3
	buffer_load_dword v1, v4, s[0:3], 0 offen
	buffer_load_dword v2, v4, s[0:3], 0 offen offset:4
	buffer_load_dword v3, v4, s[0:3], 0 offen offset:8
	;; [unrolled: 1-line block ×3, first 2 shown]
	s_waitcnt vmcnt(0)
	ds_write_b128 v134, v[1:4]
	s_waitcnt lgkmcnt(0)
	s_waitcnt_vscnt null, 0x0
	s_barrier
	buffer_gl0_inv
	s_and_saveexec_b32 s6, s4
	s_cbranch_execz .LBB63_537
; %bb.524:
	ds_read_b128 v[1:4], v134
	s_andn2_b32 vcc_lo, exec_lo, s7
	s_cbranch_vccnz .LBB63_526
; %bb.525:
	s_clause 0x3
	buffer_load_dword v135, v133, s[0:3], 0 offen offset:8
	buffer_load_dword v136, v133, s[0:3], 0 offen offset:12
	buffer_load_dword v137, v133, s[0:3], 0 offen
	buffer_load_dword v138, v133, s[0:3], 0 offen offset:4
	s_waitcnt vmcnt(2) lgkmcnt(0)
	v_mul_f64 v[140:141], v[3:4], v[135:136]
	v_mul_f64 v[135:136], v[1:2], v[135:136]
	s_waitcnt vmcnt(0)
	v_fma_f64 v[1:2], v[1:2], v[137:138], -v[140:141]
	v_fma_f64 v[3:4], v[3:4], v[137:138], v[135:136]
.LBB63_526:
	s_and_saveexec_b32 s8, s5
	s_cbranch_execz .LBB63_536
; %bb.527:
	v_subrev_nc_u32_e32 v136, 26, v0
	v_mov_b32_e32 v137, 25
	v_subrev_nc_u32_e32 v135, 25, v0
	s_mov_b32 s5, exec_lo
	v_cmpx_lt_u32_e32 6, v136
	s_cbranch_execz .LBB63_531
; %bb.528:
	v_and_b32_e32 v136, -8, v135
	s_movk_i32 s74, 0x590
	s_mov_b32 s73, 0
	s_mov_b32 s75, s48
	;; [unrolled: 1-line block ×3, first 2 shown]
.LBB63_529:                             ; =>This Inner Loop Header: Depth=1
	v_mov_b32_e32 v140, s75
	v_mov_b32_e32 v186, s74
	s_add_i32 s77, s76, 8
	s_add_i32 s76, s76, 33
	v_cmp_eq_u32_e32 vcc_lo, s77, v136
	s_clause 0x1f
	buffer_load_dword v137, v140, s[0:3], 0 offen offset:8
	buffer_load_dword v138, v140, s[0:3], 0 offen offset:12
	buffer_load_dword v148, v140, s[0:3], 0 offen
	buffer_load_dword v149, v140, s[0:3], 0 offen offset:4
	buffer_load_dword v150, v140, s[0:3], 0 offen offset:24
	;; [unrolled: 1-line block ×29, first 2 shown]
	ds_read_b128 v[140:143], v186
	ds_read_b128 v[144:147], v186 offset:16
	s_addk_i32 s74, 0x80
	s_addk_i32 s75, 0x80
	s_or_b32 s73, vcc_lo, s73
	s_waitcnt vmcnt(30) lgkmcnt(1)
	v_mul_f64 v[178:179], v[142:143], v[137:138]
	v_mul_f64 v[137:138], v[140:141], v[137:138]
	s_waitcnt vmcnt(26) lgkmcnt(0)
	v_mul_f64 v[180:181], v[146:147], v[150:151]
	v_mul_f64 v[182:183], v[144:145], v[150:151]
	v_fma_f64 v[178:179], v[140:141], v[148:149], -v[178:179]
	v_fma_f64 v[137:138], v[142:143], v[148:149], v[137:138]
	ds_read_b128 v[140:143], v186 offset:32
	ds_read_b128 v[148:151], v186 offset:48
	s_waitcnt vmcnt(24)
	v_fma_f64 v[144:145], v[144:145], v[152:153], -v[180:181]
	v_fma_f64 v[146:147], v[146:147], v[152:153], v[182:183]
	s_waitcnt vmcnt(22) lgkmcnt(1)
	v_mul_f64 v[184:185], v[142:143], v[154:155]
	v_mul_f64 v[154:155], v[140:141], v[154:155]
	v_add_f64 v[1:2], v[1:2], v[178:179]
	v_add_f64 v[3:4], v[3:4], v[137:138]
	s_waitcnt vmcnt(18) lgkmcnt(0)
	v_mul_f64 v[137:138], v[150:151], v[158:159]
	v_mul_f64 v[152:153], v[148:149], v[158:159]
	v_fma_f64 v[158:159], v[140:141], v[156:157], -v[184:185]
	v_fma_f64 v[154:155], v[142:143], v[156:157], v[154:155]
	v_add_f64 v[144:145], v[1:2], v[144:145]
	v_add_f64 v[146:147], v[3:4], v[146:147]
	ds_read_b128 v[1:4], v186 offset:64
	ds_read_b128 v[140:143], v186 offset:80
	s_waitcnt vmcnt(16)
	v_fma_f64 v[137:138], v[148:149], v[160:161], -v[137:138]
	v_fma_f64 v[148:149], v[150:151], v[160:161], v[152:153]
	s_waitcnt vmcnt(12) lgkmcnt(1)
	v_mul_f64 v[156:157], v[3:4], v[162:163]
	v_mul_f64 v[162:163], v[1:2], v[162:163]
	v_add_f64 v[144:145], v[144:145], v[158:159]
	v_add_f64 v[146:147], v[146:147], v[154:155]
	s_waitcnt vmcnt(10) lgkmcnt(0)
	v_mul_f64 v[150:151], v[142:143], v[164:165]
	v_mul_f64 v[152:153], v[140:141], v[164:165]
	s_waitcnt vmcnt(8)
	v_fma_f64 v[154:155], v[1:2], v[168:169], -v[156:157]
	v_fma_f64 v[156:157], v[3:4], v[168:169], v[162:163]
	v_add_f64 v[137:138], v[144:145], v[137:138]
	v_add_f64 v[148:149], v[146:147], v[148:149]
	ds_read_b128 v[1:4], v186 offset:96
	ds_read_b128 v[144:147], v186 offset:112
	v_fma_f64 v[140:141], v[140:141], v[166:167], -v[150:151]
	v_fma_f64 v[142:143], v[142:143], v[166:167], v[152:153]
	s_waitcnt vmcnt(4) lgkmcnt(1)
	v_mul_f64 v[158:159], v[3:4], v[170:171]
	v_mul_f64 v[160:161], v[1:2], v[170:171]
	v_add_f64 v[137:138], v[137:138], v[154:155]
	v_add_f64 v[148:149], v[148:149], v[156:157]
	s_waitcnt vmcnt(2) lgkmcnt(0)
	v_mul_f64 v[150:151], v[146:147], v[172:173]
	v_mul_f64 v[152:153], v[144:145], v[172:173]
	s_waitcnt vmcnt(0)
	v_fma_f64 v[1:2], v[1:2], v[176:177], -v[158:159]
	v_fma_f64 v[3:4], v[3:4], v[176:177], v[160:161]
	v_add_f64 v[137:138], v[137:138], v[140:141]
	v_add_f64 v[140:141], v[148:149], v[142:143]
	v_fma_f64 v[142:143], v[144:145], v[174:175], -v[150:151]
	v_fma_f64 v[144:145], v[146:147], v[174:175], v[152:153]
	v_add_f64 v[1:2], v[137:138], v[1:2]
	v_add_f64 v[3:4], v[140:141], v[3:4]
	v_mov_b32_e32 v137, s76
	s_mov_b32 s76, s77
	v_add_f64 v[1:2], v[1:2], v[142:143]
	v_add_f64 v[3:4], v[3:4], v[144:145]
	s_andn2_b32 exec_lo, exec_lo, s73
	s_cbranch_execnz .LBB63_529
; %bb.530:
	s_or_b32 exec_lo, exec_lo, s73
.LBB63_531:
	s_or_b32 exec_lo, exec_lo, s5
	v_and_b32_e32 v135, 7, v135
	s_mov_b32 s73, 0
	s_mov_b32 s5, exec_lo
	v_cmpx_ne_u32_e32 0, v135
	s_cbranch_execz .LBB63_535
; %bb.532:
	v_lshlrev_b32_e32 v137, 4, v137
	v_add_nc_u32_e32 v136, 0x400, v137
	.p2align	6
.LBB63_533:                             ; =>This Inner Loop Header: Depth=1
	s_clause 0x3
	buffer_load_dword v144, v137, s[0:3], 0 offen offset:8
	buffer_load_dword v145, v137, s[0:3], 0 offen offset:12
	buffer_load_dword v146, v137, s[0:3], 0 offen
	buffer_load_dword v147, v137, s[0:3], 0 offen offset:4
	ds_read_b128 v[140:143], v136
	v_add_nc_u32_e32 v135, -1, v135
	v_add_nc_u32_e32 v136, 16, v136
	v_add_nc_u32_e32 v137, 16, v137
	v_cmp_eq_u32_e32 vcc_lo, 0, v135
	s_or_b32 s73, vcc_lo, s73
	s_waitcnt vmcnt(2) lgkmcnt(0)
	v_mul_f64 v[148:149], v[142:143], v[144:145]
	v_mul_f64 v[144:145], v[140:141], v[144:145]
	s_waitcnt vmcnt(0)
	v_fma_f64 v[140:141], v[140:141], v[146:147], -v[148:149]
	v_fma_f64 v[142:143], v[142:143], v[146:147], v[144:145]
	v_add_f64 v[1:2], v[1:2], v[140:141]
	v_add_f64 v[3:4], v[3:4], v[142:143]
	s_andn2_b32 exec_lo, exec_lo, s73
	s_cbranch_execnz .LBB63_533
; %bb.534:
	s_or_b32 exec_lo, exec_lo, s73
.LBB63_535:
	s_or_b32 exec_lo, exec_lo, s5
.LBB63_536:
	s_or_b32 exec_lo, exec_lo, s8
	v_mov_b32_e32 v135, 0
	ds_read_b128 v[135:138], v135 offset:384
	s_waitcnt lgkmcnt(0)
	v_mul_f64 v[140:141], v[3:4], v[137:138]
	v_mul_f64 v[137:138], v[1:2], v[137:138]
	v_fma_f64 v[1:2], v[1:2], v[135:136], -v[140:141]
	v_fma_f64 v[3:4], v[3:4], v[135:136], v[137:138]
	buffer_store_dword v2, off, s[0:3], 0 offset:388
	buffer_store_dword v1, off, s[0:3], 0 offset:384
	;; [unrolled: 1-line block ×4, first 2 shown]
.LBB63_537:
	s_or_b32 exec_lo, exec_lo, s6
	v_mov_b32_e32 v4, s50
	v_cmp_lt_u32_e64 s5, 23, v0
	s_clause 0x3
	buffer_load_dword v1, v4, s[0:3], 0 offen
	buffer_load_dword v2, v4, s[0:3], 0 offen offset:4
	buffer_load_dword v3, v4, s[0:3], 0 offen offset:8
	;; [unrolled: 1-line block ×3, first 2 shown]
	s_waitcnt vmcnt(0)
	ds_write_b128 v134, v[1:4]
	s_waitcnt lgkmcnt(0)
	s_waitcnt_vscnt null, 0x0
	s_barrier
	buffer_gl0_inv
	s_and_saveexec_b32 s6, s5
	s_cbranch_execz .LBB63_551
; %bb.538:
	ds_read_b128 v[1:4], v134
	s_andn2_b32 vcc_lo, exec_lo, s7
	s_cbranch_vccnz .LBB63_540
; %bb.539:
	s_clause 0x3
	buffer_load_dword v135, v133, s[0:3], 0 offen offset:8
	buffer_load_dword v136, v133, s[0:3], 0 offen offset:12
	buffer_load_dword v137, v133, s[0:3], 0 offen
	buffer_load_dword v138, v133, s[0:3], 0 offen offset:4
	s_waitcnt vmcnt(2) lgkmcnt(0)
	v_mul_f64 v[140:141], v[3:4], v[135:136]
	v_mul_f64 v[135:136], v[1:2], v[135:136]
	s_waitcnt vmcnt(0)
	v_fma_f64 v[1:2], v[1:2], v[137:138], -v[140:141]
	v_fma_f64 v[3:4], v[3:4], v[137:138], v[135:136]
.LBB63_540:
	s_and_saveexec_b32 s8, s4
	s_cbranch_execz .LBB63_550
; %bb.541:
	v_subrev_nc_u32_e32 v135, 25, v0
	v_cmp_lt_u32_e32 vcc_lo, 6, v135
	v_mov_b32_e32 v135, 24
	s_and_saveexec_b32 s4, vcc_lo
	s_cbranch_execz .LBB63_545
; %bb.542:
	v_and_b32_e32 v135, 56, v0
	s_mov_b32 s73, 24
	s_movk_i32 s75, 0x580
	s_mov_b32 s74, 0
	s_mov_b32 s76, s49
.LBB63_543:                             ; =>This Inner Loop Header: Depth=1
	v_mov_b32_e32 v138, s76
	s_add_i32 s73, s73, 8
	s_addk_i32 s76, 0x80
	v_cmp_eq_u32_e32 vcc_lo, s73, v135
	s_clause 0x1f
	buffer_load_dword v136, v138, s[0:3], 0 offen offset:8
	buffer_load_dword v137, v138, s[0:3], 0 offen offset:12
	buffer_load_dword v148, v138, s[0:3], 0 offen
	buffer_load_dword v149, v138, s[0:3], 0 offen offset:4
	buffer_load_dword v150, v138, s[0:3], 0 offen offset:24
	;; [unrolled: 1-line block ×29, first 2 shown]
	v_mov_b32_e32 v138, s75
	s_addk_i32 s75, 0x80
	s_or_b32 s74, vcc_lo, s74
	ds_read_b128 v[140:143], v138
	ds_read_b128 v[144:147], v138 offset:16
	s_waitcnt vmcnt(30) lgkmcnt(1)
	v_mul_f64 v[178:179], v[142:143], v[136:137]
	v_mul_f64 v[136:137], v[140:141], v[136:137]
	s_waitcnt vmcnt(26) lgkmcnt(0)
	v_mul_f64 v[180:181], v[146:147], v[150:151]
	v_mul_f64 v[182:183], v[144:145], v[150:151]
	v_fma_f64 v[178:179], v[140:141], v[148:149], -v[178:179]
	v_fma_f64 v[136:137], v[142:143], v[148:149], v[136:137]
	ds_read_b128 v[140:143], v138 offset:32
	ds_read_b128 v[148:151], v138 offset:48
	s_waitcnt vmcnt(24)
	v_fma_f64 v[144:145], v[144:145], v[152:153], -v[180:181]
	v_fma_f64 v[146:147], v[146:147], v[152:153], v[182:183]
	s_waitcnt vmcnt(22) lgkmcnt(1)
	v_mul_f64 v[184:185], v[142:143], v[154:155]
	v_mul_f64 v[154:155], v[140:141], v[154:155]
	v_add_f64 v[1:2], v[1:2], v[178:179]
	v_add_f64 v[3:4], v[3:4], v[136:137]
	s_waitcnt vmcnt(18) lgkmcnt(0)
	v_mul_f64 v[136:137], v[150:151], v[158:159]
	v_mul_f64 v[152:153], v[148:149], v[158:159]
	v_fma_f64 v[158:159], v[140:141], v[156:157], -v[184:185]
	v_fma_f64 v[154:155], v[142:143], v[156:157], v[154:155]
	v_add_f64 v[144:145], v[1:2], v[144:145]
	v_add_f64 v[146:147], v[3:4], v[146:147]
	ds_read_b128 v[1:4], v138 offset:64
	ds_read_b128 v[140:143], v138 offset:80
	s_waitcnt vmcnt(16)
	v_fma_f64 v[136:137], v[148:149], v[160:161], -v[136:137]
	v_fma_f64 v[148:149], v[150:151], v[160:161], v[152:153]
	s_waitcnt vmcnt(12) lgkmcnt(1)
	v_mul_f64 v[156:157], v[3:4], v[162:163]
	v_mul_f64 v[162:163], v[1:2], v[162:163]
	v_add_f64 v[144:145], v[144:145], v[158:159]
	v_add_f64 v[146:147], v[146:147], v[154:155]
	s_waitcnt vmcnt(10) lgkmcnt(0)
	v_mul_f64 v[150:151], v[142:143], v[164:165]
	v_mul_f64 v[152:153], v[140:141], v[164:165]
	s_waitcnt vmcnt(8)
	v_fma_f64 v[154:155], v[1:2], v[168:169], -v[156:157]
	v_fma_f64 v[156:157], v[3:4], v[168:169], v[162:163]
	v_add_f64 v[136:137], v[144:145], v[136:137]
	v_add_f64 v[148:149], v[146:147], v[148:149]
	ds_read_b128 v[1:4], v138 offset:96
	ds_read_b128 v[144:147], v138 offset:112
	v_fma_f64 v[140:141], v[140:141], v[166:167], -v[150:151]
	v_fma_f64 v[142:143], v[142:143], v[166:167], v[152:153]
	s_waitcnt vmcnt(4) lgkmcnt(1)
	v_mul_f64 v[158:159], v[3:4], v[170:171]
	v_mul_f64 v[160:161], v[1:2], v[170:171]
	v_add_f64 v[136:137], v[136:137], v[154:155]
	v_add_f64 v[148:149], v[148:149], v[156:157]
	s_waitcnt vmcnt(2) lgkmcnt(0)
	v_mul_f64 v[150:151], v[146:147], v[172:173]
	v_mul_f64 v[152:153], v[144:145], v[172:173]
	s_waitcnt vmcnt(0)
	v_fma_f64 v[1:2], v[1:2], v[176:177], -v[158:159]
	v_fma_f64 v[3:4], v[3:4], v[176:177], v[160:161]
	v_add_f64 v[136:137], v[136:137], v[140:141]
	v_add_f64 v[140:141], v[148:149], v[142:143]
	v_fma_f64 v[142:143], v[144:145], v[174:175], -v[150:151]
	v_fma_f64 v[144:145], v[146:147], v[174:175], v[152:153]
	v_add_f64 v[1:2], v[136:137], v[1:2]
	v_add_f64 v[3:4], v[140:141], v[3:4]
	;; [unrolled: 1-line block ×4, first 2 shown]
	s_andn2_b32 exec_lo, exec_lo, s74
	s_cbranch_execnz .LBB63_543
; %bb.544:
	s_or_b32 exec_lo, exec_lo, s74
.LBB63_545:
	s_or_b32 exec_lo, exec_lo, s4
	v_and_b32_e32 v136, 7, v0
	s_mov_b32 s73, 0
	s_mov_b32 s4, exec_lo
	v_cmpx_ne_u32_e32 0, v136
	s_cbranch_execz .LBB63_549
; %bb.546:
	v_lshlrev_b32_e32 v137, 4, v135
	v_or_b32_e32 v135, 0x400, v137
	.p2align	6
.LBB63_547:                             ; =>This Inner Loop Header: Depth=1
	s_clause 0x3
	buffer_load_dword v144, v137, s[0:3], 0 offen offset:8
	buffer_load_dword v145, v137, s[0:3], 0 offen offset:12
	buffer_load_dword v146, v137, s[0:3], 0 offen
	buffer_load_dword v147, v137, s[0:3], 0 offen offset:4
	ds_read_b128 v[140:143], v135
	v_add_nc_u32_e32 v136, -1, v136
	v_add_nc_u32_e32 v135, 16, v135
	v_add_nc_u32_e32 v137, 16, v137
	v_cmp_eq_u32_e32 vcc_lo, 0, v136
	s_or_b32 s73, vcc_lo, s73
	s_waitcnt vmcnt(2) lgkmcnt(0)
	v_mul_f64 v[148:149], v[142:143], v[144:145]
	v_mul_f64 v[144:145], v[140:141], v[144:145]
	s_waitcnt vmcnt(0)
	v_fma_f64 v[140:141], v[140:141], v[146:147], -v[148:149]
	v_fma_f64 v[142:143], v[142:143], v[146:147], v[144:145]
	v_add_f64 v[1:2], v[1:2], v[140:141]
	v_add_f64 v[3:4], v[3:4], v[142:143]
	s_andn2_b32 exec_lo, exec_lo, s73
	s_cbranch_execnz .LBB63_547
; %bb.548:
	s_or_b32 exec_lo, exec_lo, s73
.LBB63_549:
	s_or_b32 exec_lo, exec_lo, s4
.LBB63_550:
	s_or_b32 exec_lo, exec_lo, s8
	v_mov_b32_e32 v135, 0
	ds_read_b128 v[135:138], v135 offset:368
	s_waitcnt lgkmcnt(0)
	v_mul_f64 v[140:141], v[3:4], v[137:138]
	v_mul_f64 v[137:138], v[1:2], v[137:138]
	v_fma_f64 v[1:2], v[1:2], v[135:136], -v[140:141]
	v_fma_f64 v[3:4], v[3:4], v[135:136], v[137:138]
	buffer_store_dword v2, off, s[0:3], 0 offset:372
	buffer_store_dword v1, off, s[0:3], 0 offset:368
	;; [unrolled: 1-line block ×4, first 2 shown]
.LBB63_551:
	s_or_b32 exec_lo, exec_lo, s6
	v_mov_b32_e32 v4, s51
	v_cmp_lt_u32_e64 s4, 22, v0
	s_clause 0x3
	buffer_load_dword v1, v4, s[0:3], 0 offen
	buffer_load_dword v2, v4, s[0:3], 0 offen offset:4
	buffer_load_dword v3, v4, s[0:3], 0 offen offset:8
	;; [unrolled: 1-line block ×3, first 2 shown]
	s_waitcnt vmcnt(0)
	ds_write_b128 v134, v[1:4]
	s_waitcnt lgkmcnt(0)
	s_waitcnt_vscnt null, 0x0
	s_barrier
	buffer_gl0_inv
	s_and_saveexec_b32 s6, s4
	s_cbranch_execz .LBB63_565
; %bb.552:
	ds_read_b128 v[1:4], v134
	s_andn2_b32 vcc_lo, exec_lo, s7
	s_cbranch_vccnz .LBB63_554
; %bb.553:
	s_clause 0x3
	buffer_load_dword v135, v133, s[0:3], 0 offen offset:8
	buffer_load_dword v136, v133, s[0:3], 0 offen offset:12
	buffer_load_dword v137, v133, s[0:3], 0 offen
	buffer_load_dword v138, v133, s[0:3], 0 offen offset:4
	s_waitcnt vmcnt(2) lgkmcnt(0)
	v_mul_f64 v[140:141], v[3:4], v[135:136]
	v_mul_f64 v[135:136], v[1:2], v[135:136]
	s_waitcnt vmcnt(0)
	v_fma_f64 v[1:2], v[1:2], v[137:138], -v[140:141]
	v_fma_f64 v[3:4], v[3:4], v[137:138], v[135:136]
.LBB63_554:
	s_and_saveexec_b32 s8, s5
	s_cbranch_execz .LBB63_564
; %bb.555:
	v_subrev_nc_u32_e32 v136, 24, v0
	v_mov_b32_e32 v137, 23
	v_subrev_nc_u32_e32 v135, 23, v0
	s_mov_b32 s5, exec_lo
	v_cmpx_lt_u32_e32 6, v136
	s_cbranch_execz .LBB63_559
; %bb.556:
	v_and_b32_e32 v136, -8, v135
	s_movk_i32 s74, 0x570
	s_mov_b32 s73, 0
	s_mov_b32 s75, s50
	;; [unrolled: 1-line block ×3, first 2 shown]
.LBB63_557:                             ; =>This Inner Loop Header: Depth=1
	v_mov_b32_e32 v140, s75
	v_mov_b32_e32 v186, s74
	s_add_i32 s77, s76, 8
	s_add_i32 s76, s76, 31
	v_cmp_eq_u32_e32 vcc_lo, s77, v136
	s_clause 0x1f
	buffer_load_dword v137, v140, s[0:3], 0 offen offset:8
	buffer_load_dword v138, v140, s[0:3], 0 offen offset:12
	buffer_load_dword v148, v140, s[0:3], 0 offen
	buffer_load_dword v149, v140, s[0:3], 0 offen offset:4
	buffer_load_dword v150, v140, s[0:3], 0 offen offset:24
	;; [unrolled: 1-line block ×29, first 2 shown]
	ds_read_b128 v[140:143], v186
	ds_read_b128 v[144:147], v186 offset:16
	s_addk_i32 s74, 0x80
	s_addk_i32 s75, 0x80
	s_or_b32 s73, vcc_lo, s73
	s_waitcnt vmcnt(30) lgkmcnt(1)
	v_mul_f64 v[178:179], v[142:143], v[137:138]
	v_mul_f64 v[137:138], v[140:141], v[137:138]
	s_waitcnt vmcnt(26) lgkmcnt(0)
	v_mul_f64 v[180:181], v[146:147], v[150:151]
	v_mul_f64 v[182:183], v[144:145], v[150:151]
	v_fma_f64 v[178:179], v[140:141], v[148:149], -v[178:179]
	v_fma_f64 v[137:138], v[142:143], v[148:149], v[137:138]
	ds_read_b128 v[140:143], v186 offset:32
	ds_read_b128 v[148:151], v186 offset:48
	s_waitcnt vmcnt(24)
	v_fma_f64 v[144:145], v[144:145], v[152:153], -v[180:181]
	v_fma_f64 v[146:147], v[146:147], v[152:153], v[182:183]
	s_waitcnt vmcnt(22) lgkmcnt(1)
	v_mul_f64 v[184:185], v[142:143], v[154:155]
	v_mul_f64 v[154:155], v[140:141], v[154:155]
	v_add_f64 v[1:2], v[1:2], v[178:179]
	v_add_f64 v[3:4], v[3:4], v[137:138]
	s_waitcnt vmcnt(18) lgkmcnt(0)
	v_mul_f64 v[137:138], v[150:151], v[158:159]
	v_mul_f64 v[152:153], v[148:149], v[158:159]
	v_fma_f64 v[158:159], v[140:141], v[156:157], -v[184:185]
	v_fma_f64 v[154:155], v[142:143], v[156:157], v[154:155]
	v_add_f64 v[144:145], v[1:2], v[144:145]
	v_add_f64 v[146:147], v[3:4], v[146:147]
	ds_read_b128 v[1:4], v186 offset:64
	ds_read_b128 v[140:143], v186 offset:80
	s_waitcnt vmcnt(16)
	v_fma_f64 v[137:138], v[148:149], v[160:161], -v[137:138]
	v_fma_f64 v[148:149], v[150:151], v[160:161], v[152:153]
	s_waitcnt vmcnt(12) lgkmcnt(1)
	v_mul_f64 v[156:157], v[3:4], v[162:163]
	v_mul_f64 v[162:163], v[1:2], v[162:163]
	v_add_f64 v[144:145], v[144:145], v[158:159]
	v_add_f64 v[146:147], v[146:147], v[154:155]
	s_waitcnt vmcnt(10) lgkmcnt(0)
	v_mul_f64 v[150:151], v[142:143], v[164:165]
	v_mul_f64 v[152:153], v[140:141], v[164:165]
	s_waitcnt vmcnt(8)
	v_fma_f64 v[154:155], v[1:2], v[168:169], -v[156:157]
	v_fma_f64 v[156:157], v[3:4], v[168:169], v[162:163]
	v_add_f64 v[137:138], v[144:145], v[137:138]
	v_add_f64 v[148:149], v[146:147], v[148:149]
	ds_read_b128 v[1:4], v186 offset:96
	ds_read_b128 v[144:147], v186 offset:112
	v_fma_f64 v[140:141], v[140:141], v[166:167], -v[150:151]
	v_fma_f64 v[142:143], v[142:143], v[166:167], v[152:153]
	s_waitcnt vmcnt(4) lgkmcnt(1)
	v_mul_f64 v[158:159], v[3:4], v[170:171]
	v_mul_f64 v[160:161], v[1:2], v[170:171]
	v_add_f64 v[137:138], v[137:138], v[154:155]
	v_add_f64 v[148:149], v[148:149], v[156:157]
	s_waitcnt vmcnt(2) lgkmcnt(0)
	v_mul_f64 v[150:151], v[146:147], v[172:173]
	v_mul_f64 v[152:153], v[144:145], v[172:173]
	s_waitcnt vmcnt(0)
	v_fma_f64 v[1:2], v[1:2], v[176:177], -v[158:159]
	v_fma_f64 v[3:4], v[3:4], v[176:177], v[160:161]
	v_add_f64 v[137:138], v[137:138], v[140:141]
	v_add_f64 v[140:141], v[148:149], v[142:143]
	v_fma_f64 v[142:143], v[144:145], v[174:175], -v[150:151]
	v_fma_f64 v[144:145], v[146:147], v[174:175], v[152:153]
	v_add_f64 v[1:2], v[137:138], v[1:2]
	v_add_f64 v[3:4], v[140:141], v[3:4]
	v_mov_b32_e32 v137, s76
	s_mov_b32 s76, s77
	v_add_f64 v[1:2], v[1:2], v[142:143]
	v_add_f64 v[3:4], v[3:4], v[144:145]
	s_andn2_b32 exec_lo, exec_lo, s73
	s_cbranch_execnz .LBB63_557
; %bb.558:
	s_or_b32 exec_lo, exec_lo, s73
.LBB63_559:
	s_or_b32 exec_lo, exec_lo, s5
	v_and_b32_e32 v135, 7, v135
	s_mov_b32 s73, 0
	s_mov_b32 s5, exec_lo
	v_cmpx_ne_u32_e32 0, v135
	s_cbranch_execz .LBB63_563
; %bb.560:
	v_lshlrev_b32_e32 v137, 4, v137
	v_add_nc_u32_e32 v136, 0x400, v137
	.p2align	6
.LBB63_561:                             ; =>This Inner Loop Header: Depth=1
	s_clause 0x3
	buffer_load_dword v144, v137, s[0:3], 0 offen offset:8
	buffer_load_dword v145, v137, s[0:3], 0 offen offset:12
	buffer_load_dword v146, v137, s[0:3], 0 offen
	buffer_load_dword v147, v137, s[0:3], 0 offen offset:4
	ds_read_b128 v[140:143], v136
	v_add_nc_u32_e32 v135, -1, v135
	v_add_nc_u32_e32 v136, 16, v136
	v_add_nc_u32_e32 v137, 16, v137
	v_cmp_eq_u32_e32 vcc_lo, 0, v135
	s_or_b32 s73, vcc_lo, s73
	s_waitcnt vmcnt(2) lgkmcnt(0)
	v_mul_f64 v[148:149], v[142:143], v[144:145]
	v_mul_f64 v[144:145], v[140:141], v[144:145]
	s_waitcnt vmcnt(0)
	v_fma_f64 v[140:141], v[140:141], v[146:147], -v[148:149]
	v_fma_f64 v[142:143], v[142:143], v[146:147], v[144:145]
	v_add_f64 v[1:2], v[1:2], v[140:141]
	v_add_f64 v[3:4], v[3:4], v[142:143]
	s_andn2_b32 exec_lo, exec_lo, s73
	s_cbranch_execnz .LBB63_561
; %bb.562:
	s_or_b32 exec_lo, exec_lo, s73
.LBB63_563:
	s_or_b32 exec_lo, exec_lo, s5
.LBB63_564:
	s_or_b32 exec_lo, exec_lo, s8
	v_mov_b32_e32 v135, 0
	ds_read_b128 v[135:138], v135 offset:352
	s_waitcnt lgkmcnt(0)
	v_mul_f64 v[140:141], v[3:4], v[137:138]
	v_mul_f64 v[137:138], v[1:2], v[137:138]
	v_fma_f64 v[1:2], v[1:2], v[135:136], -v[140:141]
	v_fma_f64 v[3:4], v[3:4], v[135:136], v[137:138]
	buffer_store_dword v2, off, s[0:3], 0 offset:356
	buffer_store_dword v1, off, s[0:3], 0 offset:352
	;; [unrolled: 1-line block ×4, first 2 shown]
.LBB63_565:
	s_or_b32 exec_lo, exec_lo, s6
	v_mov_b32_e32 v4, s52
	v_cmp_lt_u32_e64 s5, 21, v0
	s_clause 0x3
	buffer_load_dword v1, v4, s[0:3], 0 offen
	buffer_load_dword v2, v4, s[0:3], 0 offen offset:4
	buffer_load_dword v3, v4, s[0:3], 0 offen offset:8
	;; [unrolled: 1-line block ×3, first 2 shown]
	s_waitcnt vmcnt(0)
	ds_write_b128 v134, v[1:4]
	s_waitcnt lgkmcnt(0)
	s_waitcnt_vscnt null, 0x0
	s_barrier
	buffer_gl0_inv
	s_and_saveexec_b32 s6, s5
	s_cbranch_execz .LBB63_579
; %bb.566:
	ds_read_b128 v[1:4], v134
	s_andn2_b32 vcc_lo, exec_lo, s7
	s_cbranch_vccnz .LBB63_568
; %bb.567:
	s_clause 0x3
	buffer_load_dword v135, v133, s[0:3], 0 offen offset:8
	buffer_load_dword v136, v133, s[0:3], 0 offen offset:12
	buffer_load_dword v137, v133, s[0:3], 0 offen
	buffer_load_dword v138, v133, s[0:3], 0 offen offset:4
	s_waitcnt vmcnt(2) lgkmcnt(0)
	v_mul_f64 v[140:141], v[3:4], v[135:136]
	v_mul_f64 v[135:136], v[1:2], v[135:136]
	s_waitcnt vmcnt(0)
	v_fma_f64 v[1:2], v[1:2], v[137:138], -v[140:141]
	v_fma_f64 v[3:4], v[3:4], v[137:138], v[135:136]
.LBB63_568:
	s_and_saveexec_b32 s8, s4
	s_cbranch_execz .LBB63_578
; %bb.569:
	v_subrev_nc_u32_e32 v136, 23, v0
	v_mov_b32_e32 v137, 22
	v_subrev_nc_u32_e32 v135, 22, v0
	s_mov_b32 s4, exec_lo
	v_cmpx_lt_u32_e32 6, v136
	s_cbranch_execz .LBB63_573
; %bb.570:
	v_and_b32_e32 v136, -8, v135
	s_movk_i32 s74, 0x560
	s_mov_b32 s73, 0
	s_mov_b32 s75, s51
	s_mov_b32 s76, 0
.LBB63_571:                             ; =>This Inner Loop Header: Depth=1
	v_mov_b32_e32 v140, s75
	v_mov_b32_e32 v186, s74
	s_add_i32 s77, s76, 8
	s_add_i32 s76, s76, 30
	v_cmp_eq_u32_e32 vcc_lo, s77, v136
	s_clause 0x1f
	buffer_load_dword v137, v140, s[0:3], 0 offen offset:8
	buffer_load_dword v138, v140, s[0:3], 0 offen offset:12
	buffer_load_dword v148, v140, s[0:3], 0 offen
	buffer_load_dword v149, v140, s[0:3], 0 offen offset:4
	buffer_load_dword v150, v140, s[0:3], 0 offen offset:24
	;; [unrolled: 1-line block ×29, first 2 shown]
	ds_read_b128 v[140:143], v186
	ds_read_b128 v[144:147], v186 offset:16
	s_addk_i32 s74, 0x80
	s_addk_i32 s75, 0x80
	s_or_b32 s73, vcc_lo, s73
	s_waitcnt vmcnt(30) lgkmcnt(1)
	v_mul_f64 v[178:179], v[142:143], v[137:138]
	v_mul_f64 v[137:138], v[140:141], v[137:138]
	s_waitcnt vmcnt(26) lgkmcnt(0)
	v_mul_f64 v[180:181], v[146:147], v[150:151]
	v_mul_f64 v[182:183], v[144:145], v[150:151]
	v_fma_f64 v[178:179], v[140:141], v[148:149], -v[178:179]
	v_fma_f64 v[137:138], v[142:143], v[148:149], v[137:138]
	ds_read_b128 v[140:143], v186 offset:32
	ds_read_b128 v[148:151], v186 offset:48
	s_waitcnt vmcnt(24)
	v_fma_f64 v[144:145], v[144:145], v[152:153], -v[180:181]
	v_fma_f64 v[146:147], v[146:147], v[152:153], v[182:183]
	s_waitcnt vmcnt(22) lgkmcnt(1)
	v_mul_f64 v[184:185], v[142:143], v[154:155]
	v_mul_f64 v[154:155], v[140:141], v[154:155]
	v_add_f64 v[1:2], v[1:2], v[178:179]
	v_add_f64 v[3:4], v[3:4], v[137:138]
	s_waitcnt vmcnt(18) lgkmcnt(0)
	v_mul_f64 v[137:138], v[150:151], v[158:159]
	v_mul_f64 v[152:153], v[148:149], v[158:159]
	v_fma_f64 v[158:159], v[140:141], v[156:157], -v[184:185]
	v_fma_f64 v[154:155], v[142:143], v[156:157], v[154:155]
	v_add_f64 v[144:145], v[1:2], v[144:145]
	v_add_f64 v[146:147], v[3:4], v[146:147]
	ds_read_b128 v[1:4], v186 offset:64
	ds_read_b128 v[140:143], v186 offset:80
	s_waitcnt vmcnt(16)
	v_fma_f64 v[137:138], v[148:149], v[160:161], -v[137:138]
	v_fma_f64 v[148:149], v[150:151], v[160:161], v[152:153]
	s_waitcnt vmcnt(12) lgkmcnt(1)
	v_mul_f64 v[156:157], v[3:4], v[162:163]
	v_mul_f64 v[162:163], v[1:2], v[162:163]
	v_add_f64 v[144:145], v[144:145], v[158:159]
	v_add_f64 v[146:147], v[146:147], v[154:155]
	s_waitcnt vmcnt(10) lgkmcnt(0)
	v_mul_f64 v[150:151], v[142:143], v[164:165]
	v_mul_f64 v[152:153], v[140:141], v[164:165]
	s_waitcnt vmcnt(8)
	v_fma_f64 v[154:155], v[1:2], v[168:169], -v[156:157]
	v_fma_f64 v[156:157], v[3:4], v[168:169], v[162:163]
	v_add_f64 v[137:138], v[144:145], v[137:138]
	v_add_f64 v[148:149], v[146:147], v[148:149]
	ds_read_b128 v[1:4], v186 offset:96
	ds_read_b128 v[144:147], v186 offset:112
	v_fma_f64 v[140:141], v[140:141], v[166:167], -v[150:151]
	v_fma_f64 v[142:143], v[142:143], v[166:167], v[152:153]
	s_waitcnt vmcnt(4) lgkmcnt(1)
	v_mul_f64 v[158:159], v[3:4], v[170:171]
	v_mul_f64 v[160:161], v[1:2], v[170:171]
	v_add_f64 v[137:138], v[137:138], v[154:155]
	v_add_f64 v[148:149], v[148:149], v[156:157]
	s_waitcnt vmcnt(2) lgkmcnt(0)
	v_mul_f64 v[150:151], v[146:147], v[172:173]
	v_mul_f64 v[152:153], v[144:145], v[172:173]
	s_waitcnt vmcnt(0)
	v_fma_f64 v[1:2], v[1:2], v[176:177], -v[158:159]
	v_fma_f64 v[3:4], v[3:4], v[176:177], v[160:161]
	v_add_f64 v[137:138], v[137:138], v[140:141]
	v_add_f64 v[140:141], v[148:149], v[142:143]
	v_fma_f64 v[142:143], v[144:145], v[174:175], -v[150:151]
	v_fma_f64 v[144:145], v[146:147], v[174:175], v[152:153]
	v_add_f64 v[1:2], v[137:138], v[1:2]
	v_add_f64 v[3:4], v[140:141], v[3:4]
	v_mov_b32_e32 v137, s76
	s_mov_b32 s76, s77
	v_add_f64 v[1:2], v[1:2], v[142:143]
	v_add_f64 v[3:4], v[3:4], v[144:145]
	s_andn2_b32 exec_lo, exec_lo, s73
	s_cbranch_execnz .LBB63_571
; %bb.572:
	s_or_b32 exec_lo, exec_lo, s73
.LBB63_573:
	s_or_b32 exec_lo, exec_lo, s4
	v_and_b32_e32 v135, 7, v135
	s_mov_b32 s73, 0
	s_mov_b32 s4, exec_lo
	v_cmpx_ne_u32_e32 0, v135
	s_cbranch_execz .LBB63_577
; %bb.574:
	v_lshlrev_b32_e32 v137, 4, v137
	v_add_nc_u32_e32 v136, 0x400, v137
	.p2align	6
.LBB63_575:                             ; =>This Inner Loop Header: Depth=1
	s_clause 0x3
	buffer_load_dword v144, v137, s[0:3], 0 offen offset:8
	buffer_load_dword v145, v137, s[0:3], 0 offen offset:12
	buffer_load_dword v146, v137, s[0:3], 0 offen
	buffer_load_dword v147, v137, s[0:3], 0 offen offset:4
	ds_read_b128 v[140:143], v136
	v_add_nc_u32_e32 v135, -1, v135
	v_add_nc_u32_e32 v136, 16, v136
	v_add_nc_u32_e32 v137, 16, v137
	v_cmp_eq_u32_e32 vcc_lo, 0, v135
	s_or_b32 s73, vcc_lo, s73
	s_waitcnt vmcnt(2) lgkmcnt(0)
	v_mul_f64 v[148:149], v[142:143], v[144:145]
	v_mul_f64 v[144:145], v[140:141], v[144:145]
	s_waitcnt vmcnt(0)
	v_fma_f64 v[140:141], v[140:141], v[146:147], -v[148:149]
	v_fma_f64 v[142:143], v[142:143], v[146:147], v[144:145]
	v_add_f64 v[1:2], v[1:2], v[140:141]
	v_add_f64 v[3:4], v[3:4], v[142:143]
	s_andn2_b32 exec_lo, exec_lo, s73
	s_cbranch_execnz .LBB63_575
; %bb.576:
	s_or_b32 exec_lo, exec_lo, s73
.LBB63_577:
	s_or_b32 exec_lo, exec_lo, s4
.LBB63_578:
	s_or_b32 exec_lo, exec_lo, s8
	v_mov_b32_e32 v135, 0
	ds_read_b128 v[135:138], v135 offset:336
	s_waitcnt lgkmcnt(0)
	v_mul_f64 v[140:141], v[3:4], v[137:138]
	v_mul_f64 v[137:138], v[1:2], v[137:138]
	v_fma_f64 v[1:2], v[1:2], v[135:136], -v[140:141]
	v_fma_f64 v[3:4], v[3:4], v[135:136], v[137:138]
	buffer_store_dword v2, off, s[0:3], 0 offset:340
	buffer_store_dword v1, off, s[0:3], 0 offset:336
	;; [unrolled: 1-line block ×4, first 2 shown]
.LBB63_579:
	s_or_b32 exec_lo, exec_lo, s6
	v_mov_b32_e32 v4, s53
	v_cmp_lt_u32_e64 s4, 20, v0
	s_clause 0x3
	buffer_load_dword v1, v4, s[0:3], 0 offen
	buffer_load_dword v2, v4, s[0:3], 0 offen offset:4
	buffer_load_dword v3, v4, s[0:3], 0 offen offset:8
	buffer_load_dword v4, v4, s[0:3], 0 offen offset:12
	s_waitcnt vmcnt(0)
	ds_write_b128 v134, v[1:4]
	s_waitcnt lgkmcnt(0)
	s_waitcnt_vscnt null, 0x0
	s_barrier
	buffer_gl0_inv
	s_and_saveexec_b32 s6, s4
	s_cbranch_execz .LBB63_593
; %bb.580:
	ds_read_b128 v[1:4], v134
	s_andn2_b32 vcc_lo, exec_lo, s7
	s_cbranch_vccnz .LBB63_582
; %bb.581:
	s_clause 0x3
	buffer_load_dword v135, v133, s[0:3], 0 offen offset:8
	buffer_load_dword v136, v133, s[0:3], 0 offen offset:12
	buffer_load_dword v137, v133, s[0:3], 0 offen
	buffer_load_dword v138, v133, s[0:3], 0 offen offset:4
	s_waitcnt vmcnt(2) lgkmcnt(0)
	v_mul_f64 v[140:141], v[3:4], v[135:136]
	v_mul_f64 v[135:136], v[1:2], v[135:136]
	s_waitcnt vmcnt(0)
	v_fma_f64 v[1:2], v[1:2], v[137:138], -v[140:141]
	v_fma_f64 v[3:4], v[3:4], v[137:138], v[135:136]
.LBB63_582:
	s_and_saveexec_b32 s8, s5
	s_cbranch_execz .LBB63_592
; %bb.583:
	v_subrev_nc_u32_e32 v136, 22, v0
	v_mov_b32_e32 v137, 21
	v_subrev_nc_u32_e32 v135, 21, v0
	s_mov_b32 s5, exec_lo
	v_cmpx_lt_u32_e32 6, v136
	s_cbranch_execz .LBB63_587
; %bb.584:
	v_and_b32_e32 v136, -8, v135
	s_movk_i32 s74, 0x550
	s_mov_b32 s73, 0
	s_mov_b32 s75, s52
	;; [unrolled: 1-line block ×3, first 2 shown]
.LBB63_585:                             ; =>This Inner Loop Header: Depth=1
	v_mov_b32_e32 v140, s75
	v_mov_b32_e32 v186, s74
	s_add_i32 s77, s76, 8
	s_add_i32 s76, s76, 29
	v_cmp_eq_u32_e32 vcc_lo, s77, v136
	s_clause 0x1f
	buffer_load_dword v137, v140, s[0:3], 0 offen offset:8
	buffer_load_dword v138, v140, s[0:3], 0 offen offset:12
	buffer_load_dword v148, v140, s[0:3], 0 offen
	buffer_load_dword v149, v140, s[0:3], 0 offen offset:4
	buffer_load_dword v150, v140, s[0:3], 0 offen offset:24
	;; [unrolled: 1-line block ×29, first 2 shown]
	ds_read_b128 v[140:143], v186
	ds_read_b128 v[144:147], v186 offset:16
	s_addk_i32 s74, 0x80
	s_addk_i32 s75, 0x80
	s_or_b32 s73, vcc_lo, s73
	s_waitcnt vmcnt(30) lgkmcnt(1)
	v_mul_f64 v[178:179], v[142:143], v[137:138]
	v_mul_f64 v[137:138], v[140:141], v[137:138]
	s_waitcnt vmcnt(26) lgkmcnt(0)
	v_mul_f64 v[180:181], v[146:147], v[150:151]
	v_mul_f64 v[182:183], v[144:145], v[150:151]
	v_fma_f64 v[178:179], v[140:141], v[148:149], -v[178:179]
	v_fma_f64 v[137:138], v[142:143], v[148:149], v[137:138]
	ds_read_b128 v[140:143], v186 offset:32
	ds_read_b128 v[148:151], v186 offset:48
	s_waitcnt vmcnt(24)
	v_fma_f64 v[144:145], v[144:145], v[152:153], -v[180:181]
	v_fma_f64 v[146:147], v[146:147], v[152:153], v[182:183]
	s_waitcnt vmcnt(22) lgkmcnt(1)
	v_mul_f64 v[184:185], v[142:143], v[154:155]
	v_mul_f64 v[154:155], v[140:141], v[154:155]
	v_add_f64 v[1:2], v[1:2], v[178:179]
	v_add_f64 v[3:4], v[3:4], v[137:138]
	s_waitcnt vmcnt(18) lgkmcnt(0)
	v_mul_f64 v[137:138], v[150:151], v[158:159]
	v_mul_f64 v[152:153], v[148:149], v[158:159]
	v_fma_f64 v[158:159], v[140:141], v[156:157], -v[184:185]
	v_fma_f64 v[154:155], v[142:143], v[156:157], v[154:155]
	v_add_f64 v[144:145], v[1:2], v[144:145]
	v_add_f64 v[146:147], v[3:4], v[146:147]
	ds_read_b128 v[1:4], v186 offset:64
	ds_read_b128 v[140:143], v186 offset:80
	s_waitcnt vmcnt(16)
	v_fma_f64 v[137:138], v[148:149], v[160:161], -v[137:138]
	v_fma_f64 v[148:149], v[150:151], v[160:161], v[152:153]
	s_waitcnt vmcnt(12) lgkmcnt(1)
	v_mul_f64 v[156:157], v[3:4], v[162:163]
	v_mul_f64 v[162:163], v[1:2], v[162:163]
	v_add_f64 v[144:145], v[144:145], v[158:159]
	v_add_f64 v[146:147], v[146:147], v[154:155]
	s_waitcnt vmcnt(10) lgkmcnt(0)
	v_mul_f64 v[150:151], v[142:143], v[164:165]
	v_mul_f64 v[152:153], v[140:141], v[164:165]
	s_waitcnt vmcnt(8)
	v_fma_f64 v[154:155], v[1:2], v[168:169], -v[156:157]
	v_fma_f64 v[156:157], v[3:4], v[168:169], v[162:163]
	v_add_f64 v[137:138], v[144:145], v[137:138]
	v_add_f64 v[148:149], v[146:147], v[148:149]
	ds_read_b128 v[1:4], v186 offset:96
	ds_read_b128 v[144:147], v186 offset:112
	v_fma_f64 v[140:141], v[140:141], v[166:167], -v[150:151]
	v_fma_f64 v[142:143], v[142:143], v[166:167], v[152:153]
	s_waitcnt vmcnt(4) lgkmcnt(1)
	v_mul_f64 v[158:159], v[3:4], v[170:171]
	v_mul_f64 v[160:161], v[1:2], v[170:171]
	v_add_f64 v[137:138], v[137:138], v[154:155]
	v_add_f64 v[148:149], v[148:149], v[156:157]
	s_waitcnt vmcnt(2) lgkmcnt(0)
	v_mul_f64 v[150:151], v[146:147], v[172:173]
	v_mul_f64 v[152:153], v[144:145], v[172:173]
	s_waitcnt vmcnt(0)
	v_fma_f64 v[1:2], v[1:2], v[176:177], -v[158:159]
	v_fma_f64 v[3:4], v[3:4], v[176:177], v[160:161]
	v_add_f64 v[137:138], v[137:138], v[140:141]
	v_add_f64 v[140:141], v[148:149], v[142:143]
	v_fma_f64 v[142:143], v[144:145], v[174:175], -v[150:151]
	v_fma_f64 v[144:145], v[146:147], v[174:175], v[152:153]
	v_add_f64 v[1:2], v[137:138], v[1:2]
	v_add_f64 v[3:4], v[140:141], v[3:4]
	v_mov_b32_e32 v137, s76
	s_mov_b32 s76, s77
	v_add_f64 v[1:2], v[1:2], v[142:143]
	v_add_f64 v[3:4], v[3:4], v[144:145]
	s_andn2_b32 exec_lo, exec_lo, s73
	s_cbranch_execnz .LBB63_585
; %bb.586:
	s_or_b32 exec_lo, exec_lo, s73
.LBB63_587:
	s_or_b32 exec_lo, exec_lo, s5
	v_and_b32_e32 v135, 7, v135
	s_mov_b32 s73, 0
	s_mov_b32 s5, exec_lo
	v_cmpx_ne_u32_e32 0, v135
	s_cbranch_execz .LBB63_591
; %bb.588:
	v_lshlrev_b32_e32 v137, 4, v137
	v_add_nc_u32_e32 v136, 0x400, v137
	.p2align	6
.LBB63_589:                             ; =>This Inner Loop Header: Depth=1
	s_clause 0x3
	buffer_load_dword v144, v137, s[0:3], 0 offen offset:8
	buffer_load_dword v145, v137, s[0:3], 0 offen offset:12
	buffer_load_dword v146, v137, s[0:3], 0 offen
	buffer_load_dword v147, v137, s[0:3], 0 offen offset:4
	ds_read_b128 v[140:143], v136
	v_add_nc_u32_e32 v135, -1, v135
	v_add_nc_u32_e32 v136, 16, v136
	v_add_nc_u32_e32 v137, 16, v137
	v_cmp_eq_u32_e32 vcc_lo, 0, v135
	s_or_b32 s73, vcc_lo, s73
	s_waitcnt vmcnt(2) lgkmcnt(0)
	v_mul_f64 v[148:149], v[142:143], v[144:145]
	v_mul_f64 v[144:145], v[140:141], v[144:145]
	s_waitcnt vmcnt(0)
	v_fma_f64 v[140:141], v[140:141], v[146:147], -v[148:149]
	v_fma_f64 v[142:143], v[142:143], v[146:147], v[144:145]
	v_add_f64 v[1:2], v[1:2], v[140:141]
	v_add_f64 v[3:4], v[3:4], v[142:143]
	s_andn2_b32 exec_lo, exec_lo, s73
	s_cbranch_execnz .LBB63_589
; %bb.590:
	s_or_b32 exec_lo, exec_lo, s73
.LBB63_591:
	s_or_b32 exec_lo, exec_lo, s5
.LBB63_592:
	s_or_b32 exec_lo, exec_lo, s8
	v_mov_b32_e32 v135, 0
	ds_read_b128 v[135:138], v135 offset:320
	s_waitcnt lgkmcnt(0)
	v_mul_f64 v[140:141], v[3:4], v[137:138]
	v_mul_f64 v[137:138], v[1:2], v[137:138]
	v_fma_f64 v[1:2], v[1:2], v[135:136], -v[140:141]
	v_fma_f64 v[3:4], v[3:4], v[135:136], v[137:138]
	buffer_store_dword v2, off, s[0:3], 0 offset:324
	buffer_store_dword v1, off, s[0:3], 0 offset:320
	;; [unrolled: 1-line block ×4, first 2 shown]
.LBB63_593:
	s_or_b32 exec_lo, exec_lo, s6
	v_mov_b32_e32 v4, s54
	v_cmp_lt_u32_e64 s5, 19, v0
	s_clause 0x3
	buffer_load_dword v1, v4, s[0:3], 0 offen
	buffer_load_dword v2, v4, s[0:3], 0 offen offset:4
	buffer_load_dword v3, v4, s[0:3], 0 offen offset:8
	;; [unrolled: 1-line block ×3, first 2 shown]
	s_waitcnt vmcnt(0)
	ds_write_b128 v134, v[1:4]
	s_waitcnt lgkmcnt(0)
	s_waitcnt_vscnt null, 0x0
	s_barrier
	buffer_gl0_inv
	s_and_saveexec_b32 s6, s5
	s_cbranch_execz .LBB63_607
; %bb.594:
	ds_read_b128 v[1:4], v134
	s_andn2_b32 vcc_lo, exec_lo, s7
	s_cbranch_vccnz .LBB63_596
; %bb.595:
	s_clause 0x3
	buffer_load_dword v135, v133, s[0:3], 0 offen offset:8
	buffer_load_dword v136, v133, s[0:3], 0 offen offset:12
	buffer_load_dword v137, v133, s[0:3], 0 offen
	buffer_load_dword v138, v133, s[0:3], 0 offen offset:4
	s_waitcnt vmcnt(2) lgkmcnt(0)
	v_mul_f64 v[140:141], v[3:4], v[135:136]
	v_mul_f64 v[135:136], v[1:2], v[135:136]
	s_waitcnt vmcnt(0)
	v_fma_f64 v[1:2], v[1:2], v[137:138], -v[140:141]
	v_fma_f64 v[3:4], v[3:4], v[137:138], v[135:136]
.LBB63_596:
	s_and_saveexec_b32 s8, s4
	s_cbranch_execz .LBB63_606
; %bb.597:
	v_subrev_nc_u32_e32 v136, 21, v0
	v_mov_b32_e32 v137, 20
	v_subrev_nc_u32_e32 v135, 20, v0
	s_mov_b32 s4, exec_lo
	v_cmpx_lt_u32_e32 6, v136
	s_cbranch_execz .LBB63_601
; %bb.598:
	v_and_b32_e32 v136, -8, v135
	s_movk_i32 s74, 0x540
	s_mov_b32 s73, 0
	s_mov_b32 s75, s53
	;; [unrolled: 1-line block ×3, first 2 shown]
.LBB63_599:                             ; =>This Inner Loop Header: Depth=1
	v_mov_b32_e32 v140, s75
	v_mov_b32_e32 v186, s74
	s_add_i32 s77, s76, 8
	s_add_i32 s76, s76, 28
	v_cmp_eq_u32_e32 vcc_lo, s77, v136
	s_clause 0x1f
	buffer_load_dword v137, v140, s[0:3], 0 offen offset:8
	buffer_load_dword v138, v140, s[0:3], 0 offen offset:12
	buffer_load_dword v148, v140, s[0:3], 0 offen
	buffer_load_dword v149, v140, s[0:3], 0 offen offset:4
	buffer_load_dword v150, v140, s[0:3], 0 offen offset:24
	buffer_load_dword v151, v140, s[0:3], 0 offen offset:28
	buffer_load_dword v152, v140, s[0:3], 0 offen offset:16
	buffer_load_dword v153, v140, s[0:3], 0 offen offset:20
	buffer_load_dword v154, v140, s[0:3], 0 offen offset:40
	buffer_load_dword v155, v140, s[0:3], 0 offen offset:44
	buffer_load_dword v156, v140, s[0:3], 0 offen offset:32
	buffer_load_dword v157, v140, s[0:3], 0 offen offset:36
	buffer_load_dword v158, v140, s[0:3], 0 offen offset:56
	buffer_load_dword v159, v140, s[0:3], 0 offen offset:60
	buffer_load_dword v160, v140, s[0:3], 0 offen offset:48
	buffer_load_dword v161, v140, s[0:3], 0 offen offset:52
	buffer_load_dword v163, v140, s[0:3], 0 offen offset:76
	buffer_load_dword v164, v140, s[0:3], 0 offen offset:88
	buffer_load_dword v166, v140, s[0:3], 0 offen offset:80
	buffer_load_dword v162, v140, s[0:3], 0 offen offset:72
	buffer_load_dword v167, v140, s[0:3], 0 offen offset:84
	buffer_load_dword v165, v140, s[0:3], 0 offen offset:92
	buffer_load_dword v169, v140, s[0:3], 0 offen offset:68
	buffer_load_dword v168, v140, s[0:3], 0 offen offset:64
	buffer_load_dword v171, v140, s[0:3], 0 offen offset:108
	buffer_load_dword v172, v140, s[0:3], 0 offen offset:120
	buffer_load_dword v174, v140, s[0:3], 0 offen offset:112
	buffer_load_dword v170, v140, s[0:3], 0 offen offset:104
	buffer_load_dword v175, v140, s[0:3], 0 offen offset:116
	buffer_load_dword v173, v140, s[0:3], 0 offen offset:124
	buffer_load_dword v177, v140, s[0:3], 0 offen offset:100
	buffer_load_dword v176, v140, s[0:3], 0 offen offset:96
	ds_read_b128 v[140:143], v186
	ds_read_b128 v[144:147], v186 offset:16
	s_addk_i32 s74, 0x80
	s_addk_i32 s75, 0x80
	s_or_b32 s73, vcc_lo, s73
	s_waitcnt vmcnt(30) lgkmcnt(1)
	v_mul_f64 v[178:179], v[142:143], v[137:138]
	v_mul_f64 v[137:138], v[140:141], v[137:138]
	s_waitcnt vmcnt(26) lgkmcnt(0)
	v_mul_f64 v[180:181], v[146:147], v[150:151]
	v_mul_f64 v[182:183], v[144:145], v[150:151]
	v_fma_f64 v[178:179], v[140:141], v[148:149], -v[178:179]
	v_fma_f64 v[137:138], v[142:143], v[148:149], v[137:138]
	ds_read_b128 v[140:143], v186 offset:32
	ds_read_b128 v[148:151], v186 offset:48
	s_waitcnt vmcnt(24)
	v_fma_f64 v[144:145], v[144:145], v[152:153], -v[180:181]
	v_fma_f64 v[146:147], v[146:147], v[152:153], v[182:183]
	s_waitcnt vmcnt(22) lgkmcnt(1)
	v_mul_f64 v[184:185], v[142:143], v[154:155]
	v_mul_f64 v[154:155], v[140:141], v[154:155]
	v_add_f64 v[1:2], v[1:2], v[178:179]
	v_add_f64 v[3:4], v[3:4], v[137:138]
	s_waitcnt vmcnt(18) lgkmcnt(0)
	v_mul_f64 v[137:138], v[150:151], v[158:159]
	v_mul_f64 v[152:153], v[148:149], v[158:159]
	v_fma_f64 v[158:159], v[140:141], v[156:157], -v[184:185]
	v_fma_f64 v[154:155], v[142:143], v[156:157], v[154:155]
	v_add_f64 v[144:145], v[1:2], v[144:145]
	v_add_f64 v[146:147], v[3:4], v[146:147]
	ds_read_b128 v[1:4], v186 offset:64
	ds_read_b128 v[140:143], v186 offset:80
	s_waitcnt vmcnt(16)
	v_fma_f64 v[137:138], v[148:149], v[160:161], -v[137:138]
	v_fma_f64 v[148:149], v[150:151], v[160:161], v[152:153]
	s_waitcnt vmcnt(12) lgkmcnt(1)
	v_mul_f64 v[156:157], v[3:4], v[162:163]
	v_mul_f64 v[162:163], v[1:2], v[162:163]
	v_add_f64 v[144:145], v[144:145], v[158:159]
	v_add_f64 v[146:147], v[146:147], v[154:155]
	s_waitcnt vmcnt(10) lgkmcnt(0)
	v_mul_f64 v[150:151], v[142:143], v[164:165]
	v_mul_f64 v[152:153], v[140:141], v[164:165]
	s_waitcnt vmcnt(8)
	v_fma_f64 v[154:155], v[1:2], v[168:169], -v[156:157]
	v_fma_f64 v[156:157], v[3:4], v[168:169], v[162:163]
	v_add_f64 v[137:138], v[144:145], v[137:138]
	v_add_f64 v[148:149], v[146:147], v[148:149]
	ds_read_b128 v[1:4], v186 offset:96
	ds_read_b128 v[144:147], v186 offset:112
	v_fma_f64 v[140:141], v[140:141], v[166:167], -v[150:151]
	v_fma_f64 v[142:143], v[142:143], v[166:167], v[152:153]
	s_waitcnt vmcnt(4) lgkmcnt(1)
	v_mul_f64 v[158:159], v[3:4], v[170:171]
	v_mul_f64 v[160:161], v[1:2], v[170:171]
	v_add_f64 v[137:138], v[137:138], v[154:155]
	v_add_f64 v[148:149], v[148:149], v[156:157]
	s_waitcnt vmcnt(2) lgkmcnt(0)
	v_mul_f64 v[150:151], v[146:147], v[172:173]
	v_mul_f64 v[152:153], v[144:145], v[172:173]
	s_waitcnt vmcnt(0)
	v_fma_f64 v[1:2], v[1:2], v[176:177], -v[158:159]
	v_fma_f64 v[3:4], v[3:4], v[176:177], v[160:161]
	v_add_f64 v[137:138], v[137:138], v[140:141]
	v_add_f64 v[140:141], v[148:149], v[142:143]
	v_fma_f64 v[142:143], v[144:145], v[174:175], -v[150:151]
	v_fma_f64 v[144:145], v[146:147], v[174:175], v[152:153]
	v_add_f64 v[1:2], v[137:138], v[1:2]
	v_add_f64 v[3:4], v[140:141], v[3:4]
	v_mov_b32_e32 v137, s76
	s_mov_b32 s76, s77
	v_add_f64 v[1:2], v[1:2], v[142:143]
	v_add_f64 v[3:4], v[3:4], v[144:145]
	s_andn2_b32 exec_lo, exec_lo, s73
	s_cbranch_execnz .LBB63_599
; %bb.600:
	s_or_b32 exec_lo, exec_lo, s73
.LBB63_601:
	s_or_b32 exec_lo, exec_lo, s4
	v_and_b32_e32 v135, 7, v135
	s_mov_b32 s73, 0
	s_mov_b32 s4, exec_lo
	v_cmpx_ne_u32_e32 0, v135
	s_cbranch_execz .LBB63_605
; %bb.602:
	v_lshlrev_b32_e32 v137, 4, v137
	v_add_nc_u32_e32 v136, 0x400, v137
	.p2align	6
.LBB63_603:                             ; =>This Inner Loop Header: Depth=1
	s_clause 0x3
	buffer_load_dword v144, v137, s[0:3], 0 offen offset:8
	buffer_load_dword v145, v137, s[0:3], 0 offen offset:12
	buffer_load_dword v146, v137, s[0:3], 0 offen
	buffer_load_dword v147, v137, s[0:3], 0 offen offset:4
	ds_read_b128 v[140:143], v136
	v_add_nc_u32_e32 v135, -1, v135
	v_add_nc_u32_e32 v136, 16, v136
	v_add_nc_u32_e32 v137, 16, v137
	v_cmp_eq_u32_e32 vcc_lo, 0, v135
	s_or_b32 s73, vcc_lo, s73
	s_waitcnt vmcnt(2) lgkmcnt(0)
	v_mul_f64 v[148:149], v[142:143], v[144:145]
	v_mul_f64 v[144:145], v[140:141], v[144:145]
	s_waitcnt vmcnt(0)
	v_fma_f64 v[140:141], v[140:141], v[146:147], -v[148:149]
	v_fma_f64 v[142:143], v[142:143], v[146:147], v[144:145]
	v_add_f64 v[1:2], v[1:2], v[140:141]
	v_add_f64 v[3:4], v[3:4], v[142:143]
	s_andn2_b32 exec_lo, exec_lo, s73
	s_cbranch_execnz .LBB63_603
; %bb.604:
	s_or_b32 exec_lo, exec_lo, s73
.LBB63_605:
	s_or_b32 exec_lo, exec_lo, s4
.LBB63_606:
	s_or_b32 exec_lo, exec_lo, s8
	v_mov_b32_e32 v135, 0
	ds_read_b128 v[135:138], v135 offset:304
	s_waitcnt lgkmcnt(0)
	v_mul_f64 v[140:141], v[3:4], v[137:138]
	v_mul_f64 v[137:138], v[1:2], v[137:138]
	v_fma_f64 v[1:2], v[1:2], v[135:136], -v[140:141]
	v_fma_f64 v[3:4], v[3:4], v[135:136], v[137:138]
	buffer_store_dword v2, off, s[0:3], 0 offset:308
	buffer_store_dword v1, off, s[0:3], 0 offset:304
	buffer_store_dword v4, off, s[0:3], 0 offset:316
	buffer_store_dword v3, off, s[0:3], 0 offset:312
.LBB63_607:
	s_or_b32 exec_lo, exec_lo, s6
	v_mov_b32_e32 v4, s55
	v_cmp_lt_u32_e64 s4, 18, v0
	s_clause 0x3
	buffer_load_dword v1, v4, s[0:3], 0 offen
	buffer_load_dword v2, v4, s[0:3], 0 offen offset:4
	buffer_load_dword v3, v4, s[0:3], 0 offen offset:8
	;; [unrolled: 1-line block ×3, first 2 shown]
	s_waitcnt vmcnt(0)
	ds_write_b128 v134, v[1:4]
	s_waitcnt lgkmcnt(0)
	s_waitcnt_vscnt null, 0x0
	s_barrier
	buffer_gl0_inv
	s_and_saveexec_b32 s6, s4
	s_cbranch_execz .LBB63_621
; %bb.608:
	ds_read_b128 v[1:4], v134
	s_andn2_b32 vcc_lo, exec_lo, s7
	s_cbranch_vccnz .LBB63_610
; %bb.609:
	s_clause 0x3
	buffer_load_dword v135, v133, s[0:3], 0 offen offset:8
	buffer_load_dword v136, v133, s[0:3], 0 offen offset:12
	buffer_load_dword v137, v133, s[0:3], 0 offen
	buffer_load_dword v138, v133, s[0:3], 0 offen offset:4
	s_waitcnt vmcnt(2) lgkmcnt(0)
	v_mul_f64 v[140:141], v[3:4], v[135:136]
	v_mul_f64 v[135:136], v[1:2], v[135:136]
	s_waitcnt vmcnt(0)
	v_fma_f64 v[1:2], v[1:2], v[137:138], -v[140:141]
	v_fma_f64 v[3:4], v[3:4], v[137:138], v[135:136]
.LBB63_610:
	s_and_saveexec_b32 s8, s5
	s_cbranch_execz .LBB63_620
; %bb.611:
	v_subrev_nc_u32_e32 v136, 20, v0
	v_mov_b32_e32 v137, 19
	v_subrev_nc_u32_e32 v135, 19, v0
	s_mov_b32 s5, exec_lo
	v_cmpx_lt_u32_e32 6, v136
	s_cbranch_execz .LBB63_615
; %bb.612:
	v_and_b32_e32 v136, -8, v135
	s_movk_i32 s74, 0x530
	s_mov_b32 s73, 0
	s_mov_b32 s75, s54
	;; [unrolled: 1-line block ×3, first 2 shown]
.LBB63_613:                             ; =>This Inner Loop Header: Depth=1
	v_mov_b32_e32 v140, s75
	v_mov_b32_e32 v186, s74
	s_add_i32 s77, s76, 8
	s_add_i32 s76, s76, 27
	v_cmp_eq_u32_e32 vcc_lo, s77, v136
	s_clause 0x1f
	buffer_load_dword v137, v140, s[0:3], 0 offen offset:8
	buffer_load_dword v138, v140, s[0:3], 0 offen offset:12
	buffer_load_dword v148, v140, s[0:3], 0 offen
	buffer_load_dword v149, v140, s[0:3], 0 offen offset:4
	buffer_load_dword v150, v140, s[0:3], 0 offen offset:24
	buffer_load_dword v151, v140, s[0:3], 0 offen offset:28
	buffer_load_dword v152, v140, s[0:3], 0 offen offset:16
	buffer_load_dword v153, v140, s[0:3], 0 offen offset:20
	buffer_load_dword v154, v140, s[0:3], 0 offen offset:40
	buffer_load_dword v155, v140, s[0:3], 0 offen offset:44
	buffer_load_dword v156, v140, s[0:3], 0 offen offset:32
	buffer_load_dword v157, v140, s[0:3], 0 offen offset:36
	buffer_load_dword v158, v140, s[0:3], 0 offen offset:56
	buffer_load_dword v159, v140, s[0:3], 0 offen offset:60
	buffer_load_dword v160, v140, s[0:3], 0 offen offset:48
	buffer_load_dword v161, v140, s[0:3], 0 offen offset:52
	buffer_load_dword v163, v140, s[0:3], 0 offen offset:76
	buffer_load_dword v164, v140, s[0:3], 0 offen offset:88
	buffer_load_dword v166, v140, s[0:3], 0 offen offset:80
	buffer_load_dword v162, v140, s[0:3], 0 offen offset:72
	buffer_load_dword v167, v140, s[0:3], 0 offen offset:84
	buffer_load_dword v165, v140, s[0:3], 0 offen offset:92
	buffer_load_dword v169, v140, s[0:3], 0 offen offset:68
	buffer_load_dword v168, v140, s[0:3], 0 offen offset:64
	buffer_load_dword v171, v140, s[0:3], 0 offen offset:108
	buffer_load_dword v172, v140, s[0:3], 0 offen offset:120
	buffer_load_dword v174, v140, s[0:3], 0 offen offset:112
	buffer_load_dword v170, v140, s[0:3], 0 offen offset:104
	buffer_load_dword v175, v140, s[0:3], 0 offen offset:116
	buffer_load_dword v173, v140, s[0:3], 0 offen offset:124
	buffer_load_dword v177, v140, s[0:3], 0 offen offset:100
	buffer_load_dword v176, v140, s[0:3], 0 offen offset:96
	ds_read_b128 v[140:143], v186
	ds_read_b128 v[144:147], v186 offset:16
	s_addk_i32 s74, 0x80
	s_addk_i32 s75, 0x80
	s_or_b32 s73, vcc_lo, s73
	s_waitcnt vmcnt(30) lgkmcnt(1)
	v_mul_f64 v[178:179], v[142:143], v[137:138]
	v_mul_f64 v[137:138], v[140:141], v[137:138]
	s_waitcnt vmcnt(26) lgkmcnt(0)
	v_mul_f64 v[180:181], v[146:147], v[150:151]
	v_mul_f64 v[182:183], v[144:145], v[150:151]
	v_fma_f64 v[178:179], v[140:141], v[148:149], -v[178:179]
	v_fma_f64 v[137:138], v[142:143], v[148:149], v[137:138]
	ds_read_b128 v[140:143], v186 offset:32
	ds_read_b128 v[148:151], v186 offset:48
	s_waitcnt vmcnt(24)
	v_fma_f64 v[144:145], v[144:145], v[152:153], -v[180:181]
	v_fma_f64 v[146:147], v[146:147], v[152:153], v[182:183]
	s_waitcnt vmcnt(22) lgkmcnt(1)
	v_mul_f64 v[184:185], v[142:143], v[154:155]
	v_mul_f64 v[154:155], v[140:141], v[154:155]
	v_add_f64 v[1:2], v[1:2], v[178:179]
	v_add_f64 v[3:4], v[3:4], v[137:138]
	s_waitcnt vmcnt(18) lgkmcnt(0)
	v_mul_f64 v[137:138], v[150:151], v[158:159]
	v_mul_f64 v[152:153], v[148:149], v[158:159]
	v_fma_f64 v[158:159], v[140:141], v[156:157], -v[184:185]
	v_fma_f64 v[154:155], v[142:143], v[156:157], v[154:155]
	v_add_f64 v[144:145], v[1:2], v[144:145]
	v_add_f64 v[146:147], v[3:4], v[146:147]
	ds_read_b128 v[1:4], v186 offset:64
	ds_read_b128 v[140:143], v186 offset:80
	s_waitcnt vmcnt(16)
	v_fma_f64 v[137:138], v[148:149], v[160:161], -v[137:138]
	v_fma_f64 v[148:149], v[150:151], v[160:161], v[152:153]
	s_waitcnt vmcnt(12) lgkmcnt(1)
	v_mul_f64 v[156:157], v[3:4], v[162:163]
	v_mul_f64 v[162:163], v[1:2], v[162:163]
	v_add_f64 v[144:145], v[144:145], v[158:159]
	v_add_f64 v[146:147], v[146:147], v[154:155]
	s_waitcnt vmcnt(10) lgkmcnt(0)
	v_mul_f64 v[150:151], v[142:143], v[164:165]
	v_mul_f64 v[152:153], v[140:141], v[164:165]
	s_waitcnt vmcnt(8)
	v_fma_f64 v[154:155], v[1:2], v[168:169], -v[156:157]
	v_fma_f64 v[156:157], v[3:4], v[168:169], v[162:163]
	v_add_f64 v[137:138], v[144:145], v[137:138]
	v_add_f64 v[148:149], v[146:147], v[148:149]
	ds_read_b128 v[1:4], v186 offset:96
	ds_read_b128 v[144:147], v186 offset:112
	v_fma_f64 v[140:141], v[140:141], v[166:167], -v[150:151]
	v_fma_f64 v[142:143], v[142:143], v[166:167], v[152:153]
	s_waitcnt vmcnt(4) lgkmcnt(1)
	v_mul_f64 v[158:159], v[3:4], v[170:171]
	v_mul_f64 v[160:161], v[1:2], v[170:171]
	v_add_f64 v[137:138], v[137:138], v[154:155]
	v_add_f64 v[148:149], v[148:149], v[156:157]
	s_waitcnt vmcnt(2) lgkmcnt(0)
	v_mul_f64 v[150:151], v[146:147], v[172:173]
	v_mul_f64 v[152:153], v[144:145], v[172:173]
	s_waitcnt vmcnt(0)
	v_fma_f64 v[1:2], v[1:2], v[176:177], -v[158:159]
	v_fma_f64 v[3:4], v[3:4], v[176:177], v[160:161]
	v_add_f64 v[137:138], v[137:138], v[140:141]
	v_add_f64 v[140:141], v[148:149], v[142:143]
	v_fma_f64 v[142:143], v[144:145], v[174:175], -v[150:151]
	v_fma_f64 v[144:145], v[146:147], v[174:175], v[152:153]
	v_add_f64 v[1:2], v[137:138], v[1:2]
	v_add_f64 v[3:4], v[140:141], v[3:4]
	v_mov_b32_e32 v137, s76
	s_mov_b32 s76, s77
	v_add_f64 v[1:2], v[1:2], v[142:143]
	v_add_f64 v[3:4], v[3:4], v[144:145]
	s_andn2_b32 exec_lo, exec_lo, s73
	s_cbranch_execnz .LBB63_613
; %bb.614:
	s_or_b32 exec_lo, exec_lo, s73
.LBB63_615:
	s_or_b32 exec_lo, exec_lo, s5
	v_and_b32_e32 v135, 7, v135
	s_mov_b32 s73, 0
	s_mov_b32 s5, exec_lo
	v_cmpx_ne_u32_e32 0, v135
	s_cbranch_execz .LBB63_619
; %bb.616:
	v_lshlrev_b32_e32 v137, 4, v137
	v_add_nc_u32_e32 v136, 0x400, v137
	.p2align	6
.LBB63_617:                             ; =>This Inner Loop Header: Depth=1
	s_clause 0x3
	buffer_load_dword v144, v137, s[0:3], 0 offen offset:8
	buffer_load_dword v145, v137, s[0:3], 0 offen offset:12
	buffer_load_dword v146, v137, s[0:3], 0 offen
	buffer_load_dword v147, v137, s[0:3], 0 offen offset:4
	ds_read_b128 v[140:143], v136
	v_add_nc_u32_e32 v135, -1, v135
	v_add_nc_u32_e32 v136, 16, v136
	v_add_nc_u32_e32 v137, 16, v137
	v_cmp_eq_u32_e32 vcc_lo, 0, v135
	s_or_b32 s73, vcc_lo, s73
	s_waitcnt vmcnt(2) lgkmcnt(0)
	v_mul_f64 v[148:149], v[142:143], v[144:145]
	v_mul_f64 v[144:145], v[140:141], v[144:145]
	s_waitcnt vmcnt(0)
	v_fma_f64 v[140:141], v[140:141], v[146:147], -v[148:149]
	v_fma_f64 v[142:143], v[142:143], v[146:147], v[144:145]
	v_add_f64 v[1:2], v[1:2], v[140:141]
	v_add_f64 v[3:4], v[3:4], v[142:143]
	s_andn2_b32 exec_lo, exec_lo, s73
	s_cbranch_execnz .LBB63_617
; %bb.618:
	s_or_b32 exec_lo, exec_lo, s73
.LBB63_619:
	s_or_b32 exec_lo, exec_lo, s5
.LBB63_620:
	s_or_b32 exec_lo, exec_lo, s8
	v_mov_b32_e32 v135, 0
	ds_read_b128 v[135:138], v135 offset:288
	s_waitcnt lgkmcnt(0)
	v_mul_f64 v[140:141], v[3:4], v[137:138]
	v_mul_f64 v[137:138], v[1:2], v[137:138]
	v_fma_f64 v[1:2], v[1:2], v[135:136], -v[140:141]
	v_fma_f64 v[3:4], v[3:4], v[135:136], v[137:138]
	buffer_store_dword v2, off, s[0:3], 0 offset:292
	buffer_store_dword v1, off, s[0:3], 0 offset:288
	;; [unrolled: 1-line block ×4, first 2 shown]
.LBB63_621:
	s_or_b32 exec_lo, exec_lo, s6
	v_mov_b32_e32 v4, s56
	v_cmp_lt_u32_e64 s5, 17, v0
	s_clause 0x3
	buffer_load_dword v1, v4, s[0:3], 0 offen
	buffer_load_dword v2, v4, s[0:3], 0 offen offset:4
	buffer_load_dword v3, v4, s[0:3], 0 offen offset:8
	;; [unrolled: 1-line block ×3, first 2 shown]
	s_waitcnt vmcnt(0)
	ds_write_b128 v134, v[1:4]
	s_waitcnt lgkmcnt(0)
	s_waitcnt_vscnt null, 0x0
	s_barrier
	buffer_gl0_inv
	s_and_saveexec_b32 s6, s5
	s_cbranch_execz .LBB63_635
; %bb.622:
	ds_read_b128 v[1:4], v134
	s_andn2_b32 vcc_lo, exec_lo, s7
	s_cbranch_vccnz .LBB63_624
; %bb.623:
	s_clause 0x3
	buffer_load_dword v135, v133, s[0:3], 0 offen offset:8
	buffer_load_dword v136, v133, s[0:3], 0 offen offset:12
	buffer_load_dword v137, v133, s[0:3], 0 offen
	buffer_load_dword v138, v133, s[0:3], 0 offen offset:4
	s_waitcnt vmcnt(2) lgkmcnt(0)
	v_mul_f64 v[140:141], v[3:4], v[135:136]
	v_mul_f64 v[135:136], v[1:2], v[135:136]
	s_waitcnt vmcnt(0)
	v_fma_f64 v[1:2], v[1:2], v[137:138], -v[140:141]
	v_fma_f64 v[3:4], v[3:4], v[137:138], v[135:136]
.LBB63_624:
	s_and_saveexec_b32 s8, s4
	s_cbranch_execz .LBB63_634
; %bb.625:
	v_subrev_nc_u32_e32 v136, 19, v0
	v_mov_b32_e32 v137, 18
	v_subrev_nc_u32_e32 v135, 18, v0
	s_mov_b32 s4, exec_lo
	v_cmpx_lt_u32_e32 6, v136
	s_cbranch_execz .LBB63_629
; %bb.626:
	v_and_b32_e32 v136, -8, v135
	s_movk_i32 s74, 0x520
	s_mov_b32 s73, 0
	s_mov_b32 s75, s55
	;; [unrolled: 1-line block ×3, first 2 shown]
.LBB63_627:                             ; =>This Inner Loop Header: Depth=1
	v_mov_b32_e32 v140, s75
	v_mov_b32_e32 v186, s74
	s_add_i32 s77, s76, 8
	s_add_i32 s76, s76, 26
	v_cmp_eq_u32_e32 vcc_lo, s77, v136
	s_clause 0x1f
	buffer_load_dword v137, v140, s[0:3], 0 offen offset:8
	buffer_load_dword v138, v140, s[0:3], 0 offen offset:12
	buffer_load_dword v148, v140, s[0:3], 0 offen
	buffer_load_dword v149, v140, s[0:3], 0 offen offset:4
	buffer_load_dword v150, v140, s[0:3], 0 offen offset:24
	;; [unrolled: 1-line block ×29, first 2 shown]
	ds_read_b128 v[140:143], v186
	ds_read_b128 v[144:147], v186 offset:16
	s_addk_i32 s74, 0x80
	s_addk_i32 s75, 0x80
	s_or_b32 s73, vcc_lo, s73
	s_waitcnt vmcnt(30) lgkmcnt(1)
	v_mul_f64 v[178:179], v[142:143], v[137:138]
	v_mul_f64 v[137:138], v[140:141], v[137:138]
	s_waitcnt vmcnt(26) lgkmcnt(0)
	v_mul_f64 v[180:181], v[146:147], v[150:151]
	v_mul_f64 v[182:183], v[144:145], v[150:151]
	v_fma_f64 v[178:179], v[140:141], v[148:149], -v[178:179]
	v_fma_f64 v[137:138], v[142:143], v[148:149], v[137:138]
	ds_read_b128 v[140:143], v186 offset:32
	ds_read_b128 v[148:151], v186 offset:48
	s_waitcnt vmcnt(24)
	v_fma_f64 v[144:145], v[144:145], v[152:153], -v[180:181]
	v_fma_f64 v[146:147], v[146:147], v[152:153], v[182:183]
	s_waitcnt vmcnt(22) lgkmcnt(1)
	v_mul_f64 v[184:185], v[142:143], v[154:155]
	v_mul_f64 v[154:155], v[140:141], v[154:155]
	v_add_f64 v[1:2], v[1:2], v[178:179]
	v_add_f64 v[3:4], v[3:4], v[137:138]
	s_waitcnt vmcnt(18) lgkmcnt(0)
	v_mul_f64 v[137:138], v[150:151], v[158:159]
	v_mul_f64 v[152:153], v[148:149], v[158:159]
	v_fma_f64 v[158:159], v[140:141], v[156:157], -v[184:185]
	v_fma_f64 v[154:155], v[142:143], v[156:157], v[154:155]
	v_add_f64 v[144:145], v[1:2], v[144:145]
	v_add_f64 v[146:147], v[3:4], v[146:147]
	ds_read_b128 v[1:4], v186 offset:64
	ds_read_b128 v[140:143], v186 offset:80
	s_waitcnt vmcnt(16)
	v_fma_f64 v[137:138], v[148:149], v[160:161], -v[137:138]
	v_fma_f64 v[148:149], v[150:151], v[160:161], v[152:153]
	s_waitcnt vmcnt(12) lgkmcnt(1)
	v_mul_f64 v[156:157], v[3:4], v[162:163]
	v_mul_f64 v[162:163], v[1:2], v[162:163]
	v_add_f64 v[144:145], v[144:145], v[158:159]
	v_add_f64 v[146:147], v[146:147], v[154:155]
	s_waitcnt vmcnt(10) lgkmcnt(0)
	v_mul_f64 v[150:151], v[142:143], v[164:165]
	v_mul_f64 v[152:153], v[140:141], v[164:165]
	s_waitcnt vmcnt(8)
	v_fma_f64 v[154:155], v[1:2], v[168:169], -v[156:157]
	v_fma_f64 v[156:157], v[3:4], v[168:169], v[162:163]
	v_add_f64 v[137:138], v[144:145], v[137:138]
	v_add_f64 v[148:149], v[146:147], v[148:149]
	ds_read_b128 v[1:4], v186 offset:96
	ds_read_b128 v[144:147], v186 offset:112
	v_fma_f64 v[140:141], v[140:141], v[166:167], -v[150:151]
	v_fma_f64 v[142:143], v[142:143], v[166:167], v[152:153]
	s_waitcnt vmcnt(4) lgkmcnt(1)
	v_mul_f64 v[158:159], v[3:4], v[170:171]
	v_mul_f64 v[160:161], v[1:2], v[170:171]
	v_add_f64 v[137:138], v[137:138], v[154:155]
	v_add_f64 v[148:149], v[148:149], v[156:157]
	s_waitcnt vmcnt(2) lgkmcnt(0)
	v_mul_f64 v[150:151], v[146:147], v[172:173]
	v_mul_f64 v[152:153], v[144:145], v[172:173]
	s_waitcnt vmcnt(0)
	v_fma_f64 v[1:2], v[1:2], v[176:177], -v[158:159]
	v_fma_f64 v[3:4], v[3:4], v[176:177], v[160:161]
	v_add_f64 v[137:138], v[137:138], v[140:141]
	v_add_f64 v[140:141], v[148:149], v[142:143]
	v_fma_f64 v[142:143], v[144:145], v[174:175], -v[150:151]
	v_fma_f64 v[144:145], v[146:147], v[174:175], v[152:153]
	v_add_f64 v[1:2], v[137:138], v[1:2]
	v_add_f64 v[3:4], v[140:141], v[3:4]
	v_mov_b32_e32 v137, s76
	s_mov_b32 s76, s77
	v_add_f64 v[1:2], v[1:2], v[142:143]
	v_add_f64 v[3:4], v[3:4], v[144:145]
	s_andn2_b32 exec_lo, exec_lo, s73
	s_cbranch_execnz .LBB63_627
; %bb.628:
	s_or_b32 exec_lo, exec_lo, s73
.LBB63_629:
	s_or_b32 exec_lo, exec_lo, s4
	v_and_b32_e32 v135, 7, v135
	s_mov_b32 s73, 0
	s_mov_b32 s4, exec_lo
	v_cmpx_ne_u32_e32 0, v135
	s_cbranch_execz .LBB63_633
; %bb.630:
	v_lshlrev_b32_e32 v137, 4, v137
	v_add_nc_u32_e32 v136, 0x400, v137
	.p2align	6
.LBB63_631:                             ; =>This Inner Loop Header: Depth=1
	s_clause 0x3
	buffer_load_dword v144, v137, s[0:3], 0 offen offset:8
	buffer_load_dword v145, v137, s[0:3], 0 offen offset:12
	buffer_load_dword v146, v137, s[0:3], 0 offen
	buffer_load_dword v147, v137, s[0:3], 0 offen offset:4
	ds_read_b128 v[140:143], v136
	v_add_nc_u32_e32 v135, -1, v135
	v_add_nc_u32_e32 v136, 16, v136
	v_add_nc_u32_e32 v137, 16, v137
	v_cmp_eq_u32_e32 vcc_lo, 0, v135
	s_or_b32 s73, vcc_lo, s73
	s_waitcnt vmcnt(2) lgkmcnt(0)
	v_mul_f64 v[148:149], v[142:143], v[144:145]
	v_mul_f64 v[144:145], v[140:141], v[144:145]
	s_waitcnt vmcnt(0)
	v_fma_f64 v[140:141], v[140:141], v[146:147], -v[148:149]
	v_fma_f64 v[142:143], v[142:143], v[146:147], v[144:145]
	v_add_f64 v[1:2], v[1:2], v[140:141]
	v_add_f64 v[3:4], v[3:4], v[142:143]
	s_andn2_b32 exec_lo, exec_lo, s73
	s_cbranch_execnz .LBB63_631
; %bb.632:
	s_or_b32 exec_lo, exec_lo, s73
.LBB63_633:
	s_or_b32 exec_lo, exec_lo, s4
.LBB63_634:
	s_or_b32 exec_lo, exec_lo, s8
	v_mov_b32_e32 v135, 0
	ds_read_b128 v[135:138], v135 offset:272
	s_waitcnt lgkmcnt(0)
	v_mul_f64 v[140:141], v[3:4], v[137:138]
	v_mul_f64 v[137:138], v[1:2], v[137:138]
	v_fma_f64 v[1:2], v[1:2], v[135:136], -v[140:141]
	v_fma_f64 v[3:4], v[3:4], v[135:136], v[137:138]
	buffer_store_dword v2, off, s[0:3], 0 offset:276
	buffer_store_dword v1, off, s[0:3], 0 offset:272
	buffer_store_dword v4, off, s[0:3], 0 offset:284
	buffer_store_dword v3, off, s[0:3], 0 offset:280
.LBB63_635:
	s_or_b32 exec_lo, exec_lo, s6
	v_mov_b32_e32 v4, s57
	v_cmp_lt_u32_e64 s4, 16, v0
	s_clause 0x3
	buffer_load_dword v1, v4, s[0:3], 0 offen
	buffer_load_dword v2, v4, s[0:3], 0 offen offset:4
	buffer_load_dword v3, v4, s[0:3], 0 offen offset:8
	;; [unrolled: 1-line block ×3, first 2 shown]
	s_waitcnt vmcnt(0)
	ds_write_b128 v134, v[1:4]
	s_waitcnt lgkmcnt(0)
	s_waitcnt_vscnt null, 0x0
	s_barrier
	buffer_gl0_inv
	s_and_saveexec_b32 s6, s4
	s_cbranch_execz .LBB63_649
; %bb.636:
	ds_read_b128 v[1:4], v134
	s_andn2_b32 vcc_lo, exec_lo, s7
	s_cbranch_vccnz .LBB63_638
; %bb.637:
	s_clause 0x3
	buffer_load_dword v135, v133, s[0:3], 0 offen offset:8
	buffer_load_dword v136, v133, s[0:3], 0 offen offset:12
	buffer_load_dword v137, v133, s[0:3], 0 offen
	buffer_load_dword v138, v133, s[0:3], 0 offen offset:4
	s_waitcnt vmcnt(2) lgkmcnt(0)
	v_mul_f64 v[140:141], v[3:4], v[135:136]
	v_mul_f64 v[135:136], v[1:2], v[135:136]
	s_waitcnt vmcnt(0)
	v_fma_f64 v[1:2], v[1:2], v[137:138], -v[140:141]
	v_fma_f64 v[3:4], v[3:4], v[137:138], v[135:136]
.LBB63_638:
	s_and_saveexec_b32 s8, s5
	s_cbranch_execz .LBB63_648
; %bb.639:
	v_subrev_nc_u32_e32 v136, 18, v0
	v_mov_b32_e32 v137, 17
	v_subrev_nc_u32_e32 v135, 17, v0
	s_mov_b32 s5, exec_lo
	v_cmpx_lt_u32_e32 6, v136
	s_cbranch_execz .LBB63_643
; %bb.640:
	v_and_b32_e32 v136, -8, v135
	s_movk_i32 s74, 0x510
	s_mov_b32 s73, 0
	s_mov_b32 s75, s56
	;; [unrolled: 1-line block ×3, first 2 shown]
.LBB63_641:                             ; =>This Inner Loop Header: Depth=1
	v_mov_b32_e32 v140, s75
	v_mov_b32_e32 v186, s74
	s_add_i32 s77, s76, 8
	s_add_i32 s76, s76, 25
	v_cmp_eq_u32_e32 vcc_lo, s77, v136
	s_clause 0x1f
	buffer_load_dword v137, v140, s[0:3], 0 offen offset:8
	buffer_load_dword v138, v140, s[0:3], 0 offen offset:12
	buffer_load_dword v148, v140, s[0:3], 0 offen
	buffer_load_dword v149, v140, s[0:3], 0 offen offset:4
	buffer_load_dword v150, v140, s[0:3], 0 offen offset:24
	;; [unrolled: 1-line block ×29, first 2 shown]
	ds_read_b128 v[140:143], v186
	ds_read_b128 v[144:147], v186 offset:16
	s_addk_i32 s74, 0x80
	s_addk_i32 s75, 0x80
	s_or_b32 s73, vcc_lo, s73
	s_waitcnt vmcnt(30) lgkmcnt(1)
	v_mul_f64 v[178:179], v[142:143], v[137:138]
	v_mul_f64 v[137:138], v[140:141], v[137:138]
	s_waitcnt vmcnt(26) lgkmcnt(0)
	v_mul_f64 v[180:181], v[146:147], v[150:151]
	v_mul_f64 v[182:183], v[144:145], v[150:151]
	v_fma_f64 v[178:179], v[140:141], v[148:149], -v[178:179]
	v_fma_f64 v[137:138], v[142:143], v[148:149], v[137:138]
	ds_read_b128 v[140:143], v186 offset:32
	ds_read_b128 v[148:151], v186 offset:48
	s_waitcnt vmcnt(24)
	v_fma_f64 v[144:145], v[144:145], v[152:153], -v[180:181]
	v_fma_f64 v[146:147], v[146:147], v[152:153], v[182:183]
	s_waitcnt vmcnt(22) lgkmcnt(1)
	v_mul_f64 v[184:185], v[142:143], v[154:155]
	v_mul_f64 v[154:155], v[140:141], v[154:155]
	v_add_f64 v[1:2], v[1:2], v[178:179]
	v_add_f64 v[3:4], v[3:4], v[137:138]
	s_waitcnt vmcnt(18) lgkmcnt(0)
	v_mul_f64 v[137:138], v[150:151], v[158:159]
	v_mul_f64 v[152:153], v[148:149], v[158:159]
	v_fma_f64 v[158:159], v[140:141], v[156:157], -v[184:185]
	v_fma_f64 v[154:155], v[142:143], v[156:157], v[154:155]
	v_add_f64 v[144:145], v[1:2], v[144:145]
	v_add_f64 v[146:147], v[3:4], v[146:147]
	ds_read_b128 v[1:4], v186 offset:64
	ds_read_b128 v[140:143], v186 offset:80
	s_waitcnt vmcnt(16)
	v_fma_f64 v[137:138], v[148:149], v[160:161], -v[137:138]
	v_fma_f64 v[148:149], v[150:151], v[160:161], v[152:153]
	s_waitcnt vmcnt(12) lgkmcnt(1)
	v_mul_f64 v[156:157], v[3:4], v[162:163]
	v_mul_f64 v[162:163], v[1:2], v[162:163]
	v_add_f64 v[144:145], v[144:145], v[158:159]
	v_add_f64 v[146:147], v[146:147], v[154:155]
	s_waitcnt vmcnt(10) lgkmcnt(0)
	v_mul_f64 v[150:151], v[142:143], v[164:165]
	v_mul_f64 v[152:153], v[140:141], v[164:165]
	s_waitcnt vmcnt(8)
	v_fma_f64 v[154:155], v[1:2], v[168:169], -v[156:157]
	v_fma_f64 v[156:157], v[3:4], v[168:169], v[162:163]
	v_add_f64 v[137:138], v[144:145], v[137:138]
	v_add_f64 v[148:149], v[146:147], v[148:149]
	ds_read_b128 v[1:4], v186 offset:96
	ds_read_b128 v[144:147], v186 offset:112
	v_fma_f64 v[140:141], v[140:141], v[166:167], -v[150:151]
	v_fma_f64 v[142:143], v[142:143], v[166:167], v[152:153]
	s_waitcnt vmcnt(4) lgkmcnt(1)
	v_mul_f64 v[158:159], v[3:4], v[170:171]
	v_mul_f64 v[160:161], v[1:2], v[170:171]
	v_add_f64 v[137:138], v[137:138], v[154:155]
	v_add_f64 v[148:149], v[148:149], v[156:157]
	s_waitcnt vmcnt(2) lgkmcnt(0)
	v_mul_f64 v[150:151], v[146:147], v[172:173]
	v_mul_f64 v[152:153], v[144:145], v[172:173]
	s_waitcnt vmcnt(0)
	v_fma_f64 v[1:2], v[1:2], v[176:177], -v[158:159]
	v_fma_f64 v[3:4], v[3:4], v[176:177], v[160:161]
	v_add_f64 v[137:138], v[137:138], v[140:141]
	v_add_f64 v[140:141], v[148:149], v[142:143]
	v_fma_f64 v[142:143], v[144:145], v[174:175], -v[150:151]
	v_fma_f64 v[144:145], v[146:147], v[174:175], v[152:153]
	v_add_f64 v[1:2], v[137:138], v[1:2]
	v_add_f64 v[3:4], v[140:141], v[3:4]
	v_mov_b32_e32 v137, s76
	s_mov_b32 s76, s77
	v_add_f64 v[1:2], v[1:2], v[142:143]
	v_add_f64 v[3:4], v[3:4], v[144:145]
	s_andn2_b32 exec_lo, exec_lo, s73
	s_cbranch_execnz .LBB63_641
; %bb.642:
	s_or_b32 exec_lo, exec_lo, s73
.LBB63_643:
	s_or_b32 exec_lo, exec_lo, s5
	v_and_b32_e32 v135, 7, v135
	s_mov_b32 s73, 0
	s_mov_b32 s5, exec_lo
	v_cmpx_ne_u32_e32 0, v135
	s_cbranch_execz .LBB63_647
; %bb.644:
	v_lshlrev_b32_e32 v137, 4, v137
	v_add_nc_u32_e32 v136, 0x400, v137
	.p2align	6
.LBB63_645:                             ; =>This Inner Loop Header: Depth=1
	s_clause 0x3
	buffer_load_dword v144, v137, s[0:3], 0 offen offset:8
	buffer_load_dword v145, v137, s[0:3], 0 offen offset:12
	buffer_load_dword v146, v137, s[0:3], 0 offen
	buffer_load_dword v147, v137, s[0:3], 0 offen offset:4
	ds_read_b128 v[140:143], v136
	v_add_nc_u32_e32 v135, -1, v135
	v_add_nc_u32_e32 v136, 16, v136
	v_add_nc_u32_e32 v137, 16, v137
	v_cmp_eq_u32_e32 vcc_lo, 0, v135
	s_or_b32 s73, vcc_lo, s73
	s_waitcnt vmcnt(2) lgkmcnt(0)
	v_mul_f64 v[148:149], v[142:143], v[144:145]
	v_mul_f64 v[144:145], v[140:141], v[144:145]
	s_waitcnt vmcnt(0)
	v_fma_f64 v[140:141], v[140:141], v[146:147], -v[148:149]
	v_fma_f64 v[142:143], v[142:143], v[146:147], v[144:145]
	v_add_f64 v[1:2], v[1:2], v[140:141]
	v_add_f64 v[3:4], v[3:4], v[142:143]
	s_andn2_b32 exec_lo, exec_lo, s73
	s_cbranch_execnz .LBB63_645
; %bb.646:
	s_or_b32 exec_lo, exec_lo, s73
.LBB63_647:
	s_or_b32 exec_lo, exec_lo, s5
.LBB63_648:
	s_or_b32 exec_lo, exec_lo, s8
	v_mov_b32_e32 v135, 0
	ds_read_b128 v[135:138], v135 offset:256
	s_waitcnt lgkmcnt(0)
	v_mul_f64 v[140:141], v[3:4], v[137:138]
	v_mul_f64 v[137:138], v[1:2], v[137:138]
	v_fma_f64 v[1:2], v[1:2], v[135:136], -v[140:141]
	v_fma_f64 v[3:4], v[3:4], v[135:136], v[137:138]
	buffer_store_dword v2, off, s[0:3], 0 offset:260
	buffer_store_dword v1, off, s[0:3], 0 offset:256
	;; [unrolled: 1-line block ×4, first 2 shown]
.LBB63_649:
	s_or_b32 exec_lo, exec_lo, s6
	v_mov_b32_e32 v4, s58
	v_cmp_lt_u32_e64 s5, 15, v0
	s_clause 0x3
	buffer_load_dword v1, v4, s[0:3], 0 offen
	buffer_load_dword v2, v4, s[0:3], 0 offen offset:4
	buffer_load_dword v3, v4, s[0:3], 0 offen offset:8
	;; [unrolled: 1-line block ×3, first 2 shown]
	s_waitcnt vmcnt(0)
	ds_write_b128 v134, v[1:4]
	s_waitcnt lgkmcnt(0)
	s_waitcnt_vscnt null, 0x0
	s_barrier
	buffer_gl0_inv
	s_and_saveexec_b32 s6, s5
	s_cbranch_execz .LBB63_663
; %bb.650:
	ds_read_b128 v[1:4], v134
	s_andn2_b32 vcc_lo, exec_lo, s7
	s_cbranch_vccnz .LBB63_652
; %bb.651:
	s_clause 0x3
	buffer_load_dword v135, v133, s[0:3], 0 offen offset:8
	buffer_load_dword v136, v133, s[0:3], 0 offen offset:12
	buffer_load_dword v137, v133, s[0:3], 0 offen
	buffer_load_dword v138, v133, s[0:3], 0 offen offset:4
	s_waitcnt vmcnt(2) lgkmcnt(0)
	v_mul_f64 v[140:141], v[3:4], v[135:136]
	v_mul_f64 v[135:136], v[1:2], v[135:136]
	s_waitcnt vmcnt(0)
	v_fma_f64 v[1:2], v[1:2], v[137:138], -v[140:141]
	v_fma_f64 v[3:4], v[3:4], v[137:138], v[135:136]
.LBB63_652:
	s_and_saveexec_b32 s8, s4
	s_cbranch_execz .LBB63_662
; %bb.653:
	v_subrev_nc_u32_e32 v135, 17, v0
	v_cmp_lt_u32_e32 vcc_lo, 6, v135
	v_mov_b32_e32 v135, 16
	s_and_saveexec_b32 s4, vcc_lo
	s_cbranch_execz .LBB63_657
; %bb.654:
	v_and_b32_e32 v135, 56, v0
	s_mov_b32 s73, 16
	s_movk_i32 s75, 0x500
	s_mov_b32 s74, 0
	s_mov_b32 s76, s57
.LBB63_655:                             ; =>This Inner Loop Header: Depth=1
	v_mov_b32_e32 v138, s76
	s_add_i32 s73, s73, 8
	s_addk_i32 s76, 0x80
	v_cmp_eq_u32_e32 vcc_lo, s73, v135
	s_clause 0x1f
	buffer_load_dword v136, v138, s[0:3], 0 offen offset:8
	buffer_load_dword v137, v138, s[0:3], 0 offen offset:12
	buffer_load_dword v148, v138, s[0:3], 0 offen
	buffer_load_dword v149, v138, s[0:3], 0 offen offset:4
	buffer_load_dword v150, v138, s[0:3], 0 offen offset:24
	;; [unrolled: 1-line block ×29, first 2 shown]
	v_mov_b32_e32 v138, s75
	s_addk_i32 s75, 0x80
	s_or_b32 s74, vcc_lo, s74
	ds_read_b128 v[140:143], v138
	ds_read_b128 v[144:147], v138 offset:16
	s_waitcnt vmcnt(30) lgkmcnt(1)
	v_mul_f64 v[178:179], v[142:143], v[136:137]
	v_mul_f64 v[136:137], v[140:141], v[136:137]
	s_waitcnt vmcnt(26) lgkmcnt(0)
	v_mul_f64 v[180:181], v[146:147], v[150:151]
	v_mul_f64 v[182:183], v[144:145], v[150:151]
	v_fma_f64 v[178:179], v[140:141], v[148:149], -v[178:179]
	v_fma_f64 v[136:137], v[142:143], v[148:149], v[136:137]
	ds_read_b128 v[140:143], v138 offset:32
	ds_read_b128 v[148:151], v138 offset:48
	s_waitcnt vmcnt(24)
	v_fma_f64 v[144:145], v[144:145], v[152:153], -v[180:181]
	v_fma_f64 v[146:147], v[146:147], v[152:153], v[182:183]
	s_waitcnt vmcnt(22) lgkmcnt(1)
	v_mul_f64 v[184:185], v[142:143], v[154:155]
	v_mul_f64 v[154:155], v[140:141], v[154:155]
	v_add_f64 v[1:2], v[1:2], v[178:179]
	v_add_f64 v[3:4], v[3:4], v[136:137]
	s_waitcnt vmcnt(18) lgkmcnt(0)
	v_mul_f64 v[136:137], v[150:151], v[158:159]
	v_mul_f64 v[152:153], v[148:149], v[158:159]
	v_fma_f64 v[158:159], v[140:141], v[156:157], -v[184:185]
	v_fma_f64 v[154:155], v[142:143], v[156:157], v[154:155]
	v_add_f64 v[144:145], v[1:2], v[144:145]
	v_add_f64 v[146:147], v[3:4], v[146:147]
	ds_read_b128 v[1:4], v138 offset:64
	ds_read_b128 v[140:143], v138 offset:80
	s_waitcnt vmcnt(16)
	v_fma_f64 v[136:137], v[148:149], v[160:161], -v[136:137]
	v_fma_f64 v[148:149], v[150:151], v[160:161], v[152:153]
	s_waitcnt vmcnt(12) lgkmcnt(1)
	v_mul_f64 v[156:157], v[3:4], v[162:163]
	v_mul_f64 v[162:163], v[1:2], v[162:163]
	v_add_f64 v[144:145], v[144:145], v[158:159]
	v_add_f64 v[146:147], v[146:147], v[154:155]
	s_waitcnt vmcnt(10) lgkmcnt(0)
	v_mul_f64 v[150:151], v[142:143], v[164:165]
	v_mul_f64 v[152:153], v[140:141], v[164:165]
	s_waitcnt vmcnt(8)
	v_fma_f64 v[154:155], v[1:2], v[168:169], -v[156:157]
	v_fma_f64 v[156:157], v[3:4], v[168:169], v[162:163]
	v_add_f64 v[136:137], v[144:145], v[136:137]
	v_add_f64 v[148:149], v[146:147], v[148:149]
	ds_read_b128 v[1:4], v138 offset:96
	ds_read_b128 v[144:147], v138 offset:112
	v_fma_f64 v[140:141], v[140:141], v[166:167], -v[150:151]
	v_fma_f64 v[142:143], v[142:143], v[166:167], v[152:153]
	s_waitcnt vmcnt(4) lgkmcnt(1)
	v_mul_f64 v[158:159], v[3:4], v[170:171]
	v_mul_f64 v[160:161], v[1:2], v[170:171]
	v_add_f64 v[136:137], v[136:137], v[154:155]
	v_add_f64 v[148:149], v[148:149], v[156:157]
	s_waitcnt vmcnt(2) lgkmcnt(0)
	v_mul_f64 v[150:151], v[146:147], v[172:173]
	v_mul_f64 v[152:153], v[144:145], v[172:173]
	s_waitcnt vmcnt(0)
	v_fma_f64 v[1:2], v[1:2], v[176:177], -v[158:159]
	v_fma_f64 v[3:4], v[3:4], v[176:177], v[160:161]
	v_add_f64 v[136:137], v[136:137], v[140:141]
	v_add_f64 v[140:141], v[148:149], v[142:143]
	v_fma_f64 v[142:143], v[144:145], v[174:175], -v[150:151]
	v_fma_f64 v[144:145], v[146:147], v[174:175], v[152:153]
	v_add_f64 v[1:2], v[136:137], v[1:2]
	v_add_f64 v[3:4], v[140:141], v[3:4]
	;; [unrolled: 1-line block ×4, first 2 shown]
	s_andn2_b32 exec_lo, exec_lo, s74
	s_cbranch_execnz .LBB63_655
; %bb.656:
	s_or_b32 exec_lo, exec_lo, s74
.LBB63_657:
	s_or_b32 exec_lo, exec_lo, s4
	v_and_b32_e32 v136, 7, v0
	s_mov_b32 s73, 0
	s_mov_b32 s4, exec_lo
	v_cmpx_ne_u32_e32 0, v136
	s_cbranch_execz .LBB63_661
; %bb.658:
	v_lshlrev_b32_e32 v137, 4, v135
	v_or_b32_e32 v135, 0x400, v137
	.p2align	6
.LBB63_659:                             ; =>This Inner Loop Header: Depth=1
	s_clause 0x3
	buffer_load_dword v144, v137, s[0:3], 0 offen offset:8
	buffer_load_dword v145, v137, s[0:3], 0 offen offset:12
	buffer_load_dword v146, v137, s[0:3], 0 offen
	buffer_load_dword v147, v137, s[0:3], 0 offen offset:4
	ds_read_b128 v[140:143], v135
	v_add_nc_u32_e32 v136, -1, v136
	v_add_nc_u32_e32 v135, 16, v135
	v_add_nc_u32_e32 v137, 16, v137
	v_cmp_eq_u32_e32 vcc_lo, 0, v136
	s_or_b32 s73, vcc_lo, s73
	s_waitcnt vmcnt(2) lgkmcnt(0)
	v_mul_f64 v[148:149], v[142:143], v[144:145]
	v_mul_f64 v[144:145], v[140:141], v[144:145]
	s_waitcnt vmcnt(0)
	v_fma_f64 v[140:141], v[140:141], v[146:147], -v[148:149]
	v_fma_f64 v[142:143], v[142:143], v[146:147], v[144:145]
	v_add_f64 v[1:2], v[1:2], v[140:141]
	v_add_f64 v[3:4], v[3:4], v[142:143]
	s_andn2_b32 exec_lo, exec_lo, s73
	s_cbranch_execnz .LBB63_659
; %bb.660:
	s_or_b32 exec_lo, exec_lo, s73
.LBB63_661:
	s_or_b32 exec_lo, exec_lo, s4
.LBB63_662:
	s_or_b32 exec_lo, exec_lo, s8
	v_mov_b32_e32 v135, 0
	ds_read_b128 v[135:138], v135 offset:240
	s_waitcnt lgkmcnt(0)
	v_mul_f64 v[140:141], v[3:4], v[137:138]
	v_mul_f64 v[137:138], v[1:2], v[137:138]
	v_fma_f64 v[1:2], v[1:2], v[135:136], -v[140:141]
	v_fma_f64 v[3:4], v[3:4], v[135:136], v[137:138]
	buffer_store_dword v2, off, s[0:3], 0 offset:244
	buffer_store_dword v1, off, s[0:3], 0 offset:240
	buffer_store_dword v4, off, s[0:3], 0 offset:252
	buffer_store_dword v3, off, s[0:3], 0 offset:248
.LBB63_663:
	s_or_b32 exec_lo, exec_lo, s6
	v_mov_b32_e32 v4, s59
	v_cmp_lt_u32_e64 s4, 14, v0
	s_clause 0x3
	buffer_load_dword v1, v4, s[0:3], 0 offen
	buffer_load_dword v2, v4, s[0:3], 0 offen offset:4
	buffer_load_dword v3, v4, s[0:3], 0 offen offset:8
	;; [unrolled: 1-line block ×3, first 2 shown]
	s_waitcnt vmcnt(0)
	ds_write_b128 v134, v[1:4]
	s_waitcnt lgkmcnt(0)
	s_waitcnt_vscnt null, 0x0
	s_barrier
	buffer_gl0_inv
	s_and_saveexec_b32 s6, s4
	s_cbranch_execz .LBB63_677
; %bb.664:
	ds_read_b128 v[1:4], v134
	s_andn2_b32 vcc_lo, exec_lo, s7
	s_cbranch_vccnz .LBB63_666
; %bb.665:
	s_clause 0x3
	buffer_load_dword v135, v133, s[0:3], 0 offen offset:8
	buffer_load_dword v136, v133, s[0:3], 0 offen offset:12
	buffer_load_dword v137, v133, s[0:3], 0 offen
	buffer_load_dword v138, v133, s[0:3], 0 offen offset:4
	s_waitcnt vmcnt(2) lgkmcnt(0)
	v_mul_f64 v[140:141], v[3:4], v[135:136]
	v_mul_f64 v[135:136], v[1:2], v[135:136]
	s_waitcnt vmcnt(0)
	v_fma_f64 v[1:2], v[1:2], v[137:138], -v[140:141]
	v_fma_f64 v[3:4], v[3:4], v[137:138], v[135:136]
.LBB63_666:
	s_and_saveexec_b32 s8, s5
	s_cbranch_execz .LBB63_676
; %bb.667:
	v_add_nc_u32_e32 v136, -16, v0
	v_add_nc_u32_e32 v135, -15, v0
	v_mov_b32_e32 v137, 15
	s_mov_b32 s5, exec_lo
	v_cmpx_lt_u32_e32 6, v136
	s_cbranch_execz .LBB63_671
; %bb.668:
	v_and_b32_e32 v136, -8, v135
	s_movk_i32 s74, 0x4f0
	s_mov_b32 s73, 0
	s_mov_b32 s75, s58
	;; [unrolled: 1-line block ×3, first 2 shown]
.LBB63_669:                             ; =>This Inner Loop Header: Depth=1
	v_mov_b32_e32 v140, s75
	v_mov_b32_e32 v186, s74
	s_add_i32 s77, s76, 8
	s_add_i32 s76, s76, 23
	v_cmp_eq_u32_e32 vcc_lo, s77, v136
	s_clause 0x1f
	buffer_load_dword v137, v140, s[0:3], 0 offen offset:8
	buffer_load_dword v138, v140, s[0:3], 0 offen offset:12
	buffer_load_dword v148, v140, s[0:3], 0 offen
	buffer_load_dword v149, v140, s[0:3], 0 offen offset:4
	buffer_load_dword v150, v140, s[0:3], 0 offen offset:24
	;; [unrolled: 1-line block ×29, first 2 shown]
	ds_read_b128 v[140:143], v186
	ds_read_b128 v[144:147], v186 offset:16
	s_addk_i32 s74, 0x80
	s_addk_i32 s75, 0x80
	s_or_b32 s73, vcc_lo, s73
	s_waitcnt vmcnt(30) lgkmcnt(1)
	v_mul_f64 v[178:179], v[142:143], v[137:138]
	v_mul_f64 v[137:138], v[140:141], v[137:138]
	s_waitcnt vmcnt(26) lgkmcnt(0)
	v_mul_f64 v[180:181], v[146:147], v[150:151]
	v_mul_f64 v[182:183], v[144:145], v[150:151]
	v_fma_f64 v[178:179], v[140:141], v[148:149], -v[178:179]
	v_fma_f64 v[137:138], v[142:143], v[148:149], v[137:138]
	ds_read_b128 v[140:143], v186 offset:32
	ds_read_b128 v[148:151], v186 offset:48
	s_waitcnt vmcnt(24)
	v_fma_f64 v[144:145], v[144:145], v[152:153], -v[180:181]
	v_fma_f64 v[146:147], v[146:147], v[152:153], v[182:183]
	s_waitcnt vmcnt(22) lgkmcnt(1)
	v_mul_f64 v[184:185], v[142:143], v[154:155]
	v_mul_f64 v[154:155], v[140:141], v[154:155]
	v_add_f64 v[1:2], v[1:2], v[178:179]
	v_add_f64 v[3:4], v[3:4], v[137:138]
	s_waitcnt vmcnt(18) lgkmcnt(0)
	v_mul_f64 v[137:138], v[150:151], v[158:159]
	v_mul_f64 v[152:153], v[148:149], v[158:159]
	v_fma_f64 v[158:159], v[140:141], v[156:157], -v[184:185]
	v_fma_f64 v[154:155], v[142:143], v[156:157], v[154:155]
	v_add_f64 v[144:145], v[1:2], v[144:145]
	v_add_f64 v[146:147], v[3:4], v[146:147]
	ds_read_b128 v[1:4], v186 offset:64
	ds_read_b128 v[140:143], v186 offset:80
	s_waitcnt vmcnt(16)
	v_fma_f64 v[137:138], v[148:149], v[160:161], -v[137:138]
	v_fma_f64 v[148:149], v[150:151], v[160:161], v[152:153]
	s_waitcnt vmcnt(12) lgkmcnt(1)
	v_mul_f64 v[156:157], v[3:4], v[162:163]
	v_mul_f64 v[162:163], v[1:2], v[162:163]
	v_add_f64 v[144:145], v[144:145], v[158:159]
	v_add_f64 v[146:147], v[146:147], v[154:155]
	s_waitcnt vmcnt(10) lgkmcnt(0)
	v_mul_f64 v[150:151], v[142:143], v[164:165]
	v_mul_f64 v[152:153], v[140:141], v[164:165]
	s_waitcnt vmcnt(8)
	v_fma_f64 v[154:155], v[1:2], v[168:169], -v[156:157]
	v_fma_f64 v[156:157], v[3:4], v[168:169], v[162:163]
	v_add_f64 v[137:138], v[144:145], v[137:138]
	v_add_f64 v[148:149], v[146:147], v[148:149]
	ds_read_b128 v[1:4], v186 offset:96
	ds_read_b128 v[144:147], v186 offset:112
	v_fma_f64 v[140:141], v[140:141], v[166:167], -v[150:151]
	v_fma_f64 v[142:143], v[142:143], v[166:167], v[152:153]
	s_waitcnt vmcnt(4) lgkmcnt(1)
	v_mul_f64 v[158:159], v[3:4], v[170:171]
	v_mul_f64 v[160:161], v[1:2], v[170:171]
	v_add_f64 v[137:138], v[137:138], v[154:155]
	v_add_f64 v[148:149], v[148:149], v[156:157]
	s_waitcnt vmcnt(2) lgkmcnt(0)
	v_mul_f64 v[150:151], v[146:147], v[172:173]
	v_mul_f64 v[152:153], v[144:145], v[172:173]
	s_waitcnt vmcnt(0)
	v_fma_f64 v[1:2], v[1:2], v[176:177], -v[158:159]
	v_fma_f64 v[3:4], v[3:4], v[176:177], v[160:161]
	v_add_f64 v[137:138], v[137:138], v[140:141]
	v_add_f64 v[140:141], v[148:149], v[142:143]
	v_fma_f64 v[142:143], v[144:145], v[174:175], -v[150:151]
	v_fma_f64 v[144:145], v[146:147], v[174:175], v[152:153]
	v_add_f64 v[1:2], v[137:138], v[1:2]
	v_add_f64 v[3:4], v[140:141], v[3:4]
	v_mov_b32_e32 v137, s76
	s_mov_b32 s76, s77
	v_add_f64 v[1:2], v[1:2], v[142:143]
	v_add_f64 v[3:4], v[3:4], v[144:145]
	s_andn2_b32 exec_lo, exec_lo, s73
	s_cbranch_execnz .LBB63_669
; %bb.670:
	s_or_b32 exec_lo, exec_lo, s73
.LBB63_671:
	s_or_b32 exec_lo, exec_lo, s5
	v_and_b32_e32 v135, 7, v135
	s_mov_b32 s73, 0
	s_mov_b32 s5, exec_lo
	v_cmpx_ne_u32_e32 0, v135
	s_cbranch_execz .LBB63_675
; %bb.672:
	v_lshlrev_b32_e32 v137, 4, v137
	v_add_nc_u32_e32 v136, 0x400, v137
	.p2align	6
.LBB63_673:                             ; =>This Inner Loop Header: Depth=1
	s_clause 0x3
	buffer_load_dword v144, v137, s[0:3], 0 offen offset:8
	buffer_load_dword v145, v137, s[0:3], 0 offen offset:12
	buffer_load_dword v146, v137, s[0:3], 0 offen
	buffer_load_dword v147, v137, s[0:3], 0 offen offset:4
	ds_read_b128 v[140:143], v136
	v_add_nc_u32_e32 v135, -1, v135
	v_add_nc_u32_e32 v136, 16, v136
	v_add_nc_u32_e32 v137, 16, v137
	v_cmp_eq_u32_e32 vcc_lo, 0, v135
	s_or_b32 s73, vcc_lo, s73
	s_waitcnt vmcnt(2) lgkmcnt(0)
	v_mul_f64 v[148:149], v[142:143], v[144:145]
	v_mul_f64 v[144:145], v[140:141], v[144:145]
	s_waitcnt vmcnt(0)
	v_fma_f64 v[140:141], v[140:141], v[146:147], -v[148:149]
	v_fma_f64 v[142:143], v[142:143], v[146:147], v[144:145]
	v_add_f64 v[1:2], v[1:2], v[140:141]
	v_add_f64 v[3:4], v[3:4], v[142:143]
	s_andn2_b32 exec_lo, exec_lo, s73
	s_cbranch_execnz .LBB63_673
; %bb.674:
	s_or_b32 exec_lo, exec_lo, s73
.LBB63_675:
	s_or_b32 exec_lo, exec_lo, s5
.LBB63_676:
	s_or_b32 exec_lo, exec_lo, s8
	v_mov_b32_e32 v135, 0
	ds_read_b128 v[135:138], v135 offset:224
	s_waitcnt lgkmcnt(0)
	v_mul_f64 v[140:141], v[3:4], v[137:138]
	v_mul_f64 v[137:138], v[1:2], v[137:138]
	v_fma_f64 v[1:2], v[1:2], v[135:136], -v[140:141]
	v_fma_f64 v[3:4], v[3:4], v[135:136], v[137:138]
	buffer_store_dword v2, off, s[0:3], 0 offset:228
	buffer_store_dword v1, off, s[0:3], 0 offset:224
	;; [unrolled: 1-line block ×4, first 2 shown]
.LBB63_677:
	s_or_b32 exec_lo, exec_lo, s6
	v_mov_b32_e32 v4, s60
	v_cmp_lt_u32_e64 s5, 13, v0
	s_clause 0x3
	buffer_load_dword v1, v4, s[0:3], 0 offen
	buffer_load_dword v2, v4, s[0:3], 0 offen offset:4
	buffer_load_dword v3, v4, s[0:3], 0 offen offset:8
	buffer_load_dword v4, v4, s[0:3], 0 offen offset:12
	s_waitcnt vmcnt(0)
	ds_write_b128 v134, v[1:4]
	s_waitcnt lgkmcnt(0)
	s_waitcnt_vscnt null, 0x0
	s_barrier
	buffer_gl0_inv
	s_and_saveexec_b32 s6, s5
	s_cbranch_execz .LBB63_691
; %bb.678:
	ds_read_b128 v[1:4], v134
	s_andn2_b32 vcc_lo, exec_lo, s7
	s_cbranch_vccnz .LBB63_680
; %bb.679:
	s_clause 0x3
	buffer_load_dword v135, v133, s[0:3], 0 offen offset:8
	buffer_load_dword v136, v133, s[0:3], 0 offen offset:12
	buffer_load_dword v137, v133, s[0:3], 0 offen
	buffer_load_dword v138, v133, s[0:3], 0 offen offset:4
	s_waitcnt vmcnt(2) lgkmcnt(0)
	v_mul_f64 v[140:141], v[3:4], v[135:136]
	v_mul_f64 v[135:136], v[1:2], v[135:136]
	s_waitcnt vmcnt(0)
	v_fma_f64 v[1:2], v[1:2], v[137:138], -v[140:141]
	v_fma_f64 v[3:4], v[3:4], v[137:138], v[135:136]
.LBB63_680:
	s_and_saveexec_b32 s8, s4
	s_cbranch_execz .LBB63_690
; %bb.681:
	v_add_nc_u32_e32 v136, -15, v0
	v_add_nc_u32_e32 v135, -14, v0
	v_mov_b32_e32 v137, 14
	s_mov_b32 s4, exec_lo
	v_cmpx_lt_u32_e32 6, v136
	s_cbranch_execz .LBB63_685
; %bb.682:
	v_and_b32_e32 v136, -8, v135
	s_movk_i32 s74, 0x4e0
	s_mov_b32 s73, 0
	s_mov_b32 s75, s59
	;; [unrolled: 1-line block ×3, first 2 shown]
.LBB63_683:                             ; =>This Inner Loop Header: Depth=1
	v_mov_b32_e32 v140, s75
	v_mov_b32_e32 v186, s74
	s_add_i32 s77, s76, 8
	s_add_i32 s76, s76, 22
	v_cmp_eq_u32_e32 vcc_lo, s77, v136
	s_clause 0x1f
	buffer_load_dword v137, v140, s[0:3], 0 offen offset:8
	buffer_load_dword v138, v140, s[0:3], 0 offen offset:12
	buffer_load_dword v148, v140, s[0:3], 0 offen
	buffer_load_dword v149, v140, s[0:3], 0 offen offset:4
	buffer_load_dword v150, v140, s[0:3], 0 offen offset:24
	;; [unrolled: 1-line block ×29, first 2 shown]
	ds_read_b128 v[140:143], v186
	ds_read_b128 v[144:147], v186 offset:16
	s_addk_i32 s74, 0x80
	s_addk_i32 s75, 0x80
	s_or_b32 s73, vcc_lo, s73
	s_waitcnt vmcnt(30) lgkmcnt(1)
	v_mul_f64 v[178:179], v[142:143], v[137:138]
	v_mul_f64 v[137:138], v[140:141], v[137:138]
	s_waitcnt vmcnt(26) lgkmcnt(0)
	v_mul_f64 v[180:181], v[146:147], v[150:151]
	v_mul_f64 v[182:183], v[144:145], v[150:151]
	v_fma_f64 v[178:179], v[140:141], v[148:149], -v[178:179]
	v_fma_f64 v[137:138], v[142:143], v[148:149], v[137:138]
	ds_read_b128 v[140:143], v186 offset:32
	ds_read_b128 v[148:151], v186 offset:48
	s_waitcnt vmcnt(24)
	v_fma_f64 v[144:145], v[144:145], v[152:153], -v[180:181]
	v_fma_f64 v[146:147], v[146:147], v[152:153], v[182:183]
	s_waitcnt vmcnt(22) lgkmcnt(1)
	v_mul_f64 v[184:185], v[142:143], v[154:155]
	v_mul_f64 v[154:155], v[140:141], v[154:155]
	v_add_f64 v[1:2], v[1:2], v[178:179]
	v_add_f64 v[3:4], v[3:4], v[137:138]
	s_waitcnt vmcnt(18) lgkmcnt(0)
	v_mul_f64 v[137:138], v[150:151], v[158:159]
	v_mul_f64 v[152:153], v[148:149], v[158:159]
	v_fma_f64 v[158:159], v[140:141], v[156:157], -v[184:185]
	v_fma_f64 v[154:155], v[142:143], v[156:157], v[154:155]
	v_add_f64 v[144:145], v[1:2], v[144:145]
	v_add_f64 v[146:147], v[3:4], v[146:147]
	ds_read_b128 v[1:4], v186 offset:64
	ds_read_b128 v[140:143], v186 offset:80
	s_waitcnt vmcnt(16)
	v_fma_f64 v[137:138], v[148:149], v[160:161], -v[137:138]
	v_fma_f64 v[148:149], v[150:151], v[160:161], v[152:153]
	s_waitcnt vmcnt(12) lgkmcnt(1)
	v_mul_f64 v[156:157], v[3:4], v[162:163]
	v_mul_f64 v[162:163], v[1:2], v[162:163]
	v_add_f64 v[144:145], v[144:145], v[158:159]
	v_add_f64 v[146:147], v[146:147], v[154:155]
	s_waitcnt vmcnt(10) lgkmcnt(0)
	v_mul_f64 v[150:151], v[142:143], v[164:165]
	v_mul_f64 v[152:153], v[140:141], v[164:165]
	s_waitcnt vmcnt(8)
	v_fma_f64 v[154:155], v[1:2], v[168:169], -v[156:157]
	v_fma_f64 v[156:157], v[3:4], v[168:169], v[162:163]
	v_add_f64 v[137:138], v[144:145], v[137:138]
	v_add_f64 v[148:149], v[146:147], v[148:149]
	ds_read_b128 v[1:4], v186 offset:96
	ds_read_b128 v[144:147], v186 offset:112
	v_fma_f64 v[140:141], v[140:141], v[166:167], -v[150:151]
	v_fma_f64 v[142:143], v[142:143], v[166:167], v[152:153]
	s_waitcnt vmcnt(4) lgkmcnt(1)
	v_mul_f64 v[158:159], v[3:4], v[170:171]
	v_mul_f64 v[160:161], v[1:2], v[170:171]
	v_add_f64 v[137:138], v[137:138], v[154:155]
	v_add_f64 v[148:149], v[148:149], v[156:157]
	s_waitcnt vmcnt(2) lgkmcnt(0)
	v_mul_f64 v[150:151], v[146:147], v[172:173]
	v_mul_f64 v[152:153], v[144:145], v[172:173]
	s_waitcnt vmcnt(0)
	v_fma_f64 v[1:2], v[1:2], v[176:177], -v[158:159]
	v_fma_f64 v[3:4], v[3:4], v[176:177], v[160:161]
	v_add_f64 v[137:138], v[137:138], v[140:141]
	v_add_f64 v[140:141], v[148:149], v[142:143]
	v_fma_f64 v[142:143], v[144:145], v[174:175], -v[150:151]
	v_fma_f64 v[144:145], v[146:147], v[174:175], v[152:153]
	v_add_f64 v[1:2], v[137:138], v[1:2]
	v_add_f64 v[3:4], v[140:141], v[3:4]
	v_mov_b32_e32 v137, s76
	s_mov_b32 s76, s77
	v_add_f64 v[1:2], v[1:2], v[142:143]
	v_add_f64 v[3:4], v[3:4], v[144:145]
	s_andn2_b32 exec_lo, exec_lo, s73
	s_cbranch_execnz .LBB63_683
; %bb.684:
	s_or_b32 exec_lo, exec_lo, s73
.LBB63_685:
	s_or_b32 exec_lo, exec_lo, s4
	v_and_b32_e32 v135, 7, v135
	s_mov_b32 s73, 0
	s_mov_b32 s4, exec_lo
	v_cmpx_ne_u32_e32 0, v135
	s_cbranch_execz .LBB63_689
; %bb.686:
	v_lshlrev_b32_e32 v137, 4, v137
	v_add_nc_u32_e32 v136, 0x400, v137
	.p2align	6
.LBB63_687:                             ; =>This Inner Loop Header: Depth=1
	s_clause 0x3
	buffer_load_dword v144, v137, s[0:3], 0 offen offset:8
	buffer_load_dword v145, v137, s[0:3], 0 offen offset:12
	buffer_load_dword v146, v137, s[0:3], 0 offen
	buffer_load_dword v147, v137, s[0:3], 0 offen offset:4
	ds_read_b128 v[140:143], v136
	v_add_nc_u32_e32 v135, -1, v135
	v_add_nc_u32_e32 v136, 16, v136
	v_add_nc_u32_e32 v137, 16, v137
	v_cmp_eq_u32_e32 vcc_lo, 0, v135
	s_or_b32 s73, vcc_lo, s73
	s_waitcnt vmcnt(2) lgkmcnt(0)
	v_mul_f64 v[148:149], v[142:143], v[144:145]
	v_mul_f64 v[144:145], v[140:141], v[144:145]
	s_waitcnt vmcnt(0)
	v_fma_f64 v[140:141], v[140:141], v[146:147], -v[148:149]
	v_fma_f64 v[142:143], v[142:143], v[146:147], v[144:145]
	v_add_f64 v[1:2], v[1:2], v[140:141]
	v_add_f64 v[3:4], v[3:4], v[142:143]
	s_andn2_b32 exec_lo, exec_lo, s73
	s_cbranch_execnz .LBB63_687
; %bb.688:
	s_or_b32 exec_lo, exec_lo, s73
.LBB63_689:
	s_or_b32 exec_lo, exec_lo, s4
.LBB63_690:
	s_or_b32 exec_lo, exec_lo, s8
	v_mov_b32_e32 v135, 0
	ds_read_b128 v[135:138], v135 offset:208
	s_waitcnt lgkmcnt(0)
	v_mul_f64 v[140:141], v[3:4], v[137:138]
	v_mul_f64 v[137:138], v[1:2], v[137:138]
	v_fma_f64 v[1:2], v[1:2], v[135:136], -v[140:141]
	v_fma_f64 v[3:4], v[3:4], v[135:136], v[137:138]
	buffer_store_dword v2, off, s[0:3], 0 offset:212
	buffer_store_dword v1, off, s[0:3], 0 offset:208
	;; [unrolled: 1-line block ×4, first 2 shown]
.LBB63_691:
	s_or_b32 exec_lo, exec_lo, s6
	v_mov_b32_e32 v4, s61
	v_cmp_lt_u32_e64 s4, 12, v0
	s_clause 0x3
	buffer_load_dword v1, v4, s[0:3], 0 offen
	buffer_load_dword v2, v4, s[0:3], 0 offen offset:4
	buffer_load_dword v3, v4, s[0:3], 0 offen offset:8
	;; [unrolled: 1-line block ×3, first 2 shown]
	s_waitcnt vmcnt(0)
	ds_write_b128 v134, v[1:4]
	s_waitcnt lgkmcnt(0)
	s_waitcnt_vscnt null, 0x0
	s_barrier
	buffer_gl0_inv
	s_and_saveexec_b32 s6, s4
	s_cbranch_execz .LBB63_705
; %bb.692:
	ds_read_b128 v[1:4], v134
	s_andn2_b32 vcc_lo, exec_lo, s7
	s_cbranch_vccnz .LBB63_694
; %bb.693:
	s_clause 0x3
	buffer_load_dword v135, v133, s[0:3], 0 offen offset:8
	buffer_load_dword v136, v133, s[0:3], 0 offen offset:12
	buffer_load_dword v137, v133, s[0:3], 0 offen
	buffer_load_dword v138, v133, s[0:3], 0 offen offset:4
	s_waitcnt vmcnt(2) lgkmcnt(0)
	v_mul_f64 v[140:141], v[3:4], v[135:136]
	v_mul_f64 v[135:136], v[1:2], v[135:136]
	s_waitcnt vmcnt(0)
	v_fma_f64 v[1:2], v[1:2], v[137:138], -v[140:141]
	v_fma_f64 v[3:4], v[3:4], v[137:138], v[135:136]
.LBB63_694:
	s_and_saveexec_b32 s8, s5
	s_cbranch_execz .LBB63_704
; %bb.695:
	v_add_nc_u32_e32 v136, -14, v0
	v_add_nc_u32_e32 v135, -13, v0
	v_mov_b32_e32 v137, 13
	s_mov_b32 s5, exec_lo
	v_cmpx_lt_u32_e32 6, v136
	s_cbranch_execz .LBB63_699
; %bb.696:
	v_and_b32_e32 v136, -8, v135
	s_movk_i32 s74, 0x4d0
	s_mov_b32 s73, 0
	s_mov_b32 s75, s60
	;; [unrolled: 1-line block ×3, first 2 shown]
.LBB63_697:                             ; =>This Inner Loop Header: Depth=1
	v_mov_b32_e32 v140, s75
	v_mov_b32_e32 v186, s74
	s_add_i32 s77, s76, 8
	s_add_i32 s76, s76, 21
	v_cmp_eq_u32_e32 vcc_lo, s77, v136
	s_clause 0x1f
	buffer_load_dword v137, v140, s[0:3], 0 offen offset:8
	buffer_load_dword v138, v140, s[0:3], 0 offen offset:12
	buffer_load_dword v148, v140, s[0:3], 0 offen
	buffer_load_dword v149, v140, s[0:3], 0 offen offset:4
	buffer_load_dword v150, v140, s[0:3], 0 offen offset:24
	;; [unrolled: 1-line block ×29, first 2 shown]
	ds_read_b128 v[140:143], v186
	ds_read_b128 v[144:147], v186 offset:16
	s_addk_i32 s74, 0x80
	s_addk_i32 s75, 0x80
	s_or_b32 s73, vcc_lo, s73
	s_waitcnt vmcnt(30) lgkmcnt(1)
	v_mul_f64 v[178:179], v[142:143], v[137:138]
	v_mul_f64 v[137:138], v[140:141], v[137:138]
	s_waitcnt vmcnt(26) lgkmcnt(0)
	v_mul_f64 v[180:181], v[146:147], v[150:151]
	v_mul_f64 v[182:183], v[144:145], v[150:151]
	v_fma_f64 v[178:179], v[140:141], v[148:149], -v[178:179]
	v_fma_f64 v[137:138], v[142:143], v[148:149], v[137:138]
	ds_read_b128 v[140:143], v186 offset:32
	ds_read_b128 v[148:151], v186 offset:48
	s_waitcnt vmcnt(24)
	v_fma_f64 v[144:145], v[144:145], v[152:153], -v[180:181]
	v_fma_f64 v[146:147], v[146:147], v[152:153], v[182:183]
	s_waitcnt vmcnt(22) lgkmcnt(1)
	v_mul_f64 v[184:185], v[142:143], v[154:155]
	v_mul_f64 v[154:155], v[140:141], v[154:155]
	v_add_f64 v[1:2], v[1:2], v[178:179]
	v_add_f64 v[3:4], v[3:4], v[137:138]
	s_waitcnt vmcnt(18) lgkmcnt(0)
	v_mul_f64 v[137:138], v[150:151], v[158:159]
	v_mul_f64 v[152:153], v[148:149], v[158:159]
	v_fma_f64 v[158:159], v[140:141], v[156:157], -v[184:185]
	v_fma_f64 v[154:155], v[142:143], v[156:157], v[154:155]
	v_add_f64 v[144:145], v[1:2], v[144:145]
	v_add_f64 v[146:147], v[3:4], v[146:147]
	ds_read_b128 v[1:4], v186 offset:64
	ds_read_b128 v[140:143], v186 offset:80
	s_waitcnt vmcnt(16)
	v_fma_f64 v[137:138], v[148:149], v[160:161], -v[137:138]
	v_fma_f64 v[148:149], v[150:151], v[160:161], v[152:153]
	s_waitcnt vmcnt(12) lgkmcnt(1)
	v_mul_f64 v[156:157], v[3:4], v[162:163]
	v_mul_f64 v[162:163], v[1:2], v[162:163]
	v_add_f64 v[144:145], v[144:145], v[158:159]
	v_add_f64 v[146:147], v[146:147], v[154:155]
	s_waitcnt vmcnt(10) lgkmcnt(0)
	v_mul_f64 v[150:151], v[142:143], v[164:165]
	v_mul_f64 v[152:153], v[140:141], v[164:165]
	s_waitcnt vmcnt(8)
	v_fma_f64 v[154:155], v[1:2], v[168:169], -v[156:157]
	v_fma_f64 v[156:157], v[3:4], v[168:169], v[162:163]
	v_add_f64 v[137:138], v[144:145], v[137:138]
	v_add_f64 v[148:149], v[146:147], v[148:149]
	ds_read_b128 v[1:4], v186 offset:96
	ds_read_b128 v[144:147], v186 offset:112
	v_fma_f64 v[140:141], v[140:141], v[166:167], -v[150:151]
	v_fma_f64 v[142:143], v[142:143], v[166:167], v[152:153]
	s_waitcnt vmcnt(4) lgkmcnt(1)
	v_mul_f64 v[158:159], v[3:4], v[170:171]
	v_mul_f64 v[160:161], v[1:2], v[170:171]
	v_add_f64 v[137:138], v[137:138], v[154:155]
	v_add_f64 v[148:149], v[148:149], v[156:157]
	s_waitcnt vmcnt(2) lgkmcnt(0)
	v_mul_f64 v[150:151], v[146:147], v[172:173]
	v_mul_f64 v[152:153], v[144:145], v[172:173]
	s_waitcnt vmcnt(0)
	v_fma_f64 v[1:2], v[1:2], v[176:177], -v[158:159]
	v_fma_f64 v[3:4], v[3:4], v[176:177], v[160:161]
	v_add_f64 v[137:138], v[137:138], v[140:141]
	v_add_f64 v[140:141], v[148:149], v[142:143]
	v_fma_f64 v[142:143], v[144:145], v[174:175], -v[150:151]
	v_fma_f64 v[144:145], v[146:147], v[174:175], v[152:153]
	v_add_f64 v[1:2], v[137:138], v[1:2]
	v_add_f64 v[3:4], v[140:141], v[3:4]
	v_mov_b32_e32 v137, s76
	s_mov_b32 s76, s77
	v_add_f64 v[1:2], v[1:2], v[142:143]
	v_add_f64 v[3:4], v[3:4], v[144:145]
	s_andn2_b32 exec_lo, exec_lo, s73
	s_cbranch_execnz .LBB63_697
; %bb.698:
	s_or_b32 exec_lo, exec_lo, s73
.LBB63_699:
	s_or_b32 exec_lo, exec_lo, s5
	v_and_b32_e32 v135, 7, v135
	s_mov_b32 s73, 0
	s_mov_b32 s5, exec_lo
	v_cmpx_ne_u32_e32 0, v135
	s_cbranch_execz .LBB63_703
; %bb.700:
	v_lshlrev_b32_e32 v137, 4, v137
	v_add_nc_u32_e32 v136, 0x400, v137
	.p2align	6
.LBB63_701:                             ; =>This Inner Loop Header: Depth=1
	s_clause 0x3
	buffer_load_dword v144, v137, s[0:3], 0 offen offset:8
	buffer_load_dword v145, v137, s[0:3], 0 offen offset:12
	buffer_load_dword v146, v137, s[0:3], 0 offen
	buffer_load_dword v147, v137, s[0:3], 0 offen offset:4
	ds_read_b128 v[140:143], v136
	v_add_nc_u32_e32 v135, -1, v135
	v_add_nc_u32_e32 v136, 16, v136
	v_add_nc_u32_e32 v137, 16, v137
	v_cmp_eq_u32_e32 vcc_lo, 0, v135
	s_or_b32 s73, vcc_lo, s73
	s_waitcnt vmcnt(2) lgkmcnt(0)
	v_mul_f64 v[148:149], v[142:143], v[144:145]
	v_mul_f64 v[144:145], v[140:141], v[144:145]
	s_waitcnt vmcnt(0)
	v_fma_f64 v[140:141], v[140:141], v[146:147], -v[148:149]
	v_fma_f64 v[142:143], v[142:143], v[146:147], v[144:145]
	v_add_f64 v[1:2], v[1:2], v[140:141]
	v_add_f64 v[3:4], v[3:4], v[142:143]
	s_andn2_b32 exec_lo, exec_lo, s73
	s_cbranch_execnz .LBB63_701
; %bb.702:
	s_or_b32 exec_lo, exec_lo, s73
.LBB63_703:
	s_or_b32 exec_lo, exec_lo, s5
.LBB63_704:
	s_or_b32 exec_lo, exec_lo, s8
	v_mov_b32_e32 v135, 0
	ds_read_b128 v[135:138], v135 offset:192
	s_waitcnt lgkmcnt(0)
	v_mul_f64 v[140:141], v[3:4], v[137:138]
	v_mul_f64 v[137:138], v[1:2], v[137:138]
	v_fma_f64 v[1:2], v[1:2], v[135:136], -v[140:141]
	v_fma_f64 v[3:4], v[3:4], v[135:136], v[137:138]
	buffer_store_dword v2, off, s[0:3], 0 offset:196
	buffer_store_dword v1, off, s[0:3], 0 offset:192
	buffer_store_dword v4, off, s[0:3], 0 offset:204
	buffer_store_dword v3, off, s[0:3], 0 offset:200
.LBB63_705:
	s_or_b32 exec_lo, exec_lo, s6
	v_mov_b32_e32 v4, s62
	v_cmp_lt_u32_e64 s5, 11, v0
	s_clause 0x3
	buffer_load_dword v1, v4, s[0:3], 0 offen
	buffer_load_dword v2, v4, s[0:3], 0 offen offset:4
	buffer_load_dword v3, v4, s[0:3], 0 offen offset:8
	;; [unrolled: 1-line block ×3, first 2 shown]
	s_waitcnt vmcnt(0)
	ds_write_b128 v134, v[1:4]
	s_waitcnt lgkmcnt(0)
	s_waitcnt_vscnt null, 0x0
	s_barrier
	buffer_gl0_inv
	s_and_saveexec_b32 s6, s5
	s_cbranch_execz .LBB63_719
; %bb.706:
	ds_read_b128 v[1:4], v134
	s_andn2_b32 vcc_lo, exec_lo, s7
	s_cbranch_vccnz .LBB63_708
; %bb.707:
	s_clause 0x3
	buffer_load_dword v135, v133, s[0:3], 0 offen offset:8
	buffer_load_dword v136, v133, s[0:3], 0 offen offset:12
	buffer_load_dword v137, v133, s[0:3], 0 offen
	buffer_load_dword v138, v133, s[0:3], 0 offen offset:4
	s_waitcnt vmcnt(2) lgkmcnt(0)
	v_mul_f64 v[140:141], v[3:4], v[135:136]
	v_mul_f64 v[135:136], v[1:2], v[135:136]
	s_waitcnt vmcnt(0)
	v_fma_f64 v[1:2], v[1:2], v[137:138], -v[140:141]
	v_fma_f64 v[3:4], v[3:4], v[137:138], v[135:136]
.LBB63_708:
	s_and_saveexec_b32 s8, s4
	s_cbranch_execz .LBB63_718
; %bb.709:
	v_add_nc_u32_e32 v136, -13, v0
	v_add_nc_u32_e32 v135, -12, v0
	v_mov_b32_e32 v137, 12
	s_mov_b32 s4, exec_lo
	v_cmpx_lt_u32_e32 6, v136
	s_cbranch_execz .LBB63_713
; %bb.710:
	v_and_b32_e32 v136, -8, v135
	s_movk_i32 s74, 0x4c0
	s_mov_b32 s73, 0
	s_mov_b32 s75, s61
	;; [unrolled: 1-line block ×3, first 2 shown]
.LBB63_711:                             ; =>This Inner Loop Header: Depth=1
	v_mov_b32_e32 v140, s75
	v_mov_b32_e32 v186, s74
	s_add_i32 s77, s76, 8
	s_add_i32 s76, s76, 20
	v_cmp_eq_u32_e32 vcc_lo, s77, v136
	s_clause 0x1f
	buffer_load_dword v137, v140, s[0:3], 0 offen offset:8
	buffer_load_dword v138, v140, s[0:3], 0 offen offset:12
	buffer_load_dword v148, v140, s[0:3], 0 offen
	buffer_load_dword v149, v140, s[0:3], 0 offen offset:4
	buffer_load_dword v150, v140, s[0:3], 0 offen offset:24
	;; [unrolled: 1-line block ×29, first 2 shown]
	ds_read_b128 v[140:143], v186
	ds_read_b128 v[144:147], v186 offset:16
	s_addk_i32 s74, 0x80
	s_addk_i32 s75, 0x80
	s_or_b32 s73, vcc_lo, s73
	s_waitcnt vmcnt(30) lgkmcnt(1)
	v_mul_f64 v[178:179], v[142:143], v[137:138]
	v_mul_f64 v[137:138], v[140:141], v[137:138]
	s_waitcnt vmcnt(26) lgkmcnt(0)
	v_mul_f64 v[180:181], v[146:147], v[150:151]
	v_mul_f64 v[182:183], v[144:145], v[150:151]
	v_fma_f64 v[178:179], v[140:141], v[148:149], -v[178:179]
	v_fma_f64 v[137:138], v[142:143], v[148:149], v[137:138]
	ds_read_b128 v[140:143], v186 offset:32
	ds_read_b128 v[148:151], v186 offset:48
	s_waitcnt vmcnt(24)
	v_fma_f64 v[144:145], v[144:145], v[152:153], -v[180:181]
	v_fma_f64 v[146:147], v[146:147], v[152:153], v[182:183]
	s_waitcnt vmcnt(22) lgkmcnt(1)
	v_mul_f64 v[184:185], v[142:143], v[154:155]
	v_mul_f64 v[154:155], v[140:141], v[154:155]
	v_add_f64 v[1:2], v[1:2], v[178:179]
	v_add_f64 v[3:4], v[3:4], v[137:138]
	s_waitcnt vmcnt(18) lgkmcnt(0)
	v_mul_f64 v[137:138], v[150:151], v[158:159]
	v_mul_f64 v[152:153], v[148:149], v[158:159]
	v_fma_f64 v[158:159], v[140:141], v[156:157], -v[184:185]
	v_fma_f64 v[154:155], v[142:143], v[156:157], v[154:155]
	v_add_f64 v[144:145], v[1:2], v[144:145]
	v_add_f64 v[146:147], v[3:4], v[146:147]
	ds_read_b128 v[1:4], v186 offset:64
	ds_read_b128 v[140:143], v186 offset:80
	s_waitcnt vmcnt(16)
	v_fma_f64 v[137:138], v[148:149], v[160:161], -v[137:138]
	v_fma_f64 v[148:149], v[150:151], v[160:161], v[152:153]
	s_waitcnt vmcnt(12) lgkmcnt(1)
	v_mul_f64 v[156:157], v[3:4], v[162:163]
	v_mul_f64 v[162:163], v[1:2], v[162:163]
	v_add_f64 v[144:145], v[144:145], v[158:159]
	v_add_f64 v[146:147], v[146:147], v[154:155]
	s_waitcnt vmcnt(10) lgkmcnt(0)
	v_mul_f64 v[150:151], v[142:143], v[164:165]
	v_mul_f64 v[152:153], v[140:141], v[164:165]
	s_waitcnt vmcnt(8)
	v_fma_f64 v[154:155], v[1:2], v[168:169], -v[156:157]
	v_fma_f64 v[156:157], v[3:4], v[168:169], v[162:163]
	v_add_f64 v[137:138], v[144:145], v[137:138]
	v_add_f64 v[148:149], v[146:147], v[148:149]
	ds_read_b128 v[1:4], v186 offset:96
	ds_read_b128 v[144:147], v186 offset:112
	v_fma_f64 v[140:141], v[140:141], v[166:167], -v[150:151]
	v_fma_f64 v[142:143], v[142:143], v[166:167], v[152:153]
	s_waitcnt vmcnt(4) lgkmcnt(1)
	v_mul_f64 v[158:159], v[3:4], v[170:171]
	v_mul_f64 v[160:161], v[1:2], v[170:171]
	v_add_f64 v[137:138], v[137:138], v[154:155]
	v_add_f64 v[148:149], v[148:149], v[156:157]
	s_waitcnt vmcnt(2) lgkmcnt(0)
	v_mul_f64 v[150:151], v[146:147], v[172:173]
	v_mul_f64 v[152:153], v[144:145], v[172:173]
	s_waitcnt vmcnt(0)
	v_fma_f64 v[1:2], v[1:2], v[176:177], -v[158:159]
	v_fma_f64 v[3:4], v[3:4], v[176:177], v[160:161]
	v_add_f64 v[137:138], v[137:138], v[140:141]
	v_add_f64 v[140:141], v[148:149], v[142:143]
	v_fma_f64 v[142:143], v[144:145], v[174:175], -v[150:151]
	v_fma_f64 v[144:145], v[146:147], v[174:175], v[152:153]
	v_add_f64 v[1:2], v[137:138], v[1:2]
	v_add_f64 v[3:4], v[140:141], v[3:4]
	v_mov_b32_e32 v137, s76
	s_mov_b32 s76, s77
	v_add_f64 v[1:2], v[1:2], v[142:143]
	v_add_f64 v[3:4], v[3:4], v[144:145]
	s_andn2_b32 exec_lo, exec_lo, s73
	s_cbranch_execnz .LBB63_711
; %bb.712:
	s_or_b32 exec_lo, exec_lo, s73
.LBB63_713:
	s_or_b32 exec_lo, exec_lo, s4
	v_and_b32_e32 v135, 7, v135
	s_mov_b32 s73, 0
	s_mov_b32 s4, exec_lo
	v_cmpx_ne_u32_e32 0, v135
	s_cbranch_execz .LBB63_717
; %bb.714:
	v_lshlrev_b32_e32 v137, 4, v137
	v_add_nc_u32_e32 v136, 0x400, v137
	.p2align	6
.LBB63_715:                             ; =>This Inner Loop Header: Depth=1
	s_clause 0x3
	buffer_load_dword v144, v137, s[0:3], 0 offen offset:8
	buffer_load_dword v145, v137, s[0:3], 0 offen offset:12
	buffer_load_dword v146, v137, s[0:3], 0 offen
	buffer_load_dword v147, v137, s[0:3], 0 offen offset:4
	ds_read_b128 v[140:143], v136
	v_add_nc_u32_e32 v135, -1, v135
	v_add_nc_u32_e32 v136, 16, v136
	v_add_nc_u32_e32 v137, 16, v137
	v_cmp_eq_u32_e32 vcc_lo, 0, v135
	s_or_b32 s73, vcc_lo, s73
	s_waitcnt vmcnt(2) lgkmcnt(0)
	v_mul_f64 v[148:149], v[142:143], v[144:145]
	v_mul_f64 v[144:145], v[140:141], v[144:145]
	s_waitcnt vmcnt(0)
	v_fma_f64 v[140:141], v[140:141], v[146:147], -v[148:149]
	v_fma_f64 v[142:143], v[142:143], v[146:147], v[144:145]
	v_add_f64 v[1:2], v[1:2], v[140:141]
	v_add_f64 v[3:4], v[3:4], v[142:143]
	s_andn2_b32 exec_lo, exec_lo, s73
	s_cbranch_execnz .LBB63_715
; %bb.716:
	s_or_b32 exec_lo, exec_lo, s73
.LBB63_717:
	s_or_b32 exec_lo, exec_lo, s4
.LBB63_718:
	s_or_b32 exec_lo, exec_lo, s8
	v_mov_b32_e32 v135, 0
	ds_read_b128 v[135:138], v135 offset:176
	s_waitcnt lgkmcnt(0)
	v_mul_f64 v[140:141], v[3:4], v[137:138]
	v_mul_f64 v[137:138], v[1:2], v[137:138]
	v_fma_f64 v[1:2], v[1:2], v[135:136], -v[140:141]
	v_fma_f64 v[3:4], v[3:4], v[135:136], v[137:138]
	buffer_store_dword v2, off, s[0:3], 0 offset:180
	buffer_store_dword v1, off, s[0:3], 0 offset:176
	;; [unrolled: 1-line block ×4, first 2 shown]
.LBB63_719:
	s_or_b32 exec_lo, exec_lo, s6
	v_mov_b32_e32 v4, s63
	v_cmp_lt_u32_e64 s4, 10, v0
	s_clause 0x3
	buffer_load_dword v1, v4, s[0:3], 0 offen
	buffer_load_dword v2, v4, s[0:3], 0 offen offset:4
	buffer_load_dword v3, v4, s[0:3], 0 offen offset:8
	;; [unrolled: 1-line block ×3, first 2 shown]
	s_waitcnt vmcnt(0)
	ds_write_b128 v134, v[1:4]
	s_waitcnt lgkmcnt(0)
	s_waitcnt_vscnt null, 0x0
	s_barrier
	buffer_gl0_inv
	s_and_saveexec_b32 s6, s4
	s_cbranch_execz .LBB63_733
; %bb.720:
	ds_read_b128 v[1:4], v134
	s_andn2_b32 vcc_lo, exec_lo, s7
	s_cbranch_vccnz .LBB63_722
; %bb.721:
	s_clause 0x3
	buffer_load_dword v135, v133, s[0:3], 0 offen offset:8
	buffer_load_dword v136, v133, s[0:3], 0 offen offset:12
	buffer_load_dword v137, v133, s[0:3], 0 offen
	buffer_load_dword v138, v133, s[0:3], 0 offen offset:4
	s_waitcnt vmcnt(2) lgkmcnt(0)
	v_mul_f64 v[140:141], v[3:4], v[135:136]
	v_mul_f64 v[135:136], v[1:2], v[135:136]
	s_waitcnt vmcnt(0)
	v_fma_f64 v[1:2], v[1:2], v[137:138], -v[140:141]
	v_fma_f64 v[3:4], v[3:4], v[137:138], v[135:136]
.LBB63_722:
	s_and_saveexec_b32 s8, s5
	s_cbranch_execz .LBB63_732
; %bb.723:
	v_add_nc_u32_e32 v136, -12, v0
	v_add_nc_u32_e32 v135, -11, v0
	v_mov_b32_e32 v137, 11
	s_mov_b32 s5, exec_lo
	v_cmpx_lt_u32_e32 6, v136
	s_cbranch_execz .LBB63_727
; %bb.724:
	v_and_b32_e32 v136, -8, v135
	s_movk_i32 s74, 0x4b0
	s_mov_b32 s73, 0
	s_mov_b32 s75, s62
	;; [unrolled: 1-line block ×3, first 2 shown]
.LBB63_725:                             ; =>This Inner Loop Header: Depth=1
	v_mov_b32_e32 v140, s75
	v_mov_b32_e32 v186, s74
	s_add_i32 s77, s76, 8
	s_add_i32 s76, s76, 19
	v_cmp_eq_u32_e32 vcc_lo, s77, v136
	s_clause 0x1f
	buffer_load_dword v137, v140, s[0:3], 0 offen offset:8
	buffer_load_dword v138, v140, s[0:3], 0 offen offset:12
	buffer_load_dword v148, v140, s[0:3], 0 offen
	buffer_load_dword v149, v140, s[0:3], 0 offen offset:4
	buffer_load_dword v150, v140, s[0:3], 0 offen offset:24
	;; [unrolled: 1-line block ×29, first 2 shown]
	ds_read_b128 v[140:143], v186
	ds_read_b128 v[144:147], v186 offset:16
	s_addk_i32 s74, 0x80
	s_addk_i32 s75, 0x80
	s_or_b32 s73, vcc_lo, s73
	s_waitcnt vmcnt(30) lgkmcnt(1)
	v_mul_f64 v[178:179], v[142:143], v[137:138]
	v_mul_f64 v[137:138], v[140:141], v[137:138]
	s_waitcnt vmcnt(26) lgkmcnt(0)
	v_mul_f64 v[180:181], v[146:147], v[150:151]
	v_mul_f64 v[182:183], v[144:145], v[150:151]
	v_fma_f64 v[178:179], v[140:141], v[148:149], -v[178:179]
	v_fma_f64 v[137:138], v[142:143], v[148:149], v[137:138]
	ds_read_b128 v[140:143], v186 offset:32
	ds_read_b128 v[148:151], v186 offset:48
	s_waitcnt vmcnt(24)
	v_fma_f64 v[144:145], v[144:145], v[152:153], -v[180:181]
	v_fma_f64 v[146:147], v[146:147], v[152:153], v[182:183]
	s_waitcnt vmcnt(22) lgkmcnt(1)
	v_mul_f64 v[184:185], v[142:143], v[154:155]
	v_mul_f64 v[154:155], v[140:141], v[154:155]
	v_add_f64 v[1:2], v[1:2], v[178:179]
	v_add_f64 v[3:4], v[3:4], v[137:138]
	s_waitcnt vmcnt(18) lgkmcnt(0)
	v_mul_f64 v[137:138], v[150:151], v[158:159]
	v_mul_f64 v[152:153], v[148:149], v[158:159]
	v_fma_f64 v[158:159], v[140:141], v[156:157], -v[184:185]
	v_fma_f64 v[154:155], v[142:143], v[156:157], v[154:155]
	v_add_f64 v[144:145], v[1:2], v[144:145]
	v_add_f64 v[146:147], v[3:4], v[146:147]
	ds_read_b128 v[1:4], v186 offset:64
	ds_read_b128 v[140:143], v186 offset:80
	s_waitcnt vmcnt(16)
	v_fma_f64 v[137:138], v[148:149], v[160:161], -v[137:138]
	v_fma_f64 v[148:149], v[150:151], v[160:161], v[152:153]
	s_waitcnt vmcnt(12) lgkmcnt(1)
	v_mul_f64 v[156:157], v[3:4], v[162:163]
	v_mul_f64 v[162:163], v[1:2], v[162:163]
	v_add_f64 v[144:145], v[144:145], v[158:159]
	v_add_f64 v[146:147], v[146:147], v[154:155]
	s_waitcnt vmcnt(10) lgkmcnt(0)
	v_mul_f64 v[150:151], v[142:143], v[164:165]
	v_mul_f64 v[152:153], v[140:141], v[164:165]
	s_waitcnt vmcnt(8)
	v_fma_f64 v[154:155], v[1:2], v[168:169], -v[156:157]
	v_fma_f64 v[156:157], v[3:4], v[168:169], v[162:163]
	v_add_f64 v[137:138], v[144:145], v[137:138]
	v_add_f64 v[148:149], v[146:147], v[148:149]
	ds_read_b128 v[1:4], v186 offset:96
	ds_read_b128 v[144:147], v186 offset:112
	v_fma_f64 v[140:141], v[140:141], v[166:167], -v[150:151]
	v_fma_f64 v[142:143], v[142:143], v[166:167], v[152:153]
	s_waitcnt vmcnt(4) lgkmcnt(1)
	v_mul_f64 v[158:159], v[3:4], v[170:171]
	v_mul_f64 v[160:161], v[1:2], v[170:171]
	v_add_f64 v[137:138], v[137:138], v[154:155]
	v_add_f64 v[148:149], v[148:149], v[156:157]
	s_waitcnt vmcnt(2) lgkmcnt(0)
	v_mul_f64 v[150:151], v[146:147], v[172:173]
	v_mul_f64 v[152:153], v[144:145], v[172:173]
	s_waitcnt vmcnt(0)
	v_fma_f64 v[1:2], v[1:2], v[176:177], -v[158:159]
	v_fma_f64 v[3:4], v[3:4], v[176:177], v[160:161]
	v_add_f64 v[137:138], v[137:138], v[140:141]
	v_add_f64 v[140:141], v[148:149], v[142:143]
	v_fma_f64 v[142:143], v[144:145], v[174:175], -v[150:151]
	v_fma_f64 v[144:145], v[146:147], v[174:175], v[152:153]
	v_add_f64 v[1:2], v[137:138], v[1:2]
	v_add_f64 v[3:4], v[140:141], v[3:4]
	v_mov_b32_e32 v137, s76
	s_mov_b32 s76, s77
	v_add_f64 v[1:2], v[1:2], v[142:143]
	v_add_f64 v[3:4], v[3:4], v[144:145]
	s_andn2_b32 exec_lo, exec_lo, s73
	s_cbranch_execnz .LBB63_725
; %bb.726:
	s_or_b32 exec_lo, exec_lo, s73
.LBB63_727:
	s_or_b32 exec_lo, exec_lo, s5
	v_and_b32_e32 v135, 7, v135
	s_mov_b32 s73, 0
	s_mov_b32 s5, exec_lo
	v_cmpx_ne_u32_e32 0, v135
	s_cbranch_execz .LBB63_731
; %bb.728:
	v_lshlrev_b32_e32 v137, 4, v137
	v_add_nc_u32_e32 v136, 0x400, v137
	.p2align	6
.LBB63_729:                             ; =>This Inner Loop Header: Depth=1
	s_clause 0x3
	buffer_load_dword v144, v137, s[0:3], 0 offen offset:8
	buffer_load_dword v145, v137, s[0:3], 0 offen offset:12
	buffer_load_dword v146, v137, s[0:3], 0 offen
	buffer_load_dword v147, v137, s[0:3], 0 offen offset:4
	ds_read_b128 v[140:143], v136
	v_add_nc_u32_e32 v135, -1, v135
	v_add_nc_u32_e32 v136, 16, v136
	v_add_nc_u32_e32 v137, 16, v137
	v_cmp_eq_u32_e32 vcc_lo, 0, v135
	s_or_b32 s73, vcc_lo, s73
	s_waitcnt vmcnt(2) lgkmcnt(0)
	v_mul_f64 v[148:149], v[142:143], v[144:145]
	v_mul_f64 v[144:145], v[140:141], v[144:145]
	s_waitcnt vmcnt(0)
	v_fma_f64 v[140:141], v[140:141], v[146:147], -v[148:149]
	v_fma_f64 v[142:143], v[142:143], v[146:147], v[144:145]
	v_add_f64 v[1:2], v[1:2], v[140:141]
	v_add_f64 v[3:4], v[3:4], v[142:143]
	s_andn2_b32 exec_lo, exec_lo, s73
	s_cbranch_execnz .LBB63_729
; %bb.730:
	s_or_b32 exec_lo, exec_lo, s73
.LBB63_731:
	s_or_b32 exec_lo, exec_lo, s5
.LBB63_732:
	s_or_b32 exec_lo, exec_lo, s8
	v_mov_b32_e32 v135, 0
	ds_read_b128 v[135:138], v135 offset:160
	s_waitcnt lgkmcnt(0)
	v_mul_f64 v[140:141], v[3:4], v[137:138]
	v_mul_f64 v[137:138], v[1:2], v[137:138]
	v_fma_f64 v[1:2], v[1:2], v[135:136], -v[140:141]
	v_fma_f64 v[3:4], v[3:4], v[135:136], v[137:138]
	buffer_store_dword v2, off, s[0:3], 0 offset:164
	buffer_store_dword v1, off, s[0:3], 0 offset:160
	buffer_store_dword v4, off, s[0:3], 0 offset:172
	buffer_store_dword v3, off, s[0:3], 0 offset:168
.LBB63_733:
	s_or_b32 exec_lo, exec_lo, s6
	v_mov_b32_e32 v4, s64
	v_cmp_lt_u32_e64 s5, 9, v0
	s_clause 0x3
	buffer_load_dword v1, v4, s[0:3], 0 offen
	buffer_load_dword v2, v4, s[0:3], 0 offen offset:4
	buffer_load_dword v3, v4, s[0:3], 0 offen offset:8
	;; [unrolled: 1-line block ×3, first 2 shown]
	s_waitcnt vmcnt(0)
	ds_write_b128 v134, v[1:4]
	s_waitcnt lgkmcnt(0)
	s_waitcnt_vscnt null, 0x0
	s_barrier
	buffer_gl0_inv
	s_and_saveexec_b32 s6, s5
	s_cbranch_execz .LBB63_747
; %bb.734:
	ds_read_b128 v[1:4], v134
	s_andn2_b32 vcc_lo, exec_lo, s7
	s_cbranch_vccnz .LBB63_736
; %bb.735:
	s_clause 0x3
	buffer_load_dword v135, v133, s[0:3], 0 offen offset:8
	buffer_load_dword v136, v133, s[0:3], 0 offen offset:12
	buffer_load_dword v137, v133, s[0:3], 0 offen
	buffer_load_dword v138, v133, s[0:3], 0 offen offset:4
	s_waitcnt vmcnt(2) lgkmcnt(0)
	v_mul_f64 v[140:141], v[3:4], v[135:136]
	v_mul_f64 v[135:136], v[1:2], v[135:136]
	s_waitcnt vmcnt(0)
	v_fma_f64 v[1:2], v[1:2], v[137:138], -v[140:141]
	v_fma_f64 v[3:4], v[3:4], v[137:138], v[135:136]
.LBB63_736:
	s_and_saveexec_b32 s8, s4
	s_cbranch_execz .LBB63_746
; %bb.737:
	v_add_nc_u32_e32 v136, -11, v0
	v_add_nc_u32_e32 v135, -10, v0
	v_mov_b32_e32 v137, 10
	s_mov_b32 s4, exec_lo
	v_cmpx_lt_u32_e32 6, v136
	s_cbranch_execz .LBB63_741
; %bb.738:
	v_and_b32_e32 v136, -8, v135
	s_movk_i32 s74, 0x4a0
	s_mov_b32 s73, 0
	s_mov_b32 s75, s63
	;; [unrolled: 1-line block ×3, first 2 shown]
.LBB63_739:                             ; =>This Inner Loop Header: Depth=1
	v_mov_b32_e32 v140, s75
	v_mov_b32_e32 v186, s74
	s_add_i32 s77, s76, 8
	s_add_i32 s76, s76, 18
	v_cmp_eq_u32_e32 vcc_lo, s77, v136
	s_clause 0x1f
	buffer_load_dword v137, v140, s[0:3], 0 offen offset:8
	buffer_load_dword v138, v140, s[0:3], 0 offen offset:12
	buffer_load_dword v148, v140, s[0:3], 0 offen
	buffer_load_dword v149, v140, s[0:3], 0 offen offset:4
	buffer_load_dword v150, v140, s[0:3], 0 offen offset:24
	;; [unrolled: 1-line block ×29, first 2 shown]
	ds_read_b128 v[140:143], v186
	ds_read_b128 v[144:147], v186 offset:16
	s_addk_i32 s74, 0x80
	s_addk_i32 s75, 0x80
	s_or_b32 s73, vcc_lo, s73
	s_waitcnt vmcnt(30) lgkmcnt(1)
	v_mul_f64 v[178:179], v[142:143], v[137:138]
	v_mul_f64 v[137:138], v[140:141], v[137:138]
	s_waitcnt vmcnt(26) lgkmcnt(0)
	v_mul_f64 v[180:181], v[146:147], v[150:151]
	v_mul_f64 v[182:183], v[144:145], v[150:151]
	v_fma_f64 v[178:179], v[140:141], v[148:149], -v[178:179]
	v_fma_f64 v[137:138], v[142:143], v[148:149], v[137:138]
	ds_read_b128 v[140:143], v186 offset:32
	ds_read_b128 v[148:151], v186 offset:48
	s_waitcnt vmcnt(24)
	v_fma_f64 v[144:145], v[144:145], v[152:153], -v[180:181]
	v_fma_f64 v[146:147], v[146:147], v[152:153], v[182:183]
	s_waitcnt vmcnt(22) lgkmcnt(1)
	v_mul_f64 v[184:185], v[142:143], v[154:155]
	v_mul_f64 v[154:155], v[140:141], v[154:155]
	v_add_f64 v[1:2], v[1:2], v[178:179]
	v_add_f64 v[3:4], v[3:4], v[137:138]
	s_waitcnt vmcnt(18) lgkmcnt(0)
	v_mul_f64 v[137:138], v[150:151], v[158:159]
	v_mul_f64 v[152:153], v[148:149], v[158:159]
	v_fma_f64 v[158:159], v[140:141], v[156:157], -v[184:185]
	v_fma_f64 v[154:155], v[142:143], v[156:157], v[154:155]
	v_add_f64 v[144:145], v[1:2], v[144:145]
	v_add_f64 v[146:147], v[3:4], v[146:147]
	ds_read_b128 v[1:4], v186 offset:64
	ds_read_b128 v[140:143], v186 offset:80
	s_waitcnt vmcnt(16)
	v_fma_f64 v[137:138], v[148:149], v[160:161], -v[137:138]
	v_fma_f64 v[148:149], v[150:151], v[160:161], v[152:153]
	s_waitcnt vmcnt(12) lgkmcnt(1)
	v_mul_f64 v[156:157], v[3:4], v[162:163]
	v_mul_f64 v[162:163], v[1:2], v[162:163]
	v_add_f64 v[144:145], v[144:145], v[158:159]
	v_add_f64 v[146:147], v[146:147], v[154:155]
	s_waitcnt vmcnt(10) lgkmcnt(0)
	v_mul_f64 v[150:151], v[142:143], v[164:165]
	v_mul_f64 v[152:153], v[140:141], v[164:165]
	s_waitcnt vmcnt(8)
	v_fma_f64 v[154:155], v[1:2], v[168:169], -v[156:157]
	v_fma_f64 v[156:157], v[3:4], v[168:169], v[162:163]
	v_add_f64 v[137:138], v[144:145], v[137:138]
	v_add_f64 v[148:149], v[146:147], v[148:149]
	ds_read_b128 v[1:4], v186 offset:96
	ds_read_b128 v[144:147], v186 offset:112
	v_fma_f64 v[140:141], v[140:141], v[166:167], -v[150:151]
	v_fma_f64 v[142:143], v[142:143], v[166:167], v[152:153]
	s_waitcnt vmcnt(4) lgkmcnt(1)
	v_mul_f64 v[158:159], v[3:4], v[170:171]
	v_mul_f64 v[160:161], v[1:2], v[170:171]
	v_add_f64 v[137:138], v[137:138], v[154:155]
	v_add_f64 v[148:149], v[148:149], v[156:157]
	s_waitcnt vmcnt(2) lgkmcnt(0)
	v_mul_f64 v[150:151], v[146:147], v[172:173]
	v_mul_f64 v[152:153], v[144:145], v[172:173]
	s_waitcnt vmcnt(0)
	v_fma_f64 v[1:2], v[1:2], v[176:177], -v[158:159]
	v_fma_f64 v[3:4], v[3:4], v[176:177], v[160:161]
	v_add_f64 v[137:138], v[137:138], v[140:141]
	v_add_f64 v[140:141], v[148:149], v[142:143]
	v_fma_f64 v[142:143], v[144:145], v[174:175], -v[150:151]
	v_fma_f64 v[144:145], v[146:147], v[174:175], v[152:153]
	v_add_f64 v[1:2], v[137:138], v[1:2]
	v_add_f64 v[3:4], v[140:141], v[3:4]
	v_mov_b32_e32 v137, s76
	s_mov_b32 s76, s77
	v_add_f64 v[1:2], v[1:2], v[142:143]
	v_add_f64 v[3:4], v[3:4], v[144:145]
	s_andn2_b32 exec_lo, exec_lo, s73
	s_cbranch_execnz .LBB63_739
; %bb.740:
	s_or_b32 exec_lo, exec_lo, s73
.LBB63_741:
	s_or_b32 exec_lo, exec_lo, s4
	v_and_b32_e32 v135, 7, v135
	s_mov_b32 s73, 0
	s_mov_b32 s4, exec_lo
	v_cmpx_ne_u32_e32 0, v135
	s_cbranch_execz .LBB63_745
; %bb.742:
	v_lshlrev_b32_e32 v137, 4, v137
	v_add_nc_u32_e32 v136, 0x400, v137
	.p2align	6
.LBB63_743:                             ; =>This Inner Loop Header: Depth=1
	s_clause 0x3
	buffer_load_dword v144, v137, s[0:3], 0 offen offset:8
	buffer_load_dword v145, v137, s[0:3], 0 offen offset:12
	buffer_load_dword v146, v137, s[0:3], 0 offen
	buffer_load_dword v147, v137, s[0:3], 0 offen offset:4
	ds_read_b128 v[140:143], v136
	v_add_nc_u32_e32 v135, -1, v135
	v_add_nc_u32_e32 v136, 16, v136
	v_add_nc_u32_e32 v137, 16, v137
	v_cmp_eq_u32_e32 vcc_lo, 0, v135
	s_or_b32 s73, vcc_lo, s73
	s_waitcnt vmcnt(2) lgkmcnt(0)
	v_mul_f64 v[148:149], v[142:143], v[144:145]
	v_mul_f64 v[144:145], v[140:141], v[144:145]
	s_waitcnt vmcnt(0)
	v_fma_f64 v[140:141], v[140:141], v[146:147], -v[148:149]
	v_fma_f64 v[142:143], v[142:143], v[146:147], v[144:145]
	v_add_f64 v[1:2], v[1:2], v[140:141]
	v_add_f64 v[3:4], v[3:4], v[142:143]
	s_andn2_b32 exec_lo, exec_lo, s73
	s_cbranch_execnz .LBB63_743
; %bb.744:
	s_or_b32 exec_lo, exec_lo, s73
.LBB63_745:
	s_or_b32 exec_lo, exec_lo, s4
.LBB63_746:
	s_or_b32 exec_lo, exec_lo, s8
	v_mov_b32_e32 v135, 0
	ds_read_b128 v[135:138], v135 offset:144
	s_waitcnt lgkmcnt(0)
	v_mul_f64 v[140:141], v[3:4], v[137:138]
	v_mul_f64 v[137:138], v[1:2], v[137:138]
	v_fma_f64 v[1:2], v[1:2], v[135:136], -v[140:141]
	v_fma_f64 v[3:4], v[3:4], v[135:136], v[137:138]
	buffer_store_dword v2, off, s[0:3], 0 offset:148
	buffer_store_dword v1, off, s[0:3], 0 offset:144
	;; [unrolled: 1-line block ×4, first 2 shown]
.LBB63_747:
	s_or_b32 exec_lo, exec_lo, s6
	v_mov_b32_e32 v4, s65
	v_cmp_lt_u32_e64 s4, 8, v0
	s_clause 0x3
	buffer_load_dword v1, v4, s[0:3], 0 offen
	buffer_load_dword v2, v4, s[0:3], 0 offen offset:4
	buffer_load_dword v3, v4, s[0:3], 0 offen offset:8
	;; [unrolled: 1-line block ×3, first 2 shown]
	s_waitcnt vmcnt(0)
	ds_write_b128 v134, v[1:4]
	s_waitcnt lgkmcnt(0)
	s_waitcnt_vscnt null, 0x0
	s_barrier
	buffer_gl0_inv
	s_and_saveexec_b32 s6, s4
	s_cbranch_execz .LBB63_761
; %bb.748:
	ds_read_b128 v[1:4], v134
	s_andn2_b32 vcc_lo, exec_lo, s7
	s_cbranch_vccnz .LBB63_750
; %bb.749:
	s_clause 0x3
	buffer_load_dword v135, v133, s[0:3], 0 offen offset:8
	buffer_load_dword v136, v133, s[0:3], 0 offen offset:12
	buffer_load_dword v137, v133, s[0:3], 0 offen
	buffer_load_dword v138, v133, s[0:3], 0 offen offset:4
	s_waitcnt vmcnt(2) lgkmcnt(0)
	v_mul_f64 v[140:141], v[3:4], v[135:136]
	v_mul_f64 v[135:136], v[1:2], v[135:136]
	s_waitcnt vmcnt(0)
	v_fma_f64 v[1:2], v[1:2], v[137:138], -v[140:141]
	v_fma_f64 v[3:4], v[3:4], v[137:138], v[135:136]
.LBB63_750:
	s_and_saveexec_b32 s8, s5
	s_cbranch_execz .LBB63_760
; %bb.751:
	v_add_nc_u32_e32 v136, -10, v0
	v_add_nc_u32_e32 v135, -9, v0
	v_mov_b32_e32 v137, 9
	s_mov_b32 s5, exec_lo
	v_cmpx_lt_u32_e32 6, v136
	s_cbranch_execz .LBB63_755
; %bb.752:
	v_and_b32_e32 v136, -8, v135
	s_movk_i32 s74, 0x490
	s_mov_b32 s73, 0
	s_mov_b32 s75, s64
	;; [unrolled: 1-line block ×3, first 2 shown]
.LBB63_753:                             ; =>This Inner Loop Header: Depth=1
	v_mov_b32_e32 v140, s75
	v_mov_b32_e32 v186, s74
	s_add_i32 s77, s76, 8
	s_add_i32 s76, s76, 17
	v_cmp_eq_u32_e32 vcc_lo, s77, v136
	s_clause 0x1f
	buffer_load_dword v137, v140, s[0:3], 0 offen offset:8
	buffer_load_dword v138, v140, s[0:3], 0 offen offset:12
	buffer_load_dword v148, v140, s[0:3], 0 offen
	buffer_load_dword v149, v140, s[0:3], 0 offen offset:4
	buffer_load_dword v150, v140, s[0:3], 0 offen offset:24
	;; [unrolled: 1-line block ×29, first 2 shown]
	ds_read_b128 v[140:143], v186
	ds_read_b128 v[144:147], v186 offset:16
	s_addk_i32 s74, 0x80
	s_addk_i32 s75, 0x80
	s_or_b32 s73, vcc_lo, s73
	s_waitcnt vmcnt(30) lgkmcnt(1)
	v_mul_f64 v[178:179], v[142:143], v[137:138]
	v_mul_f64 v[137:138], v[140:141], v[137:138]
	s_waitcnt vmcnt(26) lgkmcnt(0)
	v_mul_f64 v[180:181], v[146:147], v[150:151]
	v_mul_f64 v[182:183], v[144:145], v[150:151]
	v_fma_f64 v[178:179], v[140:141], v[148:149], -v[178:179]
	v_fma_f64 v[137:138], v[142:143], v[148:149], v[137:138]
	ds_read_b128 v[140:143], v186 offset:32
	ds_read_b128 v[148:151], v186 offset:48
	s_waitcnt vmcnt(24)
	v_fma_f64 v[144:145], v[144:145], v[152:153], -v[180:181]
	v_fma_f64 v[146:147], v[146:147], v[152:153], v[182:183]
	s_waitcnt vmcnt(22) lgkmcnt(1)
	v_mul_f64 v[184:185], v[142:143], v[154:155]
	v_mul_f64 v[154:155], v[140:141], v[154:155]
	v_add_f64 v[1:2], v[1:2], v[178:179]
	v_add_f64 v[3:4], v[3:4], v[137:138]
	s_waitcnt vmcnt(18) lgkmcnt(0)
	v_mul_f64 v[137:138], v[150:151], v[158:159]
	v_mul_f64 v[152:153], v[148:149], v[158:159]
	v_fma_f64 v[158:159], v[140:141], v[156:157], -v[184:185]
	v_fma_f64 v[154:155], v[142:143], v[156:157], v[154:155]
	v_add_f64 v[144:145], v[1:2], v[144:145]
	v_add_f64 v[146:147], v[3:4], v[146:147]
	ds_read_b128 v[1:4], v186 offset:64
	ds_read_b128 v[140:143], v186 offset:80
	s_waitcnt vmcnt(16)
	v_fma_f64 v[137:138], v[148:149], v[160:161], -v[137:138]
	v_fma_f64 v[148:149], v[150:151], v[160:161], v[152:153]
	s_waitcnt vmcnt(12) lgkmcnt(1)
	v_mul_f64 v[156:157], v[3:4], v[162:163]
	v_mul_f64 v[162:163], v[1:2], v[162:163]
	v_add_f64 v[144:145], v[144:145], v[158:159]
	v_add_f64 v[146:147], v[146:147], v[154:155]
	s_waitcnt vmcnt(10) lgkmcnt(0)
	v_mul_f64 v[150:151], v[142:143], v[164:165]
	v_mul_f64 v[152:153], v[140:141], v[164:165]
	s_waitcnt vmcnt(8)
	v_fma_f64 v[154:155], v[1:2], v[168:169], -v[156:157]
	v_fma_f64 v[156:157], v[3:4], v[168:169], v[162:163]
	v_add_f64 v[137:138], v[144:145], v[137:138]
	v_add_f64 v[148:149], v[146:147], v[148:149]
	ds_read_b128 v[1:4], v186 offset:96
	ds_read_b128 v[144:147], v186 offset:112
	v_fma_f64 v[140:141], v[140:141], v[166:167], -v[150:151]
	v_fma_f64 v[142:143], v[142:143], v[166:167], v[152:153]
	s_waitcnt vmcnt(4) lgkmcnt(1)
	v_mul_f64 v[158:159], v[3:4], v[170:171]
	v_mul_f64 v[160:161], v[1:2], v[170:171]
	v_add_f64 v[137:138], v[137:138], v[154:155]
	v_add_f64 v[148:149], v[148:149], v[156:157]
	s_waitcnt vmcnt(2) lgkmcnt(0)
	v_mul_f64 v[150:151], v[146:147], v[172:173]
	v_mul_f64 v[152:153], v[144:145], v[172:173]
	s_waitcnt vmcnt(0)
	v_fma_f64 v[1:2], v[1:2], v[176:177], -v[158:159]
	v_fma_f64 v[3:4], v[3:4], v[176:177], v[160:161]
	v_add_f64 v[137:138], v[137:138], v[140:141]
	v_add_f64 v[140:141], v[148:149], v[142:143]
	v_fma_f64 v[142:143], v[144:145], v[174:175], -v[150:151]
	v_fma_f64 v[144:145], v[146:147], v[174:175], v[152:153]
	v_add_f64 v[1:2], v[137:138], v[1:2]
	v_add_f64 v[3:4], v[140:141], v[3:4]
	v_mov_b32_e32 v137, s76
	s_mov_b32 s76, s77
	v_add_f64 v[1:2], v[1:2], v[142:143]
	v_add_f64 v[3:4], v[3:4], v[144:145]
	s_andn2_b32 exec_lo, exec_lo, s73
	s_cbranch_execnz .LBB63_753
; %bb.754:
	s_or_b32 exec_lo, exec_lo, s73
.LBB63_755:
	s_or_b32 exec_lo, exec_lo, s5
	v_and_b32_e32 v135, 7, v135
	s_mov_b32 s73, 0
	s_mov_b32 s5, exec_lo
	v_cmpx_ne_u32_e32 0, v135
	s_cbranch_execz .LBB63_759
; %bb.756:
	v_lshlrev_b32_e32 v137, 4, v137
	v_add_nc_u32_e32 v136, 0x400, v137
	.p2align	6
.LBB63_757:                             ; =>This Inner Loop Header: Depth=1
	s_clause 0x3
	buffer_load_dword v144, v137, s[0:3], 0 offen offset:8
	buffer_load_dword v145, v137, s[0:3], 0 offen offset:12
	buffer_load_dword v146, v137, s[0:3], 0 offen
	buffer_load_dword v147, v137, s[0:3], 0 offen offset:4
	ds_read_b128 v[140:143], v136
	v_add_nc_u32_e32 v135, -1, v135
	v_add_nc_u32_e32 v136, 16, v136
	v_add_nc_u32_e32 v137, 16, v137
	v_cmp_eq_u32_e32 vcc_lo, 0, v135
	s_or_b32 s73, vcc_lo, s73
	s_waitcnt vmcnt(2) lgkmcnt(0)
	v_mul_f64 v[148:149], v[142:143], v[144:145]
	v_mul_f64 v[144:145], v[140:141], v[144:145]
	s_waitcnt vmcnt(0)
	v_fma_f64 v[140:141], v[140:141], v[146:147], -v[148:149]
	v_fma_f64 v[142:143], v[142:143], v[146:147], v[144:145]
	v_add_f64 v[1:2], v[1:2], v[140:141]
	v_add_f64 v[3:4], v[3:4], v[142:143]
	s_andn2_b32 exec_lo, exec_lo, s73
	s_cbranch_execnz .LBB63_757
; %bb.758:
	s_or_b32 exec_lo, exec_lo, s73
.LBB63_759:
	s_or_b32 exec_lo, exec_lo, s5
.LBB63_760:
	s_or_b32 exec_lo, exec_lo, s8
	v_mov_b32_e32 v135, 0
	ds_read_b128 v[135:138], v135 offset:128
	s_waitcnt lgkmcnt(0)
	v_mul_f64 v[140:141], v[3:4], v[137:138]
	v_mul_f64 v[137:138], v[1:2], v[137:138]
	v_fma_f64 v[1:2], v[1:2], v[135:136], -v[140:141]
	v_fma_f64 v[3:4], v[3:4], v[135:136], v[137:138]
	buffer_store_dword v2, off, s[0:3], 0 offset:132
	buffer_store_dword v1, off, s[0:3], 0 offset:128
	;; [unrolled: 1-line block ×4, first 2 shown]
.LBB63_761:
	s_or_b32 exec_lo, exec_lo, s6
	v_mov_b32_e32 v4, s66
	v_cmp_lt_u32_e64 s5, 7, v0
	s_clause 0x3
	buffer_load_dword v1, v4, s[0:3], 0 offen
	buffer_load_dword v2, v4, s[0:3], 0 offen offset:4
	buffer_load_dword v3, v4, s[0:3], 0 offen offset:8
	;; [unrolled: 1-line block ×3, first 2 shown]
	s_waitcnt vmcnt(0)
	ds_write_b128 v134, v[1:4]
	s_waitcnt lgkmcnt(0)
	s_waitcnt_vscnt null, 0x0
	s_barrier
	buffer_gl0_inv
	s_and_saveexec_b32 s6, s5
	s_cbranch_execz .LBB63_775
; %bb.762:
	ds_read_b128 v[1:4], v134
	s_andn2_b32 vcc_lo, exec_lo, s7
	s_cbranch_vccnz .LBB63_764
; %bb.763:
	s_clause 0x3
	buffer_load_dword v135, v133, s[0:3], 0 offen offset:8
	buffer_load_dword v136, v133, s[0:3], 0 offen offset:12
	buffer_load_dword v137, v133, s[0:3], 0 offen
	buffer_load_dword v138, v133, s[0:3], 0 offen offset:4
	s_waitcnt vmcnt(2) lgkmcnt(0)
	v_mul_f64 v[140:141], v[3:4], v[135:136]
	v_mul_f64 v[135:136], v[1:2], v[135:136]
	s_waitcnt vmcnt(0)
	v_fma_f64 v[1:2], v[1:2], v[137:138], -v[140:141]
	v_fma_f64 v[3:4], v[3:4], v[137:138], v[135:136]
.LBB63_764:
	s_and_saveexec_b32 s8, s4
	s_cbranch_execz .LBB63_774
; %bb.765:
	v_add_nc_u32_e32 v135, -9, v0
	v_cmp_lt_u32_e32 vcc_lo, 6, v135
	v_mov_b32_e32 v135, 8
	s_and_saveexec_b32 s4, vcc_lo
	s_cbranch_execz .LBB63_769
; %bb.766:
	v_and_b32_e32 v135, 56, v0
	s_mov_b32 s73, 8
	s_movk_i32 s75, 0x480
	s_mov_b32 s74, 0
	s_mov_b32 s76, s65
.LBB63_767:                             ; =>This Inner Loop Header: Depth=1
	v_mov_b32_e32 v138, s76
	s_add_i32 s73, s73, 8
	s_addk_i32 s76, 0x80
	v_cmp_eq_u32_e32 vcc_lo, s73, v135
	s_clause 0x1f
	buffer_load_dword v136, v138, s[0:3], 0 offen offset:8
	buffer_load_dword v137, v138, s[0:3], 0 offen offset:12
	buffer_load_dword v148, v138, s[0:3], 0 offen
	buffer_load_dword v149, v138, s[0:3], 0 offen offset:4
	buffer_load_dword v150, v138, s[0:3], 0 offen offset:24
	;; [unrolled: 1-line block ×29, first 2 shown]
	v_mov_b32_e32 v138, s75
	s_addk_i32 s75, 0x80
	s_or_b32 s74, vcc_lo, s74
	ds_read_b128 v[140:143], v138
	ds_read_b128 v[144:147], v138 offset:16
	s_waitcnt vmcnt(30) lgkmcnt(1)
	v_mul_f64 v[178:179], v[142:143], v[136:137]
	v_mul_f64 v[136:137], v[140:141], v[136:137]
	s_waitcnt vmcnt(26) lgkmcnt(0)
	v_mul_f64 v[180:181], v[146:147], v[150:151]
	v_mul_f64 v[182:183], v[144:145], v[150:151]
	v_fma_f64 v[178:179], v[140:141], v[148:149], -v[178:179]
	v_fma_f64 v[136:137], v[142:143], v[148:149], v[136:137]
	ds_read_b128 v[140:143], v138 offset:32
	ds_read_b128 v[148:151], v138 offset:48
	s_waitcnt vmcnt(24)
	v_fma_f64 v[144:145], v[144:145], v[152:153], -v[180:181]
	v_fma_f64 v[146:147], v[146:147], v[152:153], v[182:183]
	s_waitcnt vmcnt(22) lgkmcnt(1)
	v_mul_f64 v[184:185], v[142:143], v[154:155]
	v_mul_f64 v[154:155], v[140:141], v[154:155]
	v_add_f64 v[1:2], v[1:2], v[178:179]
	v_add_f64 v[3:4], v[3:4], v[136:137]
	s_waitcnt vmcnt(18) lgkmcnt(0)
	v_mul_f64 v[136:137], v[150:151], v[158:159]
	v_mul_f64 v[152:153], v[148:149], v[158:159]
	v_fma_f64 v[158:159], v[140:141], v[156:157], -v[184:185]
	v_fma_f64 v[154:155], v[142:143], v[156:157], v[154:155]
	v_add_f64 v[144:145], v[1:2], v[144:145]
	v_add_f64 v[146:147], v[3:4], v[146:147]
	ds_read_b128 v[1:4], v138 offset:64
	ds_read_b128 v[140:143], v138 offset:80
	s_waitcnt vmcnt(16)
	v_fma_f64 v[136:137], v[148:149], v[160:161], -v[136:137]
	v_fma_f64 v[148:149], v[150:151], v[160:161], v[152:153]
	s_waitcnt vmcnt(12) lgkmcnt(1)
	v_mul_f64 v[156:157], v[3:4], v[162:163]
	v_mul_f64 v[162:163], v[1:2], v[162:163]
	v_add_f64 v[144:145], v[144:145], v[158:159]
	v_add_f64 v[146:147], v[146:147], v[154:155]
	s_waitcnt vmcnt(10) lgkmcnt(0)
	v_mul_f64 v[150:151], v[142:143], v[164:165]
	v_mul_f64 v[152:153], v[140:141], v[164:165]
	s_waitcnt vmcnt(8)
	v_fma_f64 v[154:155], v[1:2], v[168:169], -v[156:157]
	v_fma_f64 v[156:157], v[3:4], v[168:169], v[162:163]
	v_add_f64 v[136:137], v[144:145], v[136:137]
	v_add_f64 v[148:149], v[146:147], v[148:149]
	ds_read_b128 v[1:4], v138 offset:96
	ds_read_b128 v[144:147], v138 offset:112
	v_fma_f64 v[140:141], v[140:141], v[166:167], -v[150:151]
	v_fma_f64 v[142:143], v[142:143], v[166:167], v[152:153]
	s_waitcnt vmcnt(4) lgkmcnt(1)
	v_mul_f64 v[158:159], v[3:4], v[170:171]
	v_mul_f64 v[160:161], v[1:2], v[170:171]
	v_add_f64 v[136:137], v[136:137], v[154:155]
	v_add_f64 v[148:149], v[148:149], v[156:157]
	s_waitcnt vmcnt(2) lgkmcnt(0)
	v_mul_f64 v[150:151], v[146:147], v[172:173]
	v_mul_f64 v[152:153], v[144:145], v[172:173]
	s_waitcnt vmcnt(0)
	v_fma_f64 v[1:2], v[1:2], v[176:177], -v[158:159]
	v_fma_f64 v[3:4], v[3:4], v[176:177], v[160:161]
	v_add_f64 v[136:137], v[136:137], v[140:141]
	v_add_f64 v[140:141], v[148:149], v[142:143]
	v_fma_f64 v[142:143], v[144:145], v[174:175], -v[150:151]
	v_fma_f64 v[144:145], v[146:147], v[174:175], v[152:153]
	v_add_f64 v[1:2], v[136:137], v[1:2]
	v_add_f64 v[3:4], v[140:141], v[3:4]
	v_add_f64 v[1:2], v[1:2], v[142:143]
	v_add_f64 v[3:4], v[3:4], v[144:145]
	s_andn2_b32 exec_lo, exec_lo, s74
	s_cbranch_execnz .LBB63_767
; %bb.768:
	s_or_b32 exec_lo, exec_lo, s74
.LBB63_769:
	s_or_b32 exec_lo, exec_lo, s4
	v_and_b32_e32 v136, 7, v0
	s_mov_b32 s73, 0
	s_mov_b32 s4, exec_lo
	v_cmpx_ne_u32_e32 0, v136
	s_cbranch_execz .LBB63_773
; %bb.770:
	v_lshlrev_b32_e32 v137, 4, v135
	v_or_b32_e32 v135, 0x400, v137
	.p2align	6
.LBB63_771:                             ; =>This Inner Loop Header: Depth=1
	s_clause 0x3
	buffer_load_dword v144, v137, s[0:3], 0 offen offset:8
	buffer_load_dword v145, v137, s[0:3], 0 offen offset:12
	buffer_load_dword v146, v137, s[0:3], 0 offen
	buffer_load_dword v147, v137, s[0:3], 0 offen offset:4
	ds_read_b128 v[140:143], v135
	v_add_nc_u32_e32 v136, -1, v136
	v_add_nc_u32_e32 v135, 16, v135
	v_add_nc_u32_e32 v137, 16, v137
	v_cmp_eq_u32_e32 vcc_lo, 0, v136
	s_or_b32 s73, vcc_lo, s73
	s_waitcnt vmcnt(2) lgkmcnt(0)
	v_mul_f64 v[148:149], v[142:143], v[144:145]
	v_mul_f64 v[144:145], v[140:141], v[144:145]
	s_waitcnt vmcnt(0)
	v_fma_f64 v[140:141], v[140:141], v[146:147], -v[148:149]
	v_fma_f64 v[142:143], v[142:143], v[146:147], v[144:145]
	v_add_f64 v[1:2], v[1:2], v[140:141]
	v_add_f64 v[3:4], v[3:4], v[142:143]
	s_andn2_b32 exec_lo, exec_lo, s73
	s_cbranch_execnz .LBB63_771
; %bb.772:
	s_or_b32 exec_lo, exec_lo, s73
.LBB63_773:
	s_or_b32 exec_lo, exec_lo, s4
.LBB63_774:
	s_or_b32 exec_lo, exec_lo, s8
	v_mov_b32_e32 v135, 0
	ds_read_b128 v[135:138], v135 offset:112
	s_waitcnt lgkmcnt(0)
	v_mul_f64 v[140:141], v[3:4], v[137:138]
	v_mul_f64 v[137:138], v[1:2], v[137:138]
	v_fma_f64 v[1:2], v[1:2], v[135:136], -v[140:141]
	v_fma_f64 v[3:4], v[3:4], v[135:136], v[137:138]
	buffer_store_dword v2, off, s[0:3], 0 offset:116
	buffer_store_dword v1, off, s[0:3], 0 offset:112
	;; [unrolled: 1-line block ×4, first 2 shown]
.LBB63_775:
	s_or_b32 exec_lo, exec_lo, s6
	v_mov_b32_e32 v4, s67
	v_cmp_lt_u32_e64 s4, 6, v0
	s_clause 0x3
	buffer_load_dword v1, v4, s[0:3], 0 offen
	buffer_load_dword v2, v4, s[0:3], 0 offen offset:4
	buffer_load_dword v3, v4, s[0:3], 0 offen offset:8
	;; [unrolled: 1-line block ×3, first 2 shown]
	s_waitcnt vmcnt(0)
	ds_write_b128 v134, v[1:4]
	s_waitcnt lgkmcnt(0)
	s_waitcnt_vscnt null, 0x0
	s_barrier
	buffer_gl0_inv
	s_and_saveexec_b32 s6, s4
	s_cbranch_execz .LBB63_789
; %bb.776:
	ds_read_b128 v[1:4], v134
	s_andn2_b32 vcc_lo, exec_lo, s7
	s_cbranch_vccnz .LBB63_778
; %bb.777:
	s_clause 0x3
	buffer_load_dword v135, v133, s[0:3], 0 offen offset:8
	buffer_load_dword v136, v133, s[0:3], 0 offen offset:12
	buffer_load_dword v137, v133, s[0:3], 0 offen
	buffer_load_dword v138, v133, s[0:3], 0 offen offset:4
	s_waitcnt vmcnt(2) lgkmcnt(0)
	v_mul_f64 v[140:141], v[3:4], v[135:136]
	v_mul_f64 v[135:136], v[1:2], v[135:136]
	s_waitcnt vmcnt(0)
	v_fma_f64 v[1:2], v[1:2], v[137:138], -v[140:141]
	v_fma_f64 v[3:4], v[3:4], v[137:138], v[135:136]
.LBB63_778:
	s_and_saveexec_b32 s8, s5
	s_cbranch_execz .LBB63_788
; %bb.779:
	v_add_nc_u32_e32 v136, -8, v0
	v_add_nc_u32_e32 v135, -7, v0
	v_mov_b32_e32 v137, 7
	s_mov_b32 s5, exec_lo
	v_cmpx_lt_u32_e32 6, v136
	s_cbranch_execz .LBB63_783
; %bb.780:
	v_and_b32_e32 v136, -8, v135
	s_movk_i32 s74, 0x470
	s_mov_b32 s73, 0
	s_mov_b32 s75, s66
	s_mov_b32 s76, 0
.LBB63_781:                             ; =>This Inner Loop Header: Depth=1
	v_mov_b32_e32 v140, s75
	v_mov_b32_e32 v186, s74
	s_add_i32 s77, s76, 8
	s_add_i32 s76, s76, 15
	v_cmp_eq_u32_e32 vcc_lo, s77, v136
	s_clause 0x1f
	buffer_load_dword v137, v140, s[0:3], 0 offen offset:8
	buffer_load_dword v138, v140, s[0:3], 0 offen offset:12
	buffer_load_dword v148, v140, s[0:3], 0 offen
	buffer_load_dword v149, v140, s[0:3], 0 offen offset:4
	buffer_load_dword v150, v140, s[0:3], 0 offen offset:24
	buffer_load_dword v151, v140, s[0:3], 0 offen offset:28
	buffer_load_dword v152, v140, s[0:3], 0 offen offset:16
	buffer_load_dword v153, v140, s[0:3], 0 offen offset:20
	buffer_load_dword v154, v140, s[0:3], 0 offen offset:40
	buffer_load_dword v155, v140, s[0:3], 0 offen offset:44
	buffer_load_dword v156, v140, s[0:3], 0 offen offset:32
	buffer_load_dword v157, v140, s[0:3], 0 offen offset:36
	buffer_load_dword v158, v140, s[0:3], 0 offen offset:56
	buffer_load_dword v159, v140, s[0:3], 0 offen offset:60
	buffer_load_dword v160, v140, s[0:3], 0 offen offset:48
	buffer_load_dword v161, v140, s[0:3], 0 offen offset:52
	buffer_load_dword v163, v140, s[0:3], 0 offen offset:76
	buffer_load_dword v164, v140, s[0:3], 0 offen offset:88
	buffer_load_dword v166, v140, s[0:3], 0 offen offset:80
	buffer_load_dword v162, v140, s[0:3], 0 offen offset:72
	buffer_load_dword v167, v140, s[0:3], 0 offen offset:84
	buffer_load_dword v165, v140, s[0:3], 0 offen offset:92
	buffer_load_dword v169, v140, s[0:3], 0 offen offset:68
	buffer_load_dword v168, v140, s[0:3], 0 offen offset:64
	buffer_load_dword v171, v140, s[0:3], 0 offen offset:108
	buffer_load_dword v172, v140, s[0:3], 0 offen offset:120
	buffer_load_dword v174, v140, s[0:3], 0 offen offset:112
	buffer_load_dword v170, v140, s[0:3], 0 offen offset:104
	buffer_load_dword v175, v140, s[0:3], 0 offen offset:116
	buffer_load_dword v173, v140, s[0:3], 0 offen offset:124
	buffer_load_dword v177, v140, s[0:3], 0 offen offset:100
	buffer_load_dword v176, v140, s[0:3], 0 offen offset:96
	ds_read_b128 v[140:143], v186
	ds_read_b128 v[144:147], v186 offset:16
	s_addk_i32 s74, 0x80
	s_addk_i32 s75, 0x80
	s_or_b32 s73, vcc_lo, s73
	s_waitcnt vmcnt(30) lgkmcnt(1)
	v_mul_f64 v[178:179], v[142:143], v[137:138]
	v_mul_f64 v[137:138], v[140:141], v[137:138]
	s_waitcnt vmcnt(26) lgkmcnt(0)
	v_mul_f64 v[180:181], v[146:147], v[150:151]
	v_mul_f64 v[182:183], v[144:145], v[150:151]
	v_fma_f64 v[178:179], v[140:141], v[148:149], -v[178:179]
	v_fma_f64 v[137:138], v[142:143], v[148:149], v[137:138]
	ds_read_b128 v[140:143], v186 offset:32
	ds_read_b128 v[148:151], v186 offset:48
	s_waitcnt vmcnt(24)
	v_fma_f64 v[144:145], v[144:145], v[152:153], -v[180:181]
	v_fma_f64 v[146:147], v[146:147], v[152:153], v[182:183]
	s_waitcnt vmcnt(22) lgkmcnt(1)
	v_mul_f64 v[184:185], v[142:143], v[154:155]
	v_mul_f64 v[154:155], v[140:141], v[154:155]
	v_add_f64 v[1:2], v[1:2], v[178:179]
	v_add_f64 v[3:4], v[3:4], v[137:138]
	s_waitcnt vmcnt(18) lgkmcnt(0)
	v_mul_f64 v[137:138], v[150:151], v[158:159]
	v_mul_f64 v[152:153], v[148:149], v[158:159]
	v_fma_f64 v[158:159], v[140:141], v[156:157], -v[184:185]
	v_fma_f64 v[154:155], v[142:143], v[156:157], v[154:155]
	v_add_f64 v[144:145], v[1:2], v[144:145]
	v_add_f64 v[146:147], v[3:4], v[146:147]
	ds_read_b128 v[1:4], v186 offset:64
	ds_read_b128 v[140:143], v186 offset:80
	s_waitcnt vmcnt(16)
	v_fma_f64 v[137:138], v[148:149], v[160:161], -v[137:138]
	v_fma_f64 v[148:149], v[150:151], v[160:161], v[152:153]
	s_waitcnt vmcnt(12) lgkmcnt(1)
	v_mul_f64 v[156:157], v[3:4], v[162:163]
	v_mul_f64 v[162:163], v[1:2], v[162:163]
	v_add_f64 v[144:145], v[144:145], v[158:159]
	v_add_f64 v[146:147], v[146:147], v[154:155]
	s_waitcnt vmcnt(10) lgkmcnt(0)
	v_mul_f64 v[150:151], v[142:143], v[164:165]
	v_mul_f64 v[152:153], v[140:141], v[164:165]
	s_waitcnt vmcnt(8)
	v_fma_f64 v[154:155], v[1:2], v[168:169], -v[156:157]
	v_fma_f64 v[156:157], v[3:4], v[168:169], v[162:163]
	v_add_f64 v[137:138], v[144:145], v[137:138]
	v_add_f64 v[148:149], v[146:147], v[148:149]
	ds_read_b128 v[1:4], v186 offset:96
	ds_read_b128 v[144:147], v186 offset:112
	v_fma_f64 v[140:141], v[140:141], v[166:167], -v[150:151]
	v_fma_f64 v[142:143], v[142:143], v[166:167], v[152:153]
	s_waitcnt vmcnt(4) lgkmcnt(1)
	v_mul_f64 v[158:159], v[3:4], v[170:171]
	v_mul_f64 v[160:161], v[1:2], v[170:171]
	v_add_f64 v[137:138], v[137:138], v[154:155]
	v_add_f64 v[148:149], v[148:149], v[156:157]
	s_waitcnt vmcnt(2) lgkmcnt(0)
	v_mul_f64 v[150:151], v[146:147], v[172:173]
	v_mul_f64 v[152:153], v[144:145], v[172:173]
	s_waitcnt vmcnt(0)
	v_fma_f64 v[1:2], v[1:2], v[176:177], -v[158:159]
	v_fma_f64 v[3:4], v[3:4], v[176:177], v[160:161]
	v_add_f64 v[137:138], v[137:138], v[140:141]
	v_add_f64 v[140:141], v[148:149], v[142:143]
	v_fma_f64 v[142:143], v[144:145], v[174:175], -v[150:151]
	v_fma_f64 v[144:145], v[146:147], v[174:175], v[152:153]
	v_add_f64 v[1:2], v[137:138], v[1:2]
	v_add_f64 v[3:4], v[140:141], v[3:4]
	v_mov_b32_e32 v137, s76
	s_mov_b32 s76, s77
	v_add_f64 v[1:2], v[1:2], v[142:143]
	v_add_f64 v[3:4], v[3:4], v[144:145]
	s_andn2_b32 exec_lo, exec_lo, s73
	s_cbranch_execnz .LBB63_781
; %bb.782:
	s_or_b32 exec_lo, exec_lo, s73
.LBB63_783:
	s_or_b32 exec_lo, exec_lo, s5
	v_and_b32_e32 v135, 7, v135
	s_mov_b32 s73, 0
	s_mov_b32 s5, exec_lo
	v_cmpx_ne_u32_e32 0, v135
	s_cbranch_execz .LBB63_787
; %bb.784:
	v_lshlrev_b32_e32 v137, 4, v137
	v_add_nc_u32_e32 v136, 0x400, v137
	.p2align	6
.LBB63_785:                             ; =>This Inner Loop Header: Depth=1
	s_clause 0x3
	buffer_load_dword v144, v137, s[0:3], 0 offen offset:8
	buffer_load_dword v145, v137, s[0:3], 0 offen offset:12
	buffer_load_dword v146, v137, s[0:3], 0 offen
	buffer_load_dword v147, v137, s[0:3], 0 offen offset:4
	ds_read_b128 v[140:143], v136
	v_add_nc_u32_e32 v135, -1, v135
	v_add_nc_u32_e32 v136, 16, v136
	v_add_nc_u32_e32 v137, 16, v137
	v_cmp_eq_u32_e32 vcc_lo, 0, v135
	s_or_b32 s73, vcc_lo, s73
	s_waitcnt vmcnt(2) lgkmcnt(0)
	v_mul_f64 v[148:149], v[142:143], v[144:145]
	v_mul_f64 v[144:145], v[140:141], v[144:145]
	s_waitcnt vmcnt(0)
	v_fma_f64 v[140:141], v[140:141], v[146:147], -v[148:149]
	v_fma_f64 v[142:143], v[142:143], v[146:147], v[144:145]
	v_add_f64 v[1:2], v[1:2], v[140:141]
	v_add_f64 v[3:4], v[3:4], v[142:143]
	s_andn2_b32 exec_lo, exec_lo, s73
	s_cbranch_execnz .LBB63_785
; %bb.786:
	s_or_b32 exec_lo, exec_lo, s73
.LBB63_787:
	s_or_b32 exec_lo, exec_lo, s5
.LBB63_788:
	s_or_b32 exec_lo, exec_lo, s8
	v_mov_b32_e32 v135, 0
	ds_read_b128 v[135:138], v135 offset:96
	s_waitcnt lgkmcnt(0)
	v_mul_f64 v[140:141], v[3:4], v[137:138]
	v_mul_f64 v[137:138], v[1:2], v[137:138]
	v_fma_f64 v[1:2], v[1:2], v[135:136], -v[140:141]
	v_fma_f64 v[3:4], v[3:4], v[135:136], v[137:138]
	buffer_store_dword v2, off, s[0:3], 0 offset:100
	buffer_store_dword v1, off, s[0:3], 0 offset:96
	;; [unrolled: 1-line block ×4, first 2 shown]
.LBB63_789:
	s_or_b32 exec_lo, exec_lo, s6
	v_mov_b32_e32 v4, s68
	v_cmp_lt_u32_e64 s5, 5, v0
	s_clause 0x3
	buffer_load_dword v1, v4, s[0:3], 0 offen
	buffer_load_dword v2, v4, s[0:3], 0 offen offset:4
	buffer_load_dword v3, v4, s[0:3], 0 offen offset:8
	;; [unrolled: 1-line block ×3, first 2 shown]
	s_waitcnt vmcnt(0)
	ds_write_b128 v134, v[1:4]
	s_waitcnt lgkmcnt(0)
	s_waitcnt_vscnt null, 0x0
	s_barrier
	buffer_gl0_inv
	s_and_saveexec_b32 s6, s5
	s_cbranch_execz .LBB63_803
; %bb.790:
	ds_read_b128 v[1:4], v134
	s_andn2_b32 vcc_lo, exec_lo, s7
	s_cbranch_vccnz .LBB63_792
; %bb.791:
	s_clause 0x3
	buffer_load_dword v135, v133, s[0:3], 0 offen offset:8
	buffer_load_dword v136, v133, s[0:3], 0 offen offset:12
	buffer_load_dword v137, v133, s[0:3], 0 offen
	buffer_load_dword v138, v133, s[0:3], 0 offen offset:4
	s_waitcnt vmcnt(2) lgkmcnt(0)
	v_mul_f64 v[140:141], v[3:4], v[135:136]
	v_mul_f64 v[135:136], v[1:2], v[135:136]
	s_waitcnt vmcnt(0)
	v_fma_f64 v[1:2], v[1:2], v[137:138], -v[140:141]
	v_fma_f64 v[3:4], v[3:4], v[137:138], v[135:136]
.LBB63_792:
	s_and_saveexec_b32 s8, s4
	s_cbranch_execz .LBB63_802
; %bb.793:
	v_add_nc_u32_e32 v136, -7, v0
	v_add_nc_u32_e32 v135, -6, v0
	v_mov_b32_e32 v137, 6
	s_mov_b32 s4, exec_lo
	v_cmpx_lt_u32_e32 6, v136
	s_cbranch_execz .LBB63_797
; %bb.794:
	v_and_b32_e32 v136, -8, v135
	s_movk_i32 s74, 0x460
	s_mov_b32 s73, 0
	s_mov_b32 s75, s67
	;; [unrolled: 1-line block ×3, first 2 shown]
.LBB63_795:                             ; =>This Inner Loop Header: Depth=1
	v_mov_b32_e32 v140, s75
	v_mov_b32_e32 v186, s74
	s_add_i32 s77, s76, 8
	s_add_i32 s76, s76, 14
	v_cmp_eq_u32_e32 vcc_lo, s77, v136
	s_clause 0x1f
	buffer_load_dword v137, v140, s[0:3], 0 offen offset:8
	buffer_load_dword v138, v140, s[0:3], 0 offen offset:12
	buffer_load_dword v148, v140, s[0:3], 0 offen
	buffer_load_dword v149, v140, s[0:3], 0 offen offset:4
	buffer_load_dword v150, v140, s[0:3], 0 offen offset:24
	;; [unrolled: 1-line block ×29, first 2 shown]
	ds_read_b128 v[140:143], v186
	ds_read_b128 v[144:147], v186 offset:16
	s_addk_i32 s74, 0x80
	s_addk_i32 s75, 0x80
	s_or_b32 s73, vcc_lo, s73
	s_waitcnt vmcnt(30) lgkmcnt(1)
	v_mul_f64 v[178:179], v[142:143], v[137:138]
	v_mul_f64 v[137:138], v[140:141], v[137:138]
	s_waitcnt vmcnt(26) lgkmcnt(0)
	v_mul_f64 v[180:181], v[146:147], v[150:151]
	v_mul_f64 v[182:183], v[144:145], v[150:151]
	v_fma_f64 v[178:179], v[140:141], v[148:149], -v[178:179]
	v_fma_f64 v[137:138], v[142:143], v[148:149], v[137:138]
	ds_read_b128 v[140:143], v186 offset:32
	ds_read_b128 v[148:151], v186 offset:48
	s_waitcnt vmcnt(24)
	v_fma_f64 v[144:145], v[144:145], v[152:153], -v[180:181]
	v_fma_f64 v[146:147], v[146:147], v[152:153], v[182:183]
	s_waitcnt vmcnt(22) lgkmcnt(1)
	v_mul_f64 v[184:185], v[142:143], v[154:155]
	v_mul_f64 v[154:155], v[140:141], v[154:155]
	v_add_f64 v[1:2], v[1:2], v[178:179]
	v_add_f64 v[3:4], v[3:4], v[137:138]
	s_waitcnt vmcnt(18) lgkmcnt(0)
	v_mul_f64 v[137:138], v[150:151], v[158:159]
	v_mul_f64 v[152:153], v[148:149], v[158:159]
	v_fma_f64 v[158:159], v[140:141], v[156:157], -v[184:185]
	v_fma_f64 v[154:155], v[142:143], v[156:157], v[154:155]
	v_add_f64 v[144:145], v[1:2], v[144:145]
	v_add_f64 v[146:147], v[3:4], v[146:147]
	ds_read_b128 v[1:4], v186 offset:64
	ds_read_b128 v[140:143], v186 offset:80
	s_waitcnt vmcnt(16)
	v_fma_f64 v[137:138], v[148:149], v[160:161], -v[137:138]
	v_fma_f64 v[148:149], v[150:151], v[160:161], v[152:153]
	s_waitcnt vmcnt(12) lgkmcnt(1)
	v_mul_f64 v[156:157], v[3:4], v[162:163]
	v_mul_f64 v[162:163], v[1:2], v[162:163]
	v_add_f64 v[144:145], v[144:145], v[158:159]
	v_add_f64 v[146:147], v[146:147], v[154:155]
	s_waitcnt vmcnt(10) lgkmcnt(0)
	v_mul_f64 v[150:151], v[142:143], v[164:165]
	v_mul_f64 v[152:153], v[140:141], v[164:165]
	s_waitcnt vmcnt(8)
	v_fma_f64 v[154:155], v[1:2], v[168:169], -v[156:157]
	v_fma_f64 v[156:157], v[3:4], v[168:169], v[162:163]
	v_add_f64 v[137:138], v[144:145], v[137:138]
	v_add_f64 v[148:149], v[146:147], v[148:149]
	ds_read_b128 v[1:4], v186 offset:96
	ds_read_b128 v[144:147], v186 offset:112
	v_fma_f64 v[140:141], v[140:141], v[166:167], -v[150:151]
	v_fma_f64 v[142:143], v[142:143], v[166:167], v[152:153]
	s_waitcnt vmcnt(4) lgkmcnt(1)
	v_mul_f64 v[158:159], v[3:4], v[170:171]
	v_mul_f64 v[160:161], v[1:2], v[170:171]
	v_add_f64 v[137:138], v[137:138], v[154:155]
	v_add_f64 v[148:149], v[148:149], v[156:157]
	s_waitcnt vmcnt(2) lgkmcnt(0)
	v_mul_f64 v[150:151], v[146:147], v[172:173]
	v_mul_f64 v[152:153], v[144:145], v[172:173]
	s_waitcnt vmcnt(0)
	v_fma_f64 v[1:2], v[1:2], v[176:177], -v[158:159]
	v_fma_f64 v[3:4], v[3:4], v[176:177], v[160:161]
	v_add_f64 v[137:138], v[137:138], v[140:141]
	v_add_f64 v[140:141], v[148:149], v[142:143]
	v_fma_f64 v[142:143], v[144:145], v[174:175], -v[150:151]
	v_fma_f64 v[144:145], v[146:147], v[174:175], v[152:153]
	v_add_f64 v[1:2], v[137:138], v[1:2]
	v_add_f64 v[3:4], v[140:141], v[3:4]
	v_mov_b32_e32 v137, s76
	s_mov_b32 s76, s77
	v_add_f64 v[1:2], v[1:2], v[142:143]
	v_add_f64 v[3:4], v[3:4], v[144:145]
	s_andn2_b32 exec_lo, exec_lo, s73
	s_cbranch_execnz .LBB63_795
; %bb.796:
	s_or_b32 exec_lo, exec_lo, s73
.LBB63_797:
	s_or_b32 exec_lo, exec_lo, s4
	v_and_b32_e32 v135, 7, v135
	s_mov_b32 s73, 0
	s_mov_b32 s4, exec_lo
	v_cmpx_ne_u32_e32 0, v135
	s_cbranch_execz .LBB63_801
; %bb.798:
	v_lshlrev_b32_e32 v137, 4, v137
	v_add_nc_u32_e32 v136, 0x400, v137
	.p2align	6
.LBB63_799:                             ; =>This Inner Loop Header: Depth=1
	s_clause 0x3
	buffer_load_dword v144, v137, s[0:3], 0 offen offset:8
	buffer_load_dword v145, v137, s[0:3], 0 offen offset:12
	buffer_load_dword v146, v137, s[0:3], 0 offen
	buffer_load_dword v147, v137, s[0:3], 0 offen offset:4
	ds_read_b128 v[140:143], v136
	v_add_nc_u32_e32 v135, -1, v135
	v_add_nc_u32_e32 v136, 16, v136
	v_add_nc_u32_e32 v137, 16, v137
	v_cmp_eq_u32_e32 vcc_lo, 0, v135
	s_or_b32 s73, vcc_lo, s73
	s_waitcnt vmcnt(2) lgkmcnt(0)
	v_mul_f64 v[148:149], v[142:143], v[144:145]
	v_mul_f64 v[144:145], v[140:141], v[144:145]
	s_waitcnt vmcnt(0)
	v_fma_f64 v[140:141], v[140:141], v[146:147], -v[148:149]
	v_fma_f64 v[142:143], v[142:143], v[146:147], v[144:145]
	v_add_f64 v[1:2], v[1:2], v[140:141]
	v_add_f64 v[3:4], v[3:4], v[142:143]
	s_andn2_b32 exec_lo, exec_lo, s73
	s_cbranch_execnz .LBB63_799
; %bb.800:
	s_or_b32 exec_lo, exec_lo, s73
.LBB63_801:
	s_or_b32 exec_lo, exec_lo, s4
.LBB63_802:
	s_or_b32 exec_lo, exec_lo, s8
	v_mov_b32_e32 v135, 0
	ds_read_b128 v[135:138], v135 offset:80
	s_waitcnt lgkmcnt(0)
	v_mul_f64 v[140:141], v[3:4], v[137:138]
	v_mul_f64 v[137:138], v[1:2], v[137:138]
	v_fma_f64 v[1:2], v[1:2], v[135:136], -v[140:141]
	v_fma_f64 v[3:4], v[3:4], v[135:136], v[137:138]
	buffer_store_dword v2, off, s[0:3], 0 offset:84
	buffer_store_dword v1, off, s[0:3], 0 offset:80
	;; [unrolled: 1-line block ×4, first 2 shown]
.LBB63_803:
	s_or_b32 exec_lo, exec_lo, s6
	v_mov_b32_e32 v4, s69
	v_cmp_lt_u32_e64 s4, 4, v0
	s_clause 0x3
	buffer_load_dword v1, v4, s[0:3], 0 offen
	buffer_load_dword v2, v4, s[0:3], 0 offen offset:4
	buffer_load_dword v3, v4, s[0:3], 0 offen offset:8
	;; [unrolled: 1-line block ×3, first 2 shown]
	s_waitcnt vmcnt(0)
	ds_write_b128 v134, v[1:4]
	s_waitcnt lgkmcnt(0)
	s_waitcnt_vscnt null, 0x0
	s_barrier
	buffer_gl0_inv
	s_and_saveexec_b32 s6, s4
	s_cbranch_execz .LBB63_817
; %bb.804:
	ds_read_b128 v[1:4], v134
	s_andn2_b32 vcc_lo, exec_lo, s7
	s_cbranch_vccnz .LBB63_806
; %bb.805:
	s_clause 0x3
	buffer_load_dword v135, v133, s[0:3], 0 offen offset:8
	buffer_load_dword v136, v133, s[0:3], 0 offen offset:12
	buffer_load_dword v137, v133, s[0:3], 0 offen
	buffer_load_dword v138, v133, s[0:3], 0 offen offset:4
	s_waitcnt vmcnt(2) lgkmcnt(0)
	v_mul_f64 v[140:141], v[3:4], v[135:136]
	v_mul_f64 v[135:136], v[1:2], v[135:136]
	s_waitcnt vmcnt(0)
	v_fma_f64 v[1:2], v[1:2], v[137:138], -v[140:141]
	v_fma_f64 v[3:4], v[3:4], v[137:138], v[135:136]
.LBB63_806:
	s_and_saveexec_b32 s8, s5
	s_cbranch_execz .LBB63_816
; %bb.807:
	v_add_nc_u32_e32 v136, -6, v0
	v_add_nc_u32_e32 v135, -5, v0
	v_mov_b32_e32 v137, 5
	s_mov_b32 s5, exec_lo
	v_cmpx_lt_u32_e32 6, v136
	s_cbranch_execz .LBB63_811
; %bb.808:
	v_and_b32_e32 v136, -8, v135
	s_movk_i32 s74, 0x450
	s_mov_b32 s73, 0
	s_mov_b32 s75, s68
	;; [unrolled: 1-line block ×3, first 2 shown]
.LBB63_809:                             ; =>This Inner Loop Header: Depth=1
	v_mov_b32_e32 v140, s75
	v_mov_b32_e32 v186, s74
	s_add_i32 s77, s76, 8
	s_add_i32 s76, s76, 13
	v_cmp_eq_u32_e32 vcc_lo, s77, v136
	s_clause 0x1f
	buffer_load_dword v137, v140, s[0:3], 0 offen offset:8
	buffer_load_dword v138, v140, s[0:3], 0 offen offset:12
	buffer_load_dword v148, v140, s[0:3], 0 offen
	buffer_load_dword v149, v140, s[0:3], 0 offen offset:4
	buffer_load_dword v150, v140, s[0:3], 0 offen offset:24
	;; [unrolled: 1-line block ×29, first 2 shown]
	ds_read_b128 v[140:143], v186
	ds_read_b128 v[144:147], v186 offset:16
	s_addk_i32 s74, 0x80
	s_addk_i32 s75, 0x80
	s_or_b32 s73, vcc_lo, s73
	s_waitcnt vmcnt(30) lgkmcnt(1)
	v_mul_f64 v[178:179], v[142:143], v[137:138]
	v_mul_f64 v[137:138], v[140:141], v[137:138]
	s_waitcnt vmcnt(26) lgkmcnt(0)
	v_mul_f64 v[180:181], v[146:147], v[150:151]
	v_mul_f64 v[182:183], v[144:145], v[150:151]
	v_fma_f64 v[178:179], v[140:141], v[148:149], -v[178:179]
	v_fma_f64 v[137:138], v[142:143], v[148:149], v[137:138]
	ds_read_b128 v[140:143], v186 offset:32
	ds_read_b128 v[148:151], v186 offset:48
	s_waitcnt vmcnt(24)
	v_fma_f64 v[144:145], v[144:145], v[152:153], -v[180:181]
	v_fma_f64 v[146:147], v[146:147], v[152:153], v[182:183]
	s_waitcnt vmcnt(22) lgkmcnt(1)
	v_mul_f64 v[184:185], v[142:143], v[154:155]
	v_mul_f64 v[154:155], v[140:141], v[154:155]
	v_add_f64 v[1:2], v[1:2], v[178:179]
	v_add_f64 v[3:4], v[3:4], v[137:138]
	s_waitcnt vmcnt(18) lgkmcnt(0)
	v_mul_f64 v[137:138], v[150:151], v[158:159]
	v_mul_f64 v[152:153], v[148:149], v[158:159]
	v_fma_f64 v[158:159], v[140:141], v[156:157], -v[184:185]
	v_fma_f64 v[154:155], v[142:143], v[156:157], v[154:155]
	v_add_f64 v[144:145], v[1:2], v[144:145]
	v_add_f64 v[146:147], v[3:4], v[146:147]
	ds_read_b128 v[1:4], v186 offset:64
	ds_read_b128 v[140:143], v186 offset:80
	s_waitcnt vmcnt(16)
	v_fma_f64 v[137:138], v[148:149], v[160:161], -v[137:138]
	v_fma_f64 v[148:149], v[150:151], v[160:161], v[152:153]
	s_waitcnt vmcnt(12) lgkmcnt(1)
	v_mul_f64 v[156:157], v[3:4], v[162:163]
	v_mul_f64 v[162:163], v[1:2], v[162:163]
	v_add_f64 v[144:145], v[144:145], v[158:159]
	v_add_f64 v[146:147], v[146:147], v[154:155]
	s_waitcnt vmcnt(10) lgkmcnt(0)
	v_mul_f64 v[150:151], v[142:143], v[164:165]
	v_mul_f64 v[152:153], v[140:141], v[164:165]
	s_waitcnt vmcnt(8)
	v_fma_f64 v[154:155], v[1:2], v[168:169], -v[156:157]
	v_fma_f64 v[156:157], v[3:4], v[168:169], v[162:163]
	v_add_f64 v[137:138], v[144:145], v[137:138]
	v_add_f64 v[148:149], v[146:147], v[148:149]
	ds_read_b128 v[1:4], v186 offset:96
	ds_read_b128 v[144:147], v186 offset:112
	v_fma_f64 v[140:141], v[140:141], v[166:167], -v[150:151]
	v_fma_f64 v[142:143], v[142:143], v[166:167], v[152:153]
	s_waitcnt vmcnt(4) lgkmcnt(1)
	v_mul_f64 v[158:159], v[3:4], v[170:171]
	v_mul_f64 v[160:161], v[1:2], v[170:171]
	v_add_f64 v[137:138], v[137:138], v[154:155]
	v_add_f64 v[148:149], v[148:149], v[156:157]
	s_waitcnt vmcnt(2) lgkmcnt(0)
	v_mul_f64 v[150:151], v[146:147], v[172:173]
	v_mul_f64 v[152:153], v[144:145], v[172:173]
	s_waitcnt vmcnt(0)
	v_fma_f64 v[1:2], v[1:2], v[176:177], -v[158:159]
	v_fma_f64 v[3:4], v[3:4], v[176:177], v[160:161]
	v_add_f64 v[137:138], v[137:138], v[140:141]
	v_add_f64 v[140:141], v[148:149], v[142:143]
	v_fma_f64 v[142:143], v[144:145], v[174:175], -v[150:151]
	v_fma_f64 v[144:145], v[146:147], v[174:175], v[152:153]
	v_add_f64 v[1:2], v[137:138], v[1:2]
	v_add_f64 v[3:4], v[140:141], v[3:4]
	v_mov_b32_e32 v137, s76
	s_mov_b32 s76, s77
	v_add_f64 v[1:2], v[1:2], v[142:143]
	v_add_f64 v[3:4], v[3:4], v[144:145]
	s_andn2_b32 exec_lo, exec_lo, s73
	s_cbranch_execnz .LBB63_809
; %bb.810:
	s_or_b32 exec_lo, exec_lo, s73
.LBB63_811:
	s_or_b32 exec_lo, exec_lo, s5
	v_and_b32_e32 v135, 7, v135
	s_mov_b32 s73, 0
	s_mov_b32 s5, exec_lo
	v_cmpx_ne_u32_e32 0, v135
	s_cbranch_execz .LBB63_815
; %bb.812:
	v_lshlrev_b32_e32 v137, 4, v137
	v_add_nc_u32_e32 v136, 0x400, v137
	.p2align	6
.LBB63_813:                             ; =>This Inner Loop Header: Depth=1
	s_clause 0x3
	buffer_load_dword v144, v137, s[0:3], 0 offen offset:8
	buffer_load_dword v145, v137, s[0:3], 0 offen offset:12
	buffer_load_dword v146, v137, s[0:3], 0 offen
	buffer_load_dword v147, v137, s[0:3], 0 offen offset:4
	ds_read_b128 v[140:143], v136
	v_add_nc_u32_e32 v135, -1, v135
	v_add_nc_u32_e32 v136, 16, v136
	v_add_nc_u32_e32 v137, 16, v137
	v_cmp_eq_u32_e32 vcc_lo, 0, v135
	s_or_b32 s73, vcc_lo, s73
	s_waitcnt vmcnt(2) lgkmcnt(0)
	v_mul_f64 v[148:149], v[142:143], v[144:145]
	v_mul_f64 v[144:145], v[140:141], v[144:145]
	s_waitcnt vmcnt(0)
	v_fma_f64 v[140:141], v[140:141], v[146:147], -v[148:149]
	v_fma_f64 v[142:143], v[142:143], v[146:147], v[144:145]
	v_add_f64 v[1:2], v[1:2], v[140:141]
	v_add_f64 v[3:4], v[3:4], v[142:143]
	s_andn2_b32 exec_lo, exec_lo, s73
	s_cbranch_execnz .LBB63_813
; %bb.814:
	s_or_b32 exec_lo, exec_lo, s73
.LBB63_815:
	s_or_b32 exec_lo, exec_lo, s5
.LBB63_816:
	s_or_b32 exec_lo, exec_lo, s8
	v_mov_b32_e32 v135, 0
	ds_read_b128 v[135:138], v135 offset:64
	s_waitcnt lgkmcnt(0)
	v_mul_f64 v[140:141], v[3:4], v[137:138]
	v_mul_f64 v[137:138], v[1:2], v[137:138]
	v_fma_f64 v[1:2], v[1:2], v[135:136], -v[140:141]
	v_fma_f64 v[3:4], v[3:4], v[135:136], v[137:138]
	buffer_store_dword v2, off, s[0:3], 0 offset:68
	buffer_store_dword v1, off, s[0:3], 0 offset:64
	;; [unrolled: 1-line block ×4, first 2 shown]
.LBB63_817:
	s_or_b32 exec_lo, exec_lo, s6
	v_mov_b32_e32 v4, s70
	v_cmp_lt_u32_e64 s5, 3, v0
	s_clause 0x3
	buffer_load_dword v1, v4, s[0:3], 0 offen
	buffer_load_dword v2, v4, s[0:3], 0 offen offset:4
	buffer_load_dword v3, v4, s[0:3], 0 offen offset:8
	;; [unrolled: 1-line block ×3, first 2 shown]
	s_waitcnt vmcnt(0)
	ds_write_b128 v134, v[1:4]
	s_waitcnt lgkmcnt(0)
	s_waitcnt_vscnt null, 0x0
	s_barrier
	buffer_gl0_inv
	s_and_saveexec_b32 s6, s5
	s_cbranch_execz .LBB63_831
; %bb.818:
	ds_read_b128 v[1:4], v134
	s_andn2_b32 vcc_lo, exec_lo, s7
	s_cbranch_vccnz .LBB63_820
; %bb.819:
	s_clause 0x3
	buffer_load_dword v135, v133, s[0:3], 0 offen offset:8
	buffer_load_dword v136, v133, s[0:3], 0 offen offset:12
	buffer_load_dword v137, v133, s[0:3], 0 offen
	buffer_load_dword v138, v133, s[0:3], 0 offen offset:4
	s_waitcnt vmcnt(2) lgkmcnt(0)
	v_mul_f64 v[140:141], v[3:4], v[135:136]
	v_mul_f64 v[135:136], v[1:2], v[135:136]
	s_waitcnt vmcnt(0)
	v_fma_f64 v[1:2], v[1:2], v[137:138], -v[140:141]
	v_fma_f64 v[3:4], v[3:4], v[137:138], v[135:136]
.LBB63_820:
	s_and_saveexec_b32 s8, s4
	s_cbranch_execz .LBB63_830
; %bb.821:
	v_add_nc_u32_e32 v136, -5, v0
	v_add_nc_u32_e32 v135, -4, v0
	v_mov_b32_e32 v137, 4
	s_mov_b32 s4, exec_lo
	v_cmpx_lt_u32_e32 6, v136
	s_cbranch_execz .LBB63_825
; %bb.822:
	v_and_b32_e32 v136, -8, v135
	s_movk_i32 s74, 0x440
	s_mov_b32 s73, 0
	s_mov_b32 s75, s69
	s_mov_b32 s76, 0
.LBB63_823:                             ; =>This Inner Loop Header: Depth=1
	v_mov_b32_e32 v140, s75
	v_mov_b32_e32 v186, s74
	s_add_i32 s77, s76, 8
	s_add_i32 s76, s76, 12
	v_cmp_eq_u32_e32 vcc_lo, s77, v136
	s_clause 0x1f
	buffer_load_dword v137, v140, s[0:3], 0 offen offset:8
	buffer_load_dword v138, v140, s[0:3], 0 offen offset:12
	buffer_load_dword v148, v140, s[0:3], 0 offen
	buffer_load_dword v149, v140, s[0:3], 0 offen offset:4
	buffer_load_dword v150, v140, s[0:3], 0 offen offset:24
	;; [unrolled: 1-line block ×29, first 2 shown]
	ds_read_b128 v[140:143], v186
	ds_read_b128 v[144:147], v186 offset:16
	s_addk_i32 s74, 0x80
	s_addk_i32 s75, 0x80
	s_or_b32 s73, vcc_lo, s73
	s_waitcnt vmcnt(30) lgkmcnt(1)
	v_mul_f64 v[178:179], v[142:143], v[137:138]
	v_mul_f64 v[137:138], v[140:141], v[137:138]
	s_waitcnt vmcnt(26) lgkmcnt(0)
	v_mul_f64 v[180:181], v[146:147], v[150:151]
	v_mul_f64 v[182:183], v[144:145], v[150:151]
	v_fma_f64 v[178:179], v[140:141], v[148:149], -v[178:179]
	v_fma_f64 v[137:138], v[142:143], v[148:149], v[137:138]
	ds_read_b128 v[140:143], v186 offset:32
	ds_read_b128 v[148:151], v186 offset:48
	s_waitcnt vmcnt(24)
	v_fma_f64 v[144:145], v[144:145], v[152:153], -v[180:181]
	v_fma_f64 v[146:147], v[146:147], v[152:153], v[182:183]
	s_waitcnt vmcnt(22) lgkmcnt(1)
	v_mul_f64 v[184:185], v[142:143], v[154:155]
	v_mul_f64 v[154:155], v[140:141], v[154:155]
	v_add_f64 v[1:2], v[1:2], v[178:179]
	v_add_f64 v[3:4], v[3:4], v[137:138]
	s_waitcnt vmcnt(18) lgkmcnt(0)
	v_mul_f64 v[137:138], v[150:151], v[158:159]
	v_mul_f64 v[152:153], v[148:149], v[158:159]
	v_fma_f64 v[158:159], v[140:141], v[156:157], -v[184:185]
	v_fma_f64 v[154:155], v[142:143], v[156:157], v[154:155]
	v_add_f64 v[144:145], v[1:2], v[144:145]
	v_add_f64 v[146:147], v[3:4], v[146:147]
	ds_read_b128 v[1:4], v186 offset:64
	ds_read_b128 v[140:143], v186 offset:80
	s_waitcnt vmcnt(16)
	v_fma_f64 v[137:138], v[148:149], v[160:161], -v[137:138]
	v_fma_f64 v[148:149], v[150:151], v[160:161], v[152:153]
	s_waitcnt vmcnt(12) lgkmcnt(1)
	v_mul_f64 v[156:157], v[3:4], v[162:163]
	v_mul_f64 v[162:163], v[1:2], v[162:163]
	v_add_f64 v[144:145], v[144:145], v[158:159]
	v_add_f64 v[146:147], v[146:147], v[154:155]
	s_waitcnt vmcnt(10) lgkmcnt(0)
	v_mul_f64 v[150:151], v[142:143], v[164:165]
	v_mul_f64 v[152:153], v[140:141], v[164:165]
	s_waitcnt vmcnt(8)
	v_fma_f64 v[154:155], v[1:2], v[168:169], -v[156:157]
	v_fma_f64 v[156:157], v[3:4], v[168:169], v[162:163]
	v_add_f64 v[137:138], v[144:145], v[137:138]
	v_add_f64 v[148:149], v[146:147], v[148:149]
	ds_read_b128 v[1:4], v186 offset:96
	ds_read_b128 v[144:147], v186 offset:112
	v_fma_f64 v[140:141], v[140:141], v[166:167], -v[150:151]
	v_fma_f64 v[142:143], v[142:143], v[166:167], v[152:153]
	s_waitcnt vmcnt(4) lgkmcnt(1)
	v_mul_f64 v[158:159], v[3:4], v[170:171]
	v_mul_f64 v[160:161], v[1:2], v[170:171]
	v_add_f64 v[137:138], v[137:138], v[154:155]
	v_add_f64 v[148:149], v[148:149], v[156:157]
	s_waitcnt vmcnt(2) lgkmcnt(0)
	v_mul_f64 v[150:151], v[146:147], v[172:173]
	v_mul_f64 v[152:153], v[144:145], v[172:173]
	s_waitcnt vmcnt(0)
	v_fma_f64 v[1:2], v[1:2], v[176:177], -v[158:159]
	v_fma_f64 v[3:4], v[3:4], v[176:177], v[160:161]
	v_add_f64 v[137:138], v[137:138], v[140:141]
	v_add_f64 v[140:141], v[148:149], v[142:143]
	v_fma_f64 v[142:143], v[144:145], v[174:175], -v[150:151]
	v_fma_f64 v[144:145], v[146:147], v[174:175], v[152:153]
	v_add_f64 v[1:2], v[137:138], v[1:2]
	v_add_f64 v[3:4], v[140:141], v[3:4]
	v_mov_b32_e32 v137, s76
	s_mov_b32 s76, s77
	v_add_f64 v[1:2], v[1:2], v[142:143]
	v_add_f64 v[3:4], v[3:4], v[144:145]
	s_andn2_b32 exec_lo, exec_lo, s73
	s_cbranch_execnz .LBB63_823
; %bb.824:
	s_or_b32 exec_lo, exec_lo, s73
.LBB63_825:
	s_or_b32 exec_lo, exec_lo, s4
	v_and_b32_e32 v135, 7, v135
	s_mov_b32 s73, 0
	s_mov_b32 s4, exec_lo
	v_cmpx_ne_u32_e32 0, v135
	s_cbranch_execz .LBB63_829
; %bb.826:
	v_lshlrev_b32_e32 v137, 4, v137
	v_add_nc_u32_e32 v136, 0x400, v137
	.p2align	6
.LBB63_827:                             ; =>This Inner Loop Header: Depth=1
	s_clause 0x3
	buffer_load_dword v144, v137, s[0:3], 0 offen offset:8
	buffer_load_dword v145, v137, s[0:3], 0 offen offset:12
	buffer_load_dword v146, v137, s[0:3], 0 offen
	buffer_load_dword v147, v137, s[0:3], 0 offen offset:4
	ds_read_b128 v[140:143], v136
	v_add_nc_u32_e32 v135, -1, v135
	v_add_nc_u32_e32 v136, 16, v136
	v_add_nc_u32_e32 v137, 16, v137
	v_cmp_eq_u32_e32 vcc_lo, 0, v135
	s_or_b32 s73, vcc_lo, s73
	s_waitcnt vmcnt(2) lgkmcnt(0)
	v_mul_f64 v[148:149], v[142:143], v[144:145]
	v_mul_f64 v[144:145], v[140:141], v[144:145]
	s_waitcnt vmcnt(0)
	v_fma_f64 v[140:141], v[140:141], v[146:147], -v[148:149]
	v_fma_f64 v[142:143], v[142:143], v[146:147], v[144:145]
	v_add_f64 v[1:2], v[1:2], v[140:141]
	v_add_f64 v[3:4], v[3:4], v[142:143]
	s_andn2_b32 exec_lo, exec_lo, s73
	s_cbranch_execnz .LBB63_827
; %bb.828:
	s_or_b32 exec_lo, exec_lo, s73
.LBB63_829:
	s_or_b32 exec_lo, exec_lo, s4
.LBB63_830:
	s_or_b32 exec_lo, exec_lo, s8
	v_mov_b32_e32 v135, 0
	ds_read_b128 v[135:138], v135 offset:48
	s_waitcnt lgkmcnt(0)
	v_mul_f64 v[140:141], v[3:4], v[137:138]
	v_mul_f64 v[137:138], v[1:2], v[137:138]
	v_fma_f64 v[1:2], v[1:2], v[135:136], -v[140:141]
	v_fma_f64 v[3:4], v[3:4], v[135:136], v[137:138]
	buffer_store_dword v2, off, s[0:3], 0 offset:52
	buffer_store_dword v1, off, s[0:3], 0 offset:48
	;; [unrolled: 1-line block ×4, first 2 shown]
.LBB63_831:
	s_or_b32 exec_lo, exec_lo, s6
	v_mov_b32_e32 v4, s71
	v_cmp_lt_u32_e64 s6, 2, v0
	s_clause 0x3
	buffer_load_dword v1, v4, s[0:3], 0 offen
	buffer_load_dword v2, v4, s[0:3], 0 offen offset:4
	buffer_load_dword v3, v4, s[0:3], 0 offen offset:8
	;; [unrolled: 1-line block ×3, first 2 shown]
	s_waitcnt vmcnt(0)
	ds_write_b128 v134, v[1:4]
	s_waitcnt lgkmcnt(0)
	s_waitcnt_vscnt null, 0x0
	s_barrier
	buffer_gl0_inv
	s_and_saveexec_b32 s4, s6
	s_cbranch_execz .LBB63_845
; %bb.832:
	ds_read_b128 v[1:4], v134
	s_andn2_b32 vcc_lo, exec_lo, s7
	s_cbranch_vccnz .LBB63_834
; %bb.833:
	s_clause 0x3
	buffer_load_dword v135, v133, s[0:3], 0 offen offset:8
	buffer_load_dword v136, v133, s[0:3], 0 offen offset:12
	buffer_load_dword v137, v133, s[0:3], 0 offen
	buffer_load_dword v138, v133, s[0:3], 0 offen offset:4
	s_waitcnt vmcnt(2) lgkmcnt(0)
	v_mul_f64 v[140:141], v[3:4], v[135:136]
	v_mul_f64 v[135:136], v[1:2], v[135:136]
	s_waitcnt vmcnt(0)
	v_fma_f64 v[1:2], v[1:2], v[137:138], -v[140:141]
	v_fma_f64 v[3:4], v[3:4], v[137:138], v[135:136]
.LBB63_834:
	s_and_saveexec_b32 s8, s5
	s_cbranch_execz .LBB63_844
; %bb.835:
	v_add_nc_u32_e32 v136, -4, v0
	v_add_nc_u32_e32 v135, -3, v0
	v_mov_b32_e32 v137, 3
	s_mov_b32 s5, exec_lo
	v_cmpx_lt_u32_e32 6, v136
	s_cbranch_execz .LBB63_839
; %bb.836:
	v_and_b32_e32 v136, -8, v135
	s_movk_i32 s74, 0x430
	s_mov_b32 s73, 0
	s_mov_b32 s75, s70
	;; [unrolled: 1-line block ×3, first 2 shown]
.LBB63_837:                             ; =>This Inner Loop Header: Depth=1
	v_mov_b32_e32 v140, s75
	v_mov_b32_e32 v186, s74
	s_add_i32 s77, s76, 8
	s_add_i32 s76, s76, 11
	v_cmp_eq_u32_e32 vcc_lo, s77, v136
	s_clause 0x1f
	buffer_load_dword v137, v140, s[0:3], 0 offen offset:8
	buffer_load_dword v138, v140, s[0:3], 0 offen offset:12
	buffer_load_dword v148, v140, s[0:3], 0 offen
	buffer_load_dword v149, v140, s[0:3], 0 offen offset:4
	buffer_load_dword v150, v140, s[0:3], 0 offen offset:24
	;; [unrolled: 1-line block ×29, first 2 shown]
	ds_read_b128 v[140:143], v186
	ds_read_b128 v[144:147], v186 offset:16
	s_addk_i32 s74, 0x80
	s_addk_i32 s75, 0x80
	s_or_b32 s73, vcc_lo, s73
	s_waitcnt vmcnt(30) lgkmcnt(1)
	v_mul_f64 v[178:179], v[142:143], v[137:138]
	v_mul_f64 v[137:138], v[140:141], v[137:138]
	s_waitcnt vmcnt(26) lgkmcnt(0)
	v_mul_f64 v[180:181], v[146:147], v[150:151]
	v_mul_f64 v[182:183], v[144:145], v[150:151]
	v_fma_f64 v[178:179], v[140:141], v[148:149], -v[178:179]
	v_fma_f64 v[137:138], v[142:143], v[148:149], v[137:138]
	ds_read_b128 v[140:143], v186 offset:32
	ds_read_b128 v[148:151], v186 offset:48
	s_waitcnt vmcnt(24)
	v_fma_f64 v[144:145], v[144:145], v[152:153], -v[180:181]
	v_fma_f64 v[146:147], v[146:147], v[152:153], v[182:183]
	s_waitcnt vmcnt(22) lgkmcnt(1)
	v_mul_f64 v[184:185], v[142:143], v[154:155]
	v_mul_f64 v[154:155], v[140:141], v[154:155]
	v_add_f64 v[1:2], v[1:2], v[178:179]
	v_add_f64 v[3:4], v[3:4], v[137:138]
	s_waitcnt vmcnt(18) lgkmcnt(0)
	v_mul_f64 v[137:138], v[150:151], v[158:159]
	v_mul_f64 v[152:153], v[148:149], v[158:159]
	v_fma_f64 v[158:159], v[140:141], v[156:157], -v[184:185]
	v_fma_f64 v[154:155], v[142:143], v[156:157], v[154:155]
	v_add_f64 v[144:145], v[1:2], v[144:145]
	v_add_f64 v[146:147], v[3:4], v[146:147]
	ds_read_b128 v[1:4], v186 offset:64
	ds_read_b128 v[140:143], v186 offset:80
	s_waitcnt vmcnt(16)
	v_fma_f64 v[137:138], v[148:149], v[160:161], -v[137:138]
	v_fma_f64 v[148:149], v[150:151], v[160:161], v[152:153]
	s_waitcnt vmcnt(12) lgkmcnt(1)
	v_mul_f64 v[156:157], v[3:4], v[162:163]
	v_mul_f64 v[162:163], v[1:2], v[162:163]
	v_add_f64 v[144:145], v[144:145], v[158:159]
	v_add_f64 v[146:147], v[146:147], v[154:155]
	s_waitcnt vmcnt(10) lgkmcnt(0)
	v_mul_f64 v[150:151], v[142:143], v[164:165]
	v_mul_f64 v[152:153], v[140:141], v[164:165]
	s_waitcnt vmcnt(8)
	v_fma_f64 v[154:155], v[1:2], v[168:169], -v[156:157]
	v_fma_f64 v[156:157], v[3:4], v[168:169], v[162:163]
	v_add_f64 v[137:138], v[144:145], v[137:138]
	v_add_f64 v[148:149], v[146:147], v[148:149]
	ds_read_b128 v[1:4], v186 offset:96
	ds_read_b128 v[144:147], v186 offset:112
	v_fma_f64 v[140:141], v[140:141], v[166:167], -v[150:151]
	v_fma_f64 v[142:143], v[142:143], v[166:167], v[152:153]
	s_waitcnt vmcnt(4) lgkmcnt(1)
	v_mul_f64 v[158:159], v[3:4], v[170:171]
	v_mul_f64 v[160:161], v[1:2], v[170:171]
	v_add_f64 v[137:138], v[137:138], v[154:155]
	v_add_f64 v[148:149], v[148:149], v[156:157]
	s_waitcnt vmcnt(2) lgkmcnt(0)
	v_mul_f64 v[150:151], v[146:147], v[172:173]
	v_mul_f64 v[152:153], v[144:145], v[172:173]
	s_waitcnt vmcnt(0)
	v_fma_f64 v[1:2], v[1:2], v[176:177], -v[158:159]
	v_fma_f64 v[3:4], v[3:4], v[176:177], v[160:161]
	v_add_f64 v[137:138], v[137:138], v[140:141]
	v_add_f64 v[140:141], v[148:149], v[142:143]
	v_fma_f64 v[142:143], v[144:145], v[174:175], -v[150:151]
	v_fma_f64 v[144:145], v[146:147], v[174:175], v[152:153]
	v_add_f64 v[1:2], v[137:138], v[1:2]
	v_add_f64 v[3:4], v[140:141], v[3:4]
	v_mov_b32_e32 v137, s76
	s_mov_b32 s76, s77
	v_add_f64 v[1:2], v[1:2], v[142:143]
	v_add_f64 v[3:4], v[3:4], v[144:145]
	s_andn2_b32 exec_lo, exec_lo, s73
	s_cbranch_execnz .LBB63_837
; %bb.838:
	s_or_b32 exec_lo, exec_lo, s73
.LBB63_839:
	s_or_b32 exec_lo, exec_lo, s5
	v_and_b32_e32 v135, 7, v135
	s_mov_b32 s73, 0
	s_mov_b32 s5, exec_lo
	v_cmpx_ne_u32_e32 0, v135
	s_cbranch_execz .LBB63_843
; %bb.840:
	v_lshlrev_b32_e32 v137, 4, v137
	v_add_nc_u32_e32 v136, 0x400, v137
	.p2align	6
.LBB63_841:                             ; =>This Inner Loop Header: Depth=1
	s_clause 0x3
	buffer_load_dword v144, v137, s[0:3], 0 offen offset:8
	buffer_load_dword v145, v137, s[0:3], 0 offen offset:12
	buffer_load_dword v146, v137, s[0:3], 0 offen
	buffer_load_dword v147, v137, s[0:3], 0 offen offset:4
	ds_read_b128 v[140:143], v136
	v_add_nc_u32_e32 v135, -1, v135
	v_add_nc_u32_e32 v136, 16, v136
	v_add_nc_u32_e32 v137, 16, v137
	v_cmp_eq_u32_e32 vcc_lo, 0, v135
	s_or_b32 s73, vcc_lo, s73
	s_waitcnt vmcnt(2) lgkmcnt(0)
	v_mul_f64 v[148:149], v[142:143], v[144:145]
	v_mul_f64 v[144:145], v[140:141], v[144:145]
	s_waitcnt vmcnt(0)
	v_fma_f64 v[140:141], v[140:141], v[146:147], -v[148:149]
	v_fma_f64 v[142:143], v[142:143], v[146:147], v[144:145]
	v_add_f64 v[1:2], v[1:2], v[140:141]
	v_add_f64 v[3:4], v[3:4], v[142:143]
	s_andn2_b32 exec_lo, exec_lo, s73
	s_cbranch_execnz .LBB63_841
; %bb.842:
	s_or_b32 exec_lo, exec_lo, s73
.LBB63_843:
	s_or_b32 exec_lo, exec_lo, s5
.LBB63_844:
	s_or_b32 exec_lo, exec_lo, s8
	v_mov_b32_e32 v135, 0
	ds_read_b128 v[135:138], v135 offset:32
	s_waitcnt lgkmcnt(0)
	v_mul_f64 v[140:141], v[3:4], v[137:138]
	v_mul_f64 v[137:138], v[1:2], v[137:138]
	v_fma_f64 v[1:2], v[1:2], v[135:136], -v[140:141]
	v_fma_f64 v[3:4], v[3:4], v[135:136], v[137:138]
	buffer_store_dword v2, off, s[0:3], 0 offset:36
	buffer_store_dword v1, off, s[0:3], 0 offset:32
	;; [unrolled: 1-line block ×4, first 2 shown]
.LBB63_845:
	s_or_b32 exec_lo, exec_lo, s4
	v_mov_b32_e32 v4, s72
	v_cmp_lt_u32_e64 s4, 1, v0
	s_clause 0x3
	buffer_load_dword v1, v4, s[0:3], 0 offen
	buffer_load_dword v2, v4, s[0:3], 0 offen offset:4
	buffer_load_dword v3, v4, s[0:3], 0 offen offset:8
	;; [unrolled: 1-line block ×3, first 2 shown]
	s_waitcnt vmcnt(0)
	ds_write_b128 v134, v[1:4]
	s_waitcnt lgkmcnt(0)
	s_waitcnt_vscnt null, 0x0
	s_barrier
	buffer_gl0_inv
	s_and_saveexec_b32 s5, s4
	s_cbranch_execz .LBB63_859
; %bb.846:
	ds_read_b128 v[1:4], v134
	s_andn2_b32 vcc_lo, exec_lo, s7
	s_cbranch_vccnz .LBB63_848
; %bb.847:
	s_clause 0x3
	buffer_load_dword v135, v133, s[0:3], 0 offen offset:8
	buffer_load_dword v136, v133, s[0:3], 0 offen offset:12
	buffer_load_dword v137, v133, s[0:3], 0 offen
	buffer_load_dword v138, v133, s[0:3], 0 offen offset:4
	s_waitcnt vmcnt(2) lgkmcnt(0)
	v_mul_f64 v[140:141], v[3:4], v[135:136]
	v_mul_f64 v[135:136], v[1:2], v[135:136]
	s_waitcnt vmcnt(0)
	v_fma_f64 v[1:2], v[1:2], v[137:138], -v[140:141]
	v_fma_f64 v[3:4], v[3:4], v[137:138], v[135:136]
.LBB63_848:
	s_and_saveexec_b32 s8, s6
	s_cbranch_execz .LBB63_858
; %bb.849:
	v_add_nc_u32_e32 v136, -3, v0
	v_add_nc_u32_e32 v135, -2, v0
	v_mov_b32_e32 v137, 2
	s_mov_b32 s6, exec_lo
	v_cmpx_lt_u32_e32 6, v136
	s_cbranch_execz .LBB63_853
; %bb.850:
	v_and_b32_e32 v136, -8, v135
	s_movk_i32 s74, 0x420
	s_mov_b32 s73, 0
	s_mov_b32 s75, s71
	;; [unrolled: 1-line block ×3, first 2 shown]
.LBB63_851:                             ; =>This Inner Loop Header: Depth=1
	v_mov_b32_e32 v140, s75
	v_mov_b32_e32 v186, s74
	s_add_i32 s77, s76, 8
	s_add_i32 s76, s76, 10
	v_cmp_eq_u32_e32 vcc_lo, s77, v136
	s_clause 0x1f
	buffer_load_dword v137, v140, s[0:3], 0 offen offset:8
	buffer_load_dword v138, v140, s[0:3], 0 offen offset:12
	buffer_load_dword v148, v140, s[0:3], 0 offen
	buffer_load_dword v149, v140, s[0:3], 0 offen offset:4
	buffer_load_dword v150, v140, s[0:3], 0 offen offset:24
	;; [unrolled: 1-line block ×29, first 2 shown]
	ds_read_b128 v[140:143], v186
	ds_read_b128 v[144:147], v186 offset:16
	s_addk_i32 s74, 0x80
	s_addk_i32 s75, 0x80
	s_or_b32 s73, vcc_lo, s73
	s_waitcnt vmcnt(30) lgkmcnt(1)
	v_mul_f64 v[178:179], v[142:143], v[137:138]
	v_mul_f64 v[137:138], v[140:141], v[137:138]
	s_waitcnt vmcnt(26) lgkmcnt(0)
	v_mul_f64 v[180:181], v[146:147], v[150:151]
	v_mul_f64 v[182:183], v[144:145], v[150:151]
	v_fma_f64 v[178:179], v[140:141], v[148:149], -v[178:179]
	v_fma_f64 v[137:138], v[142:143], v[148:149], v[137:138]
	ds_read_b128 v[140:143], v186 offset:32
	ds_read_b128 v[148:151], v186 offset:48
	s_waitcnt vmcnt(24)
	v_fma_f64 v[144:145], v[144:145], v[152:153], -v[180:181]
	v_fma_f64 v[146:147], v[146:147], v[152:153], v[182:183]
	s_waitcnt vmcnt(22) lgkmcnt(1)
	v_mul_f64 v[184:185], v[142:143], v[154:155]
	v_mul_f64 v[154:155], v[140:141], v[154:155]
	v_add_f64 v[1:2], v[1:2], v[178:179]
	v_add_f64 v[3:4], v[3:4], v[137:138]
	s_waitcnt vmcnt(18) lgkmcnt(0)
	v_mul_f64 v[137:138], v[150:151], v[158:159]
	v_mul_f64 v[152:153], v[148:149], v[158:159]
	v_fma_f64 v[158:159], v[140:141], v[156:157], -v[184:185]
	v_fma_f64 v[154:155], v[142:143], v[156:157], v[154:155]
	v_add_f64 v[144:145], v[1:2], v[144:145]
	v_add_f64 v[146:147], v[3:4], v[146:147]
	ds_read_b128 v[1:4], v186 offset:64
	ds_read_b128 v[140:143], v186 offset:80
	s_waitcnt vmcnt(16)
	v_fma_f64 v[137:138], v[148:149], v[160:161], -v[137:138]
	v_fma_f64 v[148:149], v[150:151], v[160:161], v[152:153]
	s_waitcnt vmcnt(12) lgkmcnt(1)
	v_mul_f64 v[156:157], v[3:4], v[162:163]
	v_mul_f64 v[162:163], v[1:2], v[162:163]
	v_add_f64 v[144:145], v[144:145], v[158:159]
	v_add_f64 v[146:147], v[146:147], v[154:155]
	s_waitcnt vmcnt(10) lgkmcnt(0)
	v_mul_f64 v[150:151], v[142:143], v[164:165]
	v_mul_f64 v[152:153], v[140:141], v[164:165]
	s_waitcnt vmcnt(8)
	v_fma_f64 v[154:155], v[1:2], v[168:169], -v[156:157]
	v_fma_f64 v[156:157], v[3:4], v[168:169], v[162:163]
	v_add_f64 v[137:138], v[144:145], v[137:138]
	v_add_f64 v[148:149], v[146:147], v[148:149]
	ds_read_b128 v[1:4], v186 offset:96
	ds_read_b128 v[144:147], v186 offset:112
	v_fma_f64 v[140:141], v[140:141], v[166:167], -v[150:151]
	v_fma_f64 v[142:143], v[142:143], v[166:167], v[152:153]
	s_waitcnt vmcnt(4) lgkmcnt(1)
	v_mul_f64 v[158:159], v[3:4], v[170:171]
	v_mul_f64 v[160:161], v[1:2], v[170:171]
	v_add_f64 v[137:138], v[137:138], v[154:155]
	v_add_f64 v[148:149], v[148:149], v[156:157]
	s_waitcnt vmcnt(2) lgkmcnt(0)
	v_mul_f64 v[150:151], v[146:147], v[172:173]
	v_mul_f64 v[152:153], v[144:145], v[172:173]
	s_waitcnt vmcnt(0)
	v_fma_f64 v[1:2], v[1:2], v[176:177], -v[158:159]
	v_fma_f64 v[3:4], v[3:4], v[176:177], v[160:161]
	v_add_f64 v[137:138], v[137:138], v[140:141]
	v_add_f64 v[140:141], v[148:149], v[142:143]
	v_fma_f64 v[142:143], v[144:145], v[174:175], -v[150:151]
	v_fma_f64 v[144:145], v[146:147], v[174:175], v[152:153]
	v_add_f64 v[1:2], v[137:138], v[1:2]
	v_add_f64 v[3:4], v[140:141], v[3:4]
	v_mov_b32_e32 v137, s76
	s_mov_b32 s76, s77
	v_add_f64 v[1:2], v[1:2], v[142:143]
	v_add_f64 v[3:4], v[3:4], v[144:145]
	s_andn2_b32 exec_lo, exec_lo, s73
	s_cbranch_execnz .LBB63_851
; %bb.852:
	s_or_b32 exec_lo, exec_lo, s73
.LBB63_853:
	s_or_b32 exec_lo, exec_lo, s6
	v_and_b32_e32 v135, 7, v135
	s_mov_b32 s73, 0
	s_mov_b32 s6, exec_lo
	v_cmpx_ne_u32_e32 0, v135
	s_cbranch_execz .LBB63_857
; %bb.854:
	v_lshlrev_b32_e32 v137, 4, v137
	v_add_nc_u32_e32 v136, 0x400, v137
	.p2align	6
.LBB63_855:                             ; =>This Inner Loop Header: Depth=1
	s_clause 0x3
	buffer_load_dword v144, v137, s[0:3], 0 offen offset:8
	buffer_load_dword v145, v137, s[0:3], 0 offen offset:12
	buffer_load_dword v146, v137, s[0:3], 0 offen
	buffer_load_dword v147, v137, s[0:3], 0 offen offset:4
	ds_read_b128 v[140:143], v136
	v_add_nc_u32_e32 v135, -1, v135
	v_add_nc_u32_e32 v136, 16, v136
	v_add_nc_u32_e32 v137, 16, v137
	v_cmp_eq_u32_e32 vcc_lo, 0, v135
	s_or_b32 s73, vcc_lo, s73
	s_waitcnt vmcnt(2) lgkmcnt(0)
	v_mul_f64 v[148:149], v[142:143], v[144:145]
	v_mul_f64 v[144:145], v[140:141], v[144:145]
	s_waitcnt vmcnt(0)
	v_fma_f64 v[140:141], v[140:141], v[146:147], -v[148:149]
	v_fma_f64 v[142:143], v[142:143], v[146:147], v[144:145]
	v_add_f64 v[1:2], v[1:2], v[140:141]
	v_add_f64 v[3:4], v[3:4], v[142:143]
	s_andn2_b32 exec_lo, exec_lo, s73
	s_cbranch_execnz .LBB63_855
; %bb.856:
	s_or_b32 exec_lo, exec_lo, s73
.LBB63_857:
	s_or_b32 exec_lo, exec_lo, s6
.LBB63_858:
	s_or_b32 exec_lo, exec_lo, s8
	v_mov_b32_e32 v135, 0
	ds_read_b128 v[135:138], v135 offset:16
	s_waitcnt lgkmcnt(0)
	v_mul_f64 v[140:141], v[3:4], v[137:138]
	v_mul_f64 v[137:138], v[1:2], v[137:138]
	v_fma_f64 v[1:2], v[1:2], v[135:136], -v[140:141]
	v_fma_f64 v[3:4], v[3:4], v[135:136], v[137:138]
	buffer_store_dword v2, off, s[0:3], 0 offset:20
	buffer_store_dword v1, off, s[0:3], 0 offset:16
	;; [unrolled: 1-line block ×4, first 2 shown]
.LBB63_859:
	s_or_b32 exec_lo, exec_lo, s5
	s_clause 0x3
	buffer_load_dword v1, off, s[0:3], 0
	buffer_load_dword v2, off, s[0:3], 0 offset:4
	buffer_load_dword v3, off, s[0:3], 0 offset:8
	;; [unrolled: 1-line block ×3, first 2 shown]
	s_mov_b32 s5, 0
	s_mov_b32 s8, 0
	s_mov_b32 s6, exec_lo
                                        ; implicit-def: $sgpr73
	s_waitcnt vmcnt(0)
	ds_write_b128 v134, v[1:4]
	s_waitcnt lgkmcnt(0)
	s_waitcnt_vscnt null, 0x0
	s_barrier
	buffer_gl0_inv
                                        ; implicit-def: $vgpr1_vgpr2
	v_cmpx_ne_u32_e32 0, v0
	s_cbranch_execz .LBB63_873
; %bb.860:
	ds_read_b128 v[1:4], v134
	s_andn2_b32 vcc_lo, exec_lo, s7
	s_cbranch_vccnz .LBB63_862
; %bb.861:
	s_clause 0x3
	buffer_load_dword v135, v133, s[0:3], 0 offen offset:8
	buffer_load_dword v136, v133, s[0:3], 0 offen offset:12
	buffer_load_dword v137, v133, s[0:3], 0 offen
	buffer_load_dword v138, v133, s[0:3], 0 offen offset:4
	s_waitcnt vmcnt(2) lgkmcnt(0)
	v_mul_f64 v[140:141], v[3:4], v[135:136]
	v_mul_f64 v[135:136], v[1:2], v[135:136]
	s_waitcnt vmcnt(0)
	v_fma_f64 v[1:2], v[1:2], v[137:138], -v[140:141]
	v_fma_f64 v[3:4], v[3:4], v[137:138], v[135:136]
.LBB63_862:
	s_and_saveexec_b32 s8, s4
	s_cbranch_execz .LBB63_872
; %bb.863:
	v_add_nc_u32_e32 v136, -2, v0
	v_add_nc_u32_e32 v135, -1, v0
	v_mov_b32_e32 v137, 1
	s_mov_b32 s4, exec_lo
	v_cmpx_lt_u32_e32 6, v136
	s_cbranch_execz .LBB63_867
; %bb.864:
	v_and_b32_e32 v136, -8, v135
	s_movk_i32 s74, 0x410
	s_mov_b32 s73, 0
	s_mov_b32 s75, s72
	;; [unrolled: 1-line block ×3, first 2 shown]
.LBB63_865:                             ; =>This Inner Loop Header: Depth=1
	v_mov_b32_e32 v140, s75
	v_mov_b32_e32 v186, s74
	s_add_i32 s77, s76, 8
	s_add_i32 s76, s76, 9
	v_cmp_eq_u32_e32 vcc_lo, s77, v136
	s_clause 0x1f
	buffer_load_dword v137, v140, s[0:3], 0 offen offset:8
	buffer_load_dword v138, v140, s[0:3], 0 offen offset:12
	buffer_load_dword v148, v140, s[0:3], 0 offen
	buffer_load_dword v149, v140, s[0:3], 0 offen offset:4
	buffer_load_dword v150, v140, s[0:3], 0 offen offset:24
	;; [unrolled: 1-line block ×29, first 2 shown]
	ds_read_b128 v[140:143], v186
	ds_read_b128 v[144:147], v186 offset:16
	s_addk_i32 s74, 0x80
	s_addk_i32 s75, 0x80
	s_or_b32 s73, vcc_lo, s73
	s_waitcnt vmcnt(30) lgkmcnt(1)
	v_mul_f64 v[178:179], v[142:143], v[137:138]
	v_mul_f64 v[137:138], v[140:141], v[137:138]
	s_waitcnt vmcnt(26) lgkmcnt(0)
	v_mul_f64 v[180:181], v[146:147], v[150:151]
	v_mul_f64 v[182:183], v[144:145], v[150:151]
	v_fma_f64 v[178:179], v[140:141], v[148:149], -v[178:179]
	v_fma_f64 v[137:138], v[142:143], v[148:149], v[137:138]
	ds_read_b128 v[140:143], v186 offset:32
	ds_read_b128 v[148:151], v186 offset:48
	s_waitcnt vmcnt(24)
	v_fma_f64 v[144:145], v[144:145], v[152:153], -v[180:181]
	v_fma_f64 v[146:147], v[146:147], v[152:153], v[182:183]
	s_waitcnt vmcnt(22) lgkmcnt(1)
	v_mul_f64 v[184:185], v[142:143], v[154:155]
	v_mul_f64 v[154:155], v[140:141], v[154:155]
	v_add_f64 v[1:2], v[1:2], v[178:179]
	v_add_f64 v[3:4], v[3:4], v[137:138]
	s_waitcnt vmcnt(18) lgkmcnt(0)
	v_mul_f64 v[137:138], v[150:151], v[158:159]
	v_mul_f64 v[152:153], v[148:149], v[158:159]
	v_fma_f64 v[158:159], v[140:141], v[156:157], -v[184:185]
	v_fma_f64 v[154:155], v[142:143], v[156:157], v[154:155]
	v_add_f64 v[144:145], v[1:2], v[144:145]
	v_add_f64 v[146:147], v[3:4], v[146:147]
	ds_read_b128 v[1:4], v186 offset:64
	ds_read_b128 v[140:143], v186 offset:80
	s_waitcnt vmcnt(16)
	v_fma_f64 v[137:138], v[148:149], v[160:161], -v[137:138]
	v_fma_f64 v[148:149], v[150:151], v[160:161], v[152:153]
	s_waitcnt vmcnt(12) lgkmcnt(1)
	v_mul_f64 v[156:157], v[3:4], v[162:163]
	v_mul_f64 v[162:163], v[1:2], v[162:163]
	v_add_f64 v[144:145], v[144:145], v[158:159]
	v_add_f64 v[146:147], v[146:147], v[154:155]
	s_waitcnt vmcnt(10) lgkmcnt(0)
	v_mul_f64 v[150:151], v[142:143], v[164:165]
	v_mul_f64 v[152:153], v[140:141], v[164:165]
	s_waitcnt vmcnt(8)
	v_fma_f64 v[154:155], v[1:2], v[168:169], -v[156:157]
	v_fma_f64 v[156:157], v[3:4], v[168:169], v[162:163]
	v_add_f64 v[137:138], v[144:145], v[137:138]
	v_add_f64 v[148:149], v[146:147], v[148:149]
	ds_read_b128 v[1:4], v186 offset:96
	ds_read_b128 v[144:147], v186 offset:112
	v_fma_f64 v[140:141], v[140:141], v[166:167], -v[150:151]
	v_fma_f64 v[142:143], v[142:143], v[166:167], v[152:153]
	s_waitcnt vmcnt(4) lgkmcnt(1)
	v_mul_f64 v[158:159], v[3:4], v[170:171]
	v_mul_f64 v[160:161], v[1:2], v[170:171]
	v_add_f64 v[137:138], v[137:138], v[154:155]
	v_add_f64 v[148:149], v[148:149], v[156:157]
	s_waitcnt vmcnt(2) lgkmcnt(0)
	v_mul_f64 v[150:151], v[146:147], v[172:173]
	v_mul_f64 v[152:153], v[144:145], v[172:173]
	s_waitcnt vmcnt(0)
	v_fma_f64 v[1:2], v[1:2], v[176:177], -v[158:159]
	v_fma_f64 v[3:4], v[3:4], v[176:177], v[160:161]
	v_add_f64 v[137:138], v[137:138], v[140:141]
	v_add_f64 v[140:141], v[148:149], v[142:143]
	v_fma_f64 v[142:143], v[144:145], v[174:175], -v[150:151]
	v_fma_f64 v[144:145], v[146:147], v[174:175], v[152:153]
	v_add_f64 v[1:2], v[137:138], v[1:2]
	v_add_f64 v[3:4], v[140:141], v[3:4]
	v_mov_b32_e32 v137, s76
	s_mov_b32 s76, s77
	v_add_f64 v[1:2], v[1:2], v[142:143]
	v_add_f64 v[3:4], v[3:4], v[144:145]
	s_andn2_b32 exec_lo, exec_lo, s73
	s_cbranch_execnz .LBB63_865
; %bb.866:
	s_or_b32 exec_lo, exec_lo, s73
.LBB63_867:
	s_or_b32 exec_lo, exec_lo, s4
	v_and_b32_e32 v135, 7, v135
	s_mov_b32 s73, 0
	s_mov_b32 s4, exec_lo
	v_cmpx_ne_u32_e32 0, v135
	s_cbranch_execz .LBB63_871
; %bb.868:
	v_lshlrev_b32_e32 v137, 4, v137
	v_add_nc_u32_e32 v136, 0x400, v137
	.p2align	6
.LBB63_869:                             ; =>This Inner Loop Header: Depth=1
	s_clause 0x3
	buffer_load_dword v144, v137, s[0:3], 0 offen offset:8
	buffer_load_dword v145, v137, s[0:3], 0 offen offset:12
	buffer_load_dword v146, v137, s[0:3], 0 offen
	buffer_load_dword v147, v137, s[0:3], 0 offen offset:4
	ds_read_b128 v[140:143], v136
	v_add_nc_u32_e32 v135, -1, v135
	v_add_nc_u32_e32 v136, 16, v136
	v_add_nc_u32_e32 v137, 16, v137
	v_cmp_eq_u32_e32 vcc_lo, 0, v135
	s_or_b32 s73, vcc_lo, s73
	s_waitcnt vmcnt(2) lgkmcnt(0)
	v_mul_f64 v[148:149], v[142:143], v[144:145]
	v_mul_f64 v[144:145], v[140:141], v[144:145]
	s_waitcnt vmcnt(0)
	v_fma_f64 v[140:141], v[140:141], v[146:147], -v[148:149]
	v_fma_f64 v[142:143], v[142:143], v[146:147], v[144:145]
	v_add_f64 v[1:2], v[1:2], v[140:141]
	v_add_f64 v[3:4], v[3:4], v[142:143]
	s_andn2_b32 exec_lo, exec_lo, s73
	s_cbranch_execnz .LBB63_869
; %bb.870:
	s_or_b32 exec_lo, exec_lo, s73
.LBB63_871:
	s_or_b32 exec_lo, exec_lo, s4
.LBB63_872:
	s_or_b32 exec_lo, exec_lo, s8
	v_mov_b32_e32 v135, 0
	s_mov_b32 s8, exec_lo
	s_or_b32 s73, 0, 8
	ds_read_b128 v[135:138], v135
	s_waitcnt lgkmcnt(0)
	v_mul_f64 v[140:141], v[3:4], v[137:138]
	v_mul_f64 v[137:138], v[1:2], v[137:138]
	v_fma_f64 v[140:141], v[1:2], v[135:136], -v[140:141]
	v_fma_f64 v[1:2], v[3:4], v[135:136], v[137:138]
	buffer_store_dword v141, off, s[0:3], 0 offset:4
	buffer_store_dword v140, off, s[0:3], 0
.LBB63_873:
	s_or_b32 exec_lo, exec_lo, s6
	s_and_b32 vcc_lo, exec_lo, s5
	s_cbranch_vccnz .LBB63_875
	s_branch .LBB63_1386
.LBB63_874:
	s_mov_b32 s8, 0
                                        ; implicit-def: $vgpr1_vgpr2
                                        ; implicit-def: $sgpr73
	s_cbranch_execz .LBB63_1386
.LBB63_875:
	v_mov_b32_e32 v4, s72
	v_cmp_eq_u32_e64 s4, 0, v0
	v_cndmask_b32_e64 v135, 0, 1, s7
	s_clause 0x3
	buffer_load_dword v1, v4, s[0:3], 0 offen
	buffer_load_dword v2, v4, s[0:3], 0 offen offset:4
	buffer_load_dword v3, v4, s[0:3], 0 offen offset:8
	;; [unrolled: 1-line block ×3, first 2 shown]
	s_waitcnt vmcnt(0)
	ds_write_b128 v134, v[1:4]
	s_waitcnt lgkmcnt(0)
	s_waitcnt_vscnt null, 0x0
	s_barrier
	buffer_gl0_inv
	s_and_saveexec_b32 s5, s4
	s_cbranch_execz .LBB63_879
; %bb.876:
	ds_read_b128 v[1:4], v134
	s_andn2_b32 vcc_lo, exec_lo, s7
	s_cbranch_vccnz .LBB63_878
; %bb.877:
	s_clause 0x3
	buffer_load_dword v136, v133, s[0:3], 0 offen offset:8
	buffer_load_dword v137, v133, s[0:3], 0 offen offset:12
	buffer_load_dword v140, v133, s[0:3], 0 offen
	buffer_load_dword v141, v133, s[0:3], 0 offen offset:4
	s_waitcnt vmcnt(2) lgkmcnt(0)
	v_mul_f64 v[142:143], v[3:4], v[136:137]
	v_mul_f64 v[136:137], v[1:2], v[136:137]
	s_waitcnt vmcnt(0)
	v_fma_f64 v[1:2], v[1:2], v[140:141], -v[142:143]
	v_fma_f64 v[3:4], v[3:4], v[140:141], v[136:137]
.LBB63_878:
	v_mov_b32_e32 v136, 0
	ds_read_b128 v[140:143], v136 offset:16
	s_waitcnt lgkmcnt(0)
	v_mul_f64 v[136:137], v[3:4], v[142:143]
	v_mul_f64 v[142:143], v[1:2], v[142:143]
	v_fma_f64 v[1:2], v[1:2], v[140:141], -v[136:137]
	v_fma_f64 v[3:4], v[3:4], v[140:141], v[142:143]
	buffer_store_dword v2, off, s[0:3], 0 offset:20
	buffer_store_dword v1, off, s[0:3], 0 offset:16
	;; [unrolled: 1-line block ×4, first 2 shown]
.LBB63_879:
	s_or_b32 exec_lo, exec_lo, s5
	v_mov_b32_e32 v4, s71
	s_mov_b32 s5, exec_lo
	s_clause 0x3
	buffer_load_dword v1, v4, s[0:3], 0 offen
	buffer_load_dword v2, v4, s[0:3], 0 offen offset:4
	buffer_load_dword v3, v4, s[0:3], 0 offen offset:8
	;; [unrolled: 1-line block ×3, first 2 shown]
	s_waitcnt vmcnt(0)
	ds_write_b128 v134, v[1:4]
	s_waitcnt lgkmcnt(0)
	s_waitcnt_vscnt null, 0x0
	s_barrier
	buffer_gl0_inv
	v_cmpx_gt_u32_e32 2, v0
	s_cbranch_execz .LBB63_885
; %bb.880:
	ds_read_b128 v[1:4], v134
	v_cmp_ne_u32_e32 vcc_lo, 1, v135
	s_cbranch_vccnz .LBB63_882
; %bb.881:
	s_clause 0x3
	buffer_load_dword v136, v133, s[0:3], 0 offen offset:8
	buffer_load_dword v137, v133, s[0:3], 0 offen offset:12
	buffer_load_dword v140, v133, s[0:3], 0 offen
	buffer_load_dword v141, v133, s[0:3], 0 offen offset:4
	s_waitcnt vmcnt(2) lgkmcnt(0)
	v_mul_f64 v[142:143], v[3:4], v[136:137]
	v_mul_f64 v[136:137], v[1:2], v[136:137]
	s_waitcnt vmcnt(0)
	v_fma_f64 v[1:2], v[1:2], v[140:141], -v[142:143]
	v_fma_f64 v[3:4], v[3:4], v[140:141], v[136:137]
.LBB63_882:
	s_and_saveexec_b32 s6, s4
	s_cbranch_execz .LBB63_884
; %bb.883:
	s_clause 0x3
	buffer_load_dword v136, off, s[0:3], 0 offset:24
	buffer_load_dword v137, off, s[0:3], 0 offset:28
	;; [unrolled: 1-line block ×4, first 2 shown]
	v_mov_b32_e32 v138, 0
	ds_read_b128 v[140:143], v138 offset:1040
	s_waitcnt vmcnt(2) lgkmcnt(0)
	v_mul_f64 v[146:147], v[142:143], v[136:137]
	v_mul_f64 v[136:137], v[140:141], v[136:137]
	s_waitcnt vmcnt(0)
	v_fma_f64 v[140:141], v[140:141], v[144:145], -v[146:147]
	v_fma_f64 v[136:137], v[142:143], v[144:145], v[136:137]
	v_add_f64 v[1:2], v[1:2], v[140:141]
	v_add_f64 v[3:4], v[3:4], v[136:137]
.LBB63_884:
	s_or_b32 exec_lo, exec_lo, s6
	v_mov_b32_e32 v136, 0
	ds_read_b128 v[140:143], v136 offset:32
	s_waitcnt lgkmcnt(0)
	v_mul_f64 v[136:137], v[3:4], v[142:143]
	v_mul_f64 v[142:143], v[1:2], v[142:143]
	v_fma_f64 v[1:2], v[1:2], v[140:141], -v[136:137]
	v_fma_f64 v[3:4], v[3:4], v[140:141], v[142:143]
	buffer_store_dword v2, off, s[0:3], 0 offset:36
	buffer_store_dword v1, off, s[0:3], 0 offset:32
	;; [unrolled: 1-line block ×4, first 2 shown]
.LBB63_885:
	s_or_b32 exec_lo, exec_lo, s5
	v_mov_b32_e32 v4, s70
	v_cmp_gt_u32_e64 s5, 3, v0
	s_clause 0x3
	buffer_load_dword v1, v4, s[0:3], 0 offen
	buffer_load_dword v2, v4, s[0:3], 0 offen offset:4
	buffer_load_dword v3, v4, s[0:3], 0 offen offset:8
	;; [unrolled: 1-line block ×3, first 2 shown]
	s_waitcnt vmcnt(0)
	ds_write_b128 v134, v[1:4]
	s_waitcnt lgkmcnt(0)
	s_waitcnt_vscnt null, 0x0
	s_barrier
	buffer_gl0_inv
	s_and_saveexec_b32 s6, s5
	s_cbranch_execz .LBB63_893
; %bb.886:
	ds_read_b128 v[1:4], v134
	v_cmp_ne_u32_e32 vcc_lo, 1, v135
	s_cbranch_vccnz .LBB63_888
; %bb.887:
	s_clause 0x3
	buffer_load_dword v136, v133, s[0:3], 0 offen offset:8
	buffer_load_dword v137, v133, s[0:3], 0 offen offset:12
	buffer_load_dword v140, v133, s[0:3], 0 offen
	buffer_load_dword v141, v133, s[0:3], 0 offen offset:4
	s_waitcnt vmcnt(2) lgkmcnt(0)
	v_mul_f64 v[142:143], v[3:4], v[136:137]
	v_mul_f64 v[136:137], v[1:2], v[136:137]
	s_waitcnt vmcnt(0)
	v_fma_f64 v[1:2], v[1:2], v[140:141], -v[142:143]
	v_fma_f64 v[3:4], v[3:4], v[140:141], v[136:137]
.LBB63_888:
	s_mov_b32 s7, exec_lo
	v_cmpx_ne_u32_e32 2, v0
	s_cbranch_execz .LBB63_892
; %bb.889:
	s_clause 0x3
	buffer_load_dword v136, v133, s[0:3], 0 offen offset:24
	buffer_load_dword v137, v133, s[0:3], 0 offen offset:28
	buffer_load_dword v144, v133, s[0:3], 0 offen offset:16
	buffer_load_dword v145, v133, s[0:3], 0 offen offset:20
	ds_read_b128 v[140:143], v134 offset:16
	s_waitcnt vmcnt(2) lgkmcnt(0)
	v_mul_f64 v[146:147], v[142:143], v[136:137]
	v_mul_f64 v[136:137], v[140:141], v[136:137]
	s_waitcnt vmcnt(0)
	v_fma_f64 v[140:141], v[140:141], v[144:145], -v[146:147]
	v_fma_f64 v[136:137], v[142:143], v[144:145], v[136:137]
	v_add_f64 v[1:2], v[1:2], v[140:141]
	v_add_f64 v[3:4], v[3:4], v[136:137]
	s_and_saveexec_b32 s73, s4
	s_cbranch_execz .LBB63_891
; %bb.890:
	s_clause 0x3
	buffer_load_dword v136, off, s[0:3], 0 offset:40
	buffer_load_dword v137, off, s[0:3], 0 offset:44
	;; [unrolled: 1-line block ×4, first 2 shown]
	v_mov_b32_e32 v138, 0
	ds_read_b128 v[140:143], v138 offset:1056
	s_waitcnt vmcnt(2) lgkmcnt(0)
	v_mul_f64 v[146:147], v[140:141], v[136:137]
	v_mul_f64 v[136:137], v[142:143], v[136:137]
	s_waitcnt vmcnt(0)
	v_fma_f64 v[142:143], v[142:143], v[144:145], v[146:147]
	v_fma_f64 v[136:137], v[140:141], v[144:145], -v[136:137]
	v_add_f64 v[3:4], v[3:4], v[142:143]
	v_add_f64 v[1:2], v[1:2], v[136:137]
.LBB63_891:
	s_or_b32 exec_lo, exec_lo, s73
.LBB63_892:
	s_or_b32 exec_lo, exec_lo, s7
	v_mov_b32_e32 v136, 0
	ds_read_b128 v[140:143], v136 offset:48
	s_waitcnt lgkmcnt(0)
	v_mul_f64 v[136:137], v[3:4], v[142:143]
	v_mul_f64 v[142:143], v[1:2], v[142:143]
	v_fma_f64 v[1:2], v[1:2], v[140:141], -v[136:137]
	v_fma_f64 v[3:4], v[3:4], v[140:141], v[142:143]
	buffer_store_dword v2, off, s[0:3], 0 offset:52
	buffer_store_dword v1, off, s[0:3], 0 offset:48
	;; [unrolled: 1-line block ×4, first 2 shown]
.LBB63_893:
	s_or_b32 exec_lo, exec_lo, s6
	v_mov_b32_e32 v4, s69
	s_mov_b32 s6, exec_lo
	s_clause 0x3
	buffer_load_dword v1, v4, s[0:3], 0 offen
	buffer_load_dword v2, v4, s[0:3], 0 offen offset:4
	buffer_load_dword v3, v4, s[0:3], 0 offen offset:8
	buffer_load_dword v4, v4, s[0:3], 0 offen offset:12
	s_waitcnt vmcnt(0)
	ds_write_b128 v134, v[1:4]
	s_waitcnt lgkmcnt(0)
	s_waitcnt_vscnt null, 0x0
	s_barrier
	buffer_gl0_inv
	v_cmpx_gt_u32_e32 4, v0
	s_cbranch_execz .LBB63_901
; %bb.894:
	ds_read_b128 v[1:4], v134
	v_cmp_ne_u32_e32 vcc_lo, 1, v135
	s_cbranch_vccnz .LBB63_896
; %bb.895:
	s_clause 0x3
	buffer_load_dword v136, v133, s[0:3], 0 offen offset:8
	buffer_load_dword v137, v133, s[0:3], 0 offen offset:12
	buffer_load_dword v140, v133, s[0:3], 0 offen
	buffer_load_dword v141, v133, s[0:3], 0 offen offset:4
	s_waitcnt vmcnt(2) lgkmcnt(0)
	v_mul_f64 v[142:143], v[3:4], v[136:137]
	v_mul_f64 v[136:137], v[1:2], v[136:137]
	s_waitcnt vmcnt(0)
	v_fma_f64 v[1:2], v[1:2], v[140:141], -v[142:143]
	v_fma_f64 v[3:4], v[3:4], v[140:141], v[136:137]
.LBB63_896:
	s_mov_b32 s7, exec_lo
	v_cmpx_ne_u32_e32 3, v0
	s_cbranch_execz .LBB63_900
; %bb.897:
	v_add_nc_u32_e32 v136, 0x410, v139
	v_add3_u32 v137, 0, v139, 16
	v_mov_b32_e32 v138, v0
	s_mov_b32 s73, 0
	.p2align	6
.LBB63_898:                             ; =>This Inner Loop Header: Depth=1
	s_clause 0x3
	buffer_load_dword v144, v137, s[0:3], 0 offen offset:8
	buffer_load_dword v145, v137, s[0:3], 0 offen offset:12
	buffer_load_dword v146, v137, s[0:3], 0 offen
	buffer_load_dword v147, v137, s[0:3], 0 offen offset:4
	ds_read_b128 v[140:143], v136
	v_add_nc_u32_e32 v138, 1, v138
	v_add_nc_u32_e32 v136, 16, v136
	v_add_nc_u32_e32 v137, 16, v137
	v_cmp_lt_u32_e32 vcc_lo, 2, v138
	s_or_b32 s73, vcc_lo, s73
	s_waitcnt vmcnt(2) lgkmcnt(0)
	v_mul_f64 v[148:149], v[142:143], v[144:145]
	v_mul_f64 v[144:145], v[140:141], v[144:145]
	s_waitcnt vmcnt(0)
	v_fma_f64 v[140:141], v[140:141], v[146:147], -v[148:149]
	v_fma_f64 v[142:143], v[142:143], v[146:147], v[144:145]
	v_add_f64 v[1:2], v[1:2], v[140:141]
	v_add_f64 v[3:4], v[3:4], v[142:143]
	s_andn2_b32 exec_lo, exec_lo, s73
	s_cbranch_execnz .LBB63_898
; %bb.899:
	s_or_b32 exec_lo, exec_lo, s73
.LBB63_900:
	s_or_b32 exec_lo, exec_lo, s7
	v_mov_b32_e32 v136, 0
	ds_read_b128 v[140:143], v136 offset:64
	s_waitcnt lgkmcnt(0)
	v_mul_f64 v[136:137], v[3:4], v[142:143]
	v_mul_f64 v[142:143], v[1:2], v[142:143]
	v_fma_f64 v[1:2], v[1:2], v[140:141], -v[136:137]
	v_fma_f64 v[3:4], v[3:4], v[140:141], v[142:143]
	buffer_store_dword v2, off, s[0:3], 0 offset:68
	buffer_store_dword v1, off, s[0:3], 0 offset:64
	;; [unrolled: 1-line block ×4, first 2 shown]
.LBB63_901:
	s_or_b32 exec_lo, exec_lo, s6
	v_mov_b32_e32 v4, s68
	v_cmp_gt_u32_e64 s6, 5, v0
	s_clause 0x3
	buffer_load_dword v1, v4, s[0:3], 0 offen
	buffer_load_dword v2, v4, s[0:3], 0 offen offset:4
	buffer_load_dword v3, v4, s[0:3], 0 offen offset:8
	;; [unrolled: 1-line block ×3, first 2 shown]
	s_waitcnt vmcnt(0)
	ds_write_b128 v134, v[1:4]
	s_waitcnt lgkmcnt(0)
	s_waitcnt_vscnt null, 0x0
	s_barrier
	buffer_gl0_inv
	s_and_saveexec_b32 s7, s6
	s_cbranch_execz .LBB63_909
; %bb.902:
	ds_read_b128 v[1:4], v134
	v_cmp_ne_u32_e32 vcc_lo, 1, v135
	s_cbranch_vccnz .LBB63_904
; %bb.903:
	s_clause 0x3
	buffer_load_dword v136, v133, s[0:3], 0 offen offset:8
	buffer_load_dword v137, v133, s[0:3], 0 offen offset:12
	buffer_load_dword v140, v133, s[0:3], 0 offen
	buffer_load_dword v141, v133, s[0:3], 0 offen offset:4
	s_waitcnt vmcnt(2) lgkmcnt(0)
	v_mul_f64 v[142:143], v[3:4], v[136:137]
	v_mul_f64 v[136:137], v[1:2], v[136:137]
	s_waitcnt vmcnt(0)
	v_fma_f64 v[1:2], v[1:2], v[140:141], -v[142:143]
	v_fma_f64 v[3:4], v[3:4], v[140:141], v[136:137]
.LBB63_904:
	s_mov_b32 s73, exec_lo
	v_cmpx_ne_u32_e32 4, v0
	s_cbranch_execz .LBB63_908
; %bb.905:
	v_add_nc_u32_e32 v136, 0x410, v139
	v_add3_u32 v137, 0, v139, 16
	v_mov_b32_e32 v138, v0
	s_mov_b32 s74, 0
	.p2align	6
.LBB63_906:                             ; =>This Inner Loop Header: Depth=1
	s_clause 0x3
	buffer_load_dword v144, v137, s[0:3], 0 offen offset:8
	buffer_load_dword v145, v137, s[0:3], 0 offen offset:12
	buffer_load_dword v146, v137, s[0:3], 0 offen
	buffer_load_dword v147, v137, s[0:3], 0 offen offset:4
	ds_read_b128 v[140:143], v136
	v_add_nc_u32_e32 v138, 1, v138
	v_add_nc_u32_e32 v136, 16, v136
	;; [unrolled: 1-line block ×3, first 2 shown]
	v_cmp_lt_u32_e32 vcc_lo, 3, v138
	s_or_b32 s74, vcc_lo, s74
	s_waitcnt vmcnt(2) lgkmcnt(0)
	v_mul_f64 v[148:149], v[142:143], v[144:145]
	v_mul_f64 v[144:145], v[140:141], v[144:145]
	s_waitcnt vmcnt(0)
	v_fma_f64 v[140:141], v[140:141], v[146:147], -v[148:149]
	v_fma_f64 v[142:143], v[142:143], v[146:147], v[144:145]
	v_add_f64 v[1:2], v[1:2], v[140:141]
	v_add_f64 v[3:4], v[3:4], v[142:143]
	s_andn2_b32 exec_lo, exec_lo, s74
	s_cbranch_execnz .LBB63_906
; %bb.907:
	s_or_b32 exec_lo, exec_lo, s74
.LBB63_908:
	s_or_b32 exec_lo, exec_lo, s73
	v_mov_b32_e32 v136, 0
	ds_read_b128 v[140:143], v136 offset:80
	s_waitcnt lgkmcnt(0)
	v_mul_f64 v[136:137], v[3:4], v[142:143]
	v_mul_f64 v[142:143], v[1:2], v[142:143]
	v_fma_f64 v[1:2], v[1:2], v[140:141], -v[136:137]
	v_fma_f64 v[3:4], v[3:4], v[140:141], v[142:143]
	buffer_store_dword v2, off, s[0:3], 0 offset:84
	buffer_store_dword v1, off, s[0:3], 0 offset:80
	buffer_store_dword v4, off, s[0:3], 0 offset:92
	buffer_store_dword v3, off, s[0:3], 0 offset:88
.LBB63_909:
	s_or_b32 exec_lo, exec_lo, s7
	v_mov_b32_e32 v4, s67
	s_mov_b32 s7, exec_lo
	s_clause 0x3
	buffer_load_dword v1, v4, s[0:3], 0 offen
	buffer_load_dword v2, v4, s[0:3], 0 offen offset:4
	buffer_load_dword v3, v4, s[0:3], 0 offen offset:8
	;; [unrolled: 1-line block ×3, first 2 shown]
	s_waitcnt vmcnt(0)
	ds_write_b128 v134, v[1:4]
	s_waitcnt lgkmcnt(0)
	s_waitcnt_vscnt null, 0x0
	s_barrier
	buffer_gl0_inv
	v_cmpx_gt_u32_e32 6, v0
	s_cbranch_execz .LBB63_917
; %bb.910:
	ds_read_b128 v[1:4], v134
	v_cmp_ne_u32_e32 vcc_lo, 1, v135
	s_cbranch_vccnz .LBB63_912
; %bb.911:
	s_clause 0x3
	buffer_load_dword v136, v133, s[0:3], 0 offen offset:8
	buffer_load_dword v137, v133, s[0:3], 0 offen offset:12
	buffer_load_dword v140, v133, s[0:3], 0 offen
	buffer_load_dword v141, v133, s[0:3], 0 offen offset:4
	s_waitcnt vmcnt(2) lgkmcnt(0)
	v_mul_f64 v[142:143], v[3:4], v[136:137]
	v_mul_f64 v[136:137], v[1:2], v[136:137]
	s_waitcnt vmcnt(0)
	v_fma_f64 v[1:2], v[1:2], v[140:141], -v[142:143]
	v_fma_f64 v[3:4], v[3:4], v[140:141], v[136:137]
.LBB63_912:
	s_mov_b32 s73, exec_lo
	v_cmpx_ne_u32_e32 5, v0
	s_cbranch_execz .LBB63_916
; %bb.913:
	v_add_nc_u32_e32 v136, 0x410, v139
	v_add3_u32 v137, 0, v139, 16
	v_mov_b32_e32 v138, v0
	s_mov_b32 s74, 0
	.p2align	6
.LBB63_914:                             ; =>This Inner Loop Header: Depth=1
	s_clause 0x3
	buffer_load_dword v144, v137, s[0:3], 0 offen offset:8
	buffer_load_dword v145, v137, s[0:3], 0 offen offset:12
	buffer_load_dword v146, v137, s[0:3], 0 offen
	buffer_load_dword v147, v137, s[0:3], 0 offen offset:4
	ds_read_b128 v[140:143], v136
	v_add_nc_u32_e32 v138, 1, v138
	v_add_nc_u32_e32 v136, 16, v136
	;; [unrolled: 1-line block ×3, first 2 shown]
	v_cmp_lt_u32_e32 vcc_lo, 4, v138
	s_or_b32 s74, vcc_lo, s74
	s_waitcnt vmcnt(2) lgkmcnt(0)
	v_mul_f64 v[148:149], v[142:143], v[144:145]
	v_mul_f64 v[144:145], v[140:141], v[144:145]
	s_waitcnt vmcnt(0)
	v_fma_f64 v[140:141], v[140:141], v[146:147], -v[148:149]
	v_fma_f64 v[142:143], v[142:143], v[146:147], v[144:145]
	v_add_f64 v[1:2], v[1:2], v[140:141]
	v_add_f64 v[3:4], v[3:4], v[142:143]
	s_andn2_b32 exec_lo, exec_lo, s74
	s_cbranch_execnz .LBB63_914
; %bb.915:
	s_or_b32 exec_lo, exec_lo, s74
.LBB63_916:
	s_or_b32 exec_lo, exec_lo, s73
	v_mov_b32_e32 v136, 0
	ds_read_b128 v[140:143], v136 offset:96
	s_waitcnt lgkmcnt(0)
	v_mul_f64 v[136:137], v[3:4], v[142:143]
	v_mul_f64 v[142:143], v[1:2], v[142:143]
	v_fma_f64 v[1:2], v[1:2], v[140:141], -v[136:137]
	v_fma_f64 v[3:4], v[3:4], v[140:141], v[142:143]
	buffer_store_dword v2, off, s[0:3], 0 offset:100
	buffer_store_dword v1, off, s[0:3], 0 offset:96
	;; [unrolled: 1-line block ×4, first 2 shown]
.LBB63_917:
	s_or_b32 exec_lo, exec_lo, s7
	v_mov_b32_e32 v4, s66
	v_cmp_gt_u32_e64 s7, 7, v0
	s_clause 0x3
	buffer_load_dword v1, v4, s[0:3], 0 offen
	buffer_load_dword v2, v4, s[0:3], 0 offen offset:4
	buffer_load_dword v3, v4, s[0:3], 0 offen offset:8
	;; [unrolled: 1-line block ×3, first 2 shown]
	s_waitcnt vmcnt(0)
	ds_write_b128 v134, v[1:4]
	s_waitcnt lgkmcnt(0)
	s_waitcnt_vscnt null, 0x0
	s_barrier
	buffer_gl0_inv
	s_and_saveexec_b32 s73, s7
	s_cbranch_execz .LBB63_925
; %bb.918:
	ds_read_b128 v[1:4], v134
	v_cmp_ne_u32_e32 vcc_lo, 1, v135
	s_cbranch_vccnz .LBB63_920
; %bb.919:
	s_clause 0x3
	buffer_load_dword v136, v133, s[0:3], 0 offen offset:8
	buffer_load_dword v137, v133, s[0:3], 0 offen offset:12
	buffer_load_dword v140, v133, s[0:3], 0 offen
	buffer_load_dword v141, v133, s[0:3], 0 offen offset:4
	s_waitcnt vmcnt(2) lgkmcnt(0)
	v_mul_f64 v[142:143], v[3:4], v[136:137]
	v_mul_f64 v[136:137], v[1:2], v[136:137]
	s_waitcnt vmcnt(0)
	v_fma_f64 v[1:2], v[1:2], v[140:141], -v[142:143]
	v_fma_f64 v[3:4], v[3:4], v[140:141], v[136:137]
.LBB63_920:
	s_mov_b32 s74, exec_lo
	v_cmpx_ne_u32_e32 6, v0
	s_cbranch_execz .LBB63_924
; %bb.921:
	v_add_nc_u32_e32 v136, 0x410, v139
	v_add3_u32 v137, 0, v139, 16
	v_mov_b32_e32 v138, v0
	s_mov_b32 s75, 0
	.p2align	6
.LBB63_922:                             ; =>This Inner Loop Header: Depth=1
	s_clause 0x3
	buffer_load_dword v144, v137, s[0:3], 0 offen offset:8
	buffer_load_dword v145, v137, s[0:3], 0 offen offset:12
	buffer_load_dword v146, v137, s[0:3], 0 offen
	buffer_load_dword v147, v137, s[0:3], 0 offen offset:4
	ds_read_b128 v[140:143], v136
	v_add_nc_u32_e32 v138, 1, v138
	v_add_nc_u32_e32 v136, 16, v136
	;; [unrolled: 1-line block ×3, first 2 shown]
	v_cmp_lt_u32_e32 vcc_lo, 5, v138
	s_or_b32 s75, vcc_lo, s75
	s_waitcnt vmcnt(2) lgkmcnt(0)
	v_mul_f64 v[148:149], v[142:143], v[144:145]
	v_mul_f64 v[144:145], v[140:141], v[144:145]
	s_waitcnt vmcnt(0)
	v_fma_f64 v[140:141], v[140:141], v[146:147], -v[148:149]
	v_fma_f64 v[142:143], v[142:143], v[146:147], v[144:145]
	v_add_f64 v[1:2], v[1:2], v[140:141]
	v_add_f64 v[3:4], v[3:4], v[142:143]
	s_andn2_b32 exec_lo, exec_lo, s75
	s_cbranch_execnz .LBB63_922
; %bb.923:
	s_or_b32 exec_lo, exec_lo, s75
.LBB63_924:
	s_or_b32 exec_lo, exec_lo, s74
	v_mov_b32_e32 v136, 0
	ds_read_b128 v[140:143], v136 offset:112
	s_waitcnt lgkmcnt(0)
	v_mul_f64 v[136:137], v[3:4], v[142:143]
	v_mul_f64 v[142:143], v[1:2], v[142:143]
	v_fma_f64 v[1:2], v[1:2], v[140:141], -v[136:137]
	v_fma_f64 v[3:4], v[3:4], v[140:141], v[142:143]
	buffer_store_dword v2, off, s[0:3], 0 offset:116
	buffer_store_dword v1, off, s[0:3], 0 offset:112
	;; [unrolled: 1-line block ×4, first 2 shown]
.LBB63_925:
	s_or_b32 exec_lo, exec_lo, s73
	v_mov_b32_e32 v4, s65
	s_mov_b32 s73, exec_lo
	s_clause 0x3
	buffer_load_dword v1, v4, s[0:3], 0 offen
	buffer_load_dword v2, v4, s[0:3], 0 offen offset:4
	buffer_load_dword v3, v4, s[0:3], 0 offen offset:8
	;; [unrolled: 1-line block ×3, first 2 shown]
	s_waitcnt vmcnt(0)
	ds_write_b128 v134, v[1:4]
	s_waitcnt lgkmcnt(0)
	s_waitcnt_vscnt null, 0x0
	s_barrier
	buffer_gl0_inv
	v_cmpx_gt_u32_e32 8, v0
	s_cbranch_execz .LBB63_933
; %bb.926:
	ds_read_b128 v[1:4], v134
	v_cmp_ne_u32_e32 vcc_lo, 1, v135
	s_cbranch_vccnz .LBB63_928
; %bb.927:
	s_clause 0x3
	buffer_load_dword v136, v133, s[0:3], 0 offen offset:8
	buffer_load_dword v137, v133, s[0:3], 0 offen offset:12
	buffer_load_dword v140, v133, s[0:3], 0 offen
	buffer_load_dword v141, v133, s[0:3], 0 offen offset:4
	s_waitcnt vmcnt(2) lgkmcnt(0)
	v_mul_f64 v[142:143], v[3:4], v[136:137]
	v_mul_f64 v[136:137], v[1:2], v[136:137]
	s_waitcnt vmcnt(0)
	v_fma_f64 v[1:2], v[1:2], v[140:141], -v[142:143]
	v_fma_f64 v[3:4], v[3:4], v[140:141], v[136:137]
.LBB63_928:
	s_mov_b32 s74, exec_lo
	v_cmpx_ne_u32_e32 7, v0
	s_cbranch_execz .LBB63_932
; %bb.929:
	v_add_nc_u32_e32 v136, 0x410, v139
	v_add3_u32 v137, 0, v139, 16
	v_mov_b32_e32 v138, v0
	s_mov_b32 s75, 0
	.p2align	6
.LBB63_930:                             ; =>This Inner Loop Header: Depth=1
	s_clause 0x3
	buffer_load_dword v144, v137, s[0:3], 0 offen offset:8
	buffer_load_dword v145, v137, s[0:3], 0 offen offset:12
	buffer_load_dword v146, v137, s[0:3], 0 offen
	buffer_load_dword v147, v137, s[0:3], 0 offen offset:4
	ds_read_b128 v[140:143], v136
	v_add_nc_u32_e32 v138, 1, v138
	v_add_nc_u32_e32 v136, 16, v136
	;; [unrolled: 1-line block ×3, first 2 shown]
	v_cmp_lt_u32_e32 vcc_lo, 6, v138
	s_or_b32 s75, vcc_lo, s75
	s_waitcnt vmcnt(2) lgkmcnt(0)
	v_mul_f64 v[148:149], v[142:143], v[144:145]
	v_mul_f64 v[144:145], v[140:141], v[144:145]
	s_waitcnt vmcnt(0)
	v_fma_f64 v[140:141], v[140:141], v[146:147], -v[148:149]
	v_fma_f64 v[142:143], v[142:143], v[146:147], v[144:145]
	v_add_f64 v[1:2], v[1:2], v[140:141]
	v_add_f64 v[3:4], v[3:4], v[142:143]
	s_andn2_b32 exec_lo, exec_lo, s75
	s_cbranch_execnz .LBB63_930
; %bb.931:
	s_or_b32 exec_lo, exec_lo, s75
.LBB63_932:
	s_or_b32 exec_lo, exec_lo, s74
	v_mov_b32_e32 v136, 0
	ds_read_b128 v[140:143], v136 offset:128
	s_waitcnt lgkmcnt(0)
	v_mul_f64 v[136:137], v[3:4], v[142:143]
	v_mul_f64 v[142:143], v[1:2], v[142:143]
	v_fma_f64 v[1:2], v[1:2], v[140:141], -v[136:137]
	v_fma_f64 v[3:4], v[3:4], v[140:141], v[142:143]
	buffer_store_dword v2, off, s[0:3], 0 offset:132
	buffer_store_dword v1, off, s[0:3], 0 offset:128
	;; [unrolled: 1-line block ×4, first 2 shown]
.LBB63_933:
	s_or_b32 exec_lo, exec_lo, s73
	v_mov_b32_e32 v4, s64
	s_mov_b32 s73, exec_lo
	s_clause 0x3
	buffer_load_dword v1, v4, s[0:3], 0 offen
	buffer_load_dword v2, v4, s[0:3], 0 offen offset:4
	buffer_load_dword v3, v4, s[0:3], 0 offen offset:8
	;; [unrolled: 1-line block ×3, first 2 shown]
	s_waitcnt vmcnt(0)
	ds_write_b128 v134, v[1:4]
	s_waitcnt lgkmcnt(0)
	s_waitcnt_vscnt null, 0x0
	s_barrier
	buffer_gl0_inv
	v_cmpx_gt_u32_e32 9, v0
	s_cbranch_execz .LBB63_953
; %bb.934:
	ds_read_b128 v[1:4], v134
	v_cmp_ne_u32_e32 vcc_lo, 1, v135
	s_cbranch_vccnz .LBB63_936
; %bb.935:
	s_clause 0x3
	buffer_load_dword v136, v133, s[0:3], 0 offen offset:8
	buffer_load_dword v137, v133, s[0:3], 0 offen offset:12
	buffer_load_dword v140, v133, s[0:3], 0 offen
	buffer_load_dword v141, v133, s[0:3], 0 offen offset:4
	s_waitcnt vmcnt(2) lgkmcnt(0)
	v_mul_f64 v[142:143], v[3:4], v[136:137]
	v_mul_f64 v[136:137], v[1:2], v[136:137]
	s_waitcnt vmcnt(0)
	v_fma_f64 v[1:2], v[1:2], v[140:141], -v[142:143]
	v_fma_f64 v[3:4], v[3:4], v[140:141], v[136:137]
.LBB63_936:
	s_mov_b32 s74, exec_lo
	v_cmpx_ne_u32_e32 8, v0
	s_cbranch_execz .LBB63_952
; %bb.937:
	s_clause 0x3
	buffer_load_dword v136, v133, s[0:3], 0 offen offset:24
	buffer_load_dword v137, v133, s[0:3], 0 offen offset:28
	buffer_load_dword v144, v133, s[0:3], 0 offen offset:16
	buffer_load_dword v145, v133, s[0:3], 0 offen offset:20
	ds_read_b128 v[140:143], v134 offset:16
	s_waitcnt vmcnt(2) lgkmcnt(0)
	v_mul_f64 v[146:147], v[142:143], v[136:137]
	v_mul_f64 v[136:137], v[140:141], v[136:137]
	s_waitcnt vmcnt(0)
	v_fma_f64 v[140:141], v[140:141], v[144:145], -v[146:147]
	v_fma_f64 v[136:137], v[142:143], v[144:145], v[136:137]
	v_add_f64 v[1:2], v[1:2], v[140:141]
	v_add_f64 v[3:4], v[3:4], v[136:137]
	s_and_saveexec_b32 s75, s7
	s_cbranch_execz .LBB63_951
; %bb.938:
	s_clause 0x3
	buffer_load_dword v136, v133, s[0:3], 0 offen offset:40
	buffer_load_dword v137, v133, s[0:3], 0 offen offset:44
	buffer_load_dword v144, v133, s[0:3], 0 offen offset:32
	buffer_load_dword v145, v133, s[0:3], 0 offen offset:36
	ds_read_b128 v[140:143], v134 offset:32
	s_mov_b32 s7, exec_lo
	s_waitcnt vmcnt(2) lgkmcnt(0)
	v_mul_f64 v[146:147], v[142:143], v[136:137]
	v_mul_f64 v[136:137], v[140:141], v[136:137]
	s_waitcnt vmcnt(0)
	v_fma_f64 v[140:141], v[140:141], v[144:145], -v[146:147]
	v_fma_f64 v[136:137], v[142:143], v[144:145], v[136:137]
	v_add_f64 v[1:2], v[1:2], v[140:141]
	v_add_f64 v[3:4], v[3:4], v[136:137]
	v_cmpx_ne_u32_e32 6, v0
	s_cbranch_execz .LBB63_950
; %bb.939:
	s_clause 0x3
	buffer_load_dword v136, v133, s[0:3], 0 offen offset:56
	buffer_load_dword v137, v133, s[0:3], 0 offen offset:60
	buffer_load_dword v144, v133, s[0:3], 0 offen offset:48
	buffer_load_dword v145, v133, s[0:3], 0 offen offset:52
	ds_read_b128 v[140:143], v134 offset:48
	s_waitcnt vmcnt(2) lgkmcnt(0)
	v_mul_f64 v[146:147], v[142:143], v[136:137]
	v_mul_f64 v[136:137], v[140:141], v[136:137]
	s_waitcnt vmcnt(0)
	v_fma_f64 v[140:141], v[140:141], v[144:145], -v[146:147]
	v_fma_f64 v[136:137], v[142:143], v[144:145], v[136:137]
	v_add_f64 v[1:2], v[1:2], v[140:141]
	v_add_f64 v[3:4], v[3:4], v[136:137]
	s_and_saveexec_b32 s76, s6
	s_cbranch_execz .LBB63_949
; %bb.940:
	s_clause 0x3
	buffer_load_dword v136, v133, s[0:3], 0 offen offset:72
	buffer_load_dword v137, v133, s[0:3], 0 offen offset:76
	buffer_load_dword v144, v133, s[0:3], 0 offen offset:64
	buffer_load_dword v145, v133, s[0:3], 0 offen offset:68
	ds_read_b128 v[140:143], v134 offset:64
	s_mov_b32 s6, exec_lo
	s_waitcnt vmcnt(2) lgkmcnt(0)
	v_mul_f64 v[146:147], v[142:143], v[136:137]
	v_mul_f64 v[136:137], v[140:141], v[136:137]
	s_waitcnt vmcnt(0)
	v_fma_f64 v[140:141], v[140:141], v[144:145], -v[146:147]
	v_fma_f64 v[136:137], v[142:143], v[144:145], v[136:137]
	v_add_f64 v[1:2], v[1:2], v[140:141]
	v_add_f64 v[3:4], v[3:4], v[136:137]
	;; [unrolled: 35-line block ×3, first 2 shown]
	v_cmpx_ne_u32_e32 2, v0
	s_cbranch_execz .LBB63_946
; %bb.943:
	s_clause 0x3
	buffer_load_dword v136, v133, s[0:3], 0 offen offset:120
	buffer_load_dword v137, v133, s[0:3], 0 offen offset:124
	;; [unrolled: 1-line block ×4, first 2 shown]
	ds_read_b128 v[140:143], v134 offset:112
	s_waitcnt vmcnt(2) lgkmcnt(0)
	v_mul_f64 v[146:147], v[142:143], v[136:137]
	v_mul_f64 v[136:137], v[140:141], v[136:137]
	s_waitcnt vmcnt(0)
	v_fma_f64 v[140:141], v[140:141], v[144:145], -v[146:147]
	v_fma_f64 v[136:137], v[142:143], v[144:145], v[136:137]
	v_add_f64 v[1:2], v[1:2], v[140:141]
	v_add_f64 v[3:4], v[3:4], v[136:137]
	s_and_saveexec_b32 s78, s4
	s_cbranch_execz .LBB63_945
; %bb.944:
	s_clause 0x3
	buffer_load_dword v136, v133, s[0:3], 0 offen offset:136
	buffer_load_dword v137, v133, s[0:3], 0 offen offset:140
	;; [unrolled: 1-line block ×4, first 2 shown]
	ds_read_b128 v[140:143], v134 offset:128
	s_waitcnt vmcnt(2) lgkmcnt(0)
	v_mul_f64 v[146:147], v[142:143], v[136:137]
	v_mul_f64 v[136:137], v[140:141], v[136:137]
	s_waitcnt vmcnt(0)
	v_fma_f64 v[140:141], v[140:141], v[144:145], -v[146:147]
	v_fma_f64 v[136:137], v[142:143], v[144:145], v[136:137]
	v_add_f64 v[1:2], v[1:2], v[140:141]
	v_add_f64 v[3:4], v[3:4], v[136:137]
.LBB63_945:
	s_or_b32 exec_lo, exec_lo, s78
.LBB63_946:
	s_or_b32 exec_lo, exec_lo, s5
.LBB63_947:
	s_or_b32 exec_lo, exec_lo, s77
.LBB63_948:
	s_or_b32 exec_lo, exec_lo, s6
.LBB63_949:
	s_or_b32 exec_lo, exec_lo, s76
.LBB63_950:
	s_or_b32 exec_lo, exec_lo, s7
.LBB63_951:
	s_or_b32 exec_lo, exec_lo, s75
.LBB63_952:
	s_or_b32 exec_lo, exec_lo, s74
	v_mov_b32_e32 v136, 0
	ds_read_b128 v[140:143], v136 offset:144
	s_waitcnt lgkmcnt(0)
	v_mul_f64 v[136:137], v[3:4], v[142:143]
	v_mul_f64 v[142:143], v[1:2], v[142:143]
	v_fma_f64 v[1:2], v[1:2], v[140:141], -v[136:137]
	v_fma_f64 v[3:4], v[3:4], v[140:141], v[142:143]
	buffer_store_dword v2, off, s[0:3], 0 offset:148
	buffer_store_dword v1, off, s[0:3], 0 offset:144
	;; [unrolled: 1-line block ×4, first 2 shown]
.LBB63_953:
	s_or_b32 exec_lo, exec_lo, s73
	v_mov_b32_e32 v4, s63
	s_mov_b32 s4, exec_lo
	s_clause 0x3
	buffer_load_dword v1, v4, s[0:3], 0 offen
	buffer_load_dword v2, v4, s[0:3], 0 offen offset:4
	buffer_load_dword v3, v4, s[0:3], 0 offen offset:8
	;; [unrolled: 1-line block ×3, first 2 shown]
	s_waitcnt vmcnt(0)
	ds_write_b128 v134, v[1:4]
	s_waitcnt lgkmcnt(0)
	s_waitcnt_vscnt null, 0x0
	s_barrier
	buffer_gl0_inv
	v_cmpx_gt_u32_e32 10, v0
	s_cbranch_execz .LBB63_961
; %bb.954:
	ds_read_b128 v[1:4], v134
	v_cmp_ne_u32_e32 vcc_lo, 1, v135
	s_cbranch_vccnz .LBB63_956
; %bb.955:
	s_clause 0x3
	buffer_load_dword v136, v133, s[0:3], 0 offen offset:8
	buffer_load_dword v137, v133, s[0:3], 0 offen offset:12
	buffer_load_dword v140, v133, s[0:3], 0 offen
	buffer_load_dword v141, v133, s[0:3], 0 offen offset:4
	s_waitcnt vmcnt(2) lgkmcnt(0)
	v_mul_f64 v[142:143], v[3:4], v[136:137]
	v_mul_f64 v[136:137], v[1:2], v[136:137]
	s_waitcnt vmcnt(0)
	v_fma_f64 v[1:2], v[1:2], v[140:141], -v[142:143]
	v_fma_f64 v[3:4], v[3:4], v[140:141], v[136:137]
.LBB63_956:
	s_mov_b32 s5, exec_lo
	v_cmpx_ne_u32_e32 9, v0
	s_cbranch_execz .LBB63_960
; %bb.957:
	v_add_nc_u32_e32 v136, 0x410, v139
	v_add3_u32 v137, 0, v139, 16
	v_mov_b32_e32 v138, v0
	s_mov_b32 s6, 0
	.p2align	6
.LBB63_958:                             ; =>This Inner Loop Header: Depth=1
	s_clause 0x3
	buffer_load_dword v144, v137, s[0:3], 0 offen offset:8
	buffer_load_dword v145, v137, s[0:3], 0 offen offset:12
	buffer_load_dword v146, v137, s[0:3], 0 offen
	buffer_load_dword v147, v137, s[0:3], 0 offen offset:4
	ds_read_b128 v[140:143], v136
	v_add_nc_u32_e32 v138, 1, v138
	v_add_nc_u32_e32 v136, 16, v136
	;; [unrolled: 1-line block ×3, first 2 shown]
	v_cmp_lt_u32_e32 vcc_lo, 8, v138
	s_or_b32 s6, vcc_lo, s6
	s_waitcnt vmcnt(2) lgkmcnt(0)
	v_mul_f64 v[148:149], v[142:143], v[144:145]
	v_mul_f64 v[144:145], v[140:141], v[144:145]
	s_waitcnt vmcnt(0)
	v_fma_f64 v[140:141], v[140:141], v[146:147], -v[148:149]
	v_fma_f64 v[142:143], v[142:143], v[146:147], v[144:145]
	v_add_f64 v[1:2], v[1:2], v[140:141]
	v_add_f64 v[3:4], v[3:4], v[142:143]
	s_andn2_b32 exec_lo, exec_lo, s6
	s_cbranch_execnz .LBB63_958
; %bb.959:
	s_or_b32 exec_lo, exec_lo, s6
.LBB63_960:
	s_or_b32 exec_lo, exec_lo, s5
	v_mov_b32_e32 v136, 0
	ds_read_b128 v[140:143], v136 offset:160
	s_waitcnt lgkmcnt(0)
	v_mul_f64 v[136:137], v[3:4], v[142:143]
	v_mul_f64 v[142:143], v[1:2], v[142:143]
	v_fma_f64 v[1:2], v[1:2], v[140:141], -v[136:137]
	v_fma_f64 v[3:4], v[3:4], v[140:141], v[142:143]
	buffer_store_dword v2, off, s[0:3], 0 offset:164
	buffer_store_dword v1, off, s[0:3], 0 offset:160
	;; [unrolled: 1-line block ×4, first 2 shown]
.LBB63_961:
	s_or_b32 exec_lo, exec_lo, s4
	v_mov_b32_e32 v4, s62
	s_mov_b32 s4, exec_lo
	s_clause 0x3
	buffer_load_dword v1, v4, s[0:3], 0 offen
	buffer_load_dword v2, v4, s[0:3], 0 offen offset:4
	buffer_load_dword v3, v4, s[0:3], 0 offen offset:8
	;; [unrolled: 1-line block ×3, first 2 shown]
	s_waitcnt vmcnt(0)
	ds_write_b128 v134, v[1:4]
	s_waitcnt lgkmcnt(0)
	s_waitcnt_vscnt null, 0x0
	s_barrier
	buffer_gl0_inv
	v_cmpx_gt_u32_e32 11, v0
	s_cbranch_execz .LBB63_969
; %bb.962:
	ds_read_b128 v[1:4], v134
	v_cmp_ne_u32_e32 vcc_lo, 1, v135
	s_cbranch_vccnz .LBB63_964
; %bb.963:
	s_clause 0x3
	buffer_load_dword v136, v133, s[0:3], 0 offen offset:8
	buffer_load_dword v137, v133, s[0:3], 0 offen offset:12
	buffer_load_dword v140, v133, s[0:3], 0 offen
	buffer_load_dword v141, v133, s[0:3], 0 offen offset:4
	s_waitcnt vmcnt(2) lgkmcnt(0)
	v_mul_f64 v[142:143], v[3:4], v[136:137]
	v_mul_f64 v[136:137], v[1:2], v[136:137]
	s_waitcnt vmcnt(0)
	v_fma_f64 v[1:2], v[1:2], v[140:141], -v[142:143]
	v_fma_f64 v[3:4], v[3:4], v[140:141], v[136:137]
.LBB63_964:
	s_mov_b32 s5, exec_lo
	v_cmpx_ne_u32_e32 10, v0
	s_cbranch_execz .LBB63_968
; %bb.965:
	v_add_nc_u32_e32 v136, 0x410, v139
	v_add3_u32 v137, 0, v139, 16
	v_mov_b32_e32 v138, v0
	s_mov_b32 s6, 0
	.p2align	6
.LBB63_966:                             ; =>This Inner Loop Header: Depth=1
	s_clause 0x3
	buffer_load_dword v144, v137, s[0:3], 0 offen offset:8
	buffer_load_dword v145, v137, s[0:3], 0 offen offset:12
	buffer_load_dword v146, v137, s[0:3], 0 offen
	buffer_load_dword v147, v137, s[0:3], 0 offen offset:4
	ds_read_b128 v[140:143], v136
	v_add_nc_u32_e32 v138, 1, v138
	v_add_nc_u32_e32 v136, 16, v136
	;; [unrolled: 1-line block ×3, first 2 shown]
	v_cmp_lt_u32_e32 vcc_lo, 9, v138
	s_or_b32 s6, vcc_lo, s6
	s_waitcnt vmcnt(2) lgkmcnt(0)
	v_mul_f64 v[148:149], v[142:143], v[144:145]
	v_mul_f64 v[144:145], v[140:141], v[144:145]
	s_waitcnt vmcnt(0)
	v_fma_f64 v[140:141], v[140:141], v[146:147], -v[148:149]
	v_fma_f64 v[142:143], v[142:143], v[146:147], v[144:145]
	v_add_f64 v[1:2], v[1:2], v[140:141]
	v_add_f64 v[3:4], v[3:4], v[142:143]
	s_andn2_b32 exec_lo, exec_lo, s6
	s_cbranch_execnz .LBB63_966
; %bb.967:
	s_or_b32 exec_lo, exec_lo, s6
.LBB63_968:
	s_or_b32 exec_lo, exec_lo, s5
	v_mov_b32_e32 v136, 0
	ds_read_b128 v[140:143], v136 offset:176
	s_waitcnt lgkmcnt(0)
	v_mul_f64 v[136:137], v[3:4], v[142:143]
	v_mul_f64 v[142:143], v[1:2], v[142:143]
	v_fma_f64 v[1:2], v[1:2], v[140:141], -v[136:137]
	v_fma_f64 v[3:4], v[3:4], v[140:141], v[142:143]
	buffer_store_dword v2, off, s[0:3], 0 offset:180
	buffer_store_dword v1, off, s[0:3], 0 offset:176
	;; [unrolled: 1-line block ×4, first 2 shown]
.LBB63_969:
	s_or_b32 exec_lo, exec_lo, s4
	v_mov_b32_e32 v4, s61
	s_mov_b32 s4, exec_lo
	s_clause 0x3
	buffer_load_dword v1, v4, s[0:3], 0 offen
	buffer_load_dword v2, v4, s[0:3], 0 offen offset:4
	buffer_load_dword v3, v4, s[0:3], 0 offen offset:8
	;; [unrolled: 1-line block ×3, first 2 shown]
	s_waitcnt vmcnt(0)
	ds_write_b128 v134, v[1:4]
	s_waitcnt lgkmcnt(0)
	s_waitcnt_vscnt null, 0x0
	s_barrier
	buffer_gl0_inv
	v_cmpx_gt_u32_e32 12, v0
	s_cbranch_execz .LBB63_977
; %bb.970:
	ds_read_b128 v[1:4], v134
	v_cmp_ne_u32_e32 vcc_lo, 1, v135
	s_cbranch_vccnz .LBB63_972
; %bb.971:
	s_clause 0x3
	buffer_load_dword v136, v133, s[0:3], 0 offen offset:8
	buffer_load_dword v137, v133, s[0:3], 0 offen offset:12
	buffer_load_dword v140, v133, s[0:3], 0 offen
	buffer_load_dword v141, v133, s[0:3], 0 offen offset:4
	s_waitcnt vmcnt(2) lgkmcnt(0)
	v_mul_f64 v[142:143], v[3:4], v[136:137]
	v_mul_f64 v[136:137], v[1:2], v[136:137]
	s_waitcnt vmcnt(0)
	v_fma_f64 v[1:2], v[1:2], v[140:141], -v[142:143]
	v_fma_f64 v[3:4], v[3:4], v[140:141], v[136:137]
.LBB63_972:
	s_mov_b32 s5, exec_lo
	v_cmpx_ne_u32_e32 11, v0
	s_cbranch_execz .LBB63_976
; %bb.973:
	v_add_nc_u32_e32 v136, 0x410, v139
	v_add3_u32 v137, 0, v139, 16
	v_mov_b32_e32 v138, v0
	s_mov_b32 s6, 0
	.p2align	6
.LBB63_974:                             ; =>This Inner Loop Header: Depth=1
	s_clause 0x3
	buffer_load_dword v144, v137, s[0:3], 0 offen offset:8
	buffer_load_dword v145, v137, s[0:3], 0 offen offset:12
	buffer_load_dword v146, v137, s[0:3], 0 offen
	buffer_load_dword v147, v137, s[0:3], 0 offen offset:4
	ds_read_b128 v[140:143], v136
	v_add_nc_u32_e32 v138, 1, v138
	v_add_nc_u32_e32 v136, 16, v136
	;; [unrolled: 1-line block ×3, first 2 shown]
	v_cmp_lt_u32_e32 vcc_lo, 10, v138
	s_or_b32 s6, vcc_lo, s6
	s_waitcnt vmcnt(2) lgkmcnt(0)
	v_mul_f64 v[148:149], v[142:143], v[144:145]
	v_mul_f64 v[144:145], v[140:141], v[144:145]
	s_waitcnt vmcnt(0)
	v_fma_f64 v[140:141], v[140:141], v[146:147], -v[148:149]
	v_fma_f64 v[142:143], v[142:143], v[146:147], v[144:145]
	v_add_f64 v[1:2], v[1:2], v[140:141]
	v_add_f64 v[3:4], v[3:4], v[142:143]
	s_andn2_b32 exec_lo, exec_lo, s6
	s_cbranch_execnz .LBB63_974
; %bb.975:
	s_or_b32 exec_lo, exec_lo, s6
.LBB63_976:
	s_or_b32 exec_lo, exec_lo, s5
	v_mov_b32_e32 v136, 0
	ds_read_b128 v[140:143], v136 offset:192
	s_waitcnt lgkmcnt(0)
	v_mul_f64 v[136:137], v[3:4], v[142:143]
	v_mul_f64 v[142:143], v[1:2], v[142:143]
	v_fma_f64 v[1:2], v[1:2], v[140:141], -v[136:137]
	v_fma_f64 v[3:4], v[3:4], v[140:141], v[142:143]
	buffer_store_dword v2, off, s[0:3], 0 offset:196
	buffer_store_dword v1, off, s[0:3], 0 offset:192
	buffer_store_dword v4, off, s[0:3], 0 offset:204
	buffer_store_dword v3, off, s[0:3], 0 offset:200
.LBB63_977:
	s_or_b32 exec_lo, exec_lo, s4
	v_mov_b32_e32 v4, s60
	s_mov_b32 s4, exec_lo
	s_clause 0x3
	buffer_load_dword v1, v4, s[0:3], 0 offen
	buffer_load_dword v2, v4, s[0:3], 0 offen offset:4
	buffer_load_dword v3, v4, s[0:3], 0 offen offset:8
	buffer_load_dword v4, v4, s[0:3], 0 offen offset:12
	s_waitcnt vmcnt(0)
	ds_write_b128 v134, v[1:4]
	s_waitcnt lgkmcnt(0)
	s_waitcnt_vscnt null, 0x0
	s_barrier
	buffer_gl0_inv
	v_cmpx_gt_u32_e32 13, v0
	s_cbranch_execz .LBB63_985
; %bb.978:
	ds_read_b128 v[1:4], v134
	v_cmp_ne_u32_e32 vcc_lo, 1, v135
	s_cbranch_vccnz .LBB63_980
; %bb.979:
	s_clause 0x3
	buffer_load_dword v136, v133, s[0:3], 0 offen offset:8
	buffer_load_dword v137, v133, s[0:3], 0 offen offset:12
	buffer_load_dword v140, v133, s[0:3], 0 offen
	buffer_load_dword v141, v133, s[0:3], 0 offen offset:4
	s_waitcnt vmcnt(2) lgkmcnt(0)
	v_mul_f64 v[142:143], v[3:4], v[136:137]
	v_mul_f64 v[136:137], v[1:2], v[136:137]
	s_waitcnt vmcnt(0)
	v_fma_f64 v[1:2], v[1:2], v[140:141], -v[142:143]
	v_fma_f64 v[3:4], v[3:4], v[140:141], v[136:137]
.LBB63_980:
	s_mov_b32 s5, exec_lo
	v_cmpx_ne_u32_e32 12, v0
	s_cbranch_execz .LBB63_984
; %bb.981:
	v_add_nc_u32_e32 v136, 0x410, v139
	v_add3_u32 v137, 0, v139, 16
	v_mov_b32_e32 v138, v0
	s_mov_b32 s6, 0
	.p2align	6
.LBB63_982:                             ; =>This Inner Loop Header: Depth=1
	s_clause 0x3
	buffer_load_dword v144, v137, s[0:3], 0 offen offset:8
	buffer_load_dword v145, v137, s[0:3], 0 offen offset:12
	buffer_load_dword v146, v137, s[0:3], 0 offen
	buffer_load_dword v147, v137, s[0:3], 0 offen offset:4
	ds_read_b128 v[140:143], v136
	v_add_nc_u32_e32 v138, 1, v138
	v_add_nc_u32_e32 v136, 16, v136
	;; [unrolled: 1-line block ×3, first 2 shown]
	v_cmp_lt_u32_e32 vcc_lo, 11, v138
	s_or_b32 s6, vcc_lo, s6
	s_waitcnt vmcnt(2) lgkmcnt(0)
	v_mul_f64 v[148:149], v[142:143], v[144:145]
	v_mul_f64 v[144:145], v[140:141], v[144:145]
	s_waitcnt vmcnt(0)
	v_fma_f64 v[140:141], v[140:141], v[146:147], -v[148:149]
	v_fma_f64 v[142:143], v[142:143], v[146:147], v[144:145]
	v_add_f64 v[1:2], v[1:2], v[140:141]
	v_add_f64 v[3:4], v[3:4], v[142:143]
	s_andn2_b32 exec_lo, exec_lo, s6
	s_cbranch_execnz .LBB63_982
; %bb.983:
	s_or_b32 exec_lo, exec_lo, s6
.LBB63_984:
	s_or_b32 exec_lo, exec_lo, s5
	v_mov_b32_e32 v136, 0
	ds_read_b128 v[140:143], v136 offset:208
	s_waitcnt lgkmcnt(0)
	v_mul_f64 v[136:137], v[3:4], v[142:143]
	v_mul_f64 v[142:143], v[1:2], v[142:143]
	v_fma_f64 v[1:2], v[1:2], v[140:141], -v[136:137]
	v_fma_f64 v[3:4], v[3:4], v[140:141], v[142:143]
	buffer_store_dword v2, off, s[0:3], 0 offset:212
	buffer_store_dword v1, off, s[0:3], 0 offset:208
	;; [unrolled: 1-line block ×4, first 2 shown]
.LBB63_985:
	s_or_b32 exec_lo, exec_lo, s4
	v_mov_b32_e32 v4, s59
	s_mov_b32 s4, exec_lo
	s_clause 0x3
	buffer_load_dword v1, v4, s[0:3], 0 offen
	buffer_load_dword v2, v4, s[0:3], 0 offen offset:4
	buffer_load_dword v3, v4, s[0:3], 0 offen offset:8
	;; [unrolled: 1-line block ×3, first 2 shown]
	s_waitcnt vmcnt(0)
	ds_write_b128 v134, v[1:4]
	s_waitcnt lgkmcnt(0)
	s_waitcnt_vscnt null, 0x0
	s_barrier
	buffer_gl0_inv
	v_cmpx_gt_u32_e32 14, v0
	s_cbranch_execz .LBB63_993
; %bb.986:
	ds_read_b128 v[1:4], v134
	v_cmp_ne_u32_e32 vcc_lo, 1, v135
	s_cbranch_vccnz .LBB63_988
; %bb.987:
	s_clause 0x3
	buffer_load_dword v136, v133, s[0:3], 0 offen offset:8
	buffer_load_dword v137, v133, s[0:3], 0 offen offset:12
	buffer_load_dword v140, v133, s[0:3], 0 offen
	buffer_load_dword v141, v133, s[0:3], 0 offen offset:4
	s_waitcnt vmcnt(2) lgkmcnt(0)
	v_mul_f64 v[142:143], v[3:4], v[136:137]
	v_mul_f64 v[136:137], v[1:2], v[136:137]
	s_waitcnt vmcnt(0)
	v_fma_f64 v[1:2], v[1:2], v[140:141], -v[142:143]
	v_fma_f64 v[3:4], v[3:4], v[140:141], v[136:137]
.LBB63_988:
	s_mov_b32 s5, exec_lo
	v_cmpx_ne_u32_e32 13, v0
	s_cbranch_execz .LBB63_992
; %bb.989:
	v_add_nc_u32_e32 v136, 0x410, v139
	v_add3_u32 v137, 0, v139, 16
	v_mov_b32_e32 v138, v0
	s_mov_b32 s6, 0
	.p2align	6
.LBB63_990:                             ; =>This Inner Loop Header: Depth=1
	s_clause 0x3
	buffer_load_dword v144, v137, s[0:3], 0 offen offset:8
	buffer_load_dword v145, v137, s[0:3], 0 offen offset:12
	buffer_load_dword v146, v137, s[0:3], 0 offen
	buffer_load_dword v147, v137, s[0:3], 0 offen offset:4
	ds_read_b128 v[140:143], v136
	v_add_nc_u32_e32 v138, 1, v138
	v_add_nc_u32_e32 v136, 16, v136
	;; [unrolled: 1-line block ×3, first 2 shown]
	v_cmp_lt_u32_e32 vcc_lo, 12, v138
	s_or_b32 s6, vcc_lo, s6
	s_waitcnt vmcnt(2) lgkmcnt(0)
	v_mul_f64 v[148:149], v[142:143], v[144:145]
	v_mul_f64 v[144:145], v[140:141], v[144:145]
	s_waitcnt vmcnt(0)
	v_fma_f64 v[140:141], v[140:141], v[146:147], -v[148:149]
	v_fma_f64 v[142:143], v[142:143], v[146:147], v[144:145]
	v_add_f64 v[1:2], v[1:2], v[140:141]
	v_add_f64 v[3:4], v[3:4], v[142:143]
	s_andn2_b32 exec_lo, exec_lo, s6
	s_cbranch_execnz .LBB63_990
; %bb.991:
	s_or_b32 exec_lo, exec_lo, s6
.LBB63_992:
	s_or_b32 exec_lo, exec_lo, s5
	v_mov_b32_e32 v136, 0
	ds_read_b128 v[140:143], v136 offset:224
	s_waitcnt lgkmcnt(0)
	v_mul_f64 v[136:137], v[3:4], v[142:143]
	v_mul_f64 v[142:143], v[1:2], v[142:143]
	v_fma_f64 v[1:2], v[1:2], v[140:141], -v[136:137]
	v_fma_f64 v[3:4], v[3:4], v[140:141], v[142:143]
	buffer_store_dword v2, off, s[0:3], 0 offset:228
	buffer_store_dword v1, off, s[0:3], 0 offset:224
	;; [unrolled: 1-line block ×4, first 2 shown]
.LBB63_993:
	s_or_b32 exec_lo, exec_lo, s4
	v_mov_b32_e32 v4, s58
	s_mov_b32 s4, exec_lo
	s_clause 0x3
	buffer_load_dword v1, v4, s[0:3], 0 offen
	buffer_load_dword v2, v4, s[0:3], 0 offen offset:4
	buffer_load_dword v3, v4, s[0:3], 0 offen offset:8
	;; [unrolled: 1-line block ×3, first 2 shown]
	s_waitcnt vmcnt(0)
	ds_write_b128 v134, v[1:4]
	s_waitcnt lgkmcnt(0)
	s_waitcnt_vscnt null, 0x0
	s_barrier
	buffer_gl0_inv
	v_cmpx_gt_u32_e32 15, v0
	s_cbranch_execz .LBB63_1001
; %bb.994:
	ds_read_b128 v[1:4], v134
	v_cmp_ne_u32_e32 vcc_lo, 1, v135
	s_cbranch_vccnz .LBB63_996
; %bb.995:
	s_clause 0x3
	buffer_load_dword v136, v133, s[0:3], 0 offen offset:8
	buffer_load_dword v137, v133, s[0:3], 0 offen offset:12
	buffer_load_dword v140, v133, s[0:3], 0 offen
	buffer_load_dword v141, v133, s[0:3], 0 offen offset:4
	s_waitcnt vmcnt(2) lgkmcnt(0)
	v_mul_f64 v[142:143], v[3:4], v[136:137]
	v_mul_f64 v[136:137], v[1:2], v[136:137]
	s_waitcnt vmcnt(0)
	v_fma_f64 v[1:2], v[1:2], v[140:141], -v[142:143]
	v_fma_f64 v[3:4], v[3:4], v[140:141], v[136:137]
.LBB63_996:
	s_mov_b32 s5, exec_lo
	v_cmpx_ne_u32_e32 14, v0
	s_cbranch_execz .LBB63_1000
; %bb.997:
	v_add_nc_u32_e32 v136, 0x410, v139
	v_add3_u32 v137, 0, v139, 16
	v_mov_b32_e32 v138, v0
	s_mov_b32 s6, 0
	.p2align	6
.LBB63_998:                             ; =>This Inner Loop Header: Depth=1
	s_clause 0x3
	buffer_load_dword v144, v137, s[0:3], 0 offen offset:8
	buffer_load_dword v145, v137, s[0:3], 0 offen offset:12
	buffer_load_dword v146, v137, s[0:3], 0 offen
	buffer_load_dword v147, v137, s[0:3], 0 offen offset:4
	ds_read_b128 v[140:143], v136
	v_add_nc_u32_e32 v138, 1, v138
	v_add_nc_u32_e32 v136, 16, v136
	;; [unrolled: 1-line block ×3, first 2 shown]
	v_cmp_lt_u32_e32 vcc_lo, 13, v138
	s_or_b32 s6, vcc_lo, s6
	s_waitcnt vmcnt(2) lgkmcnt(0)
	v_mul_f64 v[148:149], v[142:143], v[144:145]
	v_mul_f64 v[144:145], v[140:141], v[144:145]
	s_waitcnt vmcnt(0)
	v_fma_f64 v[140:141], v[140:141], v[146:147], -v[148:149]
	v_fma_f64 v[142:143], v[142:143], v[146:147], v[144:145]
	v_add_f64 v[1:2], v[1:2], v[140:141]
	v_add_f64 v[3:4], v[3:4], v[142:143]
	s_andn2_b32 exec_lo, exec_lo, s6
	s_cbranch_execnz .LBB63_998
; %bb.999:
	s_or_b32 exec_lo, exec_lo, s6
.LBB63_1000:
	s_or_b32 exec_lo, exec_lo, s5
	v_mov_b32_e32 v136, 0
	ds_read_b128 v[140:143], v136 offset:240
	s_waitcnt lgkmcnt(0)
	v_mul_f64 v[136:137], v[3:4], v[142:143]
	v_mul_f64 v[142:143], v[1:2], v[142:143]
	v_fma_f64 v[1:2], v[1:2], v[140:141], -v[136:137]
	v_fma_f64 v[3:4], v[3:4], v[140:141], v[142:143]
	buffer_store_dword v2, off, s[0:3], 0 offset:244
	buffer_store_dword v1, off, s[0:3], 0 offset:240
	;; [unrolled: 1-line block ×4, first 2 shown]
.LBB63_1001:
	s_or_b32 exec_lo, exec_lo, s4
	v_mov_b32_e32 v4, s57
	s_mov_b32 s4, exec_lo
	s_clause 0x3
	buffer_load_dword v1, v4, s[0:3], 0 offen
	buffer_load_dword v2, v4, s[0:3], 0 offen offset:4
	buffer_load_dword v3, v4, s[0:3], 0 offen offset:8
	;; [unrolled: 1-line block ×3, first 2 shown]
	s_waitcnt vmcnt(0)
	ds_write_b128 v134, v[1:4]
	s_waitcnt lgkmcnt(0)
	s_waitcnt_vscnt null, 0x0
	s_barrier
	buffer_gl0_inv
	v_cmpx_gt_u32_e32 16, v0
	s_cbranch_execz .LBB63_1009
; %bb.1002:
	ds_read_b128 v[1:4], v134
	v_cmp_ne_u32_e32 vcc_lo, 1, v135
	s_cbranch_vccnz .LBB63_1004
; %bb.1003:
	s_clause 0x3
	buffer_load_dword v136, v133, s[0:3], 0 offen offset:8
	buffer_load_dword v137, v133, s[0:3], 0 offen offset:12
	buffer_load_dword v140, v133, s[0:3], 0 offen
	buffer_load_dword v141, v133, s[0:3], 0 offen offset:4
	s_waitcnt vmcnt(2) lgkmcnt(0)
	v_mul_f64 v[142:143], v[3:4], v[136:137]
	v_mul_f64 v[136:137], v[1:2], v[136:137]
	s_waitcnt vmcnt(0)
	v_fma_f64 v[1:2], v[1:2], v[140:141], -v[142:143]
	v_fma_f64 v[3:4], v[3:4], v[140:141], v[136:137]
.LBB63_1004:
	s_mov_b32 s5, exec_lo
	v_cmpx_ne_u32_e32 15, v0
	s_cbranch_execz .LBB63_1008
; %bb.1005:
	v_add_nc_u32_e32 v136, 0x410, v139
	v_add3_u32 v137, 0, v139, 16
	v_mov_b32_e32 v138, v0
	s_mov_b32 s6, 0
	.p2align	6
.LBB63_1006:                            ; =>This Inner Loop Header: Depth=1
	s_clause 0x3
	buffer_load_dword v144, v137, s[0:3], 0 offen offset:8
	buffer_load_dword v145, v137, s[0:3], 0 offen offset:12
	buffer_load_dword v146, v137, s[0:3], 0 offen
	buffer_load_dword v147, v137, s[0:3], 0 offen offset:4
	ds_read_b128 v[140:143], v136
	v_add_nc_u32_e32 v138, 1, v138
	v_add_nc_u32_e32 v136, 16, v136
	;; [unrolled: 1-line block ×3, first 2 shown]
	v_cmp_lt_u32_e32 vcc_lo, 14, v138
	s_or_b32 s6, vcc_lo, s6
	s_waitcnt vmcnt(2) lgkmcnt(0)
	v_mul_f64 v[148:149], v[142:143], v[144:145]
	v_mul_f64 v[144:145], v[140:141], v[144:145]
	s_waitcnt vmcnt(0)
	v_fma_f64 v[140:141], v[140:141], v[146:147], -v[148:149]
	v_fma_f64 v[142:143], v[142:143], v[146:147], v[144:145]
	v_add_f64 v[1:2], v[1:2], v[140:141]
	v_add_f64 v[3:4], v[3:4], v[142:143]
	s_andn2_b32 exec_lo, exec_lo, s6
	s_cbranch_execnz .LBB63_1006
; %bb.1007:
	s_or_b32 exec_lo, exec_lo, s6
.LBB63_1008:
	s_or_b32 exec_lo, exec_lo, s5
	v_mov_b32_e32 v136, 0
	ds_read_b128 v[140:143], v136 offset:256
	s_waitcnt lgkmcnt(0)
	v_mul_f64 v[136:137], v[3:4], v[142:143]
	v_mul_f64 v[142:143], v[1:2], v[142:143]
	v_fma_f64 v[1:2], v[1:2], v[140:141], -v[136:137]
	v_fma_f64 v[3:4], v[3:4], v[140:141], v[142:143]
	buffer_store_dword v2, off, s[0:3], 0 offset:260
	buffer_store_dword v1, off, s[0:3], 0 offset:256
	;; [unrolled: 1-line block ×4, first 2 shown]
.LBB63_1009:
	s_or_b32 exec_lo, exec_lo, s4
	v_mov_b32_e32 v4, s56
	s_mov_b32 s4, exec_lo
	s_clause 0x3
	buffer_load_dword v1, v4, s[0:3], 0 offen
	buffer_load_dword v2, v4, s[0:3], 0 offen offset:4
	buffer_load_dword v3, v4, s[0:3], 0 offen offset:8
	buffer_load_dword v4, v4, s[0:3], 0 offen offset:12
	s_waitcnt vmcnt(0)
	ds_write_b128 v134, v[1:4]
	s_waitcnt lgkmcnt(0)
	s_waitcnt_vscnt null, 0x0
	s_barrier
	buffer_gl0_inv
	v_cmpx_gt_u32_e32 17, v0
	s_cbranch_execz .LBB63_1017
; %bb.1010:
	ds_read_b128 v[1:4], v134
	v_cmp_ne_u32_e32 vcc_lo, 1, v135
	s_cbranch_vccnz .LBB63_1012
; %bb.1011:
	s_clause 0x3
	buffer_load_dword v136, v133, s[0:3], 0 offen offset:8
	buffer_load_dword v137, v133, s[0:3], 0 offen offset:12
	buffer_load_dword v140, v133, s[0:3], 0 offen
	buffer_load_dword v141, v133, s[0:3], 0 offen offset:4
	s_waitcnt vmcnt(2) lgkmcnt(0)
	v_mul_f64 v[142:143], v[3:4], v[136:137]
	v_mul_f64 v[136:137], v[1:2], v[136:137]
	s_waitcnt vmcnt(0)
	v_fma_f64 v[1:2], v[1:2], v[140:141], -v[142:143]
	v_fma_f64 v[3:4], v[3:4], v[140:141], v[136:137]
.LBB63_1012:
	s_mov_b32 s5, exec_lo
	v_cmpx_ne_u32_e32 16, v0
	s_cbranch_execz .LBB63_1016
; %bb.1013:
	v_add_nc_u32_e32 v136, 0x410, v139
	v_add3_u32 v137, 0, v139, 16
	v_mov_b32_e32 v138, v0
	s_mov_b32 s6, 0
	.p2align	6
.LBB63_1014:                            ; =>This Inner Loop Header: Depth=1
	s_clause 0x3
	buffer_load_dword v144, v137, s[0:3], 0 offen offset:8
	buffer_load_dword v145, v137, s[0:3], 0 offen offset:12
	buffer_load_dword v146, v137, s[0:3], 0 offen
	buffer_load_dword v147, v137, s[0:3], 0 offen offset:4
	ds_read_b128 v[140:143], v136
	v_add_nc_u32_e32 v138, 1, v138
	v_add_nc_u32_e32 v136, 16, v136
	;; [unrolled: 1-line block ×3, first 2 shown]
	v_cmp_lt_u32_e32 vcc_lo, 15, v138
	s_or_b32 s6, vcc_lo, s6
	s_waitcnt vmcnt(2) lgkmcnt(0)
	v_mul_f64 v[148:149], v[142:143], v[144:145]
	v_mul_f64 v[144:145], v[140:141], v[144:145]
	s_waitcnt vmcnt(0)
	v_fma_f64 v[140:141], v[140:141], v[146:147], -v[148:149]
	v_fma_f64 v[142:143], v[142:143], v[146:147], v[144:145]
	v_add_f64 v[1:2], v[1:2], v[140:141]
	v_add_f64 v[3:4], v[3:4], v[142:143]
	s_andn2_b32 exec_lo, exec_lo, s6
	s_cbranch_execnz .LBB63_1014
; %bb.1015:
	s_or_b32 exec_lo, exec_lo, s6
.LBB63_1016:
	s_or_b32 exec_lo, exec_lo, s5
	v_mov_b32_e32 v136, 0
	ds_read_b128 v[140:143], v136 offset:272
	s_waitcnt lgkmcnt(0)
	v_mul_f64 v[136:137], v[3:4], v[142:143]
	v_mul_f64 v[142:143], v[1:2], v[142:143]
	v_fma_f64 v[1:2], v[1:2], v[140:141], -v[136:137]
	v_fma_f64 v[3:4], v[3:4], v[140:141], v[142:143]
	buffer_store_dword v2, off, s[0:3], 0 offset:276
	buffer_store_dword v1, off, s[0:3], 0 offset:272
	;; [unrolled: 1-line block ×4, first 2 shown]
.LBB63_1017:
	s_or_b32 exec_lo, exec_lo, s4
	v_mov_b32_e32 v4, s55
	s_mov_b32 s4, exec_lo
	s_clause 0x3
	buffer_load_dword v1, v4, s[0:3], 0 offen
	buffer_load_dword v2, v4, s[0:3], 0 offen offset:4
	buffer_load_dword v3, v4, s[0:3], 0 offen offset:8
	;; [unrolled: 1-line block ×3, first 2 shown]
	s_waitcnt vmcnt(0)
	ds_write_b128 v134, v[1:4]
	s_waitcnt lgkmcnt(0)
	s_waitcnt_vscnt null, 0x0
	s_barrier
	buffer_gl0_inv
	v_cmpx_gt_u32_e32 18, v0
	s_cbranch_execz .LBB63_1025
; %bb.1018:
	ds_read_b128 v[1:4], v134
	v_cmp_ne_u32_e32 vcc_lo, 1, v135
	s_cbranch_vccnz .LBB63_1020
; %bb.1019:
	s_clause 0x3
	buffer_load_dword v136, v133, s[0:3], 0 offen offset:8
	buffer_load_dword v137, v133, s[0:3], 0 offen offset:12
	buffer_load_dword v140, v133, s[0:3], 0 offen
	buffer_load_dword v141, v133, s[0:3], 0 offen offset:4
	s_waitcnt vmcnt(2) lgkmcnt(0)
	v_mul_f64 v[142:143], v[3:4], v[136:137]
	v_mul_f64 v[136:137], v[1:2], v[136:137]
	s_waitcnt vmcnt(0)
	v_fma_f64 v[1:2], v[1:2], v[140:141], -v[142:143]
	v_fma_f64 v[3:4], v[3:4], v[140:141], v[136:137]
.LBB63_1020:
	s_mov_b32 s5, exec_lo
	v_cmpx_ne_u32_e32 17, v0
	s_cbranch_execz .LBB63_1024
; %bb.1021:
	v_add_nc_u32_e32 v136, 0x410, v139
	v_add3_u32 v137, 0, v139, 16
	v_mov_b32_e32 v138, v0
	s_mov_b32 s6, 0
	.p2align	6
.LBB63_1022:                            ; =>This Inner Loop Header: Depth=1
	s_clause 0x3
	buffer_load_dword v144, v137, s[0:3], 0 offen offset:8
	buffer_load_dword v145, v137, s[0:3], 0 offen offset:12
	buffer_load_dword v146, v137, s[0:3], 0 offen
	buffer_load_dword v147, v137, s[0:3], 0 offen offset:4
	ds_read_b128 v[140:143], v136
	v_add_nc_u32_e32 v138, 1, v138
	v_add_nc_u32_e32 v136, 16, v136
	;; [unrolled: 1-line block ×3, first 2 shown]
	v_cmp_lt_u32_e32 vcc_lo, 16, v138
	s_or_b32 s6, vcc_lo, s6
	s_waitcnt vmcnt(2) lgkmcnt(0)
	v_mul_f64 v[148:149], v[142:143], v[144:145]
	v_mul_f64 v[144:145], v[140:141], v[144:145]
	s_waitcnt vmcnt(0)
	v_fma_f64 v[140:141], v[140:141], v[146:147], -v[148:149]
	v_fma_f64 v[142:143], v[142:143], v[146:147], v[144:145]
	v_add_f64 v[1:2], v[1:2], v[140:141]
	v_add_f64 v[3:4], v[3:4], v[142:143]
	s_andn2_b32 exec_lo, exec_lo, s6
	s_cbranch_execnz .LBB63_1022
; %bb.1023:
	s_or_b32 exec_lo, exec_lo, s6
.LBB63_1024:
	s_or_b32 exec_lo, exec_lo, s5
	v_mov_b32_e32 v136, 0
	ds_read_b128 v[140:143], v136 offset:288
	s_waitcnt lgkmcnt(0)
	v_mul_f64 v[136:137], v[3:4], v[142:143]
	v_mul_f64 v[142:143], v[1:2], v[142:143]
	v_fma_f64 v[1:2], v[1:2], v[140:141], -v[136:137]
	v_fma_f64 v[3:4], v[3:4], v[140:141], v[142:143]
	buffer_store_dword v2, off, s[0:3], 0 offset:292
	buffer_store_dword v1, off, s[0:3], 0 offset:288
	buffer_store_dword v4, off, s[0:3], 0 offset:300
	buffer_store_dword v3, off, s[0:3], 0 offset:296
.LBB63_1025:
	s_or_b32 exec_lo, exec_lo, s4
	v_mov_b32_e32 v4, s54
	s_mov_b32 s4, exec_lo
	s_clause 0x3
	buffer_load_dword v1, v4, s[0:3], 0 offen
	buffer_load_dword v2, v4, s[0:3], 0 offen offset:4
	buffer_load_dword v3, v4, s[0:3], 0 offen offset:8
	;; [unrolled: 1-line block ×3, first 2 shown]
	s_waitcnt vmcnt(0)
	ds_write_b128 v134, v[1:4]
	s_waitcnt lgkmcnt(0)
	s_waitcnt_vscnt null, 0x0
	s_barrier
	buffer_gl0_inv
	v_cmpx_gt_u32_e32 19, v0
	s_cbranch_execz .LBB63_1033
; %bb.1026:
	ds_read_b128 v[1:4], v134
	v_cmp_ne_u32_e32 vcc_lo, 1, v135
	s_cbranch_vccnz .LBB63_1028
; %bb.1027:
	s_clause 0x3
	buffer_load_dword v136, v133, s[0:3], 0 offen offset:8
	buffer_load_dword v137, v133, s[0:3], 0 offen offset:12
	buffer_load_dword v140, v133, s[0:3], 0 offen
	buffer_load_dword v141, v133, s[0:3], 0 offen offset:4
	s_waitcnt vmcnt(2) lgkmcnt(0)
	v_mul_f64 v[142:143], v[3:4], v[136:137]
	v_mul_f64 v[136:137], v[1:2], v[136:137]
	s_waitcnt vmcnt(0)
	v_fma_f64 v[1:2], v[1:2], v[140:141], -v[142:143]
	v_fma_f64 v[3:4], v[3:4], v[140:141], v[136:137]
.LBB63_1028:
	s_mov_b32 s5, exec_lo
	v_cmpx_ne_u32_e32 18, v0
	s_cbranch_execz .LBB63_1032
; %bb.1029:
	v_add_nc_u32_e32 v136, 0x410, v139
	v_add3_u32 v137, 0, v139, 16
	v_mov_b32_e32 v138, v0
	s_mov_b32 s6, 0
	.p2align	6
.LBB63_1030:                            ; =>This Inner Loop Header: Depth=1
	s_clause 0x3
	buffer_load_dword v144, v137, s[0:3], 0 offen offset:8
	buffer_load_dword v145, v137, s[0:3], 0 offen offset:12
	buffer_load_dword v146, v137, s[0:3], 0 offen
	buffer_load_dword v147, v137, s[0:3], 0 offen offset:4
	ds_read_b128 v[140:143], v136
	v_add_nc_u32_e32 v138, 1, v138
	v_add_nc_u32_e32 v136, 16, v136
	;; [unrolled: 1-line block ×3, first 2 shown]
	v_cmp_lt_u32_e32 vcc_lo, 17, v138
	s_or_b32 s6, vcc_lo, s6
	s_waitcnt vmcnt(2) lgkmcnt(0)
	v_mul_f64 v[148:149], v[142:143], v[144:145]
	v_mul_f64 v[144:145], v[140:141], v[144:145]
	s_waitcnt vmcnt(0)
	v_fma_f64 v[140:141], v[140:141], v[146:147], -v[148:149]
	v_fma_f64 v[142:143], v[142:143], v[146:147], v[144:145]
	v_add_f64 v[1:2], v[1:2], v[140:141]
	v_add_f64 v[3:4], v[3:4], v[142:143]
	s_andn2_b32 exec_lo, exec_lo, s6
	s_cbranch_execnz .LBB63_1030
; %bb.1031:
	s_or_b32 exec_lo, exec_lo, s6
.LBB63_1032:
	s_or_b32 exec_lo, exec_lo, s5
	v_mov_b32_e32 v136, 0
	ds_read_b128 v[140:143], v136 offset:304
	s_waitcnt lgkmcnt(0)
	v_mul_f64 v[136:137], v[3:4], v[142:143]
	v_mul_f64 v[142:143], v[1:2], v[142:143]
	v_fma_f64 v[1:2], v[1:2], v[140:141], -v[136:137]
	v_fma_f64 v[3:4], v[3:4], v[140:141], v[142:143]
	buffer_store_dword v2, off, s[0:3], 0 offset:308
	buffer_store_dword v1, off, s[0:3], 0 offset:304
	;; [unrolled: 1-line block ×4, first 2 shown]
.LBB63_1033:
	s_or_b32 exec_lo, exec_lo, s4
	v_mov_b32_e32 v4, s53
	s_mov_b32 s4, exec_lo
	s_clause 0x3
	buffer_load_dword v1, v4, s[0:3], 0 offen
	buffer_load_dword v2, v4, s[0:3], 0 offen offset:4
	buffer_load_dword v3, v4, s[0:3], 0 offen offset:8
	;; [unrolled: 1-line block ×3, first 2 shown]
	s_waitcnt vmcnt(0)
	ds_write_b128 v134, v[1:4]
	s_waitcnt lgkmcnt(0)
	s_waitcnt_vscnt null, 0x0
	s_barrier
	buffer_gl0_inv
	v_cmpx_gt_u32_e32 20, v0
	s_cbranch_execz .LBB63_1041
; %bb.1034:
	ds_read_b128 v[1:4], v134
	v_cmp_ne_u32_e32 vcc_lo, 1, v135
	s_cbranch_vccnz .LBB63_1036
; %bb.1035:
	s_clause 0x3
	buffer_load_dword v136, v133, s[0:3], 0 offen offset:8
	buffer_load_dword v137, v133, s[0:3], 0 offen offset:12
	buffer_load_dword v140, v133, s[0:3], 0 offen
	buffer_load_dword v141, v133, s[0:3], 0 offen offset:4
	s_waitcnt vmcnt(2) lgkmcnt(0)
	v_mul_f64 v[142:143], v[3:4], v[136:137]
	v_mul_f64 v[136:137], v[1:2], v[136:137]
	s_waitcnt vmcnt(0)
	v_fma_f64 v[1:2], v[1:2], v[140:141], -v[142:143]
	v_fma_f64 v[3:4], v[3:4], v[140:141], v[136:137]
.LBB63_1036:
	s_mov_b32 s5, exec_lo
	v_cmpx_ne_u32_e32 19, v0
	s_cbranch_execz .LBB63_1040
; %bb.1037:
	v_add_nc_u32_e32 v136, 0x410, v139
	v_add3_u32 v137, 0, v139, 16
	v_mov_b32_e32 v138, v0
	s_mov_b32 s6, 0
	.p2align	6
.LBB63_1038:                            ; =>This Inner Loop Header: Depth=1
	s_clause 0x3
	buffer_load_dword v144, v137, s[0:3], 0 offen offset:8
	buffer_load_dword v145, v137, s[0:3], 0 offen offset:12
	buffer_load_dword v146, v137, s[0:3], 0 offen
	buffer_load_dword v147, v137, s[0:3], 0 offen offset:4
	ds_read_b128 v[140:143], v136
	v_add_nc_u32_e32 v138, 1, v138
	v_add_nc_u32_e32 v136, 16, v136
	;; [unrolled: 1-line block ×3, first 2 shown]
	v_cmp_lt_u32_e32 vcc_lo, 18, v138
	s_or_b32 s6, vcc_lo, s6
	s_waitcnt vmcnt(2) lgkmcnt(0)
	v_mul_f64 v[148:149], v[142:143], v[144:145]
	v_mul_f64 v[144:145], v[140:141], v[144:145]
	s_waitcnt vmcnt(0)
	v_fma_f64 v[140:141], v[140:141], v[146:147], -v[148:149]
	v_fma_f64 v[142:143], v[142:143], v[146:147], v[144:145]
	v_add_f64 v[1:2], v[1:2], v[140:141]
	v_add_f64 v[3:4], v[3:4], v[142:143]
	s_andn2_b32 exec_lo, exec_lo, s6
	s_cbranch_execnz .LBB63_1038
; %bb.1039:
	s_or_b32 exec_lo, exec_lo, s6
.LBB63_1040:
	s_or_b32 exec_lo, exec_lo, s5
	v_mov_b32_e32 v136, 0
	ds_read_b128 v[140:143], v136 offset:320
	s_waitcnt lgkmcnt(0)
	v_mul_f64 v[136:137], v[3:4], v[142:143]
	v_mul_f64 v[142:143], v[1:2], v[142:143]
	v_fma_f64 v[1:2], v[1:2], v[140:141], -v[136:137]
	v_fma_f64 v[3:4], v[3:4], v[140:141], v[142:143]
	buffer_store_dword v2, off, s[0:3], 0 offset:324
	buffer_store_dword v1, off, s[0:3], 0 offset:320
	;; [unrolled: 1-line block ×4, first 2 shown]
.LBB63_1041:
	s_or_b32 exec_lo, exec_lo, s4
	v_mov_b32_e32 v4, s52
	s_mov_b32 s4, exec_lo
	s_clause 0x3
	buffer_load_dword v1, v4, s[0:3], 0 offen
	buffer_load_dword v2, v4, s[0:3], 0 offen offset:4
	buffer_load_dword v3, v4, s[0:3], 0 offen offset:8
	buffer_load_dword v4, v4, s[0:3], 0 offen offset:12
	s_waitcnt vmcnt(0)
	ds_write_b128 v134, v[1:4]
	s_waitcnt lgkmcnt(0)
	s_waitcnt_vscnt null, 0x0
	s_barrier
	buffer_gl0_inv
	v_cmpx_gt_u32_e32 21, v0
	s_cbranch_execz .LBB63_1049
; %bb.1042:
	ds_read_b128 v[1:4], v134
	v_cmp_ne_u32_e32 vcc_lo, 1, v135
	s_cbranch_vccnz .LBB63_1044
; %bb.1043:
	s_clause 0x3
	buffer_load_dword v136, v133, s[0:3], 0 offen offset:8
	buffer_load_dword v137, v133, s[0:3], 0 offen offset:12
	buffer_load_dword v140, v133, s[0:3], 0 offen
	buffer_load_dword v141, v133, s[0:3], 0 offen offset:4
	s_waitcnt vmcnt(2) lgkmcnt(0)
	v_mul_f64 v[142:143], v[3:4], v[136:137]
	v_mul_f64 v[136:137], v[1:2], v[136:137]
	s_waitcnt vmcnt(0)
	v_fma_f64 v[1:2], v[1:2], v[140:141], -v[142:143]
	v_fma_f64 v[3:4], v[3:4], v[140:141], v[136:137]
.LBB63_1044:
	s_mov_b32 s5, exec_lo
	v_cmpx_ne_u32_e32 20, v0
	s_cbranch_execz .LBB63_1048
; %bb.1045:
	v_add_nc_u32_e32 v136, 0x410, v139
	v_add3_u32 v137, 0, v139, 16
	v_mov_b32_e32 v138, v0
	s_mov_b32 s6, 0
	.p2align	6
.LBB63_1046:                            ; =>This Inner Loop Header: Depth=1
	s_clause 0x3
	buffer_load_dword v144, v137, s[0:3], 0 offen offset:8
	buffer_load_dword v145, v137, s[0:3], 0 offen offset:12
	buffer_load_dword v146, v137, s[0:3], 0 offen
	buffer_load_dword v147, v137, s[0:3], 0 offen offset:4
	ds_read_b128 v[140:143], v136
	v_add_nc_u32_e32 v138, 1, v138
	v_add_nc_u32_e32 v136, 16, v136
	;; [unrolled: 1-line block ×3, first 2 shown]
	v_cmp_lt_u32_e32 vcc_lo, 19, v138
	s_or_b32 s6, vcc_lo, s6
	s_waitcnt vmcnt(2) lgkmcnt(0)
	v_mul_f64 v[148:149], v[142:143], v[144:145]
	v_mul_f64 v[144:145], v[140:141], v[144:145]
	s_waitcnt vmcnt(0)
	v_fma_f64 v[140:141], v[140:141], v[146:147], -v[148:149]
	v_fma_f64 v[142:143], v[142:143], v[146:147], v[144:145]
	v_add_f64 v[1:2], v[1:2], v[140:141]
	v_add_f64 v[3:4], v[3:4], v[142:143]
	s_andn2_b32 exec_lo, exec_lo, s6
	s_cbranch_execnz .LBB63_1046
; %bb.1047:
	s_or_b32 exec_lo, exec_lo, s6
.LBB63_1048:
	s_or_b32 exec_lo, exec_lo, s5
	v_mov_b32_e32 v136, 0
	ds_read_b128 v[140:143], v136 offset:336
	s_waitcnt lgkmcnt(0)
	v_mul_f64 v[136:137], v[3:4], v[142:143]
	v_mul_f64 v[142:143], v[1:2], v[142:143]
	v_fma_f64 v[1:2], v[1:2], v[140:141], -v[136:137]
	v_fma_f64 v[3:4], v[3:4], v[140:141], v[142:143]
	buffer_store_dword v2, off, s[0:3], 0 offset:340
	buffer_store_dword v1, off, s[0:3], 0 offset:336
	;; [unrolled: 1-line block ×4, first 2 shown]
.LBB63_1049:
	s_or_b32 exec_lo, exec_lo, s4
	v_mov_b32_e32 v4, s51
	s_mov_b32 s4, exec_lo
	s_clause 0x3
	buffer_load_dword v1, v4, s[0:3], 0 offen
	buffer_load_dword v2, v4, s[0:3], 0 offen offset:4
	buffer_load_dword v3, v4, s[0:3], 0 offen offset:8
	;; [unrolled: 1-line block ×3, first 2 shown]
	s_waitcnt vmcnt(0)
	ds_write_b128 v134, v[1:4]
	s_waitcnt lgkmcnt(0)
	s_waitcnt_vscnt null, 0x0
	s_barrier
	buffer_gl0_inv
	v_cmpx_gt_u32_e32 22, v0
	s_cbranch_execz .LBB63_1057
; %bb.1050:
	ds_read_b128 v[1:4], v134
	v_cmp_ne_u32_e32 vcc_lo, 1, v135
	s_cbranch_vccnz .LBB63_1052
; %bb.1051:
	s_clause 0x3
	buffer_load_dword v136, v133, s[0:3], 0 offen offset:8
	buffer_load_dword v137, v133, s[0:3], 0 offen offset:12
	buffer_load_dword v140, v133, s[0:3], 0 offen
	buffer_load_dword v141, v133, s[0:3], 0 offen offset:4
	s_waitcnt vmcnt(2) lgkmcnt(0)
	v_mul_f64 v[142:143], v[3:4], v[136:137]
	v_mul_f64 v[136:137], v[1:2], v[136:137]
	s_waitcnt vmcnt(0)
	v_fma_f64 v[1:2], v[1:2], v[140:141], -v[142:143]
	v_fma_f64 v[3:4], v[3:4], v[140:141], v[136:137]
.LBB63_1052:
	s_mov_b32 s5, exec_lo
	v_cmpx_ne_u32_e32 21, v0
	s_cbranch_execz .LBB63_1056
; %bb.1053:
	v_add_nc_u32_e32 v136, 0x410, v139
	v_add3_u32 v137, 0, v139, 16
	v_mov_b32_e32 v138, v0
	s_mov_b32 s6, 0
	.p2align	6
.LBB63_1054:                            ; =>This Inner Loop Header: Depth=1
	s_clause 0x3
	buffer_load_dword v144, v137, s[0:3], 0 offen offset:8
	buffer_load_dword v145, v137, s[0:3], 0 offen offset:12
	buffer_load_dword v146, v137, s[0:3], 0 offen
	buffer_load_dword v147, v137, s[0:3], 0 offen offset:4
	ds_read_b128 v[140:143], v136
	v_add_nc_u32_e32 v138, 1, v138
	v_add_nc_u32_e32 v136, 16, v136
	;; [unrolled: 1-line block ×3, first 2 shown]
	v_cmp_lt_u32_e32 vcc_lo, 20, v138
	s_or_b32 s6, vcc_lo, s6
	s_waitcnt vmcnt(2) lgkmcnt(0)
	v_mul_f64 v[148:149], v[142:143], v[144:145]
	v_mul_f64 v[144:145], v[140:141], v[144:145]
	s_waitcnt vmcnt(0)
	v_fma_f64 v[140:141], v[140:141], v[146:147], -v[148:149]
	v_fma_f64 v[142:143], v[142:143], v[146:147], v[144:145]
	v_add_f64 v[1:2], v[1:2], v[140:141]
	v_add_f64 v[3:4], v[3:4], v[142:143]
	s_andn2_b32 exec_lo, exec_lo, s6
	s_cbranch_execnz .LBB63_1054
; %bb.1055:
	s_or_b32 exec_lo, exec_lo, s6
.LBB63_1056:
	s_or_b32 exec_lo, exec_lo, s5
	v_mov_b32_e32 v136, 0
	ds_read_b128 v[140:143], v136 offset:352
	s_waitcnt lgkmcnt(0)
	v_mul_f64 v[136:137], v[3:4], v[142:143]
	v_mul_f64 v[142:143], v[1:2], v[142:143]
	v_fma_f64 v[1:2], v[1:2], v[140:141], -v[136:137]
	v_fma_f64 v[3:4], v[3:4], v[140:141], v[142:143]
	buffer_store_dword v2, off, s[0:3], 0 offset:356
	buffer_store_dword v1, off, s[0:3], 0 offset:352
	buffer_store_dword v4, off, s[0:3], 0 offset:364
	buffer_store_dword v3, off, s[0:3], 0 offset:360
.LBB63_1057:
	s_or_b32 exec_lo, exec_lo, s4
	v_mov_b32_e32 v4, s50
	s_mov_b32 s4, exec_lo
	s_clause 0x3
	buffer_load_dword v1, v4, s[0:3], 0 offen
	buffer_load_dword v2, v4, s[0:3], 0 offen offset:4
	buffer_load_dword v3, v4, s[0:3], 0 offen offset:8
	;; [unrolled: 1-line block ×3, first 2 shown]
	s_waitcnt vmcnt(0)
	ds_write_b128 v134, v[1:4]
	s_waitcnt lgkmcnt(0)
	s_waitcnt_vscnt null, 0x0
	s_barrier
	buffer_gl0_inv
	v_cmpx_gt_u32_e32 23, v0
	s_cbranch_execz .LBB63_1065
; %bb.1058:
	ds_read_b128 v[1:4], v134
	v_cmp_ne_u32_e32 vcc_lo, 1, v135
	s_cbranch_vccnz .LBB63_1060
; %bb.1059:
	s_clause 0x3
	buffer_load_dword v136, v133, s[0:3], 0 offen offset:8
	buffer_load_dword v137, v133, s[0:3], 0 offen offset:12
	buffer_load_dword v140, v133, s[0:3], 0 offen
	buffer_load_dword v141, v133, s[0:3], 0 offen offset:4
	s_waitcnt vmcnt(2) lgkmcnt(0)
	v_mul_f64 v[142:143], v[3:4], v[136:137]
	v_mul_f64 v[136:137], v[1:2], v[136:137]
	s_waitcnt vmcnt(0)
	v_fma_f64 v[1:2], v[1:2], v[140:141], -v[142:143]
	v_fma_f64 v[3:4], v[3:4], v[140:141], v[136:137]
.LBB63_1060:
	s_mov_b32 s5, exec_lo
	v_cmpx_ne_u32_e32 22, v0
	s_cbranch_execz .LBB63_1064
; %bb.1061:
	v_add_nc_u32_e32 v136, 0x410, v139
	v_add3_u32 v137, 0, v139, 16
	v_mov_b32_e32 v138, v0
	s_mov_b32 s6, 0
	.p2align	6
.LBB63_1062:                            ; =>This Inner Loop Header: Depth=1
	s_clause 0x3
	buffer_load_dword v144, v137, s[0:3], 0 offen offset:8
	buffer_load_dword v145, v137, s[0:3], 0 offen offset:12
	buffer_load_dword v146, v137, s[0:3], 0 offen
	buffer_load_dword v147, v137, s[0:3], 0 offen offset:4
	ds_read_b128 v[140:143], v136
	v_add_nc_u32_e32 v138, 1, v138
	v_add_nc_u32_e32 v136, 16, v136
	;; [unrolled: 1-line block ×3, first 2 shown]
	v_cmp_lt_u32_e32 vcc_lo, 21, v138
	s_or_b32 s6, vcc_lo, s6
	s_waitcnt vmcnt(2) lgkmcnt(0)
	v_mul_f64 v[148:149], v[142:143], v[144:145]
	v_mul_f64 v[144:145], v[140:141], v[144:145]
	s_waitcnt vmcnt(0)
	v_fma_f64 v[140:141], v[140:141], v[146:147], -v[148:149]
	v_fma_f64 v[142:143], v[142:143], v[146:147], v[144:145]
	v_add_f64 v[1:2], v[1:2], v[140:141]
	v_add_f64 v[3:4], v[3:4], v[142:143]
	s_andn2_b32 exec_lo, exec_lo, s6
	s_cbranch_execnz .LBB63_1062
; %bb.1063:
	s_or_b32 exec_lo, exec_lo, s6
.LBB63_1064:
	s_or_b32 exec_lo, exec_lo, s5
	v_mov_b32_e32 v136, 0
	ds_read_b128 v[140:143], v136 offset:368
	s_waitcnt lgkmcnt(0)
	v_mul_f64 v[136:137], v[3:4], v[142:143]
	v_mul_f64 v[142:143], v[1:2], v[142:143]
	v_fma_f64 v[1:2], v[1:2], v[140:141], -v[136:137]
	v_fma_f64 v[3:4], v[3:4], v[140:141], v[142:143]
	buffer_store_dword v2, off, s[0:3], 0 offset:372
	buffer_store_dword v1, off, s[0:3], 0 offset:368
	;; [unrolled: 1-line block ×4, first 2 shown]
.LBB63_1065:
	s_or_b32 exec_lo, exec_lo, s4
	v_mov_b32_e32 v4, s49
	s_mov_b32 s4, exec_lo
	s_clause 0x3
	buffer_load_dword v1, v4, s[0:3], 0 offen
	buffer_load_dword v2, v4, s[0:3], 0 offen offset:4
	buffer_load_dword v3, v4, s[0:3], 0 offen offset:8
	;; [unrolled: 1-line block ×3, first 2 shown]
	s_waitcnt vmcnt(0)
	ds_write_b128 v134, v[1:4]
	s_waitcnt lgkmcnt(0)
	s_waitcnt_vscnt null, 0x0
	s_barrier
	buffer_gl0_inv
	v_cmpx_gt_u32_e32 24, v0
	s_cbranch_execz .LBB63_1073
; %bb.1066:
	ds_read_b128 v[1:4], v134
	v_cmp_ne_u32_e32 vcc_lo, 1, v135
	s_cbranch_vccnz .LBB63_1068
; %bb.1067:
	s_clause 0x3
	buffer_load_dword v136, v133, s[0:3], 0 offen offset:8
	buffer_load_dword v137, v133, s[0:3], 0 offen offset:12
	buffer_load_dword v140, v133, s[0:3], 0 offen
	buffer_load_dword v141, v133, s[0:3], 0 offen offset:4
	s_waitcnt vmcnt(2) lgkmcnt(0)
	v_mul_f64 v[142:143], v[3:4], v[136:137]
	v_mul_f64 v[136:137], v[1:2], v[136:137]
	s_waitcnt vmcnt(0)
	v_fma_f64 v[1:2], v[1:2], v[140:141], -v[142:143]
	v_fma_f64 v[3:4], v[3:4], v[140:141], v[136:137]
.LBB63_1068:
	s_mov_b32 s5, exec_lo
	v_cmpx_ne_u32_e32 23, v0
	s_cbranch_execz .LBB63_1072
; %bb.1069:
	v_add_nc_u32_e32 v136, 0x410, v139
	v_add3_u32 v137, 0, v139, 16
	v_mov_b32_e32 v138, v0
	s_mov_b32 s6, 0
	.p2align	6
.LBB63_1070:                            ; =>This Inner Loop Header: Depth=1
	s_clause 0x3
	buffer_load_dword v144, v137, s[0:3], 0 offen offset:8
	buffer_load_dword v145, v137, s[0:3], 0 offen offset:12
	buffer_load_dword v146, v137, s[0:3], 0 offen
	buffer_load_dword v147, v137, s[0:3], 0 offen offset:4
	ds_read_b128 v[140:143], v136
	v_add_nc_u32_e32 v138, 1, v138
	v_add_nc_u32_e32 v136, 16, v136
	;; [unrolled: 1-line block ×3, first 2 shown]
	v_cmp_lt_u32_e32 vcc_lo, 22, v138
	s_or_b32 s6, vcc_lo, s6
	s_waitcnt vmcnt(2) lgkmcnt(0)
	v_mul_f64 v[148:149], v[142:143], v[144:145]
	v_mul_f64 v[144:145], v[140:141], v[144:145]
	s_waitcnt vmcnt(0)
	v_fma_f64 v[140:141], v[140:141], v[146:147], -v[148:149]
	v_fma_f64 v[142:143], v[142:143], v[146:147], v[144:145]
	v_add_f64 v[1:2], v[1:2], v[140:141]
	v_add_f64 v[3:4], v[3:4], v[142:143]
	s_andn2_b32 exec_lo, exec_lo, s6
	s_cbranch_execnz .LBB63_1070
; %bb.1071:
	s_or_b32 exec_lo, exec_lo, s6
.LBB63_1072:
	s_or_b32 exec_lo, exec_lo, s5
	v_mov_b32_e32 v136, 0
	ds_read_b128 v[140:143], v136 offset:384
	s_waitcnt lgkmcnt(0)
	v_mul_f64 v[136:137], v[3:4], v[142:143]
	v_mul_f64 v[142:143], v[1:2], v[142:143]
	v_fma_f64 v[1:2], v[1:2], v[140:141], -v[136:137]
	v_fma_f64 v[3:4], v[3:4], v[140:141], v[142:143]
	buffer_store_dword v2, off, s[0:3], 0 offset:388
	buffer_store_dword v1, off, s[0:3], 0 offset:384
	;; [unrolled: 1-line block ×4, first 2 shown]
.LBB63_1073:
	s_or_b32 exec_lo, exec_lo, s4
	v_mov_b32_e32 v4, s48
	s_mov_b32 s4, exec_lo
	s_clause 0x3
	buffer_load_dword v1, v4, s[0:3], 0 offen
	buffer_load_dword v2, v4, s[0:3], 0 offen offset:4
	buffer_load_dword v3, v4, s[0:3], 0 offen offset:8
	;; [unrolled: 1-line block ×3, first 2 shown]
	s_waitcnt vmcnt(0)
	ds_write_b128 v134, v[1:4]
	s_waitcnt lgkmcnt(0)
	s_waitcnt_vscnt null, 0x0
	s_barrier
	buffer_gl0_inv
	v_cmpx_gt_u32_e32 25, v0
	s_cbranch_execz .LBB63_1081
; %bb.1074:
	ds_read_b128 v[1:4], v134
	v_cmp_ne_u32_e32 vcc_lo, 1, v135
	s_cbranch_vccnz .LBB63_1076
; %bb.1075:
	s_clause 0x3
	buffer_load_dword v136, v133, s[0:3], 0 offen offset:8
	buffer_load_dword v137, v133, s[0:3], 0 offen offset:12
	buffer_load_dword v140, v133, s[0:3], 0 offen
	buffer_load_dword v141, v133, s[0:3], 0 offen offset:4
	s_waitcnt vmcnt(2) lgkmcnt(0)
	v_mul_f64 v[142:143], v[3:4], v[136:137]
	v_mul_f64 v[136:137], v[1:2], v[136:137]
	s_waitcnt vmcnt(0)
	v_fma_f64 v[1:2], v[1:2], v[140:141], -v[142:143]
	v_fma_f64 v[3:4], v[3:4], v[140:141], v[136:137]
.LBB63_1076:
	s_mov_b32 s5, exec_lo
	v_cmpx_ne_u32_e32 24, v0
	s_cbranch_execz .LBB63_1080
; %bb.1077:
	v_add_nc_u32_e32 v136, 0x410, v139
	v_add3_u32 v137, 0, v139, 16
	v_mov_b32_e32 v138, v0
	s_mov_b32 s6, 0
	.p2align	6
.LBB63_1078:                            ; =>This Inner Loop Header: Depth=1
	s_clause 0x3
	buffer_load_dword v144, v137, s[0:3], 0 offen offset:8
	buffer_load_dword v145, v137, s[0:3], 0 offen offset:12
	buffer_load_dword v146, v137, s[0:3], 0 offen
	buffer_load_dword v147, v137, s[0:3], 0 offen offset:4
	ds_read_b128 v[140:143], v136
	v_add_nc_u32_e32 v138, 1, v138
	v_add_nc_u32_e32 v136, 16, v136
	;; [unrolled: 1-line block ×3, first 2 shown]
	v_cmp_lt_u32_e32 vcc_lo, 23, v138
	s_or_b32 s6, vcc_lo, s6
	s_waitcnt vmcnt(2) lgkmcnt(0)
	v_mul_f64 v[148:149], v[142:143], v[144:145]
	v_mul_f64 v[144:145], v[140:141], v[144:145]
	s_waitcnt vmcnt(0)
	v_fma_f64 v[140:141], v[140:141], v[146:147], -v[148:149]
	v_fma_f64 v[142:143], v[142:143], v[146:147], v[144:145]
	v_add_f64 v[1:2], v[1:2], v[140:141]
	v_add_f64 v[3:4], v[3:4], v[142:143]
	s_andn2_b32 exec_lo, exec_lo, s6
	s_cbranch_execnz .LBB63_1078
; %bb.1079:
	s_or_b32 exec_lo, exec_lo, s6
.LBB63_1080:
	s_or_b32 exec_lo, exec_lo, s5
	v_mov_b32_e32 v136, 0
	ds_read_b128 v[140:143], v136 offset:400
	s_waitcnt lgkmcnt(0)
	v_mul_f64 v[136:137], v[3:4], v[142:143]
	v_mul_f64 v[142:143], v[1:2], v[142:143]
	v_fma_f64 v[1:2], v[1:2], v[140:141], -v[136:137]
	v_fma_f64 v[3:4], v[3:4], v[140:141], v[142:143]
	buffer_store_dword v2, off, s[0:3], 0 offset:404
	buffer_store_dword v1, off, s[0:3], 0 offset:400
	;; [unrolled: 1-line block ×4, first 2 shown]
.LBB63_1081:
	s_or_b32 exec_lo, exec_lo, s4
	v_mov_b32_e32 v4, s47
	s_mov_b32 s4, exec_lo
	s_clause 0x3
	buffer_load_dword v1, v4, s[0:3], 0 offen
	buffer_load_dword v2, v4, s[0:3], 0 offen offset:4
	buffer_load_dword v3, v4, s[0:3], 0 offen offset:8
	;; [unrolled: 1-line block ×3, first 2 shown]
	s_waitcnt vmcnt(0)
	ds_write_b128 v134, v[1:4]
	s_waitcnt lgkmcnt(0)
	s_waitcnt_vscnt null, 0x0
	s_barrier
	buffer_gl0_inv
	v_cmpx_gt_u32_e32 26, v0
	s_cbranch_execz .LBB63_1089
; %bb.1082:
	ds_read_b128 v[1:4], v134
	v_cmp_ne_u32_e32 vcc_lo, 1, v135
	s_cbranch_vccnz .LBB63_1084
; %bb.1083:
	s_clause 0x3
	buffer_load_dword v136, v133, s[0:3], 0 offen offset:8
	buffer_load_dword v137, v133, s[0:3], 0 offen offset:12
	buffer_load_dword v140, v133, s[0:3], 0 offen
	buffer_load_dword v141, v133, s[0:3], 0 offen offset:4
	s_waitcnt vmcnt(2) lgkmcnt(0)
	v_mul_f64 v[142:143], v[3:4], v[136:137]
	v_mul_f64 v[136:137], v[1:2], v[136:137]
	s_waitcnt vmcnt(0)
	v_fma_f64 v[1:2], v[1:2], v[140:141], -v[142:143]
	v_fma_f64 v[3:4], v[3:4], v[140:141], v[136:137]
.LBB63_1084:
	s_mov_b32 s5, exec_lo
	v_cmpx_ne_u32_e32 25, v0
	s_cbranch_execz .LBB63_1088
; %bb.1085:
	v_add_nc_u32_e32 v136, 0x410, v139
	v_add3_u32 v137, 0, v139, 16
	v_mov_b32_e32 v138, v0
	s_mov_b32 s6, 0
	.p2align	6
.LBB63_1086:                            ; =>This Inner Loop Header: Depth=1
	s_clause 0x3
	buffer_load_dword v144, v137, s[0:3], 0 offen offset:8
	buffer_load_dword v145, v137, s[0:3], 0 offen offset:12
	buffer_load_dword v146, v137, s[0:3], 0 offen
	buffer_load_dword v147, v137, s[0:3], 0 offen offset:4
	ds_read_b128 v[140:143], v136
	v_add_nc_u32_e32 v138, 1, v138
	v_add_nc_u32_e32 v136, 16, v136
	;; [unrolled: 1-line block ×3, first 2 shown]
	v_cmp_lt_u32_e32 vcc_lo, 24, v138
	s_or_b32 s6, vcc_lo, s6
	s_waitcnt vmcnt(2) lgkmcnt(0)
	v_mul_f64 v[148:149], v[142:143], v[144:145]
	v_mul_f64 v[144:145], v[140:141], v[144:145]
	s_waitcnt vmcnt(0)
	v_fma_f64 v[140:141], v[140:141], v[146:147], -v[148:149]
	v_fma_f64 v[142:143], v[142:143], v[146:147], v[144:145]
	v_add_f64 v[1:2], v[1:2], v[140:141]
	v_add_f64 v[3:4], v[3:4], v[142:143]
	s_andn2_b32 exec_lo, exec_lo, s6
	s_cbranch_execnz .LBB63_1086
; %bb.1087:
	s_or_b32 exec_lo, exec_lo, s6
.LBB63_1088:
	s_or_b32 exec_lo, exec_lo, s5
	v_mov_b32_e32 v136, 0
	ds_read_b128 v[140:143], v136 offset:416
	s_waitcnt lgkmcnt(0)
	v_mul_f64 v[136:137], v[3:4], v[142:143]
	v_mul_f64 v[142:143], v[1:2], v[142:143]
	v_fma_f64 v[1:2], v[1:2], v[140:141], -v[136:137]
	v_fma_f64 v[3:4], v[3:4], v[140:141], v[142:143]
	buffer_store_dword v2, off, s[0:3], 0 offset:420
	buffer_store_dword v1, off, s[0:3], 0 offset:416
	buffer_store_dword v4, off, s[0:3], 0 offset:428
	buffer_store_dword v3, off, s[0:3], 0 offset:424
.LBB63_1089:
	s_or_b32 exec_lo, exec_lo, s4
	v_mov_b32_e32 v4, s46
	s_mov_b32 s4, exec_lo
	s_clause 0x3
	buffer_load_dword v1, v4, s[0:3], 0 offen
	buffer_load_dword v2, v4, s[0:3], 0 offen offset:4
	buffer_load_dword v3, v4, s[0:3], 0 offen offset:8
	;; [unrolled: 1-line block ×3, first 2 shown]
	s_waitcnt vmcnt(0)
	ds_write_b128 v134, v[1:4]
	s_waitcnt lgkmcnt(0)
	s_waitcnt_vscnt null, 0x0
	s_barrier
	buffer_gl0_inv
	v_cmpx_gt_u32_e32 27, v0
	s_cbranch_execz .LBB63_1097
; %bb.1090:
	ds_read_b128 v[1:4], v134
	v_cmp_ne_u32_e32 vcc_lo, 1, v135
	s_cbranch_vccnz .LBB63_1092
; %bb.1091:
	s_clause 0x3
	buffer_load_dword v136, v133, s[0:3], 0 offen offset:8
	buffer_load_dword v137, v133, s[0:3], 0 offen offset:12
	buffer_load_dword v140, v133, s[0:3], 0 offen
	buffer_load_dword v141, v133, s[0:3], 0 offen offset:4
	s_waitcnt vmcnt(2) lgkmcnt(0)
	v_mul_f64 v[142:143], v[3:4], v[136:137]
	v_mul_f64 v[136:137], v[1:2], v[136:137]
	s_waitcnt vmcnt(0)
	v_fma_f64 v[1:2], v[1:2], v[140:141], -v[142:143]
	v_fma_f64 v[3:4], v[3:4], v[140:141], v[136:137]
.LBB63_1092:
	s_mov_b32 s5, exec_lo
	v_cmpx_ne_u32_e32 26, v0
	s_cbranch_execz .LBB63_1096
; %bb.1093:
	v_add_nc_u32_e32 v136, 0x410, v139
	v_add3_u32 v137, 0, v139, 16
	v_mov_b32_e32 v138, v0
	s_mov_b32 s6, 0
	.p2align	6
.LBB63_1094:                            ; =>This Inner Loop Header: Depth=1
	s_clause 0x3
	buffer_load_dword v144, v137, s[0:3], 0 offen offset:8
	buffer_load_dword v145, v137, s[0:3], 0 offen offset:12
	buffer_load_dword v146, v137, s[0:3], 0 offen
	buffer_load_dword v147, v137, s[0:3], 0 offen offset:4
	ds_read_b128 v[140:143], v136
	v_add_nc_u32_e32 v138, 1, v138
	v_add_nc_u32_e32 v136, 16, v136
	;; [unrolled: 1-line block ×3, first 2 shown]
	v_cmp_lt_u32_e32 vcc_lo, 25, v138
	s_or_b32 s6, vcc_lo, s6
	s_waitcnt vmcnt(2) lgkmcnt(0)
	v_mul_f64 v[148:149], v[142:143], v[144:145]
	v_mul_f64 v[144:145], v[140:141], v[144:145]
	s_waitcnt vmcnt(0)
	v_fma_f64 v[140:141], v[140:141], v[146:147], -v[148:149]
	v_fma_f64 v[142:143], v[142:143], v[146:147], v[144:145]
	v_add_f64 v[1:2], v[1:2], v[140:141]
	v_add_f64 v[3:4], v[3:4], v[142:143]
	s_andn2_b32 exec_lo, exec_lo, s6
	s_cbranch_execnz .LBB63_1094
; %bb.1095:
	s_or_b32 exec_lo, exec_lo, s6
.LBB63_1096:
	s_or_b32 exec_lo, exec_lo, s5
	v_mov_b32_e32 v136, 0
	ds_read_b128 v[140:143], v136 offset:432
	s_waitcnt lgkmcnt(0)
	v_mul_f64 v[136:137], v[3:4], v[142:143]
	v_mul_f64 v[142:143], v[1:2], v[142:143]
	v_fma_f64 v[1:2], v[1:2], v[140:141], -v[136:137]
	v_fma_f64 v[3:4], v[3:4], v[140:141], v[142:143]
	buffer_store_dword v2, off, s[0:3], 0 offset:436
	buffer_store_dword v1, off, s[0:3], 0 offset:432
	;; [unrolled: 1-line block ×4, first 2 shown]
.LBB63_1097:
	s_or_b32 exec_lo, exec_lo, s4
	v_mov_b32_e32 v4, s45
	s_mov_b32 s4, exec_lo
	s_clause 0x3
	buffer_load_dword v1, v4, s[0:3], 0 offen
	buffer_load_dword v2, v4, s[0:3], 0 offen offset:4
	buffer_load_dword v3, v4, s[0:3], 0 offen offset:8
	;; [unrolled: 1-line block ×3, first 2 shown]
	s_waitcnt vmcnt(0)
	ds_write_b128 v134, v[1:4]
	s_waitcnt lgkmcnt(0)
	s_waitcnt_vscnt null, 0x0
	s_barrier
	buffer_gl0_inv
	v_cmpx_gt_u32_e32 28, v0
	s_cbranch_execz .LBB63_1105
; %bb.1098:
	ds_read_b128 v[1:4], v134
	v_cmp_ne_u32_e32 vcc_lo, 1, v135
	s_cbranch_vccnz .LBB63_1100
; %bb.1099:
	s_clause 0x3
	buffer_load_dword v136, v133, s[0:3], 0 offen offset:8
	buffer_load_dword v137, v133, s[0:3], 0 offen offset:12
	buffer_load_dword v140, v133, s[0:3], 0 offen
	buffer_load_dword v141, v133, s[0:3], 0 offen offset:4
	s_waitcnt vmcnt(2) lgkmcnt(0)
	v_mul_f64 v[142:143], v[3:4], v[136:137]
	v_mul_f64 v[136:137], v[1:2], v[136:137]
	s_waitcnt vmcnt(0)
	v_fma_f64 v[1:2], v[1:2], v[140:141], -v[142:143]
	v_fma_f64 v[3:4], v[3:4], v[140:141], v[136:137]
.LBB63_1100:
	s_mov_b32 s5, exec_lo
	v_cmpx_ne_u32_e32 27, v0
	s_cbranch_execz .LBB63_1104
; %bb.1101:
	v_add_nc_u32_e32 v136, 0x410, v139
	v_add3_u32 v137, 0, v139, 16
	v_mov_b32_e32 v138, v0
	s_mov_b32 s6, 0
	.p2align	6
.LBB63_1102:                            ; =>This Inner Loop Header: Depth=1
	s_clause 0x3
	buffer_load_dword v144, v137, s[0:3], 0 offen offset:8
	buffer_load_dword v145, v137, s[0:3], 0 offen offset:12
	buffer_load_dword v146, v137, s[0:3], 0 offen
	buffer_load_dword v147, v137, s[0:3], 0 offen offset:4
	ds_read_b128 v[140:143], v136
	v_add_nc_u32_e32 v138, 1, v138
	v_add_nc_u32_e32 v136, 16, v136
	;; [unrolled: 1-line block ×3, first 2 shown]
	v_cmp_lt_u32_e32 vcc_lo, 26, v138
	s_or_b32 s6, vcc_lo, s6
	s_waitcnt vmcnt(2) lgkmcnt(0)
	v_mul_f64 v[148:149], v[142:143], v[144:145]
	v_mul_f64 v[144:145], v[140:141], v[144:145]
	s_waitcnt vmcnt(0)
	v_fma_f64 v[140:141], v[140:141], v[146:147], -v[148:149]
	v_fma_f64 v[142:143], v[142:143], v[146:147], v[144:145]
	v_add_f64 v[1:2], v[1:2], v[140:141]
	v_add_f64 v[3:4], v[3:4], v[142:143]
	s_andn2_b32 exec_lo, exec_lo, s6
	s_cbranch_execnz .LBB63_1102
; %bb.1103:
	s_or_b32 exec_lo, exec_lo, s6
.LBB63_1104:
	s_or_b32 exec_lo, exec_lo, s5
	v_mov_b32_e32 v136, 0
	ds_read_b128 v[140:143], v136 offset:448
	s_waitcnt lgkmcnt(0)
	v_mul_f64 v[136:137], v[3:4], v[142:143]
	v_mul_f64 v[142:143], v[1:2], v[142:143]
	v_fma_f64 v[1:2], v[1:2], v[140:141], -v[136:137]
	v_fma_f64 v[3:4], v[3:4], v[140:141], v[142:143]
	buffer_store_dword v2, off, s[0:3], 0 offset:452
	buffer_store_dword v1, off, s[0:3], 0 offset:448
	;; [unrolled: 1-line block ×4, first 2 shown]
.LBB63_1105:
	s_or_b32 exec_lo, exec_lo, s4
	v_mov_b32_e32 v4, s44
	s_mov_b32 s4, exec_lo
	s_clause 0x3
	buffer_load_dword v1, v4, s[0:3], 0 offen
	buffer_load_dword v2, v4, s[0:3], 0 offen offset:4
	buffer_load_dword v3, v4, s[0:3], 0 offen offset:8
	;; [unrolled: 1-line block ×3, first 2 shown]
	s_waitcnt vmcnt(0)
	ds_write_b128 v134, v[1:4]
	s_waitcnt lgkmcnt(0)
	s_waitcnt_vscnt null, 0x0
	s_barrier
	buffer_gl0_inv
	v_cmpx_gt_u32_e32 29, v0
	s_cbranch_execz .LBB63_1113
; %bb.1106:
	ds_read_b128 v[1:4], v134
	v_cmp_ne_u32_e32 vcc_lo, 1, v135
	s_cbranch_vccnz .LBB63_1108
; %bb.1107:
	s_clause 0x3
	buffer_load_dword v136, v133, s[0:3], 0 offen offset:8
	buffer_load_dword v137, v133, s[0:3], 0 offen offset:12
	buffer_load_dword v140, v133, s[0:3], 0 offen
	buffer_load_dword v141, v133, s[0:3], 0 offen offset:4
	s_waitcnt vmcnt(2) lgkmcnt(0)
	v_mul_f64 v[142:143], v[3:4], v[136:137]
	v_mul_f64 v[136:137], v[1:2], v[136:137]
	s_waitcnt vmcnt(0)
	v_fma_f64 v[1:2], v[1:2], v[140:141], -v[142:143]
	v_fma_f64 v[3:4], v[3:4], v[140:141], v[136:137]
.LBB63_1108:
	s_mov_b32 s5, exec_lo
	v_cmpx_ne_u32_e32 28, v0
	s_cbranch_execz .LBB63_1112
; %bb.1109:
	v_add_nc_u32_e32 v136, 0x410, v139
	v_add3_u32 v137, 0, v139, 16
	v_mov_b32_e32 v138, v0
	s_mov_b32 s6, 0
	.p2align	6
.LBB63_1110:                            ; =>This Inner Loop Header: Depth=1
	s_clause 0x3
	buffer_load_dword v144, v137, s[0:3], 0 offen offset:8
	buffer_load_dword v145, v137, s[0:3], 0 offen offset:12
	buffer_load_dword v146, v137, s[0:3], 0 offen
	buffer_load_dword v147, v137, s[0:3], 0 offen offset:4
	ds_read_b128 v[140:143], v136
	v_add_nc_u32_e32 v138, 1, v138
	v_add_nc_u32_e32 v136, 16, v136
	;; [unrolled: 1-line block ×3, first 2 shown]
	v_cmp_lt_u32_e32 vcc_lo, 27, v138
	s_or_b32 s6, vcc_lo, s6
	s_waitcnt vmcnt(2) lgkmcnt(0)
	v_mul_f64 v[148:149], v[142:143], v[144:145]
	v_mul_f64 v[144:145], v[140:141], v[144:145]
	s_waitcnt vmcnt(0)
	v_fma_f64 v[140:141], v[140:141], v[146:147], -v[148:149]
	v_fma_f64 v[142:143], v[142:143], v[146:147], v[144:145]
	v_add_f64 v[1:2], v[1:2], v[140:141]
	v_add_f64 v[3:4], v[3:4], v[142:143]
	s_andn2_b32 exec_lo, exec_lo, s6
	s_cbranch_execnz .LBB63_1110
; %bb.1111:
	s_or_b32 exec_lo, exec_lo, s6
.LBB63_1112:
	s_or_b32 exec_lo, exec_lo, s5
	v_mov_b32_e32 v136, 0
	ds_read_b128 v[140:143], v136 offset:464
	s_waitcnt lgkmcnt(0)
	v_mul_f64 v[136:137], v[3:4], v[142:143]
	v_mul_f64 v[142:143], v[1:2], v[142:143]
	v_fma_f64 v[1:2], v[1:2], v[140:141], -v[136:137]
	v_fma_f64 v[3:4], v[3:4], v[140:141], v[142:143]
	buffer_store_dword v2, off, s[0:3], 0 offset:468
	buffer_store_dword v1, off, s[0:3], 0 offset:464
	;; [unrolled: 1-line block ×4, first 2 shown]
.LBB63_1113:
	s_or_b32 exec_lo, exec_lo, s4
	v_mov_b32_e32 v4, s43
	s_mov_b32 s4, exec_lo
	s_clause 0x3
	buffer_load_dword v1, v4, s[0:3], 0 offen
	buffer_load_dword v2, v4, s[0:3], 0 offen offset:4
	buffer_load_dword v3, v4, s[0:3], 0 offen offset:8
	;; [unrolled: 1-line block ×3, first 2 shown]
	s_waitcnt vmcnt(0)
	ds_write_b128 v134, v[1:4]
	s_waitcnt lgkmcnt(0)
	s_waitcnt_vscnt null, 0x0
	s_barrier
	buffer_gl0_inv
	v_cmpx_gt_u32_e32 30, v0
	s_cbranch_execz .LBB63_1121
; %bb.1114:
	ds_read_b128 v[1:4], v134
	v_cmp_ne_u32_e32 vcc_lo, 1, v135
	s_cbranch_vccnz .LBB63_1116
; %bb.1115:
	s_clause 0x3
	buffer_load_dword v136, v133, s[0:3], 0 offen offset:8
	buffer_load_dword v137, v133, s[0:3], 0 offen offset:12
	buffer_load_dword v140, v133, s[0:3], 0 offen
	buffer_load_dword v141, v133, s[0:3], 0 offen offset:4
	s_waitcnt vmcnt(2) lgkmcnt(0)
	v_mul_f64 v[142:143], v[3:4], v[136:137]
	v_mul_f64 v[136:137], v[1:2], v[136:137]
	s_waitcnt vmcnt(0)
	v_fma_f64 v[1:2], v[1:2], v[140:141], -v[142:143]
	v_fma_f64 v[3:4], v[3:4], v[140:141], v[136:137]
.LBB63_1116:
	s_mov_b32 s5, exec_lo
	v_cmpx_ne_u32_e32 29, v0
	s_cbranch_execz .LBB63_1120
; %bb.1117:
	v_add_nc_u32_e32 v136, 0x410, v139
	v_add3_u32 v137, 0, v139, 16
	v_mov_b32_e32 v138, v0
	s_mov_b32 s6, 0
	.p2align	6
.LBB63_1118:                            ; =>This Inner Loop Header: Depth=1
	s_clause 0x3
	buffer_load_dword v144, v137, s[0:3], 0 offen offset:8
	buffer_load_dword v145, v137, s[0:3], 0 offen offset:12
	buffer_load_dword v146, v137, s[0:3], 0 offen
	buffer_load_dword v147, v137, s[0:3], 0 offen offset:4
	ds_read_b128 v[140:143], v136
	v_add_nc_u32_e32 v138, 1, v138
	v_add_nc_u32_e32 v136, 16, v136
	;; [unrolled: 1-line block ×3, first 2 shown]
	v_cmp_lt_u32_e32 vcc_lo, 28, v138
	s_or_b32 s6, vcc_lo, s6
	s_waitcnt vmcnt(2) lgkmcnt(0)
	v_mul_f64 v[148:149], v[142:143], v[144:145]
	v_mul_f64 v[144:145], v[140:141], v[144:145]
	s_waitcnt vmcnt(0)
	v_fma_f64 v[140:141], v[140:141], v[146:147], -v[148:149]
	v_fma_f64 v[142:143], v[142:143], v[146:147], v[144:145]
	v_add_f64 v[1:2], v[1:2], v[140:141]
	v_add_f64 v[3:4], v[3:4], v[142:143]
	s_andn2_b32 exec_lo, exec_lo, s6
	s_cbranch_execnz .LBB63_1118
; %bb.1119:
	s_or_b32 exec_lo, exec_lo, s6
.LBB63_1120:
	s_or_b32 exec_lo, exec_lo, s5
	v_mov_b32_e32 v136, 0
	ds_read_b128 v[140:143], v136 offset:480
	s_waitcnt lgkmcnt(0)
	v_mul_f64 v[136:137], v[3:4], v[142:143]
	v_mul_f64 v[142:143], v[1:2], v[142:143]
	v_fma_f64 v[1:2], v[1:2], v[140:141], -v[136:137]
	v_fma_f64 v[3:4], v[3:4], v[140:141], v[142:143]
	buffer_store_dword v2, off, s[0:3], 0 offset:484
	buffer_store_dword v1, off, s[0:3], 0 offset:480
	;; [unrolled: 1-line block ×4, first 2 shown]
.LBB63_1121:
	s_or_b32 exec_lo, exec_lo, s4
	v_mov_b32_e32 v4, s42
	s_mov_b32 s4, exec_lo
	s_clause 0x3
	buffer_load_dword v1, v4, s[0:3], 0 offen
	buffer_load_dword v2, v4, s[0:3], 0 offen offset:4
	buffer_load_dword v3, v4, s[0:3], 0 offen offset:8
	;; [unrolled: 1-line block ×3, first 2 shown]
	s_waitcnt vmcnt(0)
	ds_write_b128 v134, v[1:4]
	s_waitcnt lgkmcnt(0)
	s_waitcnt_vscnt null, 0x0
	s_barrier
	buffer_gl0_inv
	v_cmpx_gt_u32_e32 31, v0
	s_cbranch_execz .LBB63_1129
; %bb.1122:
	ds_read_b128 v[1:4], v134
	v_cmp_ne_u32_e32 vcc_lo, 1, v135
	s_cbranch_vccnz .LBB63_1124
; %bb.1123:
	s_clause 0x3
	buffer_load_dword v136, v133, s[0:3], 0 offen offset:8
	buffer_load_dword v137, v133, s[0:3], 0 offen offset:12
	buffer_load_dword v140, v133, s[0:3], 0 offen
	buffer_load_dword v141, v133, s[0:3], 0 offen offset:4
	s_waitcnt vmcnt(2) lgkmcnt(0)
	v_mul_f64 v[142:143], v[3:4], v[136:137]
	v_mul_f64 v[136:137], v[1:2], v[136:137]
	s_waitcnt vmcnt(0)
	v_fma_f64 v[1:2], v[1:2], v[140:141], -v[142:143]
	v_fma_f64 v[3:4], v[3:4], v[140:141], v[136:137]
.LBB63_1124:
	s_mov_b32 s5, exec_lo
	v_cmpx_ne_u32_e32 30, v0
	s_cbranch_execz .LBB63_1128
; %bb.1125:
	v_add_nc_u32_e32 v136, 0x410, v139
	v_add3_u32 v137, 0, v139, 16
	v_mov_b32_e32 v138, v0
	s_mov_b32 s6, 0
	.p2align	6
.LBB63_1126:                            ; =>This Inner Loop Header: Depth=1
	s_clause 0x3
	buffer_load_dword v144, v137, s[0:3], 0 offen offset:8
	buffer_load_dword v145, v137, s[0:3], 0 offen offset:12
	buffer_load_dword v146, v137, s[0:3], 0 offen
	buffer_load_dword v147, v137, s[0:3], 0 offen offset:4
	ds_read_b128 v[140:143], v136
	v_add_nc_u32_e32 v138, 1, v138
	v_add_nc_u32_e32 v136, 16, v136
	;; [unrolled: 1-line block ×3, first 2 shown]
	v_cmp_lt_u32_e32 vcc_lo, 29, v138
	s_or_b32 s6, vcc_lo, s6
	s_waitcnt vmcnt(2) lgkmcnt(0)
	v_mul_f64 v[148:149], v[142:143], v[144:145]
	v_mul_f64 v[144:145], v[140:141], v[144:145]
	s_waitcnt vmcnt(0)
	v_fma_f64 v[140:141], v[140:141], v[146:147], -v[148:149]
	v_fma_f64 v[142:143], v[142:143], v[146:147], v[144:145]
	v_add_f64 v[1:2], v[1:2], v[140:141]
	v_add_f64 v[3:4], v[3:4], v[142:143]
	s_andn2_b32 exec_lo, exec_lo, s6
	s_cbranch_execnz .LBB63_1126
; %bb.1127:
	s_or_b32 exec_lo, exec_lo, s6
.LBB63_1128:
	s_or_b32 exec_lo, exec_lo, s5
	v_mov_b32_e32 v136, 0
	ds_read_b128 v[140:143], v136 offset:496
	s_waitcnt lgkmcnt(0)
	v_mul_f64 v[136:137], v[3:4], v[142:143]
	v_mul_f64 v[142:143], v[1:2], v[142:143]
	v_fma_f64 v[1:2], v[1:2], v[140:141], -v[136:137]
	v_fma_f64 v[3:4], v[3:4], v[140:141], v[142:143]
	buffer_store_dword v2, off, s[0:3], 0 offset:500
	buffer_store_dword v1, off, s[0:3], 0 offset:496
	;; [unrolled: 1-line block ×4, first 2 shown]
.LBB63_1129:
	s_or_b32 exec_lo, exec_lo, s4
	v_mov_b32_e32 v4, s41
	s_mov_b32 s4, exec_lo
	s_clause 0x3
	buffer_load_dword v1, v4, s[0:3], 0 offen
	buffer_load_dword v2, v4, s[0:3], 0 offen offset:4
	buffer_load_dword v3, v4, s[0:3], 0 offen offset:8
	;; [unrolled: 1-line block ×3, first 2 shown]
	s_waitcnt vmcnt(0)
	ds_write_b128 v134, v[1:4]
	s_waitcnt lgkmcnt(0)
	s_waitcnt_vscnt null, 0x0
	s_barrier
	buffer_gl0_inv
	v_cmpx_gt_u32_e32 32, v0
	s_cbranch_execz .LBB63_1137
; %bb.1130:
	ds_read_b128 v[1:4], v134
	v_cmp_ne_u32_e32 vcc_lo, 1, v135
	s_cbranch_vccnz .LBB63_1132
; %bb.1131:
	s_clause 0x3
	buffer_load_dword v136, v133, s[0:3], 0 offen offset:8
	buffer_load_dword v137, v133, s[0:3], 0 offen offset:12
	buffer_load_dword v140, v133, s[0:3], 0 offen
	buffer_load_dword v141, v133, s[0:3], 0 offen offset:4
	s_waitcnt vmcnt(2) lgkmcnt(0)
	v_mul_f64 v[142:143], v[3:4], v[136:137]
	v_mul_f64 v[136:137], v[1:2], v[136:137]
	s_waitcnt vmcnt(0)
	v_fma_f64 v[1:2], v[1:2], v[140:141], -v[142:143]
	v_fma_f64 v[3:4], v[3:4], v[140:141], v[136:137]
.LBB63_1132:
	s_mov_b32 s5, exec_lo
	v_cmpx_ne_u32_e32 31, v0
	s_cbranch_execz .LBB63_1136
; %bb.1133:
	v_add_nc_u32_e32 v136, 0x410, v139
	v_add3_u32 v137, 0, v139, 16
	v_mov_b32_e32 v138, v0
	s_mov_b32 s6, 0
	.p2align	6
.LBB63_1134:                            ; =>This Inner Loop Header: Depth=1
	s_clause 0x3
	buffer_load_dword v144, v137, s[0:3], 0 offen offset:8
	buffer_load_dword v145, v137, s[0:3], 0 offen offset:12
	buffer_load_dword v146, v137, s[0:3], 0 offen
	buffer_load_dword v147, v137, s[0:3], 0 offen offset:4
	ds_read_b128 v[140:143], v136
	v_add_nc_u32_e32 v138, 1, v138
	v_add_nc_u32_e32 v136, 16, v136
	;; [unrolled: 1-line block ×3, first 2 shown]
	v_cmp_lt_u32_e32 vcc_lo, 30, v138
	s_or_b32 s6, vcc_lo, s6
	s_waitcnt vmcnt(2) lgkmcnt(0)
	v_mul_f64 v[148:149], v[142:143], v[144:145]
	v_mul_f64 v[144:145], v[140:141], v[144:145]
	s_waitcnt vmcnt(0)
	v_fma_f64 v[140:141], v[140:141], v[146:147], -v[148:149]
	v_fma_f64 v[142:143], v[142:143], v[146:147], v[144:145]
	v_add_f64 v[1:2], v[1:2], v[140:141]
	v_add_f64 v[3:4], v[3:4], v[142:143]
	s_andn2_b32 exec_lo, exec_lo, s6
	s_cbranch_execnz .LBB63_1134
; %bb.1135:
	s_or_b32 exec_lo, exec_lo, s6
.LBB63_1136:
	s_or_b32 exec_lo, exec_lo, s5
	v_mov_b32_e32 v136, 0
	ds_read_b128 v[140:143], v136 offset:512
	s_waitcnt lgkmcnt(0)
	v_mul_f64 v[136:137], v[3:4], v[142:143]
	v_mul_f64 v[142:143], v[1:2], v[142:143]
	v_fma_f64 v[1:2], v[1:2], v[140:141], -v[136:137]
	v_fma_f64 v[3:4], v[3:4], v[140:141], v[142:143]
	buffer_store_dword v2, off, s[0:3], 0 offset:516
	buffer_store_dword v1, off, s[0:3], 0 offset:512
	;; [unrolled: 1-line block ×4, first 2 shown]
.LBB63_1137:
	s_or_b32 exec_lo, exec_lo, s4
	v_mov_b32_e32 v4, s40
	s_mov_b32 s4, exec_lo
	s_clause 0x3
	buffer_load_dword v1, v4, s[0:3], 0 offen
	buffer_load_dword v2, v4, s[0:3], 0 offen offset:4
	buffer_load_dword v3, v4, s[0:3], 0 offen offset:8
	;; [unrolled: 1-line block ×3, first 2 shown]
	s_waitcnt vmcnt(0)
	ds_write_b128 v134, v[1:4]
	s_waitcnt lgkmcnt(0)
	s_waitcnt_vscnt null, 0x0
	s_barrier
	buffer_gl0_inv
	v_cmpx_gt_u32_e32 33, v0
	s_cbranch_execz .LBB63_1145
; %bb.1138:
	ds_read_b128 v[1:4], v134
	v_cmp_ne_u32_e32 vcc_lo, 1, v135
	s_cbranch_vccnz .LBB63_1140
; %bb.1139:
	s_clause 0x3
	buffer_load_dword v136, v133, s[0:3], 0 offen offset:8
	buffer_load_dword v137, v133, s[0:3], 0 offen offset:12
	buffer_load_dword v140, v133, s[0:3], 0 offen
	buffer_load_dword v141, v133, s[0:3], 0 offen offset:4
	s_waitcnt vmcnt(2) lgkmcnt(0)
	v_mul_f64 v[142:143], v[3:4], v[136:137]
	v_mul_f64 v[136:137], v[1:2], v[136:137]
	s_waitcnt vmcnt(0)
	v_fma_f64 v[1:2], v[1:2], v[140:141], -v[142:143]
	v_fma_f64 v[3:4], v[3:4], v[140:141], v[136:137]
.LBB63_1140:
	s_mov_b32 s5, exec_lo
	v_cmpx_ne_u32_e32 32, v0
	s_cbranch_execz .LBB63_1144
; %bb.1141:
	v_add_nc_u32_e32 v136, 0x410, v139
	v_add3_u32 v137, 0, v139, 16
	v_mov_b32_e32 v138, v0
	s_mov_b32 s6, 0
	.p2align	6
.LBB63_1142:                            ; =>This Inner Loop Header: Depth=1
	s_clause 0x3
	buffer_load_dword v144, v137, s[0:3], 0 offen offset:8
	buffer_load_dword v145, v137, s[0:3], 0 offen offset:12
	buffer_load_dword v146, v137, s[0:3], 0 offen
	buffer_load_dword v147, v137, s[0:3], 0 offen offset:4
	ds_read_b128 v[140:143], v136
	v_add_nc_u32_e32 v138, 1, v138
	v_add_nc_u32_e32 v136, 16, v136
	;; [unrolled: 1-line block ×3, first 2 shown]
	v_cmp_lt_u32_e32 vcc_lo, 31, v138
	s_or_b32 s6, vcc_lo, s6
	s_waitcnt vmcnt(2) lgkmcnt(0)
	v_mul_f64 v[148:149], v[142:143], v[144:145]
	v_mul_f64 v[144:145], v[140:141], v[144:145]
	s_waitcnt vmcnt(0)
	v_fma_f64 v[140:141], v[140:141], v[146:147], -v[148:149]
	v_fma_f64 v[142:143], v[142:143], v[146:147], v[144:145]
	v_add_f64 v[1:2], v[1:2], v[140:141]
	v_add_f64 v[3:4], v[3:4], v[142:143]
	s_andn2_b32 exec_lo, exec_lo, s6
	s_cbranch_execnz .LBB63_1142
; %bb.1143:
	s_or_b32 exec_lo, exec_lo, s6
.LBB63_1144:
	s_or_b32 exec_lo, exec_lo, s5
	v_mov_b32_e32 v136, 0
	ds_read_b128 v[140:143], v136 offset:528
	s_waitcnt lgkmcnt(0)
	v_mul_f64 v[136:137], v[3:4], v[142:143]
	v_mul_f64 v[142:143], v[1:2], v[142:143]
	v_fma_f64 v[1:2], v[1:2], v[140:141], -v[136:137]
	v_fma_f64 v[3:4], v[3:4], v[140:141], v[142:143]
	buffer_store_dword v2, off, s[0:3], 0 offset:532
	buffer_store_dword v1, off, s[0:3], 0 offset:528
	;; [unrolled: 1-line block ×4, first 2 shown]
.LBB63_1145:
	s_or_b32 exec_lo, exec_lo, s4
	v_mov_b32_e32 v4, s39
	s_mov_b32 s4, exec_lo
	s_clause 0x3
	buffer_load_dword v1, v4, s[0:3], 0 offen
	buffer_load_dword v2, v4, s[0:3], 0 offen offset:4
	buffer_load_dword v3, v4, s[0:3], 0 offen offset:8
	;; [unrolled: 1-line block ×3, first 2 shown]
	s_waitcnt vmcnt(0)
	ds_write_b128 v134, v[1:4]
	s_waitcnt lgkmcnt(0)
	s_waitcnt_vscnt null, 0x0
	s_barrier
	buffer_gl0_inv
	v_cmpx_gt_u32_e32 34, v0
	s_cbranch_execz .LBB63_1153
; %bb.1146:
	ds_read_b128 v[1:4], v134
	v_cmp_ne_u32_e32 vcc_lo, 1, v135
	s_cbranch_vccnz .LBB63_1148
; %bb.1147:
	s_clause 0x3
	buffer_load_dword v136, v133, s[0:3], 0 offen offset:8
	buffer_load_dword v137, v133, s[0:3], 0 offen offset:12
	buffer_load_dword v140, v133, s[0:3], 0 offen
	buffer_load_dword v141, v133, s[0:3], 0 offen offset:4
	s_waitcnt vmcnt(2) lgkmcnt(0)
	v_mul_f64 v[142:143], v[3:4], v[136:137]
	v_mul_f64 v[136:137], v[1:2], v[136:137]
	s_waitcnt vmcnt(0)
	v_fma_f64 v[1:2], v[1:2], v[140:141], -v[142:143]
	v_fma_f64 v[3:4], v[3:4], v[140:141], v[136:137]
.LBB63_1148:
	s_mov_b32 s5, exec_lo
	v_cmpx_ne_u32_e32 33, v0
	s_cbranch_execz .LBB63_1152
; %bb.1149:
	v_add_nc_u32_e32 v136, 0x410, v139
	v_add3_u32 v137, 0, v139, 16
	v_mov_b32_e32 v138, v0
	s_mov_b32 s6, 0
	.p2align	6
.LBB63_1150:                            ; =>This Inner Loop Header: Depth=1
	s_clause 0x3
	buffer_load_dword v144, v137, s[0:3], 0 offen offset:8
	buffer_load_dword v145, v137, s[0:3], 0 offen offset:12
	buffer_load_dword v146, v137, s[0:3], 0 offen
	buffer_load_dword v147, v137, s[0:3], 0 offen offset:4
	ds_read_b128 v[140:143], v136
	v_add_nc_u32_e32 v138, 1, v138
	v_add_nc_u32_e32 v136, 16, v136
	;; [unrolled: 1-line block ×3, first 2 shown]
	v_cmp_lt_u32_e32 vcc_lo, 32, v138
	s_or_b32 s6, vcc_lo, s6
	s_waitcnt vmcnt(2) lgkmcnt(0)
	v_mul_f64 v[148:149], v[142:143], v[144:145]
	v_mul_f64 v[144:145], v[140:141], v[144:145]
	s_waitcnt vmcnt(0)
	v_fma_f64 v[140:141], v[140:141], v[146:147], -v[148:149]
	v_fma_f64 v[142:143], v[142:143], v[146:147], v[144:145]
	v_add_f64 v[1:2], v[1:2], v[140:141]
	v_add_f64 v[3:4], v[3:4], v[142:143]
	s_andn2_b32 exec_lo, exec_lo, s6
	s_cbranch_execnz .LBB63_1150
; %bb.1151:
	s_or_b32 exec_lo, exec_lo, s6
.LBB63_1152:
	s_or_b32 exec_lo, exec_lo, s5
	v_mov_b32_e32 v136, 0
	ds_read_b128 v[140:143], v136 offset:544
	s_waitcnt lgkmcnt(0)
	v_mul_f64 v[136:137], v[3:4], v[142:143]
	v_mul_f64 v[142:143], v[1:2], v[142:143]
	v_fma_f64 v[1:2], v[1:2], v[140:141], -v[136:137]
	v_fma_f64 v[3:4], v[3:4], v[140:141], v[142:143]
	buffer_store_dword v2, off, s[0:3], 0 offset:548
	buffer_store_dword v1, off, s[0:3], 0 offset:544
	;; [unrolled: 1-line block ×4, first 2 shown]
.LBB63_1153:
	s_or_b32 exec_lo, exec_lo, s4
	v_mov_b32_e32 v4, s38
	s_mov_b32 s4, exec_lo
	s_clause 0x3
	buffer_load_dword v1, v4, s[0:3], 0 offen
	buffer_load_dword v2, v4, s[0:3], 0 offen offset:4
	buffer_load_dword v3, v4, s[0:3], 0 offen offset:8
	;; [unrolled: 1-line block ×3, first 2 shown]
	s_waitcnt vmcnt(0)
	ds_write_b128 v134, v[1:4]
	s_waitcnt lgkmcnt(0)
	s_waitcnt_vscnt null, 0x0
	s_barrier
	buffer_gl0_inv
	v_cmpx_gt_u32_e32 35, v0
	s_cbranch_execz .LBB63_1161
; %bb.1154:
	ds_read_b128 v[1:4], v134
	v_cmp_ne_u32_e32 vcc_lo, 1, v135
	s_cbranch_vccnz .LBB63_1156
; %bb.1155:
	s_clause 0x3
	buffer_load_dword v136, v133, s[0:3], 0 offen offset:8
	buffer_load_dword v137, v133, s[0:3], 0 offen offset:12
	buffer_load_dword v140, v133, s[0:3], 0 offen
	buffer_load_dword v141, v133, s[0:3], 0 offen offset:4
	s_waitcnt vmcnt(2) lgkmcnt(0)
	v_mul_f64 v[142:143], v[3:4], v[136:137]
	v_mul_f64 v[136:137], v[1:2], v[136:137]
	s_waitcnt vmcnt(0)
	v_fma_f64 v[1:2], v[1:2], v[140:141], -v[142:143]
	v_fma_f64 v[3:4], v[3:4], v[140:141], v[136:137]
.LBB63_1156:
	s_mov_b32 s5, exec_lo
	v_cmpx_ne_u32_e32 34, v0
	s_cbranch_execz .LBB63_1160
; %bb.1157:
	v_add_nc_u32_e32 v136, 0x410, v139
	v_add3_u32 v137, 0, v139, 16
	v_mov_b32_e32 v138, v0
	s_mov_b32 s6, 0
	.p2align	6
.LBB63_1158:                            ; =>This Inner Loop Header: Depth=1
	s_clause 0x3
	buffer_load_dword v144, v137, s[0:3], 0 offen offset:8
	buffer_load_dword v145, v137, s[0:3], 0 offen offset:12
	buffer_load_dword v146, v137, s[0:3], 0 offen
	buffer_load_dword v147, v137, s[0:3], 0 offen offset:4
	ds_read_b128 v[140:143], v136
	v_add_nc_u32_e32 v138, 1, v138
	v_add_nc_u32_e32 v136, 16, v136
	;; [unrolled: 1-line block ×3, first 2 shown]
	v_cmp_lt_u32_e32 vcc_lo, 33, v138
	s_or_b32 s6, vcc_lo, s6
	s_waitcnt vmcnt(2) lgkmcnt(0)
	v_mul_f64 v[148:149], v[142:143], v[144:145]
	v_mul_f64 v[144:145], v[140:141], v[144:145]
	s_waitcnt vmcnt(0)
	v_fma_f64 v[140:141], v[140:141], v[146:147], -v[148:149]
	v_fma_f64 v[142:143], v[142:143], v[146:147], v[144:145]
	v_add_f64 v[1:2], v[1:2], v[140:141]
	v_add_f64 v[3:4], v[3:4], v[142:143]
	s_andn2_b32 exec_lo, exec_lo, s6
	s_cbranch_execnz .LBB63_1158
; %bb.1159:
	s_or_b32 exec_lo, exec_lo, s6
.LBB63_1160:
	s_or_b32 exec_lo, exec_lo, s5
	v_mov_b32_e32 v136, 0
	ds_read_b128 v[140:143], v136 offset:560
	s_waitcnt lgkmcnt(0)
	v_mul_f64 v[136:137], v[3:4], v[142:143]
	v_mul_f64 v[142:143], v[1:2], v[142:143]
	v_fma_f64 v[1:2], v[1:2], v[140:141], -v[136:137]
	v_fma_f64 v[3:4], v[3:4], v[140:141], v[142:143]
	buffer_store_dword v2, off, s[0:3], 0 offset:564
	buffer_store_dword v1, off, s[0:3], 0 offset:560
	;; [unrolled: 1-line block ×4, first 2 shown]
.LBB63_1161:
	s_or_b32 exec_lo, exec_lo, s4
	v_mov_b32_e32 v4, s37
	s_mov_b32 s4, exec_lo
	s_clause 0x3
	buffer_load_dword v1, v4, s[0:3], 0 offen
	buffer_load_dword v2, v4, s[0:3], 0 offen offset:4
	buffer_load_dword v3, v4, s[0:3], 0 offen offset:8
	;; [unrolled: 1-line block ×3, first 2 shown]
	s_waitcnt vmcnt(0)
	ds_write_b128 v134, v[1:4]
	s_waitcnt lgkmcnt(0)
	s_waitcnt_vscnt null, 0x0
	s_barrier
	buffer_gl0_inv
	v_cmpx_gt_u32_e32 36, v0
	s_cbranch_execz .LBB63_1169
; %bb.1162:
	ds_read_b128 v[1:4], v134
	v_cmp_ne_u32_e32 vcc_lo, 1, v135
	s_cbranch_vccnz .LBB63_1164
; %bb.1163:
	s_clause 0x3
	buffer_load_dword v136, v133, s[0:3], 0 offen offset:8
	buffer_load_dword v137, v133, s[0:3], 0 offen offset:12
	buffer_load_dword v140, v133, s[0:3], 0 offen
	buffer_load_dword v141, v133, s[0:3], 0 offen offset:4
	s_waitcnt vmcnt(2) lgkmcnt(0)
	v_mul_f64 v[142:143], v[3:4], v[136:137]
	v_mul_f64 v[136:137], v[1:2], v[136:137]
	s_waitcnt vmcnt(0)
	v_fma_f64 v[1:2], v[1:2], v[140:141], -v[142:143]
	v_fma_f64 v[3:4], v[3:4], v[140:141], v[136:137]
.LBB63_1164:
	s_mov_b32 s5, exec_lo
	v_cmpx_ne_u32_e32 35, v0
	s_cbranch_execz .LBB63_1168
; %bb.1165:
	v_add_nc_u32_e32 v136, 0x410, v139
	v_add3_u32 v137, 0, v139, 16
	v_mov_b32_e32 v138, v0
	s_mov_b32 s6, 0
	.p2align	6
.LBB63_1166:                            ; =>This Inner Loop Header: Depth=1
	s_clause 0x3
	buffer_load_dword v144, v137, s[0:3], 0 offen offset:8
	buffer_load_dword v145, v137, s[0:3], 0 offen offset:12
	buffer_load_dword v146, v137, s[0:3], 0 offen
	buffer_load_dword v147, v137, s[0:3], 0 offen offset:4
	ds_read_b128 v[140:143], v136
	v_add_nc_u32_e32 v138, 1, v138
	v_add_nc_u32_e32 v136, 16, v136
	;; [unrolled: 1-line block ×3, first 2 shown]
	v_cmp_lt_u32_e32 vcc_lo, 34, v138
	s_or_b32 s6, vcc_lo, s6
	s_waitcnt vmcnt(2) lgkmcnt(0)
	v_mul_f64 v[148:149], v[142:143], v[144:145]
	v_mul_f64 v[144:145], v[140:141], v[144:145]
	s_waitcnt vmcnt(0)
	v_fma_f64 v[140:141], v[140:141], v[146:147], -v[148:149]
	v_fma_f64 v[142:143], v[142:143], v[146:147], v[144:145]
	v_add_f64 v[1:2], v[1:2], v[140:141]
	v_add_f64 v[3:4], v[3:4], v[142:143]
	s_andn2_b32 exec_lo, exec_lo, s6
	s_cbranch_execnz .LBB63_1166
; %bb.1167:
	s_or_b32 exec_lo, exec_lo, s6
.LBB63_1168:
	s_or_b32 exec_lo, exec_lo, s5
	v_mov_b32_e32 v136, 0
	ds_read_b128 v[140:143], v136 offset:576
	s_waitcnt lgkmcnt(0)
	v_mul_f64 v[136:137], v[3:4], v[142:143]
	v_mul_f64 v[142:143], v[1:2], v[142:143]
	v_fma_f64 v[1:2], v[1:2], v[140:141], -v[136:137]
	v_fma_f64 v[3:4], v[3:4], v[140:141], v[142:143]
	buffer_store_dword v2, off, s[0:3], 0 offset:580
	buffer_store_dword v1, off, s[0:3], 0 offset:576
	;; [unrolled: 1-line block ×4, first 2 shown]
.LBB63_1169:
	s_or_b32 exec_lo, exec_lo, s4
	v_mov_b32_e32 v4, s36
	s_mov_b32 s4, exec_lo
	s_clause 0x3
	buffer_load_dword v1, v4, s[0:3], 0 offen
	buffer_load_dword v2, v4, s[0:3], 0 offen offset:4
	buffer_load_dword v3, v4, s[0:3], 0 offen offset:8
	;; [unrolled: 1-line block ×3, first 2 shown]
	s_waitcnt vmcnt(0)
	ds_write_b128 v134, v[1:4]
	s_waitcnt lgkmcnt(0)
	s_waitcnt_vscnt null, 0x0
	s_barrier
	buffer_gl0_inv
	v_cmpx_gt_u32_e32 37, v0
	s_cbranch_execz .LBB63_1177
; %bb.1170:
	ds_read_b128 v[1:4], v134
	v_cmp_ne_u32_e32 vcc_lo, 1, v135
	s_cbranch_vccnz .LBB63_1172
; %bb.1171:
	s_clause 0x3
	buffer_load_dword v136, v133, s[0:3], 0 offen offset:8
	buffer_load_dword v137, v133, s[0:3], 0 offen offset:12
	buffer_load_dword v140, v133, s[0:3], 0 offen
	buffer_load_dword v141, v133, s[0:3], 0 offen offset:4
	s_waitcnt vmcnt(2) lgkmcnt(0)
	v_mul_f64 v[142:143], v[3:4], v[136:137]
	v_mul_f64 v[136:137], v[1:2], v[136:137]
	s_waitcnt vmcnt(0)
	v_fma_f64 v[1:2], v[1:2], v[140:141], -v[142:143]
	v_fma_f64 v[3:4], v[3:4], v[140:141], v[136:137]
.LBB63_1172:
	s_mov_b32 s5, exec_lo
	v_cmpx_ne_u32_e32 36, v0
	s_cbranch_execz .LBB63_1176
; %bb.1173:
	v_add_nc_u32_e32 v136, 0x410, v139
	v_add3_u32 v137, 0, v139, 16
	v_mov_b32_e32 v138, v0
	s_mov_b32 s6, 0
	.p2align	6
.LBB63_1174:                            ; =>This Inner Loop Header: Depth=1
	s_clause 0x3
	buffer_load_dword v144, v137, s[0:3], 0 offen offset:8
	buffer_load_dword v145, v137, s[0:3], 0 offen offset:12
	buffer_load_dword v146, v137, s[0:3], 0 offen
	buffer_load_dword v147, v137, s[0:3], 0 offen offset:4
	ds_read_b128 v[140:143], v136
	v_add_nc_u32_e32 v138, 1, v138
	v_add_nc_u32_e32 v136, 16, v136
	;; [unrolled: 1-line block ×3, first 2 shown]
	v_cmp_lt_u32_e32 vcc_lo, 35, v138
	s_or_b32 s6, vcc_lo, s6
	s_waitcnt vmcnt(2) lgkmcnt(0)
	v_mul_f64 v[148:149], v[142:143], v[144:145]
	v_mul_f64 v[144:145], v[140:141], v[144:145]
	s_waitcnt vmcnt(0)
	v_fma_f64 v[140:141], v[140:141], v[146:147], -v[148:149]
	v_fma_f64 v[142:143], v[142:143], v[146:147], v[144:145]
	v_add_f64 v[1:2], v[1:2], v[140:141]
	v_add_f64 v[3:4], v[3:4], v[142:143]
	s_andn2_b32 exec_lo, exec_lo, s6
	s_cbranch_execnz .LBB63_1174
; %bb.1175:
	s_or_b32 exec_lo, exec_lo, s6
.LBB63_1176:
	s_or_b32 exec_lo, exec_lo, s5
	v_mov_b32_e32 v136, 0
	ds_read_b128 v[140:143], v136 offset:592
	s_waitcnt lgkmcnt(0)
	v_mul_f64 v[136:137], v[3:4], v[142:143]
	v_mul_f64 v[142:143], v[1:2], v[142:143]
	v_fma_f64 v[1:2], v[1:2], v[140:141], -v[136:137]
	v_fma_f64 v[3:4], v[3:4], v[140:141], v[142:143]
	buffer_store_dword v2, off, s[0:3], 0 offset:596
	buffer_store_dword v1, off, s[0:3], 0 offset:592
	;; [unrolled: 1-line block ×4, first 2 shown]
.LBB63_1177:
	s_or_b32 exec_lo, exec_lo, s4
	v_mov_b32_e32 v4, s35
	s_mov_b32 s4, exec_lo
	s_clause 0x3
	buffer_load_dword v1, v4, s[0:3], 0 offen
	buffer_load_dword v2, v4, s[0:3], 0 offen offset:4
	buffer_load_dword v3, v4, s[0:3], 0 offen offset:8
	;; [unrolled: 1-line block ×3, first 2 shown]
	s_waitcnt vmcnt(0)
	ds_write_b128 v134, v[1:4]
	s_waitcnt lgkmcnt(0)
	s_waitcnt_vscnt null, 0x0
	s_barrier
	buffer_gl0_inv
	v_cmpx_gt_u32_e32 38, v0
	s_cbranch_execz .LBB63_1185
; %bb.1178:
	ds_read_b128 v[1:4], v134
	v_cmp_ne_u32_e32 vcc_lo, 1, v135
	s_cbranch_vccnz .LBB63_1180
; %bb.1179:
	s_clause 0x3
	buffer_load_dword v136, v133, s[0:3], 0 offen offset:8
	buffer_load_dword v137, v133, s[0:3], 0 offen offset:12
	buffer_load_dword v140, v133, s[0:3], 0 offen
	buffer_load_dword v141, v133, s[0:3], 0 offen offset:4
	s_waitcnt vmcnt(2) lgkmcnt(0)
	v_mul_f64 v[142:143], v[3:4], v[136:137]
	v_mul_f64 v[136:137], v[1:2], v[136:137]
	s_waitcnt vmcnt(0)
	v_fma_f64 v[1:2], v[1:2], v[140:141], -v[142:143]
	v_fma_f64 v[3:4], v[3:4], v[140:141], v[136:137]
.LBB63_1180:
	s_mov_b32 s5, exec_lo
	v_cmpx_ne_u32_e32 37, v0
	s_cbranch_execz .LBB63_1184
; %bb.1181:
	v_add_nc_u32_e32 v136, 0x410, v139
	v_add3_u32 v137, 0, v139, 16
	v_mov_b32_e32 v138, v0
	s_mov_b32 s6, 0
	.p2align	6
.LBB63_1182:                            ; =>This Inner Loop Header: Depth=1
	s_clause 0x3
	buffer_load_dword v144, v137, s[0:3], 0 offen offset:8
	buffer_load_dword v145, v137, s[0:3], 0 offen offset:12
	buffer_load_dword v146, v137, s[0:3], 0 offen
	buffer_load_dword v147, v137, s[0:3], 0 offen offset:4
	ds_read_b128 v[140:143], v136
	v_add_nc_u32_e32 v138, 1, v138
	v_add_nc_u32_e32 v136, 16, v136
	;; [unrolled: 1-line block ×3, first 2 shown]
	v_cmp_lt_u32_e32 vcc_lo, 36, v138
	s_or_b32 s6, vcc_lo, s6
	s_waitcnt vmcnt(2) lgkmcnt(0)
	v_mul_f64 v[148:149], v[142:143], v[144:145]
	v_mul_f64 v[144:145], v[140:141], v[144:145]
	s_waitcnt vmcnt(0)
	v_fma_f64 v[140:141], v[140:141], v[146:147], -v[148:149]
	v_fma_f64 v[142:143], v[142:143], v[146:147], v[144:145]
	v_add_f64 v[1:2], v[1:2], v[140:141]
	v_add_f64 v[3:4], v[3:4], v[142:143]
	s_andn2_b32 exec_lo, exec_lo, s6
	s_cbranch_execnz .LBB63_1182
; %bb.1183:
	s_or_b32 exec_lo, exec_lo, s6
.LBB63_1184:
	s_or_b32 exec_lo, exec_lo, s5
	v_mov_b32_e32 v136, 0
	ds_read_b128 v[140:143], v136 offset:608
	s_waitcnt lgkmcnt(0)
	v_mul_f64 v[136:137], v[3:4], v[142:143]
	v_mul_f64 v[142:143], v[1:2], v[142:143]
	v_fma_f64 v[1:2], v[1:2], v[140:141], -v[136:137]
	v_fma_f64 v[3:4], v[3:4], v[140:141], v[142:143]
	buffer_store_dword v2, off, s[0:3], 0 offset:612
	buffer_store_dword v1, off, s[0:3], 0 offset:608
	;; [unrolled: 1-line block ×4, first 2 shown]
.LBB63_1185:
	s_or_b32 exec_lo, exec_lo, s4
	v_mov_b32_e32 v4, s34
	s_mov_b32 s4, exec_lo
	s_clause 0x3
	buffer_load_dword v1, v4, s[0:3], 0 offen
	buffer_load_dword v2, v4, s[0:3], 0 offen offset:4
	buffer_load_dword v3, v4, s[0:3], 0 offen offset:8
	;; [unrolled: 1-line block ×3, first 2 shown]
	s_waitcnt vmcnt(0)
	ds_write_b128 v134, v[1:4]
	s_waitcnt lgkmcnt(0)
	s_waitcnt_vscnt null, 0x0
	s_barrier
	buffer_gl0_inv
	v_cmpx_gt_u32_e32 39, v0
	s_cbranch_execz .LBB63_1193
; %bb.1186:
	ds_read_b128 v[1:4], v134
	v_cmp_ne_u32_e32 vcc_lo, 1, v135
	s_cbranch_vccnz .LBB63_1188
; %bb.1187:
	s_clause 0x3
	buffer_load_dword v136, v133, s[0:3], 0 offen offset:8
	buffer_load_dword v137, v133, s[0:3], 0 offen offset:12
	buffer_load_dword v140, v133, s[0:3], 0 offen
	buffer_load_dword v141, v133, s[0:3], 0 offen offset:4
	s_waitcnt vmcnt(2) lgkmcnt(0)
	v_mul_f64 v[142:143], v[3:4], v[136:137]
	v_mul_f64 v[136:137], v[1:2], v[136:137]
	s_waitcnt vmcnt(0)
	v_fma_f64 v[1:2], v[1:2], v[140:141], -v[142:143]
	v_fma_f64 v[3:4], v[3:4], v[140:141], v[136:137]
.LBB63_1188:
	s_mov_b32 s5, exec_lo
	v_cmpx_ne_u32_e32 38, v0
	s_cbranch_execz .LBB63_1192
; %bb.1189:
	v_add_nc_u32_e32 v136, 0x410, v139
	v_add3_u32 v137, 0, v139, 16
	v_mov_b32_e32 v138, v0
	s_mov_b32 s6, 0
	.p2align	6
.LBB63_1190:                            ; =>This Inner Loop Header: Depth=1
	s_clause 0x3
	buffer_load_dword v144, v137, s[0:3], 0 offen offset:8
	buffer_load_dword v145, v137, s[0:3], 0 offen offset:12
	buffer_load_dword v146, v137, s[0:3], 0 offen
	buffer_load_dword v147, v137, s[0:3], 0 offen offset:4
	ds_read_b128 v[140:143], v136
	v_add_nc_u32_e32 v138, 1, v138
	v_add_nc_u32_e32 v136, 16, v136
	;; [unrolled: 1-line block ×3, first 2 shown]
	v_cmp_lt_u32_e32 vcc_lo, 37, v138
	s_or_b32 s6, vcc_lo, s6
	s_waitcnt vmcnt(2) lgkmcnt(0)
	v_mul_f64 v[148:149], v[142:143], v[144:145]
	v_mul_f64 v[144:145], v[140:141], v[144:145]
	s_waitcnt vmcnt(0)
	v_fma_f64 v[140:141], v[140:141], v[146:147], -v[148:149]
	v_fma_f64 v[142:143], v[142:143], v[146:147], v[144:145]
	v_add_f64 v[1:2], v[1:2], v[140:141]
	v_add_f64 v[3:4], v[3:4], v[142:143]
	s_andn2_b32 exec_lo, exec_lo, s6
	s_cbranch_execnz .LBB63_1190
; %bb.1191:
	s_or_b32 exec_lo, exec_lo, s6
.LBB63_1192:
	s_or_b32 exec_lo, exec_lo, s5
	v_mov_b32_e32 v136, 0
	ds_read_b128 v[140:143], v136 offset:624
	s_waitcnt lgkmcnt(0)
	v_mul_f64 v[136:137], v[3:4], v[142:143]
	v_mul_f64 v[142:143], v[1:2], v[142:143]
	v_fma_f64 v[1:2], v[1:2], v[140:141], -v[136:137]
	v_fma_f64 v[3:4], v[3:4], v[140:141], v[142:143]
	buffer_store_dword v2, off, s[0:3], 0 offset:628
	buffer_store_dword v1, off, s[0:3], 0 offset:624
	;; [unrolled: 1-line block ×4, first 2 shown]
.LBB63_1193:
	s_or_b32 exec_lo, exec_lo, s4
	v_mov_b32_e32 v4, s33
	s_mov_b32 s4, exec_lo
	s_clause 0x3
	buffer_load_dword v1, v4, s[0:3], 0 offen
	buffer_load_dword v2, v4, s[0:3], 0 offen offset:4
	buffer_load_dword v3, v4, s[0:3], 0 offen offset:8
	;; [unrolled: 1-line block ×3, first 2 shown]
	s_waitcnt vmcnt(0)
	ds_write_b128 v134, v[1:4]
	s_waitcnt lgkmcnt(0)
	s_waitcnt_vscnt null, 0x0
	s_barrier
	buffer_gl0_inv
	v_cmpx_gt_u32_e32 40, v0
	s_cbranch_execz .LBB63_1201
; %bb.1194:
	ds_read_b128 v[1:4], v134
	v_cmp_ne_u32_e32 vcc_lo, 1, v135
	s_cbranch_vccnz .LBB63_1196
; %bb.1195:
	s_clause 0x3
	buffer_load_dword v136, v133, s[0:3], 0 offen offset:8
	buffer_load_dword v137, v133, s[0:3], 0 offen offset:12
	buffer_load_dword v140, v133, s[0:3], 0 offen
	buffer_load_dword v141, v133, s[0:3], 0 offen offset:4
	s_waitcnt vmcnt(2) lgkmcnt(0)
	v_mul_f64 v[142:143], v[3:4], v[136:137]
	v_mul_f64 v[136:137], v[1:2], v[136:137]
	s_waitcnt vmcnt(0)
	v_fma_f64 v[1:2], v[1:2], v[140:141], -v[142:143]
	v_fma_f64 v[3:4], v[3:4], v[140:141], v[136:137]
.LBB63_1196:
	s_mov_b32 s5, exec_lo
	v_cmpx_ne_u32_e32 39, v0
	s_cbranch_execz .LBB63_1200
; %bb.1197:
	v_add_nc_u32_e32 v136, 0x410, v139
	v_add3_u32 v137, 0, v139, 16
	v_mov_b32_e32 v138, v0
	s_mov_b32 s6, 0
	.p2align	6
.LBB63_1198:                            ; =>This Inner Loop Header: Depth=1
	s_clause 0x3
	buffer_load_dword v144, v137, s[0:3], 0 offen offset:8
	buffer_load_dword v145, v137, s[0:3], 0 offen offset:12
	buffer_load_dword v146, v137, s[0:3], 0 offen
	buffer_load_dword v147, v137, s[0:3], 0 offen offset:4
	ds_read_b128 v[140:143], v136
	v_add_nc_u32_e32 v138, 1, v138
	v_add_nc_u32_e32 v136, 16, v136
	;; [unrolled: 1-line block ×3, first 2 shown]
	v_cmp_lt_u32_e32 vcc_lo, 38, v138
	s_or_b32 s6, vcc_lo, s6
	s_waitcnt vmcnt(2) lgkmcnt(0)
	v_mul_f64 v[148:149], v[142:143], v[144:145]
	v_mul_f64 v[144:145], v[140:141], v[144:145]
	s_waitcnt vmcnt(0)
	v_fma_f64 v[140:141], v[140:141], v[146:147], -v[148:149]
	v_fma_f64 v[142:143], v[142:143], v[146:147], v[144:145]
	v_add_f64 v[1:2], v[1:2], v[140:141]
	v_add_f64 v[3:4], v[3:4], v[142:143]
	s_andn2_b32 exec_lo, exec_lo, s6
	s_cbranch_execnz .LBB63_1198
; %bb.1199:
	s_or_b32 exec_lo, exec_lo, s6
.LBB63_1200:
	s_or_b32 exec_lo, exec_lo, s5
	v_mov_b32_e32 v136, 0
	ds_read_b128 v[140:143], v136 offset:640
	s_waitcnt lgkmcnt(0)
	v_mul_f64 v[136:137], v[3:4], v[142:143]
	v_mul_f64 v[142:143], v[1:2], v[142:143]
	v_fma_f64 v[1:2], v[1:2], v[140:141], -v[136:137]
	v_fma_f64 v[3:4], v[3:4], v[140:141], v[142:143]
	buffer_store_dword v2, off, s[0:3], 0 offset:644
	buffer_store_dword v1, off, s[0:3], 0 offset:640
	;; [unrolled: 1-line block ×4, first 2 shown]
.LBB63_1201:
	s_or_b32 exec_lo, exec_lo, s4
	v_mov_b32_e32 v4, s31
	s_mov_b32 s4, exec_lo
	s_clause 0x3
	buffer_load_dword v1, v4, s[0:3], 0 offen
	buffer_load_dword v2, v4, s[0:3], 0 offen offset:4
	buffer_load_dword v3, v4, s[0:3], 0 offen offset:8
	;; [unrolled: 1-line block ×3, first 2 shown]
	s_waitcnt vmcnt(0)
	ds_write_b128 v134, v[1:4]
	s_waitcnt lgkmcnt(0)
	s_waitcnt_vscnt null, 0x0
	s_barrier
	buffer_gl0_inv
	v_cmpx_gt_u32_e32 41, v0
	s_cbranch_execz .LBB63_1209
; %bb.1202:
	ds_read_b128 v[1:4], v134
	v_cmp_ne_u32_e32 vcc_lo, 1, v135
	s_cbranch_vccnz .LBB63_1204
; %bb.1203:
	s_clause 0x3
	buffer_load_dword v136, v133, s[0:3], 0 offen offset:8
	buffer_load_dword v137, v133, s[0:3], 0 offen offset:12
	buffer_load_dword v140, v133, s[0:3], 0 offen
	buffer_load_dword v141, v133, s[0:3], 0 offen offset:4
	s_waitcnt vmcnt(2) lgkmcnt(0)
	v_mul_f64 v[142:143], v[3:4], v[136:137]
	v_mul_f64 v[136:137], v[1:2], v[136:137]
	s_waitcnt vmcnt(0)
	v_fma_f64 v[1:2], v[1:2], v[140:141], -v[142:143]
	v_fma_f64 v[3:4], v[3:4], v[140:141], v[136:137]
.LBB63_1204:
	s_mov_b32 s5, exec_lo
	v_cmpx_ne_u32_e32 40, v0
	s_cbranch_execz .LBB63_1208
; %bb.1205:
	v_add_nc_u32_e32 v136, 0x410, v139
	v_add3_u32 v137, 0, v139, 16
	v_mov_b32_e32 v138, v0
	s_mov_b32 s6, 0
	.p2align	6
.LBB63_1206:                            ; =>This Inner Loop Header: Depth=1
	s_clause 0x3
	buffer_load_dword v144, v137, s[0:3], 0 offen offset:8
	buffer_load_dword v145, v137, s[0:3], 0 offen offset:12
	buffer_load_dword v146, v137, s[0:3], 0 offen
	buffer_load_dword v147, v137, s[0:3], 0 offen offset:4
	ds_read_b128 v[140:143], v136
	v_add_nc_u32_e32 v138, 1, v138
	v_add_nc_u32_e32 v136, 16, v136
	;; [unrolled: 1-line block ×3, first 2 shown]
	v_cmp_lt_u32_e32 vcc_lo, 39, v138
	s_or_b32 s6, vcc_lo, s6
	s_waitcnt vmcnt(2) lgkmcnt(0)
	v_mul_f64 v[148:149], v[142:143], v[144:145]
	v_mul_f64 v[144:145], v[140:141], v[144:145]
	s_waitcnt vmcnt(0)
	v_fma_f64 v[140:141], v[140:141], v[146:147], -v[148:149]
	v_fma_f64 v[142:143], v[142:143], v[146:147], v[144:145]
	v_add_f64 v[1:2], v[1:2], v[140:141]
	v_add_f64 v[3:4], v[3:4], v[142:143]
	s_andn2_b32 exec_lo, exec_lo, s6
	s_cbranch_execnz .LBB63_1206
; %bb.1207:
	s_or_b32 exec_lo, exec_lo, s6
.LBB63_1208:
	s_or_b32 exec_lo, exec_lo, s5
	v_mov_b32_e32 v136, 0
	ds_read_b128 v[140:143], v136 offset:656
	s_waitcnt lgkmcnt(0)
	v_mul_f64 v[136:137], v[3:4], v[142:143]
	v_mul_f64 v[142:143], v[1:2], v[142:143]
	v_fma_f64 v[1:2], v[1:2], v[140:141], -v[136:137]
	v_fma_f64 v[3:4], v[3:4], v[140:141], v[142:143]
	buffer_store_dword v2, off, s[0:3], 0 offset:660
	buffer_store_dword v1, off, s[0:3], 0 offset:656
	;; [unrolled: 1-line block ×4, first 2 shown]
.LBB63_1209:
	s_or_b32 exec_lo, exec_lo, s4
	v_mov_b32_e32 v4, s30
	s_mov_b32 s4, exec_lo
	s_clause 0x3
	buffer_load_dword v1, v4, s[0:3], 0 offen
	buffer_load_dword v2, v4, s[0:3], 0 offen offset:4
	buffer_load_dword v3, v4, s[0:3], 0 offen offset:8
	;; [unrolled: 1-line block ×3, first 2 shown]
	s_waitcnt vmcnt(0)
	ds_write_b128 v134, v[1:4]
	s_waitcnt lgkmcnt(0)
	s_waitcnt_vscnt null, 0x0
	s_barrier
	buffer_gl0_inv
	v_cmpx_gt_u32_e32 42, v0
	s_cbranch_execz .LBB63_1217
; %bb.1210:
	ds_read_b128 v[1:4], v134
	v_cmp_ne_u32_e32 vcc_lo, 1, v135
	s_cbranch_vccnz .LBB63_1212
; %bb.1211:
	s_clause 0x3
	buffer_load_dword v136, v133, s[0:3], 0 offen offset:8
	buffer_load_dword v137, v133, s[0:3], 0 offen offset:12
	buffer_load_dword v140, v133, s[0:3], 0 offen
	buffer_load_dword v141, v133, s[0:3], 0 offen offset:4
	s_waitcnt vmcnt(2) lgkmcnt(0)
	v_mul_f64 v[142:143], v[3:4], v[136:137]
	v_mul_f64 v[136:137], v[1:2], v[136:137]
	s_waitcnt vmcnt(0)
	v_fma_f64 v[1:2], v[1:2], v[140:141], -v[142:143]
	v_fma_f64 v[3:4], v[3:4], v[140:141], v[136:137]
.LBB63_1212:
	s_mov_b32 s5, exec_lo
	v_cmpx_ne_u32_e32 41, v0
	s_cbranch_execz .LBB63_1216
; %bb.1213:
	v_add_nc_u32_e32 v136, 0x410, v139
	v_add3_u32 v137, 0, v139, 16
	v_mov_b32_e32 v138, v0
	s_mov_b32 s6, 0
	.p2align	6
.LBB63_1214:                            ; =>This Inner Loop Header: Depth=1
	s_clause 0x3
	buffer_load_dword v144, v137, s[0:3], 0 offen offset:8
	buffer_load_dword v145, v137, s[0:3], 0 offen offset:12
	buffer_load_dword v146, v137, s[0:3], 0 offen
	buffer_load_dword v147, v137, s[0:3], 0 offen offset:4
	ds_read_b128 v[140:143], v136
	v_add_nc_u32_e32 v138, 1, v138
	v_add_nc_u32_e32 v136, 16, v136
	;; [unrolled: 1-line block ×3, first 2 shown]
	v_cmp_lt_u32_e32 vcc_lo, 40, v138
	s_or_b32 s6, vcc_lo, s6
	s_waitcnt vmcnt(2) lgkmcnt(0)
	v_mul_f64 v[148:149], v[142:143], v[144:145]
	v_mul_f64 v[144:145], v[140:141], v[144:145]
	s_waitcnt vmcnt(0)
	v_fma_f64 v[140:141], v[140:141], v[146:147], -v[148:149]
	v_fma_f64 v[142:143], v[142:143], v[146:147], v[144:145]
	v_add_f64 v[1:2], v[1:2], v[140:141]
	v_add_f64 v[3:4], v[3:4], v[142:143]
	s_andn2_b32 exec_lo, exec_lo, s6
	s_cbranch_execnz .LBB63_1214
; %bb.1215:
	s_or_b32 exec_lo, exec_lo, s6
.LBB63_1216:
	s_or_b32 exec_lo, exec_lo, s5
	v_mov_b32_e32 v136, 0
	ds_read_b128 v[140:143], v136 offset:672
	s_waitcnt lgkmcnt(0)
	v_mul_f64 v[136:137], v[3:4], v[142:143]
	v_mul_f64 v[142:143], v[1:2], v[142:143]
	v_fma_f64 v[1:2], v[1:2], v[140:141], -v[136:137]
	v_fma_f64 v[3:4], v[3:4], v[140:141], v[142:143]
	buffer_store_dword v2, off, s[0:3], 0 offset:676
	buffer_store_dword v1, off, s[0:3], 0 offset:672
	;; [unrolled: 1-line block ×4, first 2 shown]
.LBB63_1217:
	s_or_b32 exec_lo, exec_lo, s4
	v_mov_b32_e32 v4, s29
	s_mov_b32 s4, exec_lo
	s_clause 0x3
	buffer_load_dword v1, v4, s[0:3], 0 offen
	buffer_load_dword v2, v4, s[0:3], 0 offen offset:4
	buffer_load_dword v3, v4, s[0:3], 0 offen offset:8
	;; [unrolled: 1-line block ×3, first 2 shown]
	s_waitcnt vmcnt(0)
	ds_write_b128 v134, v[1:4]
	s_waitcnt lgkmcnt(0)
	s_waitcnt_vscnt null, 0x0
	s_barrier
	buffer_gl0_inv
	v_cmpx_gt_u32_e32 43, v0
	s_cbranch_execz .LBB63_1225
; %bb.1218:
	ds_read_b128 v[1:4], v134
	v_cmp_ne_u32_e32 vcc_lo, 1, v135
	s_cbranch_vccnz .LBB63_1220
; %bb.1219:
	s_clause 0x3
	buffer_load_dword v136, v133, s[0:3], 0 offen offset:8
	buffer_load_dword v137, v133, s[0:3], 0 offen offset:12
	buffer_load_dword v140, v133, s[0:3], 0 offen
	buffer_load_dword v141, v133, s[0:3], 0 offen offset:4
	s_waitcnt vmcnt(2) lgkmcnt(0)
	v_mul_f64 v[142:143], v[3:4], v[136:137]
	v_mul_f64 v[136:137], v[1:2], v[136:137]
	s_waitcnt vmcnt(0)
	v_fma_f64 v[1:2], v[1:2], v[140:141], -v[142:143]
	v_fma_f64 v[3:4], v[3:4], v[140:141], v[136:137]
.LBB63_1220:
	s_mov_b32 s5, exec_lo
	v_cmpx_ne_u32_e32 42, v0
	s_cbranch_execz .LBB63_1224
; %bb.1221:
	v_add_nc_u32_e32 v136, 0x410, v139
	v_add3_u32 v137, 0, v139, 16
	v_mov_b32_e32 v138, v0
	s_mov_b32 s6, 0
	.p2align	6
.LBB63_1222:                            ; =>This Inner Loop Header: Depth=1
	s_clause 0x3
	buffer_load_dword v144, v137, s[0:3], 0 offen offset:8
	buffer_load_dword v145, v137, s[0:3], 0 offen offset:12
	buffer_load_dword v146, v137, s[0:3], 0 offen
	buffer_load_dword v147, v137, s[0:3], 0 offen offset:4
	ds_read_b128 v[140:143], v136
	v_add_nc_u32_e32 v138, 1, v138
	v_add_nc_u32_e32 v136, 16, v136
	;; [unrolled: 1-line block ×3, first 2 shown]
	v_cmp_lt_u32_e32 vcc_lo, 41, v138
	s_or_b32 s6, vcc_lo, s6
	s_waitcnt vmcnt(2) lgkmcnt(0)
	v_mul_f64 v[148:149], v[142:143], v[144:145]
	v_mul_f64 v[144:145], v[140:141], v[144:145]
	s_waitcnt vmcnt(0)
	v_fma_f64 v[140:141], v[140:141], v[146:147], -v[148:149]
	v_fma_f64 v[142:143], v[142:143], v[146:147], v[144:145]
	v_add_f64 v[1:2], v[1:2], v[140:141]
	v_add_f64 v[3:4], v[3:4], v[142:143]
	s_andn2_b32 exec_lo, exec_lo, s6
	s_cbranch_execnz .LBB63_1222
; %bb.1223:
	s_or_b32 exec_lo, exec_lo, s6
.LBB63_1224:
	s_or_b32 exec_lo, exec_lo, s5
	v_mov_b32_e32 v136, 0
	ds_read_b128 v[140:143], v136 offset:688
	s_waitcnt lgkmcnt(0)
	v_mul_f64 v[136:137], v[3:4], v[142:143]
	v_mul_f64 v[142:143], v[1:2], v[142:143]
	v_fma_f64 v[1:2], v[1:2], v[140:141], -v[136:137]
	v_fma_f64 v[3:4], v[3:4], v[140:141], v[142:143]
	buffer_store_dword v2, off, s[0:3], 0 offset:692
	buffer_store_dword v1, off, s[0:3], 0 offset:688
	;; [unrolled: 1-line block ×4, first 2 shown]
.LBB63_1225:
	s_or_b32 exec_lo, exec_lo, s4
	v_mov_b32_e32 v4, s28
	s_mov_b32 s4, exec_lo
	s_clause 0x3
	buffer_load_dword v1, v4, s[0:3], 0 offen
	buffer_load_dword v2, v4, s[0:3], 0 offen offset:4
	buffer_load_dword v3, v4, s[0:3], 0 offen offset:8
	;; [unrolled: 1-line block ×3, first 2 shown]
	s_waitcnt vmcnt(0)
	ds_write_b128 v134, v[1:4]
	s_waitcnt lgkmcnt(0)
	s_waitcnt_vscnt null, 0x0
	s_barrier
	buffer_gl0_inv
	v_cmpx_gt_u32_e32 44, v0
	s_cbranch_execz .LBB63_1233
; %bb.1226:
	ds_read_b128 v[1:4], v134
	v_cmp_ne_u32_e32 vcc_lo, 1, v135
	s_cbranch_vccnz .LBB63_1228
; %bb.1227:
	s_clause 0x3
	buffer_load_dword v136, v133, s[0:3], 0 offen offset:8
	buffer_load_dword v137, v133, s[0:3], 0 offen offset:12
	buffer_load_dword v140, v133, s[0:3], 0 offen
	buffer_load_dword v141, v133, s[0:3], 0 offen offset:4
	s_waitcnt vmcnt(2) lgkmcnt(0)
	v_mul_f64 v[142:143], v[3:4], v[136:137]
	v_mul_f64 v[136:137], v[1:2], v[136:137]
	s_waitcnt vmcnt(0)
	v_fma_f64 v[1:2], v[1:2], v[140:141], -v[142:143]
	v_fma_f64 v[3:4], v[3:4], v[140:141], v[136:137]
.LBB63_1228:
	s_mov_b32 s5, exec_lo
	v_cmpx_ne_u32_e32 43, v0
	s_cbranch_execz .LBB63_1232
; %bb.1229:
	v_add_nc_u32_e32 v136, 0x410, v139
	v_add3_u32 v137, 0, v139, 16
	v_mov_b32_e32 v138, v0
	s_mov_b32 s6, 0
	.p2align	6
.LBB63_1230:                            ; =>This Inner Loop Header: Depth=1
	s_clause 0x3
	buffer_load_dword v144, v137, s[0:3], 0 offen offset:8
	buffer_load_dword v145, v137, s[0:3], 0 offen offset:12
	buffer_load_dword v146, v137, s[0:3], 0 offen
	buffer_load_dword v147, v137, s[0:3], 0 offen offset:4
	ds_read_b128 v[140:143], v136
	v_add_nc_u32_e32 v138, 1, v138
	v_add_nc_u32_e32 v136, 16, v136
	;; [unrolled: 1-line block ×3, first 2 shown]
	v_cmp_lt_u32_e32 vcc_lo, 42, v138
	s_or_b32 s6, vcc_lo, s6
	s_waitcnt vmcnt(2) lgkmcnt(0)
	v_mul_f64 v[148:149], v[142:143], v[144:145]
	v_mul_f64 v[144:145], v[140:141], v[144:145]
	s_waitcnt vmcnt(0)
	v_fma_f64 v[140:141], v[140:141], v[146:147], -v[148:149]
	v_fma_f64 v[142:143], v[142:143], v[146:147], v[144:145]
	v_add_f64 v[1:2], v[1:2], v[140:141]
	v_add_f64 v[3:4], v[3:4], v[142:143]
	s_andn2_b32 exec_lo, exec_lo, s6
	s_cbranch_execnz .LBB63_1230
; %bb.1231:
	s_or_b32 exec_lo, exec_lo, s6
.LBB63_1232:
	s_or_b32 exec_lo, exec_lo, s5
	v_mov_b32_e32 v136, 0
	ds_read_b128 v[140:143], v136 offset:704
	s_waitcnt lgkmcnt(0)
	v_mul_f64 v[136:137], v[3:4], v[142:143]
	v_mul_f64 v[142:143], v[1:2], v[142:143]
	v_fma_f64 v[1:2], v[1:2], v[140:141], -v[136:137]
	v_fma_f64 v[3:4], v[3:4], v[140:141], v[142:143]
	buffer_store_dword v2, off, s[0:3], 0 offset:708
	buffer_store_dword v1, off, s[0:3], 0 offset:704
	;; [unrolled: 1-line block ×4, first 2 shown]
.LBB63_1233:
	s_or_b32 exec_lo, exec_lo, s4
	v_mov_b32_e32 v4, s27
	s_mov_b32 s4, exec_lo
	s_clause 0x3
	buffer_load_dword v1, v4, s[0:3], 0 offen
	buffer_load_dword v2, v4, s[0:3], 0 offen offset:4
	buffer_load_dword v3, v4, s[0:3], 0 offen offset:8
	;; [unrolled: 1-line block ×3, first 2 shown]
	s_waitcnt vmcnt(0)
	ds_write_b128 v134, v[1:4]
	s_waitcnt lgkmcnt(0)
	s_waitcnt_vscnt null, 0x0
	s_barrier
	buffer_gl0_inv
	v_cmpx_gt_u32_e32 45, v0
	s_cbranch_execz .LBB63_1241
; %bb.1234:
	ds_read_b128 v[1:4], v134
	v_cmp_ne_u32_e32 vcc_lo, 1, v135
	s_cbranch_vccnz .LBB63_1236
; %bb.1235:
	s_clause 0x3
	buffer_load_dword v136, v133, s[0:3], 0 offen offset:8
	buffer_load_dword v137, v133, s[0:3], 0 offen offset:12
	buffer_load_dword v140, v133, s[0:3], 0 offen
	buffer_load_dword v141, v133, s[0:3], 0 offen offset:4
	s_waitcnt vmcnt(2) lgkmcnt(0)
	v_mul_f64 v[142:143], v[3:4], v[136:137]
	v_mul_f64 v[136:137], v[1:2], v[136:137]
	s_waitcnt vmcnt(0)
	v_fma_f64 v[1:2], v[1:2], v[140:141], -v[142:143]
	v_fma_f64 v[3:4], v[3:4], v[140:141], v[136:137]
.LBB63_1236:
	s_mov_b32 s5, exec_lo
	v_cmpx_ne_u32_e32 44, v0
	s_cbranch_execz .LBB63_1240
; %bb.1237:
	v_add_nc_u32_e32 v136, 0x410, v139
	v_add3_u32 v137, 0, v139, 16
	v_mov_b32_e32 v138, v0
	s_mov_b32 s6, 0
	.p2align	6
.LBB63_1238:                            ; =>This Inner Loop Header: Depth=1
	s_clause 0x3
	buffer_load_dword v144, v137, s[0:3], 0 offen offset:8
	buffer_load_dword v145, v137, s[0:3], 0 offen offset:12
	buffer_load_dword v146, v137, s[0:3], 0 offen
	buffer_load_dword v147, v137, s[0:3], 0 offen offset:4
	ds_read_b128 v[140:143], v136
	v_add_nc_u32_e32 v138, 1, v138
	v_add_nc_u32_e32 v136, 16, v136
	;; [unrolled: 1-line block ×3, first 2 shown]
	v_cmp_lt_u32_e32 vcc_lo, 43, v138
	s_or_b32 s6, vcc_lo, s6
	s_waitcnt vmcnt(2) lgkmcnt(0)
	v_mul_f64 v[148:149], v[142:143], v[144:145]
	v_mul_f64 v[144:145], v[140:141], v[144:145]
	s_waitcnt vmcnt(0)
	v_fma_f64 v[140:141], v[140:141], v[146:147], -v[148:149]
	v_fma_f64 v[142:143], v[142:143], v[146:147], v[144:145]
	v_add_f64 v[1:2], v[1:2], v[140:141]
	v_add_f64 v[3:4], v[3:4], v[142:143]
	s_andn2_b32 exec_lo, exec_lo, s6
	s_cbranch_execnz .LBB63_1238
; %bb.1239:
	s_or_b32 exec_lo, exec_lo, s6
.LBB63_1240:
	s_or_b32 exec_lo, exec_lo, s5
	v_mov_b32_e32 v136, 0
	ds_read_b128 v[140:143], v136 offset:720
	s_waitcnt lgkmcnt(0)
	v_mul_f64 v[136:137], v[3:4], v[142:143]
	v_mul_f64 v[142:143], v[1:2], v[142:143]
	v_fma_f64 v[1:2], v[1:2], v[140:141], -v[136:137]
	v_fma_f64 v[3:4], v[3:4], v[140:141], v[142:143]
	buffer_store_dword v2, off, s[0:3], 0 offset:724
	buffer_store_dword v1, off, s[0:3], 0 offset:720
	;; [unrolled: 1-line block ×4, first 2 shown]
.LBB63_1241:
	s_or_b32 exec_lo, exec_lo, s4
	v_mov_b32_e32 v4, s26
	s_mov_b32 s4, exec_lo
	s_clause 0x3
	buffer_load_dword v1, v4, s[0:3], 0 offen
	buffer_load_dword v2, v4, s[0:3], 0 offen offset:4
	buffer_load_dword v3, v4, s[0:3], 0 offen offset:8
	buffer_load_dword v4, v4, s[0:3], 0 offen offset:12
	s_waitcnt vmcnt(0)
	ds_write_b128 v134, v[1:4]
	s_waitcnt lgkmcnt(0)
	s_waitcnt_vscnt null, 0x0
	s_barrier
	buffer_gl0_inv
	v_cmpx_gt_u32_e32 46, v0
	s_cbranch_execz .LBB63_1249
; %bb.1242:
	ds_read_b128 v[1:4], v134
	v_cmp_ne_u32_e32 vcc_lo, 1, v135
	s_cbranch_vccnz .LBB63_1244
; %bb.1243:
	s_clause 0x3
	buffer_load_dword v136, v133, s[0:3], 0 offen offset:8
	buffer_load_dword v137, v133, s[0:3], 0 offen offset:12
	buffer_load_dword v140, v133, s[0:3], 0 offen
	buffer_load_dword v141, v133, s[0:3], 0 offen offset:4
	s_waitcnt vmcnt(2) lgkmcnt(0)
	v_mul_f64 v[142:143], v[3:4], v[136:137]
	v_mul_f64 v[136:137], v[1:2], v[136:137]
	s_waitcnt vmcnt(0)
	v_fma_f64 v[1:2], v[1:2], v[140:141], -v[142:143]
	v_fma_f64 v[3:4], v[3:4], v[140:141], v[136:137]
.LBB63_1244:
	s_mov_b32 s5, exec_lo
	v_cmpx_ne_u32_e32 45, v0
	s_cbranch_execz .LBB63_1248
; %bb.1245:
	v_add_nc_u32_e32 v136, 0x410, v139
	v_add3_u32 v137, 0, v139, 16
	v_mov_b32_e32 v138, v0
	s_mov_b32 s6, 0
	.p2align	6
.LBB63_1246:                            ; =>This Inner Loop Header: Depth=1
	s_clause 0x3
	buffer_load_dword v144, v137, s[0:3], 0 offen offset:8
	buffer_load_dword v145, v137, s[0:3], 0 offen offset:12
	buffer_load_dword v146, v137, s[0:3], 0 offen
	buffer_load_dword v147, v137, s[0:3], 0 offen offset:4
	ds_read_b128 v[140:143], v136
	v_add_nc_u32_e32 v138, 1, v138
	v_add_nc_u32_e32 v136, 16, v136
	;; [unrolled: 1-line block ×3, first 2 shown]
	v_cmp_lt_u32_e32 vcc_lo, 44, v138
	s_or_b32 s6, vcc_lo, s6
	s_waitcnt vmcnt(2) lgkmcnt(0)
	v_mul_f64 v[148:149], v[142:143], v[144:145]
	v_mul_f64 v[144:145], v[140:141], v[144:145]
	s_waitcnt vmcnt(0)
	v_fma_f64 v[140:141], v[140:141], v[146:147], -v[148:149]
	v_fma_f64 v[142:143], v[142:143], v[146:147], v[144:145]
	v_add_f64 v[1:2], v[1:2], v[140:141]
	v_add_f64 v[3:4], v[3:4], v[142:143]
	s_andn2_b32 exec_lo, exec_lo, s6
	s_cbranch_execnz .LBB63_1246
; %bb.1247:
	s_or_b32 exec_lo, exec_lo, s6
.LBB63_1248:
	s_or_b32 exec_lo, exec_lo, s5
	v_mov_b32_e32 v136, 0
	ds_read_b128 v[140:143], v136 offset:736
	s_waitcnt lgkmcnt(0)
	v_mul_f64 v[136:137], v[3:4], v[142:143]
	v_mul_f64 v[142:143], v[1:2], v[142:143]
	v_fma_f64 v[1:2], v[1:2], v[140:141], -v[136:137]
	v_fma_f64 v[3:4], v[3:4], v[140:141], v[142:143]
	buffer_store_dword v2, off, s[0:3], 0 offset:740
	buffer_store_dword v1, off, s[0:3], 0 offset:736
	;; [unrolled: 1-line block ×4, first 2 shown]
.LBB63_1249:
	s_or_b32 exec_lo, exec_lo, s4
	v_mov_b32_e32 v4, s25
	s_mov_b32 s4, exec_lo
	s_clause 0x3
	buffer_load_dword v1, v4, s[0:3], 0 offen
	buffer_load_dword v2, v4, s[0:3], 0 offen offset:4
	buffer_load_dword v3, v4, s[0:3], 0 offen offset:8
	;; [unrolled: 1-line block ×3, first 2 shown]
	s_waitcnt vmcnt(0)
	ds_write_b128 v134, v[1:4]
	s_waitcnt lgkmcnt(0)
	s_waitcnt_vscnt null, 0x0
	s_barrier
	buffer_gl0_inv
	v_cmpx_gt_u32_e32 47, v0
	s_cbranch_execz .LBB63_1257
; %bb.1250:
	ds_read_b128 v[1:4], v134
	v_cmp_ne_u32_e32 vcc_lo, 1, v135
	s_cbranch_vccnz .LBB63_1252
; %bb.1251:
	s_clause 0x3
	buffer_load_dword v136, v133, s[0:3], 0 offen offset:8
	buffer_load_dword v137, v133, s[0:3], 0 offen offset:12
	buffer_load_dword v140, v133, s[0:3], 0 offen
	buffer_load_dword v141, v133, s[0:3], 0 offen offset:4
	s_waitcnt vmcnt(2) lgkmcnt(0)
	v_mul_f64 v[142:143], v[3:4], v[136:137]
	v_mul_f64 v[136:137], v[1:2], v[136:137]
	s_waitcnt vmcnt(0)
	v_fma_f64 v[1:2], v[1:2], v[140:141], -v[142:143]
	v_fma_f64 v[3:4], v[3:4], v[140:141], v[136:137]
.LBB63_1252:
	s_mov_b32 s5, exec_lo
	v_cmpx_ne_u32_e32 46, v0
	s_cbranch_execz .LBB63_1256
; %bb.1253:
	v_add_nc_u32_e32 v136, 0x410, v139
	v_add3_u32 v137, 0, v139, 16
	v_mov_b32_e32 v138, v0
	s_mov_b32 s6, 0
	.p2align	6
.LBB63_1254:                            ; =>This Inner Loop Header: Depth=1
	s_clause 0x3
	buffer_load_dword v144, v137, s[0:3], 0 offen offset:8
	buffer_load_dword v145, v137, s[0:3], 0 offen offset:12
	buffer_load_dword v146, v137, s[0:3], 0 offen
	buffer_load_dword v147, v137, s[0:3], 0 offen offset:4
	ds_read_b128 v[140:143], v136
	v_add_nc_u32_e32 v138, 1, v138
	v_add_nc_u32_e32 v136, 16, v136
	;; [unrolled: 1-line block ×3, first 2 shown]
	v_cmp_lt_u32_e32 vcc_lo, 45, v138
	s_or_b32 s6, vcc_lo, s6
	s_waitcnt vmcnt(2) lgkmcnt(0)
	v_mul_f64 v[148:149], v[142:143], v[144:145]
	v_mul_f64 v[144:145], v[140:141], v[144:145]
	s_waitcnt vmcnt(0)
	v_fma_f64 v[140:141], v[140:141], v[146:147], -v[148:149]
	v_fma_f64 v[142:143], v[142:143], v[146:147], v[144:145]
	v_add_f64 v[1:2], v[1:2], v[140:141]
	v_add_f64 v[3:4], v[3:4], v[142:143]
	s_andn2_b32 exec_lo, exec_lo, s6
	s_cbranch_execnz .LBB63_1254
; %bb.1255:
	s_or_b32 exec_lo, exec_lo, s6
.LBB63_1256:
	s_or_b32 exec_lo, exec_lo, s5
	v_mov_b32_e32 v136, 0
	ds_read_b128 v[140:143], v136 offset:752
	s_waitcnt lgkmcnt(0)
	v_mul_f64 v[136:137], v[3:4], v[142:143]
	v_mul_f64 v[142:143], v[1:2], v[142:143]
	v_fma_f64 v[1:2], v[1:2], v[140:141], -v[136:137]
	v_fma_f64 v[3:4], v[3:4], v[140:141], v[142:143]
	buffer_store_dword v2, off, s[0:3], 0 offset:756
	buffer_store_dword v1, off, s[0:3], 0 offset:752
	buffer_store_dword v4, off, s[0:3], 0 offset:764
	buffer_store_dword v3, off, s[0:3], 0 offset:760
.LBB63_1257:
	s_or_b32 exec_lo, exec_lo, s4
	v_mov_b32_e32 v4, s24
	s_mov_b32 s4, exec_lo
	s_clause 0x3
	buffer_load_dword v1, v4, s[0:3], 0 offen
	buffer_load_dword v2, v4, s[0:3], 0 offen offset:4
	buffer_load_dword v3, v4, s[0:3], 0 offen offset:8
	;; [unrolled: 1-line block ×3, first 2 shown]
	s_waitcnt vmcnt(0)
	ds_write_b128 v134, v[1:4]
	s_waitcnt lgkmcnt(0)
	s_waitcnt_vscnt null, 0x0
	s_barrier
	buffer_gl0_inv
	v_cmpx_gt_u32_e32 48, v0
	s_cbranch_execz .LBB63_1265
; %bb.1258:
	ds_read_b128 v[1:4], v134
	v_cmp_ne_u32_e32 vcc_lo, 1, v135
	s_cbranch_vccnz .LBB63_1260
; %bb.1259:
	s_clause 0x3
	buffer_load_dword v136, v133, s[0:3], 0 offen offset:8
	buffer_load_dword v137, v133, s[0:3], 0 offen offset:12
	buffer_load_dword v140, v133, s[0:3], 0 offen
	buffer_load_dword v141, v133, s[0:3], 0 offen offset:4
	s_waitcnt vmcnt(2) lgkmcnt(0)
	v_mul_f64 v[142:143], v[3:4], v[136:137]
	v_mul_f64 v[136:137], v[1:2], v[136:137]
	s_waitcnt vmcnt(0)
	v_fma_f64 v[1:2], v[1:2], v[140:141], -v[142:143]
	v_fma_f64 v[3:4], v[3:4], v[140:141], v[136:137]
.LBB63_1260:
	s_mov_b32 s5, exec_lo
	v_cmpx_ne_u32_e32 47, v0
	s_cbranch_execz .LBB63_1264
; %bb.1261:
	v_add_nc_u32_e32 v136, 0x410, v139
	v_add3_u32 v137, 0, v139, 16
	v_mov_b32_e32 v138, v0
	s_mov_b32 s6, 0
	.p2align	6
.LBB63_1262:                            ; =>This Inner Loop Header: Depth=1
	s_clause 0x3
	buffer_load_dword v144, v137, s[0:3], 0 offen offset:8
	buffer_load_dword v145, v137, s[0:3], 0 offen offset:12
	buffer_load_dword v146, v137, s[0:3], 0 offen
	buffer_load_dword v147, v137, s[0:3], 0 offen offset:4
	ds_read_b128 v[140:143], v136
	v_add_nc_u32_e32 v138, 1, v138
	v_add_nc_u32_e32 v136, 16, v136
	;; [unrolled: 1-line block ×3, first 2 shown]
	v_cmp_lt_u32_e32 vcc_lo, 46, v138
	s_or_b32 s6, vcc_lo, s6
	s_waitcnt vmcnt(2) lgkmcnt(0)
	v_mul_f64 v[148:149], v[142:143], v[144:145]
	v_mul_f64 v[144:145], v[140:141], v[144:145]
	s_waitcnt vmcnt(0)
	v_fma_f64 v[140:141], v[140:141], v[146:147], -v[148:149]
	v_fma_f64 v[142:143], v[142:143], v[146:147], v[144:145]
	v_add_f64 v[1:2], v[1:2], v[140:141]
	v_add_f64 v[3:4], v[3:4], v[142:143]
	s_andn2_b32 exec_lo, exec_lo, s6
	s_cbranch_execnz .LBB63_1262
; %bb.1263:
	s_or_b32 exec_lo, exec_lo, s6
.LBB63_1264:
	s_or_b32 exec_lo, exec_lo, s5
	v_mov_b32_e32 v136, 0
	ds_read_b128 v[140:143], v136 offset:768
	s_waitcnt lgkmcnt(0)
	v_mul_f64 v[136:137], v[3:4], v[142:143]
	v_mul_f64 v[142:143], v[1:2], v[142:143]
	v_fma_f64 v[1:2], v[1:2], v[140:141], -v[136:137]
	v_fma_f64 v[3:4], v[3:4], v[140:141], v[142:143]
	buffer_store_dword v2, off, s[0:3], 0 offset:772
	buffer_store_dword v1, off, s[0:3], 0 offset:768
	;; [unrolled: 1-line block ×4, first 2 shown]
.LBB63_1265:
	s_or_b32 exec_lo, exec_lo, s4
	v_mov_b32_e32 v4, s23
	s_mov_b32 s4, exec_lo
	s_clause 0x3
	buffer_load_dword v1, v4, s[0:3], 0 offen
	buffer_load_dword v2, v4, s[0:3], 0 offen offset:4
	buffer_load_dword v3, v4, s[0:3], 0 offen offset:8
	buffer_load_dword v4, v4, s[0:3], 0 offen offset:12
	s_waitcnt vmcnt(0)
	ds_write_b128 v134, v[1:4]
	s_waitcnt lgkmcnt(0)
	s_waitcnt_vscnt null, 0x0
	s_barrier
	buffer_gl0_inv
	v_cmpx_gt_u32_e32 49, v0
	s_cbranch_execz .LBB63_1273
; %bb.1266:
	ds_read_b128 v[1:4], v134
	v_cmp_ne_u32_e32 vcc_lo, 1, v135
	s_cbranch_vccnz .LBB63_1268
; %bb.1267:
	s_clause 0x3
	buffer_load_dword v136, v133, s[0:3], 0 offen offset:8
	buffer_load_dword v137, v133, s[0:3], 0 offen offset:12
	buffer_load_dword v140, v133, s[0:3], 0 offen
	buffer_load_dword v141, v133, s[0:3], 0 offen offset:4
	s_waitcnt vmcnt(2) lgkmcnt(0)
	v_mul_f64 v[142:143], v[3:4], v[136:137]
	v_mul_f64 v[136:137], v[1:2], v[136:137]
	s_waitcnt vmcnt(0)
	v_fma_f64 v[1:2], v[1:2], v[140:141], -v[142:143]
	v_fma_f64 v[3:4], v[3:4], v[140:141], v[136:137]
.LBB63_1268:
	s_mov_b32 s5, exec_lo
	v_cmpx_ne_u32_e32 48, v0
	s_cbranch_execz .LBB63_1272
; %bb.1269:
	v_add_nc_u32_e32 v136, 0x410, v139
	v_add3_u32 v137, 0, v139, 16
	v_mov_b32_e32 v138, v0
	s_mov_b32 s6, 0
	.p2align	6
.LBB63_1270:                            ; =>This Inner Loop Header: Depth=1
	s_clause 0x3
	buffer_load_dword v144, v137, s[0:3], 0 offen offset:8
	buffer_load_dword v145, v137, s[0:3], 0 offen offset:12
	buffer_load_dword v146, v137, s[0:3], 0 offen
	buffer_load_dword v147, v137, s[0:3], 0 offen offset:4
	ds_read_b128 v[140:143], v136
	v_add_nc_u32_e32 v138, 1, v138
	v_add_nc_u32_e32 v136, 16, v136
	;; [unrolled: 1-line block ×3, first 2 shown]
	v_cmp_lt_u32_e32 vcc_lo, 47, v138
	s_or_b32 s6, vcc_lo, s6
	s_waitcnt vmcnt(2) lgkmcnt(0)
	v_mul_f64 v[148:149], v[142:143], v[144:145]
	v_mul_f64 v[144:145], v[140:141], v[144:145]
	s_waitcnt vmcnt(0)
	v_fma_f64 v[140:141], v[140:141], v[146:147], -v[148:149]
	v_fma_f64 v[142:143], v[142:143], v[146:147], v[144:145]
	v_add_f64 v[1:2], v[1:2], v[140:141]
	v_add_f64 v[3:4], v[3:4], v[142:143]
	s_andn2_b32 exec_lo, exec_lo, s6
	s_cbranch_execnz .LBB63_1270
; %bb.1271:
	s_or_b32 exec_lo, exec_lo, s6
.LBB63_1272:
	s_or_b32 exec_lo, exec_lo, s5
	v_mov_b32_e32 v136, 0
	ds_read_b128 v[140:143], v136 offset:784
	s_waitcnt lgkmcnt(0)
	v_mul_f64 v[136:137], v[3:4], v[142:143]
	v_mul_f64 v[142:143], v[1:2], v[142:143]
	v_fma_f64 v[1:2], v[1:2], v[140:141], -v[136:137]
	v_fma_f64 v[3:4], v[3:4], v[140:141], v[142:143]
	buffer_store_dword v2, off, s[0:3], 0 offset:788
	buffer_store_dword v1, off, s[0:3], 0 offset:784
	;; [unrolled: 1-line block ×4, first 2 shown]
.LBB63_1273:
	s_or_b32 exec_lo, exec_lo, s4
	v_mov_b32_e32 v4, s22
	s_mov_b32 s4, exec_lo
	s_clause 0x3
	buffer_load_dword v1, v4, s[0:3], 0 offen
	buffer_load_dword v2, v4, s[0:3], 0 offen offset:4
	buffer_load_dword v3, v4, s[0:3], 0 offen offset:8
	;; [unrolled: 1-line block ×3, first 2 shown]
	s_waitcnt vmcnt(0)
	ds_write_b128 v134, v[1:4]
	s_waitcnt lgkmcnt(0)
	s_waitcnt_vscnt null, 0x0
	s_barrier
	buffer_gl0_inv
	v_cmpx_gt_u32_e32 50, v0
	s_cbranch_execz .LBB63_1281
; %bb.1274:
	ds_read_b128 v[1:4], v134
	v_cmp_ne_u32_e32 vcc_lo, 1, v135
	s_cbranch_vccnz .LBB63_1276
; %bb.1275:
	s_clause 0x3
	buffer_load_dword v136, v133, s[0:3], 0 offen offset:8
	buffer_load_dword v137, v133, s[0:3], 0 offen offset:12
	buffer_load_dword v140, v133, s[0:3], 0 offen
	buffer_load_dword v141, v133, s[0:3], 0 offen offset:4
	s_waitcnt vmcnt(2) lgkmcnt(0)
	v_mul_f64 v[142:143], v[3:4], v[136:137]
	v_mul_f64 v[136:137], v[1:2], v[136:137]
	s_waitcnt vmcnt(0)
	v_fma_f64 v[1:2], v[1:2], v[140:141], -v[142:143]
	v_fma_f64 v[3:4], v[3:4], v[140:141], v[136:137]
.LBB63_1276:
	s_mov_b32 s5, exec_lo
	v_cmpx_ne_u32_e32 49, v0
	s_cbranch_execz .LBB63_1280
; %bb.1277:
	v_add_nc_u32_e32 v136, 0x410, v139
	v_add3_u32 v137, 0, v139, 16
	v_mov_b32_e32 v138, v0
	s_mov_b32 s6, 0
	.p2align	6
.LBB63_1278:                            ; =>This Inner Loop Header: Depth=1
	s_clause 0x3
	buffer_load_dword v144, v137, s[0:3], 0 offen offset:8
	buffer_load_dword v145, v137, s[0:3], 0 offen offset:12
	buffer_load_dword v146, v137, s[0:3], 0 offen
	buffer_load_dword v147, v137, s[0:3], 0 offen offset:4
	ds_read_b128 v[140:143], v136
	v_add_nc_u32_e32 v138, 1, v138
	v_add_nc_u32_e32 v136, 16, v136
	;; [unrolled: 1-line block ×3, first 2 shown]
	v_cmp_lt_u32_e32 vcc_lo, 48, v138
	s_or_b32 s6, vcc_lo, s6
	s_waitcnt vmcnt(2) lgkmcnt(0)
	v_mul_f64 v[148:149], v[142:143], v[144:145]
	v_mul_f64 v[144:145], v[140:141], v[144:145]
	s_waitcnt vmcnt(0)
	v_fma_f64 v[140:141], v[140:141], v[146:147], -v[148:149]
	v_fma_f64 v[142:143], v[142:143], v[146:147], v[144:145]
	v_add_f64 v[1:2], v[1:2], v[140:141]
	v_add_f64 v[3:4], v[3:4], v[142:143]
	s_andn2_b32 exec_lo, exec_lo, s6
	s_cbranch_execnz .LBB63_1278
; %bb.1279:
	s_or_b32 exec_lo, exec_lo, s6
.LBB63_1280:
	s_or_b32 exec_lo, exec_lo, s5
	v_mov_b32_e32 v136, 0
	ds_read_b128 v[140:143], v136 offset:800
	s_waitcnt lgkmcnt(0)
	v_mul_f64 v[136:137], v[3:4], v[142:143]
	v_mul_f64 v[142:143], v[1:2], v[142:143]
	v_fma_f64 v[1:2], v[1:2], v[140:141], -v[136:137]
	v_fma_f64 v[3:4], v[3:4], v[140:141], v[142:143]
	buffer_store_dword v2, off, s[0:3], 0 offset:804
	buffer_store_dword v1, off, s[0:3], 0 offset:800
	;; [unrolled: 1-line block ×4, first 2 shown]
.LBB63_1281:
	s_or_b32 exec_lo, exec_lo, s4
	v_mov_b32_e32 v4, s21
	s_mov_b32 s4, exec_lo
	s_clause 0x3
	buffer_load_dword v1, v4, s[0:3], 0 offen
	buffer_load_dword v2, v4, s[0:3], 0 offen offset:4
	buffer_load_dword v3, v4, s[0:3], 0 offen offset:8
	;; [unrolled: 1-line block ×3, first 2 shown]
	s_waitcnt vmcnt(0)
	ds_write_b128 v134, v[1:4]
	s_waitcnt lgkmcnt(0)
	s_waitcnt_vscnt null, 0x0
	s_barrier
	buffer_gl0_inv
	v_cmpx_gt_u32_e32 51, v0
	s_cbranch_execz .LBB63_1289
; %bb.1282:
	ds_read_b128 v[1:4], v134
	v_cmp_ne_u32_e32 vcc_lo, 1, v135
	s_cbranch_vccnz .LBB63_1284
; %bb.1283:
	s_clause 0x3
	buffer_load_dword v136, v133, s[0:3], 0 offen offset:8
	buffer_load_dword v137, v133, s[0:3], 0 offen offset:12
	buffer_load_dword v140, v133, s[0:3], 0 offen
	buffer_load_dword v141, v133, s[0:3], 0 offen offset:4
	s_waitcnt vmcnt(2) lgkmcnt(0)
	v_mul_f64 v[142:143], v[3:4], v[136:137]
	v_mul_f64 v[136:137], v[1:2], v[136:137]
	s_waitcnt vmcnt(0)
	v_fma_f64 v[1:2], v[1:2], v[140:141], -v[142:143]
	v_fma_f64 v[3:4], v[3:4], v[140:141], v[136:137]
.LBB63_1284:
	s_mov_b32 s5, exec_lo
	v_cmpx_ne_u32_e32 50, v0
	s_cbranch_execz .LBB63_1288
; %bb.1285:
	v_add_nc_u32_e32 v136, 0x410, v139
	v_add3_u32 v137, 0, v139, 16
	v_mov_b32_e32 v138, v0
	s_mov_b32 s6, 0
	.p2align	6
.LBB63_1286:                            ; =>This Inner Loop Header: Depth=1
	s_clause 0x3
	buffer_load_dword v144, v137, s[0:3], 0 offen offset:8
	buffer_load_dword v145, v137, s[0:3], 0 offen offset:12
	buffer_load_dword v146, v137, s[0:3], 0 offen
	buffer_load_dword v147, v137, s[0:3], 0 offen offset:4
	ds_read_b128 v[140:143], v136
	v_add_nc_u32_e32 v138, 1, v138
	v_add_nc_u32_e32 v136, 16, v136
	;; [unrolled: 1-line block ×3, first 2 shown]
	v_cmp_lt_u32_e32 vcc_lo, 49, v138
	s_or_b32 s6, vcc_lo, s6
	s_waitcnt vmcnt(2) lgkmcnt(0)
	v_mul_f64 v[148:149], v[142:143], v[144:145]
	v_mul_f64 v[144:145], v[140:141], v[144:145]
	s_waitcnt vmcnt(0)
	v_fma_f64 v[140:141], v[140:141], v[146:147], -v[148:149]
	v_fma_f64 v[142:143], v[142:143], v[146:147], v[144:145]
	v_add_f64 v[1:2], v[1:2], v[140:141]
	v_add_f64 v[3:4], v[3:4], v[142:143]
	s_andn2_b32 exec_lo, exec_lo, s6
	s_cbranch_execnz .LBB63_1286
; %bb.1287:
	s_or_b32 exec_lo, exec_lo, s6
.LBB63_1288:
	s_or_b32 exec_lo, exec_lo, s5
	v_mov_b32_e32 v136, 0
	ds_read_b128 v[140:143], v136 offset:816
	s_waitcnt lgkmcnt(0)
	v_mul_f64 v[136:137], v[3:4], v[142:143]
	v_mul_f64 v[142:143], v[1:2], v[142:143]
	v_fma_f64 v[1:2], v[1:2], v[140:141], -v[136:137]
	v_fma_f64 v[3:4], v[3:4], v[140:141], v[142:143]
	buffer_store_dword v2, off, s[0:3], 0 offset:820
	buffer_store_dword v1, off, s[0:3], 0 offset:816
	;; [unrolled: 1-line block ×4, first 2 shown]
.LBB63_1289:
	s_or_b32 exec_lo, exec_lo, s4
	v_mov_b32_e32 v4, s20
	s_mov_b32 s4, exec_lo
	s_clause 0x3
	buffer_load_dword v1, v4, s[0:3], 0 offen
	buffer_load_dword v2, v4, s[0:3], 0 offen offset:4
	buffer_load_dword v3, v4, s[0:3], 0 offen offset:8
	;; [unrolled: 1-line block ×3, first 2 shown]
	s_waitcnt vmcnt(0)
	ds_write_b128 v134, v[1:4]
	s_waitcnt lgkmcnt(0)
	s_waitcnt_vscnt null, 0x0
	s_barrier
	buffer_gl0_inv
	v_cmpx_gt_u32_e32 52, v0
	s_cbranch_execz .LBB63_1297
; %bb.1290:
	ds_read_b128 v[1:4], v134
	v_cmp_ne_u32_e32 vcc_lo, 1, v135
	s_cbranch_vccnz .LBB63_1292
; %bb.1291:
	s_clause 0x3
	buffer_load_dword v136, v133, s[0:3], 0 offen offset:8
	buffer_load_dword v137, v133, s[0:3], 0 offen offset:12
	buffer_load_dword v140, v133, s[0:3], 0 offen
	buffer_load_dword v141, v133, s[0:3], 0 offen offset:4
	s_waitcnt vmcnt(2) lgkmcnt(0)
	v_mul_f64 v[142:143], v[3:4], v[136:137]
	v_mul_f64 v[136:137], v[1:2], v[136:137]
	s_waitcnt vmcnt(0)
	v_fma_f64 v[1:2], v[1:2], v[140:141], -v[142:143]
	v_fma_f64 v[3:4], v[3:4], v[140:141], v[136:137]
.LBB63_1292:
	s_mov_b32 s5, exec_lo
	v_cmpx_ne_u32_e32 51, v0
	s_cbranch_execz .LBB63_1296
; %bb.1293:
	v_add_nc_u32_e32 v136, 0x410, v139
	v_add3_u32 v137, 0, v139, 16
	v_mov_b32_e32 v138, v0
	s_mov_b32 s6, 0
	.p2align	6
.LBB63_1294:                            ; =>This Inner Loop Header: Depth=1
	s_clause 0x3
	buffer_load_dword v144, v137, s[0:3], 0 offen offset:8
	buffer_load_dword v145, v137, s[0:3], 0 offen offset:12
	buffer_load_dword v146, v137, s[0:3], 0 offen
	buffer_load_dword v147, v137, s[0:3], 0 offen offset:4
	ds_read_b128 v[140:143], v136
	v_add_nc_u32_e32 v138, 1, v138
	v_add_nc_u32_e32 v136, 16, v136
	;; [unrolled: 1-line block ×3, first 2 shown]
	v_cmp_lt_u32_e32 vcc_lo, 50, v138
	s_or_b32 s6, vcc_lo, s6
	s_waitcnt vmcnt(2) lgkmcnt(0)
	v_mul_f64 v[148:149], v[142:143], v[144:145]
	v_mul_f64 v[144:145], v[140:141], v[144:145]
	s_waitcnt vmcnt(0)
	v_fma_f64 v[140:141], v[140:141], v[146:147], -v[148:149]
	v_fma_f64 v[142:143], v[142:143], v[146:147], v[144:145]
	v_add_f64 v[1:2], v[1:2], v[140:141]
	v_add_f64 v[3:4], v[3:4], v[142:143]
	s_andn2_b32 exec_lo, exec_lo, s6
	s_cbranch_execnz .LBB63_1294
; %bb.1295:
	s_or_b32 exec_lo, exec_lo, s6
.LBB63_1296:
	s_or_b32 exec_lo, exec_lo, s5
	v_mov_b32_e32 v136, 0
	ds_read_b128 v[140:143], v136 offset:832
	s_waitcnt lgkmcnt(0)
	v_mul_f64 v[136:137], v[3:4], v[142:143]
	v_mul_f64 v[142:143], v[1:2], v[142:143]
	v_fma_f64 v[1:2], v[1:2], v[140:141], -v[136:137]
	v_fma_f64 v[3:4], v[3:4], v[140:141], v[142:143]
	buffer_store_dword v2, off, s[0:3], 0 offset:836
	buffer_store_dword v1, off, s[0:3], 0 offset:832
	;; [unrolled: 1-line block ×4, first 2 shown]
.LBB63_1297:
	s_or_b32 exec_lo, exec_lo, s4
	v_mov_b32_e32 v4, s19
	s_mov_b32 s4, exec_lo
	s_clause 0x3
	buffer_load_dword v1, v4, s[0:3], 0 offen
	buffer_load_dword v2, v4, s[0:3], 0 offen offset:4
	buffer_load_dword v3, v4, s[0:3], 0 offen offset:8
	;; [unrolled: 1-line block ×3, first 2 shown]
	s_waitcnt vmcnt(0)
	ds_write_b128 v134, v[1:4]
	s_waitcnt lgkmcnt(0)
	s_waitcnt_vscnt null, 0x0
	s_barrier
	buffer_gl0_inv
	v_cmpx_gt_u32_e32 53, v0
	s_cbranch_execz .LBB63_1305
; %bb.1298:
	ds_read_b128 v[1:4], v134
	v_cmp_ne_u32_e32 vcc_lo, 1, v135
	s_cbranch_vccnz .LBB63_1300
; %bb.1299:
	s_clause 0x3
	buffer_load_dword v136, v133, s[0:3], 0 offen offset:8
	buffer_load_dword v137, v133, s[0:3], 0 offen offset:12
	buffer_load_dword v140, v133, s[0:3], 0 offen
	buffer_load_dword v141, v133, s[0:3], 0 offen offset:4
	s_waitcnt vmcnt(2) lgkmcnt(0)
	v_mul_f64 v[142:143], v[3:4], v[136:137]
	v_mul_f64 v[136:137], v[1:2], v[136:137]
	s_waitcnt vmcnt(0)
	v_fma_f64 v[1:2], v[1:2], v[140:141], -v[142:143]
	v_fma_f64 v[3:4], v[3:4], v[140:141], v[136:137]
.LBB63_1300:
	s_mov_b32 s5, exec_lo
	v_cmpx_ne_u32_e32 52, v0
	s_cbranch_execz .LBB63_1304
; %bb.1301:
	v_add_nc_u32_e32 v136, 0x410, v139
	v_add3_u32 v137, 0, v139, 16
	v_mov_b32_e32 v138, v0
	s_mov_b32 s6, 0
	.p2align	6
.LBB63_1302:                            ; =>This Inner Loop Header: Depth=1
	s_clause 0x3
	buffer_load_dword v144, v137, s[0:3], 0 offen offset:8
	buffer_load_dword v145, v137, s[0:3], 0 offen offset:12
	buffer_load_dword v146, v137, s[0:3], 0 offen
	buffer_load_dword v147, v137, s[0:3], 0 offen offset:4
	ds_read_b128 v[140:143], v136
	v_add_nc_u32_e32 v138, 1, v138
	v_add_nc_u32_e32 v136, 16, v136
	;; [unrolled: 1-line block ×3, first 2 shown]
	v_cmp_lt_u32_e32 vcc_lo, 51, v138
	s_or_b32 s6, vcc_lo, s6
	s_waitcnt vmcnt(2) lgkmcnt(0)
	v_mul_f64 v[148:149], v[142:143], v[144:145]
	v_mul_f64 v[144:145], v[140:141], v[144:145]
	s_waitcnt vmcnt(0)
	v_fma_f64 v[140:141], v[140:141], v[146:147], -v[148:149]
	v_fma_f64 v[142:143], v[142:143], v[146:147], v[144:145]
	v_add_f64 v[1:2], v[1:2], v[140:141]
	v_add_f64 v[3:4], v[3:4], v[142:143]
	s_andn2_b32 exec_lo, exec_lo, s6
	s_cbranch_execnz .LBB63_1302
; %bb.1303:
	s_or_b32 exec_lo, exec_lo, s6
.LBB63_1304:
	s_or_b32 exec_lo, exec_lo, s5
	v_mov_b32_e32 v136, 0
	ds_read_b128 v[140:143], v136 offset:848
	s_waitcnt lgkmcnt(0)
	v_mul_f64 v[136:137], v[3:4], v[142:143]
	v_mul_f64 v[142:143], v[1:2], v[142:143]
	v_fma_f64 v[1:2], v[1:2], v[140:141], -v[136:137]
	v_fma_f64 v[3:4], v[3:4], v[140:141], v[142:143]
	buffer_store_dword v2, off, s[0:3], 0 offset:852
	buffer_store_dword v1, off, s[0:3], 0 offset:848
	;; [unrolled: 1-line block ×4, first 2 shown]
.LBB63_1305:
	s_or_b32 exec_lo, exec_lo, s4
	v_mov_b32_e32 v4, s18
	s_mov_b32 s4, exec_lo
	s_clause 0x3
	buffer_load_dword v1, v4, s[0:3], 0 offen
	buffer_load_dword v2, v4, s[0:3], 0 offen offset:4
	buffer_load_dword v3, v4, s[0:3], 0 offen offset:8
	;; [unrolled: 1-line block ×3, first 2 shown]
	s_waitcnt vmcnt(0)
	ds_write_b128 v134, v[1:4]
	s_waitcnt lgkmcnt(0)
	s_waitcnt_vscnt null, 0x0
	s_barrier
	buffer_gl0_inv
	v_cmpx_gt_u32_e32 54, v0
	s_cbranch_execz .LBB63_1313
; %bb.1306:
	ds_read_b128 v[1:4], v134
	v_cmp_ne_u32_e32 vcc_lo, 1, v135
	s_cbranch_vccnz .LBB63_1308
; %bb.1307:
	s_clause 0x3
	buffer_load_dword v136, v133, s[0:3], 0 offen offset:8
	buffer_load_dword v137, v133, s[0:3], 0 offen offset:12
	buffer_load_dword v140, v133, s[0:3], 0 offen
	buffer_load_dword v141, v133, s[0:3], 0 offen offset:4
	s_waitcnt vmcnt(2) lgkmcnt(0)
	v_mul_f64 v[142:143], v[3:4], v[136:137]
	v_mul_f64 v[136:137], v[1:2], v[136:137]
	s_waitcnt vmcnt(0)
	v_fma_f64 v[1:2], v[1:2], v[140:141], -v[142:143]
	v_fma_f64 v[3:4], v[3:4], v[140:141], v[136:137]
.LBB63_1308:
	s_mov_b32 s5, exec_lo
	v_cmpx_ne_u32_e32 53, v0
	s_cbranch_execz .LBB63_1312
; %bb.1309:
	v_add_nc_u32_e32 v136, 0x410, v139
	v_add3_u32 v137, 0, v139, 16
	v_mov_b32_e32 v138, v0
	s_mov_b32 s6, 0
	.p2align	6
.LBB63_1310:                            ; =>This Inner Loop Header: Depth=1
	s_clause 0x3
	buffer_load_dword v144, v137, s[0:3], 0 offen offset:8
	buffer_load_dword v145, v137, s[0:3], 0 offen offset:12
	buffer_load_dword v146, v137, s[0:3], 0 offen
	buffer_load_dword v147, v137, s[0:3], 0 offen offset:4
	ds_read_b128 v[140:143], v136
	v_add_nc_u32_e32 v138, 1, v138
	v_add_nc_u32_e32 v136, 16, v136
	;; [unrolled: 1-line block ×3, first 2 shown]
	v_cmp_lt_u32_e32 vcc_lo, 52, v138
	s_or_b32 s6, vcc_lo, s6
	s_waitcnt vmcnt(2) lgkmcnt(0)
	v_mul_f64 v[148:149], v[142:143], v[144:145]
	v_mul_f64 v[144:145], v[140:141], v[144:145]
	s_waitcnt vmcnt(0)
	v_fma_f64 v[140:141], v[140:141], v[146:147], -v[148:149]
	v_fma_f64 v[142:143], v[142:143], v[146:147], v[144:145]
	v_add_f64 v[1:2], v[1:2], v[140:141]
	v_add_f64 v[3:4], v[3:4], v[142:143]
	s_andn2_b32 exec_lo, exec_lo, s6
	s_cbranch_execnz .LBB63_1310
; %bb.1311:
	s_or_b32 exec_lo, exec_lo, s6
.LBB63_1312:
	s_or_b32 exec_lo, exec_lo, s5
	v_mov_b32_e32 v136, 0
	ds_read_b128 v[140:143], v136 offset:864
	s_waitcnt lgkmcnt(0)
	v_mul_f64 v[136:137], v[3:4], v[142:143]
	v_mul_f64 v[142:143], v[1:2], v[142:143]
	v_fma_f64 v[1:2], v[1:2], v[140:141], -v[136:137]
	v_fma_f64 v[3:4], v[3:4], v[140:141], v[142:143]
	buffer_store_dword v2, off, s[0:3], 0 offset:868
	buffer_store_dword v1, off, s[0:3], 0 offset:864
	;; [unrolled: 1-line block ×4, first 2 shown]
.LBB63_1313:
	s_or_b32 exec_lo, exec_lo, s4
	v_mov_b32_e32 v4, s17
	s_mov_b32 s4, exec_lo
	s_clause 0x3
	buffer_load_dword v1, v4, s[0:3], 0 offen
	buffer_load_dword v2, v4, s[0:3], 0 offen offset:4
	buffer_load_dword v3, v4, s[0:3], 0 offen offset:8
	;; [unrolled: 1-line block ×3, first 2 shown]
	s_waitcnt vmcnt(0)
	ds_write_b128 v134, v[1:4]
	s_waitcnt lgkmcnt(0)
	s_waitcnt_vscnt null, 0x0
	s_barrier
	buffer_gl0_inv
	v_cmpx_gt_u32_e32 55, v0
	s_cbranch_execz .LBB63_1321
; %bb.1314:
	ds_read_b128 v[1:4], v134
	v_cmp_ne_u32_e32 vcc_lo, 1, v135
	s_cbranch_vccnz .LBB63_1316
; %bb.1315:
	s_clause 0x3
	buffer_load_dword v136, v133, s[0:3], 0 offen offset:8
	buffer_load_dword v137, v133, s[0:3], 0 offen offset:12
	buffer_load_dword v140, v133, s[0:3], 0 offen
	buffer_load_dword v141, v133, s[0:3], 0 offen offset:4
	s_waitcnt vmcnt(2) lgkmcnt(0)
	v_mul_f64 v[142:143], v[3:4], v[136:137]
	v_mul_f64 v[136:137], v[1:2], v[136:137]
	s_waitcnt vmcnt(0)
	v_fma_f64 v[1:2], v[1:2], v[140:141], -v[142:143]
	v_fma_f64 v[3:4], v[3:4], v[140:141], v[136:137]
.LBB63_1316:
	s_mov_b32 s5, exec_lo
	v_cmpx_ne_u32_e32 54, v0
	s_cbranch_execz .LBB63_1320
; %bb.1317:
	v_add_nc_u32_e32 v136, 0x410, v139
	v_add3_u32 v137, 0, v139, 16
	v_mov_b32_e32 v138, v0
	s_mov_b32 s6, 0
	.p2align	6
.LBB63_1318:                            ; =>This Inner Loop Header: Depth=1
	s_clause 0x3
	buffer_load_dword v144, v137, s[0:3], 0 offen offset:8
	buffer_load_dword v145, v137, s[0:3], 0 offen offset:12
	buffer_load_dword v146, v137, s[0:3], 0 offen
	buffer_load_dword v147, v137, s[0:3], 0 offen offset:4
	ds_read_b128 v[140:143], v136
	v_add_nc_u32_e32 v138, 1, v138
	v_add_nc_u32_e32 v136, 16, v136
	;; [unrolled: 1-line block ×3, first 2 shown]
	v_cmp_lt_u32_e32 vcc_lo, 53, v138
	s_or_b32 s6, vcc_lo, s6
	s_waitcnt vmcnt(2) lgkmcnt(0)
	v_mul_f64 v[148:149], v[142:143], v[144:145]
	v_mul_f64 v[144:145], v[140:141], v[144:145]
	s_waitcnt vmcnt(0)
	v_fma_f64 v[140:141], v[140:141], v[146:147], -v[148:149]
	v_fma_f64 v[142:143], v[142:143], v[146:147], v[144:145]
	v_add_f64 v[1:2], v[1:2], v[140:141]
	v_add_f64 v[3:4], v[3:4], v[142:143]
	s_andn2_b32 exec_lo, exec_lo, s6
	s_cbranch_execnz .LBB63_1318
; %bb.1319:
	s_or_b32 exec_lo, exec_lo, s6
.LBB63_1320:
	s_or_b32 exec_lo, exec_lo, s5
	v_mov_b32_e32 v136, 0
	ds_read_b128 v[140:143], v136 offset:880
	s_waitcnt lgkmcnt(0)
	v_mul_f64 v[136:137], v[3:4], v[142:143]
	v_mul_f64 v[142:143], v[1:2], v[142:143]
	v_fma_f64 v[1:2], v[1:2], v[140:141], -v[136:137]
	v_fma_f64 v[3:4], v[3:4], v[140:141], v[142:143]
	buffer_store_dword v2, off, s[0:3], 0 offset:884
	buffer_store_dword v1, off, s[0:3], 0 offset:880
	;; [unrolled: 1-line block ×4, first 2 shown]
.LBB63_1321:
	s_or_b32 exec_lo, exec_lo, s4
	v_mov_b32_e32 v4, s16
	s_mov_b32 s4, exec_lo
	s_clause 0x3
	buffer_load_dword v1, v4, s[0:3], 0 offen
	buffer_load_dword v2, v4, s[0:3], 0 offen offset:4
	buffer_load_dword v3, v4, s[0:3], 0 offen offset:8
	;; [unrolled: 1-line block ×3, first 2 shown]
	s_waitcnt vmcnt(0)
	ds_write_b128 v134, v[1:4]
	s_waitcnt lgkmcnt(0)
	s_waitcnt_vscnt null, 0x0
	s_barrier
	buffer_gl0_inv
	v_cmpx_gt_u32_e32 56, v0
	s_cbranch_execz .LBB63_1329
; %bb.1322:
	ds_read_b128 v[1:4], v134
	v_cmp_ne_u32_e32 vcc_lo, 1, v135
	s_cbranch_vccnz .LBB63_1324
; %bb.1323:
	s_clause 0x3
	buffer_load_dword v136, v133, s[0:3], 0 offen offset:8
	buffer_load_dword v137, v133, s[0:3], 0 offen offset:12
	buffer_load_dword v140, v133, s[0:3], 0 offen
	buffer_load_dword v141, v133, s[0:3], 0 offen offset:4
	s_waitcnt vmcnt(2) lgkmcnt(0)
	v_mul_f64 v[142:143], v[3:4], v[136:137]
	v_mul_f64 v[136:137], v[1:2], v[136:137]
	s_waitcnt vmcnt(0)
	v_fma_f64 v[1:2], v[1:2], v[140:141], -v[142:143]
	v_fma_f64 v[3:4], v[3:4], v[140:141], v[136:137]
.LBB63_1324:
	s_mov_b32 s5, exec_lo
	v_cmpx_ne_u32_e32 55, v0
	s_cbranch_execz .LBB63_1328
; %bb.1325:
	v_add_nc_u32_e32 v136, 0x410, v139
	v_add3_u32 v137, 0, v139, 16
	v_mov_b32_e32 v138, v0
	s_mov_b32 s6, 0
	.p2align	6
.LBB63_1326:                            ; =>This Inner Loop Header: Depth=1
	s_clause 0x3
	buffer_load_dword v144, v137, s[0:3], 0 offen offset:8
	buffer_load_dword v145, v137, s[0:3], 0 offen offset:12
	buffer_load_dword v146, v137, s[0:3], 0 offen
	buffer_load_dword v147, v137, s[0:3], 0 offen offset:4
	ds_read_b128 v[140:143], v136
	v_add_nc_u32_e32 v138, 1, v138
	v_add_nc_u32_e32 v136, 16, v136
	;; [unrolled: 1-line block ×3, first 2 shown]
	v_cmp_lt_u32_e32 vcc_lo, 54, v138
	s_or_b32 s6, vcc_lo, s6
	s_waitcnt vmcnt(2) lgkmcnt(0)
	v_mul_f64 v[148:149], v[142:143], v[144:145]
	v_mul_f64 v[144:145], v[140:141], v[144:145]
	s_waitcnt vmcnt(0)
	v_fma_f64 v[140:141], v[140:141], v[146:147], -v[148:149]
	v_fma_f64 v[142:143], v[142:143], v[146:147], v[144:145]
	v_add_f64 v[1:2], v[1:2], v[140:141]
	v_add_f64 v[3:4], v[3:4], v[142:143]
	s_andn2_b32 exec_lo, exec_lo, s6
	s_cbranch_execnz .LBB63_1326
; %bb.1327:
	s_or_b32 exec_lo, exec_lo, s6
.LBB63_1328:
	s_or_b32 exec_lo, exec_lo, s5
	v_mov_b32_e32 v136, 0
	ds_read_b128 v[140:143], v136 offset:896
	s_waitcnt lgkmcnt(0)
	v_mul_f64 v[136:137], v[3:4], v[142:143]
	v_mul_f64 v[142:143], v[1:2], v[142:143]
	v_fma_f64 v[1:2], v[1:2], v[140:141], -v[136:137]
	v_fma_f64 v[3:4], v[3:4], v[140:141], v[142:143]
	buffer_store_dword v2, off, s[0:3], 0 offset:900
	buffer_store_dword v1, off, s[0:3], 0 offset:896
	;; [unrolled: 1-line block ×4, first 2 shown]
.LBB63_1329:
	s_or_b32 exec_lo, exec_lo, s4
	v_mov_b32_e32 v4, s15
	s_mov_b32 s4, exec_lo
	s_clause 0x3
	buffer_load_dword v1, v4, s[0:3], 0 offen
	buffer_load_dword v2, v4, s[0:3], 0 offen offset:4
	buffer_load_dword v3, v4, s[0:3], 0 offen offset:8
	;; [unrolled: 1-line block ×3, first 2 shown]
	s_waitcnt vmcnt(0)
	ds_write_b128 v134, v[1:4]
	s_waitcnt lgkmcnt(0)
	s_waitcnt_vscnt null, 0x0
	s_barrier
	buffer_gl0_inv
	v_cmpx_gt_u32_e32 57, v0
	s_cbranch_execz .LBB63_1337
; %bb.1330:
	ds_read_b128 v[1:4], v134
	v_cmp_ne_u32_e32 vcc_lo, 1, v135
	s_cbranch_vccnz .LBB63_1332
; %bb.1331:
	s_clause 0x3
	buffer_load_dword v136, v133, s[0:3], 0 offen offset:8
	buffer_load_dword v137, v133, s[0:3], 0 offen offset:12
	buffer_load_dword v140, v133, s[0:3], 0 offen
	buffer_load_dword v141, v133, s[0:3], 0 offen offset:4
	s_waitcnt vmcnt(2) lgkmcnt(0)
	v_mul_f64 v[142:143], v[3:4], v[136:137]
	v_mul_f64 v[136:137], v[1:2], v[136:137]
	s_waitcnt vmcnt(0)
	v_fma_f64 v[1:2], v[1:2], v[140:141], -v[142:143]
	v_fma_f64 v[3:4], v[3:4], v[140:141], v[136:137]
.LBB63_1332:
	s_mov_b32 s5, exec_lo
	v_cmpx_ne_u32_e32 56, v0
	s_cbranch_execz .LBB63_1336
; %bb.1333:
	v_add_nc_u32_e32 v136, 0x410, v139
	v_add3_u32 v137, 0, v139, 16
	v_mov_b32_e32 v138, v0
	s_mov_b32 s6, 0
	.p2align	6
.LBB63_1334:                            ; =>This Inner Loop Header: Depth=1
	s_clause 0x3
	buffer_load_dword v144, v137, s[0:3], 0 offen offset:8
	buffer_load_dword v145, v137, s[0:3], 0 offen offset:12
	buffer_load_dword v146, v137, s[0:3], 0 offen
	buffer_load_dword v147, v137, s[0:3], 0 offen offset:4
	ds_read_b128 v[140:143], v136
	v_add_nc_u32_e32 v138, 1, v138
	v_add_nc_u32_e32 v136, 16, v136
	;; [unrolled: 1-line block ×3, first 2 shown]
	v_cmp_lt_u32_e32 vcc_lo, 55, v138
	s_or_b32 s6, vcc_lo, s6
	s_waitcnt vmcnt(2) lgkmcnt(0)
	v_mul_f64 v[148:149], v[142:143], v[144:145]
	v_mul_f64 v[144:145], v[140:141], v[144:145]
	s_waitcnt vmcnt(0)
	v_fma_f64 v[140:141], v[140:141], v[146:147], -v[148:149]
	v_fma_f64 v[142:143], v[142:143], v[146:147], v[144:145]
	v_add_f64 v[1:2], v[1:2], v[140:141]
	v_add_f64 v[3:4], v[3:4], v[142:143]
	s_andn2_b32 exec_lo, exec_lo, s6
	s_cbranch_execnz .LBB63_1334
; %bb.1335:
	s_or_b32 exec_lo, exec_lo, s6
.LBB63_1336:
	s_or_b32 exec_lo, exec_lo, s5
	v_mov_b32_e32 v136, 0
	ds_read_b128 v[140:143], v136 offset:912
	s_waitcnt lgkmcnt(0)
	v_mul_f64 v[136:137], v[3:4], v[142:143]
	v_mul_f64 v[142:143], v[1:2], v[142:143]
	v_fma_f64 v[1:2], v[1:2], v[140:141], -v[136:137]
	v_fma_f64 v[3:4], v[3:4], v[140:141], v[142:143]
	buffer_store_dword v2, off, s[0:3], 0 offset:916
	buffer_store_dword v1, off, s[0:3], 0 offset:912
	;; [unrolled: 1-line block ×4, first 2 shown]
.LBB63_1337:
	s_or_b32 exec_lo, exec_lo, s4
	v_mov_b32_e32 v4, s14
	s_mov_b32 s4, exec_lo
	s_clause 0x3
	buffer_load_dword v1, v4, s[0:3], 0 offen
	buffer_load_dword v2, v4, s[0:3], 0 offen offset:4
	buffer_load_dword v3, v4, s[0:3], 0 offen offset:8
	;; [unrolled: 1-line block ×3, first 2 shown]
	s_waitcnt vmcnt(0)
	ds_write_b128 v134, v[1:4]
	s_waitcnt lgkmcnt(0)
	s_waitcnt_vscnt null, 0x0
	s_barrier
	buffer_gl0_inv
	v_cmpx_gt_u32_e32 58, v0
	s_cbranch_execz .LBB63_1345
; %bb.1338:
	ds_read_b128 v[1:4], v134
	v_cmp_ne_u32_e32 vcc_lo, 1, v135
	s_cbranch_vccnz .LBB63_1340
; %bb.1339:
	s_clause 0x3
	buffer_load_dword v136, v133, s[0:3], 0 offen offset:8
	buffer_load_dword v137, v133, s[0:3], 0 offen offset:12
	buffer_load_dword v140, v133, s[0:3], 0 offen
	buffer_load_dword v141, v133, s[0:3], 0 offen offset:4
	s_waitcnt vmcnt(2) lgkmcnt(0)
	v_mul_f64 v[142:143], v[3:4], v[136:137]
	v_mul_f64 v[136:137], v[1:2], v[136:137]
	s_waitcnt vmcnt(0)
	v_fma_f64 v[1:2], v[1:2], v[140:141], -v[142:143]
	v_fma_f64 v[3:4], v[3:4], v[140:141], v[136:137]
.LBB63_1340:
	s_mov_b32 s5, exec_lo
	v_cmpx_ne_u32_e32 57, v0
	s_cbranch_execz .LBB63_1344
; %bb.1341:
	v_add_nc_u32_e32 v136, 0x410, v139
	v_add3_u32 v137, 0, v139, 16
	v_mov_b32_e32 v138, v0
	s_mov_b32 s6, 0
	.p2align	6
.LBB63_1342:                            ; =>This Inner Loop Header: Depth=1
	s_clause 0x3
	buffer_load_dword v144, v137, s[0:3], 0 offen offset:8
	buffer_load_dword v145, v137, s[0:3], 0 offen offset:12
	buffer_load_dword v146, v137, s[0:3], 0 offen
	buffer_load_dword v147, v137, s[0:3], 0 offen offset:4
	ds_read_b128 v[140:143], v136
	v_add_nc_u32_e32 v138, 1, v138
	v_add_nc_u32_e32 v136, 16, v136
	;; [unrolled: 1-line block ×3, first 2 shown]
	v_cmp_lt_u32_e32 vcc_lo, 56, v138
	s_or_b32 s6, vcc_lo, s6
	s_waitcnt vmcnt(2) lgkmcnt(0)
	v_mul_f64 v[148:149], v[142:143], v[144:145]
	v_mul_f64 v[144:145], v[140:141], v[144:145]
	s_waitcnt vmcnt(0)
	v_fma_f64 v[140:141], v[140:141], v[146:147], -v[148:149]
	v_fma_f64 v[142:143], v[142:143], v[146:147], v[144:145]
	v_add_f64 v[1:2], v[1:2], v[140:141]
	v_add_f64 v[3:4], v[3:4], v[142:143]
	s_andn2_b32 exec_lo, exec_lo, s6
	s_cbranch_execnz .LBB63_1342
; %bb.1343:
	s_or_b32 exec_lo, exec_lo, s6
.LBB63_1344:
	s_or_b32 exec_lo, exec_lo, s5
	v_mov_b32_e32 v136, 0
	ds_read_b128 v[140:143], v136 offset:928
	s_waitcnt lgkmcnt(0)
	v_mul_f64 v[136:137], v[3:4], v[142:143]
	v_mul_f64 v[142:143], v[1:2], v[142:143]
	v_fma_f64 v[1:2], v[1:2], v[140:141], -v[136:137]
	v_fma_f64 v[3:4], v[3:4], v[140:141], v[142:143]
	buffer_store_dword v2, off, s[0:3], 0 offset:932
	buffer_store_dword v1, off, s[0:3], 0 offset:928
	;; [unrolled: 1-line block ×4, first 2 shown]
.LBB63_1345:
	s_or_b32 exec_lo, exec_lo, s4
	v_mov_b32_e32 v4, s13
	s_mov_b32 s4, exec_lo
	s_clause 0x3
	buffer_load_dword v1, v4, s[0:3], 0 offen
	buffer_load_dword v2, v4, s[0:3], 0 offen offset:4
	buffer_load_dword v3, v4, s[0:3], 0 offen offset:8
	;; [unrolled: 1-line block ×3, first 2 shown]
	s_waitcnt vmcnt(0)
	ds_write_b128 v134, v[1:4]
	s_waitcnt lgkmcnt(0)
	s_waitcnt_vscnt null, 0x0
	s_barrier
	buffer_gl0_inv
	v_cmpx_gt_u32_e32 59, v0
	s_cbranch_execz .LBB63_1353
; %bb.1346:
	ds_read_b128 v[1:4], v134
	v_cmp_ne_u32_e32 vcc_lo, 1, v135
	s_cbranch_vccnz .LBB63_1348
; %bb.1347:
	s_clause 0x3
	buffer_load_dword v136, v133, s[0:3], 0 offen offset:8
	buffer_load_dword v137, v133, s[0:3], 0 offen offset:12
	buffer_load_dword v140, v133, s[0:3], 0 offen
	buffer_load_dword v141, v133, s[0:3], 0 offen offset:4
	s_waitcnt vmcnt(2) lgkmcnt(0)
	v_mul_f64 v[142:143], v[3:4], v[136:137]
	v_mul_f64 v[136:137], v[1:2], v[136:137]
	s_waitcnt vmcnt(0)
	v_fma_f64 v[1:2], v[1:2], v[140:141], -v[142:143]
	v_fma_f64 v[3:4], v[3:4], v[140:141], v[136:137]
.LBB63_1348:
	s_mov_b32 s5, exec_lo
	v_cmpx_ne_u32_e32 58, v0
	s_cbranch_execz .LBB63_1352
; %bb.1349:
	v_add_nc_u32_e32 v136, 0x410, v139
	v_add3_u32 v137, 0, v139, 16
	v_mov_b32_e32 v138, v0
	s_mov_b32 s6, 0
	.p2align	6
.LBB63_1350:                            ; =>This Inner Loop Header: Depth=1
	s_clause 0x3
	buffer_load_dword v144, v137, s[0:3], 0 offen offset:8
	buffer_load_dword v145, v137, s[0:3], 0 offen offset:12
	buffer_load_dword v146, v137, s[0:3], 0 offen
	buffer_load_dword v147, v137, s[0:3], 0 offen offset:4
	ds_read_b128 v[140:143], v136
	v_add_nc_u32_e32 v138, 1, v138
	v_add_nc_u32_e32 v136, 16, v136
	;; [unrolled: 1-line block ×3, first 2 shown]
	v_cmp_lt_u32_e32 vcc_lo, 57, v138
	s_or_b32 s6, vcc_lo, s6
	s_waitcnt vmcnt(2) lgkmcnt(0)
	v_mul_f64 v[148:149], v[142:143], v[144:145]
	v_mul_f64 v[144:145], v[140:141], v[144:145]
	s_waitcnt vmcnt(0)
	v_fma_f64 v[140:141], v[140:141], v[146:147], -v[148:149]
	v_fma_f64 v[142:143], v[142:143], v[146:147], v[144:145]
	v_add_f64 v[1:2], v[1:2], v[140:141]
	v_add_f64 v[3:4], v[3:4], v[142:143]
	s_andn2_b32 exec_lo, exec_lo, s6
	s_cbranch_execnz .LBB63_1350
; %bb.1351:
	s_or_b32 exec_lo, exec_lo, s6
.LBB63_1352:
	s_or_b32 exec_lo, exec_lo, s5
	v_mov_b32_e32 v136, 0
	ds_read_b128 v[140:143], v136 offset:944
	s_waitcnt lgkmcnt(0)
	v_mul_f64 v[136:137], v[3:4], v[142:143]
	v_mul_f64 v[142:143], v[1:2], v[142:143]
	v_fma_f64 v[1:2], v[1:2], v[140:141], -v[136:137]
	v_fma_f64 v[3:4], v[3:4], v[140:141], v[142:143]
	buffer_store_dword v2, off, s[0:3], 0 offset:948
	buffer_store_dword v1, off, s[0:3], 0 offset:944
	;; [unrolled: 1-line block ×4, first 2 shown]
.LBB63_1353:
	s_or_b32 exec_lo, exec_lo, s4
	v_mov_b32_e32 v4, s12
	s_mov_b32 s4, exec_lo
	s_clause 0x3
	buffer_load_dword v1, v4, s[0:3], 0 offen
	buffer_load_dword v2, v4, s[0:3], 0 offen offset:4
	buffer_load_dword v3, v4, s[0:3], 0 offen offset:8
	;; [unrolled: 1-line block ×3, first 2 shown]
	s_waitcnt vmcnt(0)
	ds_write_b128 v134, v[1:4]
	s_waitcnt lgkmcnt(0)
	s_waitcnt_vscnt null, 0x0
	s_barrier
	buffer_gl0_inv
	v_cmpx_gt_u32_e32 60, v0
	s_cbranch_execz .LBB63_1361
; %bb.1354:
	ds_read_b128 v[1:4], v134
	v_cmp_ne_u32_e32 vcc_lo, 1, v135
	s_cbranch_vccnz .LBB63_1356
; %bb.1355:
	s_clause 0x3
	buffer_load_dword v136, v133, s[0:3], 0 offen offset:8
	buffer_load_dword v137, v133, s[0:3], 0 offen offset:12
	buffer_load_dword v140, v133, s[0:3], 0 offen
	buffer_load_dword v141, v133, s[0:3], 0 offen offset:4
	s_waitcnt vmcnt(2) lgkmcnt(0)
	v_mul_f64 v[142:143], v[3:4], v[136:137]
	v_mul_f64 v[136:137], v[1:2], v[136:137]
	s_waitcnt vmcnt(0)
	v_fma_f64 v[1:2], v[1:2], v[140:141], -v[142:143]
	v_fma_f64 v[3:4], v[3:4], v[140:141], v[136:137]
.LBB63_1356:
	s_mov_b32 s5, exec_lo
	v_cmpx_ne_u32_e32 59, v0
	s_cbranch_execz .LBB63_1360
; %bb.1357:
	v_add_nc_u32_e32 v136, 0x410, v139
	v_add3_u32 v137, 0, v139, 16
	v_mov_b32_e32 v138, v0
	s_mov_b32 s6, 0
	.p2align	6
.LBB63_1358:                            ; =>This Inner Loop Header: Depth=1
	s_clause 0x3
	buffer_load_dword v144, v137, s[0:3], 0 offen offset:8
	buffer_load_dword v145, v137, s[0:3], 0 offen offset:12
	buffer_load_dword v146, v137, s[0:3], 0 offen
	buffer_load_dword v147, v137, s[0:3], 0 offen offset:4
	ds_read_b128 v[140:143], v136
	v_add_nc_u32_e32 v138, 1, v138
	v_add_nc_u32_e32 v136, 16, v136
	;; [unrolled: 1-line block ×3, first 2 shown]
	v_cmp_lt_u32_e32 vcc_lo, 58, v138
	s_or_b32 s6, vcc_lo, s6
	s_waitcnt vmcnt(2) lgkmcnt(0)
	v_mul_f64 v[148:149], v[142:143], v[144:145]
	v_mul_f64 v[144:145], v[140:141], v[144:145]
	s_waitcnt vmcnt(0)
	v_fma_f64 v[140:141], v[140:141], v[146:147], -v[148:149]
	v_fma_f64 v[142:143], v[142:143], v[146:147], v[144:145]
	v_add_f64 v[1:2], v[1:2], v[140:141]
	v_add_f64 v[3:4], v[3:4], v[142:143]
	s_andn2_b32 exec_lo, exec_lo, s6
	s_cbranch_execnz .LBB63_1358
; %bb.1359:
	s_or_b32 exec_lo, exec_lo, s6
.LBB63_1360:
	s_or_b32 exec_lo, exec_lo, s5
	v_mov_b32_e32 v136, 0
	ds_read_b128 v[140:143], v136 offset:960
	s_waitcnt lgkmcnt(0)
	v_mul_f64 v[136:137], v[3:4], v[142:143]
	v_mul_f64 v[142:143], v[1:2], v[142:143]
	v_fma_f64 v[1:2], v[1:2], v[140:141], -v[136:137]
	v_fma_f64 v[3:4], v[3:4], v[140:141], v[142:143]
	buffer_store_dword v2, off, s[0:3], 0 offset:964
	buffer_store_dword v1, off, s[0:3], 0 offset:960
	;; [unrolled: 1-line block ×4, first 2 shown]
.LBB63_1361:
	s_or_b32 exec_lo, exec_lo, s4
	v_mov_b32_e32 v4, s11
	s_mov_b32 s4, exec_lo
	s_clause 0x3
	buffer_load_dword v1, v4, s[0:3], 0 offen
	buffer_load_dword v2, v4, s[0:3], 0 offen offset:4
	buffer_load_dword v3, v4, s[0:3], 0 offen offset:8
	;; [unrolled: 1-line block ×3, first 2 shown]
	s_waitcnt vmcnt(0)
	ds_write_b128 v134, v[1:4]
	s_waitcnt lgkmcnt(0)
	s_waitcnt_vscnt null, 0x0
	s_barrier
	buffer_gl0_inv
	v_cmpx_gt_u32_e32 61, v0
	s_cbranch_execz .LBB63_1369
; %bb.1362:
	ds_read_b128 v[1:4], v134
	v_cmp_ne_u32_e32 vcc_lo, 1, v135
	s_cbranch_vccnz .LBB63_1364
; %bb.1363:
	s_clause 0x3
	buffer_load_dword v136, v133, s[0:3], 0 offen offset:8
	buffer_load_dword v137, v133, s[0:3], 0 offen offset:12
	buffer_load_dword v140, v133, s[0:3], 0 offen
	buffer_load_dword v141, v133, s[0:3], 0 offen offset:4
	s_waitcnt vmcnt(2) lgkmcnt(0)
	v_mul_f64 v[142:143], v[3:4], v[136:137]
	v_mul_f64 v[136:137], v[1:2], v[136:137]
	s_waitcnt vmcnt(0)
	v_fma_f64 v[1:2], v[1:2], v[140:141], -v[142:143]
	v_fma_f64 v[3:4], v[3:4], v[140:141], v[136:137]
.LBB63_1364:
	s_mov_b32 s5, exec_lo
	v_cmpx_ne_u32_e32 60, v0
	s_cbranch_execz .LBB63_1368
; %bb.1365:
	v_add_nc_u32_e32 v136, 0x410, v139
	v_add3_u32 v137, 0, v139, 16
	v_mov_b32_e32 v138, v0
	s_mov_b32 s6, 0
	.p2align	6
.LBB63_1366:                            ; =>This Inner Loop Header: Depth=1
	s_clause 0x3
	buffer_load_dword v144, v137, s[0:3], 0 offen offset:8
	buffer_load_dword v145, v137, s[0:3], 0 offen offset:12
	buffer_load_dword v146, v137, s[0:3], 0 offen
	buffer_load_dword v147, v137, s[0:3], 0 offen offset:4
	ds_read_b128 v[140:143], v136
	v_add_nc_u32_e32 v138, 1, v138
	v_add_nc_u32_e32 v136, 16, v136
	;; [unrolled: 1-line block ×3, first 2 shown]
	v_cmp_lt_u32_e32 vcc_lo, 59, v138
	s_or_b32 s6, vcc_lo, s6
	s_waitcnt vmcnt(2) lgkmcnt(0)
	v_mul_f64 v[148:149], v[142:143], v[144:145]
	v_mul_f64 v[144:145], v[140:141], v[144:145]
	s_waitcnt vmcnt(0)
	v_fma_f64 v[140:141], v[140:141], v[146:147], -v[148:149]
	v_fma_f64 v[142:143], v[142:143], v[146:147], v[144:145]
	v_add_f64 v[1:2], v[1:2], v[140:141]
	v_add_f64 v[3:4], v[3:4], v[142:143]
	s_andn2_b32 exec_lo, exec_lo, s6
	s_cbranch_execnz .LBB63_1366
; %bb.1367:
	s_or_b32 exec_lo, exec_lo, s6
.LBB63_1368:
	s_or_b32 exec_lo, exec_lo, s5
	v_mov_b32_e32 v136, 0
	ds_read_b128 v[140:143], v136 offset:976
	s_waitcnt lgkmcnt(0)
	v_mul_f64 v[136:137], v[3:4], v[142:143]
	v_mul_f64 v[142:143], v[1:2], v[142:143]
	v_fma_f64 v[1:2], v[1:2], v[140:141], -v[136:137]
	v_fma_f64 v[3:4], v[3:4], v[140:141], v[142:143]
	buffer_store_dword v2, off, s[0:3], 0 offset:980
	buffer_store_dword v1, off, s[0:3], 0 offset:976
	;; [unrolled: 1-line block ×4, first 2 shown]
.LBB63_1369:
	s_or_b32 exec_lo, exec_lo, s4
	v_mov_b32_e32 v4, s10
	v_cmp_gt_u32_e64 s4, 62, v0
	s_clause 0x3
	buffer_load_dword v1, v4, s[0:3], 0 offen
	buffer_load_dword v2, v4, s[0:3], 0 offen offset:4
	buffer_load_dword v3, v4, s[0:3], 0 offen offset:8
	;; [unrolled: 1-line block ×3, first 2 shown]
	s_waitcnt vmcnt(0)
	ds_write_b128 v134, v[1:4]
	s_waitcnt lgkmcnt(0)
	s_waitcnt_vscnt null, 0x0
	s_barrier
	buffer_gl0_inv
	s_and_saveexec_b32 s5, s4
	s_cbranch_execz .LBB63_1377
; %bb.1370:
	ds_read_b128 v[1:4], v134
	v_cmp_ne_u32_e32 vcc_lo, 1, v135
	s_cbranch_vccnz .LBB63_1372
; %bb.1371:
	s_clause 0x3
	buffer_load_dword v136, v133, s[0:3], 0 offen offset:8
	buffer_load_dword v137, v133, s[0:3], 0 offen offset:12
	buffer_load_dword v140, v133, s[0:3], 0 offen
	buffer_load_dword v141, v133, s[0:3], 0 offen offset:4
	s_waitcnt vmcnt(2) lgkmcnt(0)
	v_mul_f64 v[142:143], v[3:4], v[136:137]
	v_mul_f64 v[136:137], v[1:2], v[136:137]
	s_waitcnt vmcnt(0)
	v_fma_f64 v[1:2], v[1:2], v[140:141], -v[142:143]
	v_fma_f64 v[3:4], v[3:4], v[140:141], v[136:137]
.LBB63_1372:
	s_mov_b32 s6, exec_lo
	v_cmpx_ne_u32_e32 61, v0
	s_cbranch_execz .LBB63_1376
; %bb.1373:
	v_add_nc_u32_e32 v136, 0x410, v139
	v_add3_u32 v137, 0, v139, 16
	v_mov_b32_e32 v138, v0
	s_mov_b32 s7, 0
	.p2align	6
.LBB63_1374:                            ; =>This Inner Loop Header: Depth=1
	s_clause 0x3
	buffer_load_dword v144, v137, s[0:3], 0 offen offset:8
	buffer_load_dword v145, v137, s[0:3], 0 offen offset:12
	buffer_load_dword v146, v137, s[0:3], 0 offen
	buffer_load_dword v147, v137, s[0:3], 0 offen offset:4
	ds_read_b128 v[140:143], v136
	v_add_nc_u32_e32 v138, 1, v138
	v_add_nc_u32_e32 v136, 16, v136
	;; [unrolled: 1-line block ×3, first 2 shown]
	v_cmp_lt_u32_e32 vcc_lo, 60, v138
	s_or_b32 s7, vcc_lo, s7
	s_waitcnt vmcnt(2) lgkmcnt(0)
	v_mul_f64 v[148:149], v[142:143], v[144:145]
	v_mul_f64 v[144:145], v[140:141], v[144:145]
	s_waitcnt vmcnt(0)
	v_fma_f64 v[140:141], v[140:141], v[146:147], -v[148:149]
	v_fma_f64 v[142:143], v[142:143], v[146:147], v[144:145]
	v_add_f64 v[1:2], v[1:2], v[140:141]
	v_add_f64 v[3:4], v[3:4], v[142:143]
	s_andn2_b32 exec_lo, exec_lo, s7
	s_cbranch_execnz .LBB63_1374
; %bb.1375:
	s_or_b32 exec_lo, exec_lo, s7
.LBB63_1376:
	s_or_b32 exec_lo, exec_lo, s6
	v_mov_b32_e32 v136, 0
	ds_read_b128 v[140:143], v136 offset:992
	s_waitcnt lgkmcnt(0)
	v_mul_f64 v[136:137], v[3:4], v[142:143]
	v_mul_f64 v[142:143], v[1:2], v[142:143]
	v_fma_f64 v[1:2], v[1:2], v[140:141], -v[136:137]
	v_fma_f64 v[3:4], v[3:4], v[140:141], v[142:143]
	buffer_store_dword v2, off, s[0:3], 0 offset:996
	buffer_store_dword v1, off, s[0:3], 0 offset:992
	;; [unrolled: 1-line block ×4, first 2 shown]
.LBB63_1377:
	s_or_b32 exec_lo, exec_lo, s5
	v_mov_b32_e32 v4, s9
	s_mov_b32 s5, exec_lo
                                        ; implicit-def: $sgpr73
	s_clause 0x3
	buffer_load_dword v1, v4, s[0:3], 0 offen
	buffer_load_dword v2, v4, s[0:3], 0 offen offset:4
	buffer_load_dword v3, v4, s[0:3], 0 offen offset:8
	;; [unrolled: 1-line block ×3, first 2 shown]
	s_waitcnt vmcnt(0)
	ds_write_b128 v134, v[1:4]
	s_waitcnt lgkmcnt(0)
	s_waitcnt_vscnt null, 0x0
	s_barrier
	buffer_gl0_inv
                                        ; implicit-def: $vgpr1_vgpr2
	v_cmpx_ne_u32_e32 63, v0
	s_cbranch_execz .LBB63_1385
; %bb.1378:
	ds_read_b128 v[1:4], v134
	v_cmp_ne_u32_e32 vcc_lo, 1, v135
	s_cbranch_vccnz .LBB63_1380
; %bb.1379:
	s_clause 0x3
	buffer_load_dword v134, v133, s[0:3], 0 offen offset:8
	buffer_load_dword v135, v133, s[0:3], 0 offen offset:12
	buffer_load_dword v136, v133, s[0:3], 0 offen
	buffer_load_dword v137, v133, s[0:3], 0 offen offset:4
	s_waitcnt vmcnt(2) lgkmcnt(0)
	v_mul_f64 v[140:141], v[3:4], v[134:135]
	v_mul_f64 v[133:134], v[1:2], v[134:135]
	s_waitcnt vmcnt(0)
	v_fma_f64 v[1:2], v[1:2], v[136:137], -v[140:141]
	v_fma_f64 v[3:4], v[3:4], v[136:137], v[133:134]
.LBB63_1380:
	s_and_saveexec_b32 s6, s4
	s_cbranch_execz .LBB63_1384
; %bb.1381:
	v_add_nc_u32_e32 v133, 0x410, v139
	v_add3_u32 v134, 0, v139, 16
	s_mov_b32 s4, 0
	.p2align	6
.LBB63_1382:                            ; =>This Inner Loop Header: Depth=1
	s_clause 0x3
	buffer_load_dword v139, v134, s[0:3], 0 offen offset:8
	buffer_load_dword v140, v134, s[0:3], 0 offen offset:12
	buffer_load_dword v141, v134, s[0:3], 0 offen
	buffer_load_dword v142, v134, s[0:3], 0 offen offset:4
	ds_read_b128 v[135:138], v133
	v_add_nc_u32_e32 v0, 1, v0
	v_add_nc_u32_e32 v133, 16, v133
	v_add_nc_u32_e32 v134, 16, v134
	v_cmp_lt_u32_e32 vcc_lo, 61, v0
	s_or_b32 s4, vcc_lo, s4
	s_waitcnt vmcnt(2) lgkmcnt(0)
	v_mul_f64 v[143:144], v[137:138], v[139:140]
	v_mul_f64 v[139:140], v[135:136], v[139:140]
	s_waitcnt vmcnt(0)
	v_fma_f64 v[135:136], v[135:136], v[141:142], -v[143:144]
	v_fma_f64 v[137:138], v[137:138], v[141:142], v[139:140]
	v_add_f64 v[1:2], v[1:2], v[135:136]
	v_add_f64 v[3:4], v[3:4], v[137:138]
	s_andn2_b32 exec_lo, exec_lo, s4
	s_cbranch_execnz .LBB63_1382
; %bb.1383:
	s_or_b32 exec_lo, exec_lo, s4
.LBB63_1384:
	s_or_b32 exec_lo, exec_lo, s6
	v_mov_b32_e32 v0, 0
	s_movk_i32 s73, 0x3f8
	s_or_b32 s8, s8, exec_lo
	ds_read_b128 v[133:136], v0 offset:1008
	s_waitcnt lgkmcnt(0)
	v_mul_f64 v[137:138], v[3:4], v[135:136]
	v_mul_f64 v[135:136], v[1:2], v[135:136]
	v_fma_f64 v[137:138], v[1:2], v[133:134], -v[137:138]
	v_fma_f64 v[1:2], v[3:4], v[133:134], v[135:136]
	buffer_store_dword v138, off, s[0:3], 0 offset:1012
	buffer_store_dword v137, off, s[0:3], 0 offset:1008
.LBB63_1385:
	s_or_b32 exec_lo, exec_lo, s5
.LBB63_1386:
	s_and_saveexec_b32 s4, s8
	s_cbranch_execz .LBB63_1388
; %bb.1387:
	v_mov_b32_e32 v0, s73
	buffer_store_dword v2, v0, s[0:3], 0 offen offset:4
	buffer_store_dword v1, v0, s[0:3], 0 offen
.LBB63_1388:
	s_or_b32 exec_lo, exec_lo, s4
	v_mov_b32_e32 v4, s72
	s_clause 0x3
	buffer_load_dword v0, off, s[0:3], 0
	buffer_load_dword v1, off, s[0:3], 0 offset:4
	buffer_load_dword v2, off, s[0:3], 0 offset:8
	;; [unrolled: 1-line block ×3, first 2 shown]
	v_mov_b32_e32 v140, s71
	v_mov_b32_e32 v172, s63
	;; [unrolled: 1-line block ×3, first 2 shown]
	s_clause 0x7
	buffer_load_dword v133, v4, s[0:3], 0 offen
	buffer_load_dword v134, v4, s[0:3], 0 offen offset:4
	buffer_load_dword v135, v4, s[0:3], 0 offen offset:8
	;; [unrolled: 1-line block ×3, first 2 shown]
	buffer_load_dword v137, v140, s[0:3], 0 offen
	buffer_load_dword v138, v140, s[0:3], 0 offen offset:4
	buffer_load_dword v139, v140, s[0:3], 0 offen offset:8
	;; [unrolled: 1-line block ×3, first 2 shown]
	v_mov_b32_e32 v4, s70
	v_mov_b32_e32 v188, s58
	;; [unrolled: 1-line block ×4, first 2 shown]
	s_clause 0x3
	buffer_load_dword v141, v4, s[0:3], 0 offen
	buffer_load_dword v142, v4, s[0:3], 0 offen offset:4
	buffer_load_dword v143, v4, s[0:3], 0 offen offset:8
	;; [unrolled: 1-line block ×3, first 2 shown]
	v_mov_b32_e32 v4, s69
	v_mov_b32_e32 v197, s23
	;; [unrolled: 1-line block ×3, first 2 shown]
	s_clause 0x3
	buffer_load_dword v145, v4, s[0:3], 0 offen
	buffer_load_dword v146, v4, s[0:3], 0 offen offset:4
	buffer_load_dword v147, v4, s[0:3], 0 offen offset:8
	;; [unrolled: 1-line block ×3, first 2 shown]
	v_mov_b32_e32 v4, s68
	v_mov_b32_e32 v203, s14
	s_clause 0x3
	buffer_load_dword v149, v4, s[0:3], 0 offen
	buffer_load_dword v150, v4, s[0:3], 0 offen offset:4
	buffer_load_dword v151, v4, s[0:3], 0 offen offset:8
	buffer_load_dword v152, v4, s[0:3], 0 offen offset:12
	v_mov_b32_e32 v4, s67
	s_clause 0x3
	buffer_load_dword v153, v4, s[0:3], 0 offen
	buffer_load_dword v154, v4, s[0:3], 0 offen offset:4
	buffer_load_dword v155, v4, s[0:3], 0 offen offset:8
	buffer_load_dword v156, v4, s[0:3], 0 offen offset:12
	;; [unrolled: 6-line block ×6, first 2 shown]
	buffer_load_dword v173, v4, s[0:3], 0 offen
	buffer_load_dword v174, v4, s[0:3], 0 offen offset:4
	buffer_load_dword v175, v4, s[0:3], 0 offen offset:8
	;; [unrolled: 1-line block ×3, first 2 shown]
	v_mov_b32_e32 v4, s61
	s_clause 0x3
	buffer_load_dword v177, v4, s[0:3], 0 offen
	buffer_load_dword v178, v4, s[0:3], 0 offen offset:4
	buffer_load_dword v179, v4, s[0:3], 0 offen offset:8
	;; [unrolled: 1-line block ×3, first 2 shown]
	v_mov_b32_e32 v4, s59
	s_clause 0x3
	buffer_load_dword v181, v184, s[0:3], 0 offen
	buffer_load_dword v182, v184, s[0:3], 0 offen offset:4
	buffer_load_dword v183, v184, s[0:3], 0 offen offset:8
	;; [unrolled: 1-line block ×3, first 2 shown]
	v_mov_b32_e32 v205, s12
	v_mov_b32_e32 v200, s17
	;; [unrolled: 1-line block ×4, first 2 shown]
	s_waitcnt vmcnt(52)
	global_store_dwordx4 v[89:90], v[0:3], off
	s_clause 0x3
	buffer_load_dword v0, v4, s[0:3], 0 offen
	buffer_load_dword v1, v4, s[0:3], 0 offen offset:4
	buffer_load_dword v2, v4, s[0:3], 0 offen offset:8
	;; [unrolled: 1-line block ×3, first 2 shown]
	v_mov_b32_e32 v4, s57
	s_clause 0x3
	buffer_load_dword v185, v188, s[0:3], 0 offen
	buffer_load_dword v186, v188, s[0:3], 0 offen offset:4
	buffer_load_dword v187, v188, s[0:3], 0 offen offset:8
	;; [unrolled: 1-line block ×3, first 2 shown]
	v_mov_b32_e32 v89, s56
	s_waitcnt vmcnt(56)
	global_store_dwordx4 v[85:86], v[133:136], off
	s_clause 0x3
	buffer_load_dword v133, v4, s[0:3], 0 offen
	buffer_load_dword v134, v4, s[0:3], 0 offen offset:4
	buffer_load_dword v135, v4, s[0:3], 0 offen offset:8
	;; [unrolled: 1-line block ×3, first 2 shown]
	v_mov_b32_e32 v4, s54
	v_mov_b32_e32 v90, s55
	s_waitcnt vmcnt(56)
	global_store_dwordx4 v[87:88], v[137:140], off
	s_clause 0x7
	buffer_load_dword v85, v89, s[0:3], 0 offen
	buffer_load_dword v86, v89, s[0:3], 0 offen offset:4
	buffer_load_dword v87, v89, s[0:3], 0 offen offset:8
	;; [unrolled: 1-line block ×3, first 2 shown]
	buffer_load_dword v137, v90, s[0:3], 0 offen
	buffer_load_dword v138, v90, s[0:3], 0 offen offset:4
	buffer_load_dword v139, v90, s[0:3], 0 offen offset:8
	;; [unrolled: 1-line block ×3, first 2 shown]
	v_mov_b32_e32 v89, s53
	s_waitcnt vmcnt(60)
	global_store_dwordx4 v[75:76], v[141:144], off
	s_clause 0x7
	buffer_load_dword v141, v4, s[0:3], 0 offen
	buffer_load_dword v142, v4, s[0:3], 0 offen offset:4
	buffer_load_dword v143, v4, s[0:3], 0 offen offset:8
	;; [unrolled: 1-line block ×3, first 2 shown]
	buffer_load_dword v189, v89, s[0:3], 0 offen
	buffer_load_dword v190, v89, s[0:3], 0 offen offset:4
	buffer_load_dword v191, v89, s[0:3], 0 offen offset:8
	;; [unrolled: 1-line block ×3, first 2 shown]
	v_mov_b32_e32 v4, s52
	s_waitcnt vmcnt(62)
	global_store_dwordx4 v[83:84], v[145:148], off
	s_clause 0x3
	buffer_load_dword v145, v4, s[0:3], 0 offen
	buffer_load_dword v146, v4, s[0:3], 0 offen offset:4
	buffer_load_dword v147, v4, s[0:3], 0 offen offset:8
	;; [unrolled: 1-line block ×3, first 2 shown]
	v_mov_b32_e32 v4, s51
	v_mov_b32_e32 v75, s50
	s_waitcnt vmcnt(62)
	global_store_dwordx4 v[71:72], v[149:152], off
	s_clause 0x7
	buffer_load_dword v149, v4, s[0:3], 0 offen
	buffer_load_dword v150, v4, s[0:3], 0 offen offset:4
	buffer_load_dword v151, v4, s[0:3], 0 offen offset:8
	;; [unrolled: 1-line block ×3, first 2 shown]
	buffer_load_dword v193, v75, s[0:3], 0 offen
	buffer_load_dword v194, v75, s[0:3], 0 offen offset:4
	buffer_load_dword v195, v75, s[0:3], 0 offen offset:8
	;; [unrolled: 1-line block ×3, first 2 shown]
	v_mov_b32_e32 v4, s49
	s_waitcnt vmcnt(62)
	global_store_dwordx4 v[77:78], v[153:156], off
	s_clause 0x3
	buffer_load_dword v75, v4, s[0:3], 0 offen
	buffer_load_dword v76, v4, s[0:3], 0 offen offset:4
	buffer_load_dword v77, v4, s[0:3], 0 offen offset:8
	;; [unrolled: 1-line block ×3, first 2 shown]
	v_mov_b32_e32 v4, s48
	v_mov_b32_e32 v71, s47
	global_store_dwordx4 v[67:68], v[157:160], off
	s_clause 0x7
	buffer_load_dword v153, v4, s[0:3], 0 offen
	buffer_load_dword v154, v4, s[0:3], 0 offen offset:4
	buffer_load_dword v155, v4, s[0:3], 0 offen offset:8
	buffer_load_dword v156, v4, s[0:3], 0 offen offset:12
	buffer_load_dword v157, v71, s[0:3], 0 offen
	buffer_load_dword v158, v71, s[0:3], 0 offen offset:4
	buffer_load_dword v159, v71, s[0:3], 0 offen offset:8
	;; [unrolled: 1-line block ×3, first 2 shown]
	v_mov_b32_e32 v4, s46
	s_waitcnt vmcnt(62)
	global_store_dwordx4 v[65:66], v[161:164], off
	s_clause 0x3
	buffer_load_dword v65, v4, s[0:3], 0 offen
	buffer_load_dword v66, v4, s[0:3], 0 offen offset:4
	buffer_load_dword v67, v4, s[0:3], 0 offen offset:8
	;; [unrolled: 1-line block ×3, first 2 shown]
	v_mov_b32_e32 v4, s45
	v_mov_b32_e32 v71, s44
	global_store_dwordx4 v[61:62], v[165:168], off
	v_mov_b32_e32 v61, s43
	s_clause 0x3
	buffer_load_dword v161, v4, s[0:3], 0 offen
	buffer_load_dword v162, v4, s[0:3], 0 offen offset:4
	buffer_load_dword v163, v4, s[0:3], 0 offen offset:8
	;; [unrolled: 1-line block ×3, first 2 shown]
	global_store_dwordx4 v[57:58], v[169:172], off
	v_mov_b32_e32 v4, s42
	s_clause 0x3
	buffer_load_dword v165, v71, s[0:3], 0 offen
	buffer_load_dword v166, v71, s[0:3], 0 offen offset:4
	buffer_load_dword v167, v71, s[0:3], 0 offen offset:8
	;; [unrolled: 1-line block ×3, first 2 shown]
	s_waitcnt vmcnt(62)
	global_store_dwordx4 v[73:74], v[173:176], off
	v_mov_b32_e32 v62, s41
	s_clause 0xb
	buffer_load_dword v71, v61, s[0:3], 0 offen
	buffer_load_dword v72, v61, s[0:3], 0 offen offset:4
	buffer_load_dword v73, v61, s[0:3], 0 offen offset:8
	buffer_load_dword v74, v61, s[0:3], 0 offen offset:12
	buffer_load_dword v169, v4, s[0:3], 0 offen
	buffer_load_dword v170, v4, s[0:3], 0 offen offset:4
	buffer_load_dword v171, v4, s[0:3], 0 offen offset:8
	buffer_load_dword v172, v4, s[0:3], 0 offen offset:12
	;; [unrolled: 4-line block ×3, first 2 shown]
	v_mov_b32_e32 v4, s40
	v_mov_b32_e32 v57, s39
	;; [unrolled: 1-line block ×3, first 2 shown]
	global_store_dwordx4 v[79:80], v[177:180], off
	v_mov_b32_e32 v80, s35
	global_store_dwordx4 v[59:60], v[181:184], off
	v_mov_b32_e32 v178, s33
	v_mov_b32_e32 v61, s38
	v_mov_b32_e32 v180, s30
	v_mov_b32_e32 v79, s36
	v_mov_b32_e32 v182, s28
	v_mov_b32_e32 v177, s34
	v_mov_b32_e32 v179, s31
	v_mov_b32_e32 v184, s24
	v_mov_b32_e32 v181, s29
	v_mov_b32_e32 v183, s25
	s_waitcnt vmcnt(62)
	global_store_dwordx4 v[49:50], v[0:3], off
	v_mov_b32_e32 v50, s26
	global_store_dwordx4 v[31:32], v[185:188], off
	v_mov_b32_e32 v49, s27
	v_mov_b32_e32 v32, s20
	;; [unrolled: 1-line block ×3, first 2 shown]
	global_store_dwordx4 v[19:20], v[133:136], off
	s_waitcnt vmcnt(60)
	global_store_dwordx4 v[7:8], v[85:88], off
	s_clause 0x3
	buffer_load_dword v0, v4, s[0:3], 0 offen
	buffer_load_dword v1, v4, s[0:3], 0 offen offset:4
	buffer_load_dword v2, v4, s[0:3], 0 offen offset:8
	;; [unrolled: 1-line block ×3, first 2 shown]
	v_mov_b32_e32 v188, s19
	s_waitcnt vmcnt(60)
	global_store_dwordx4 v[9:10], v[137:140], off
	s_clause 0x7
	buffer_load_dword v7, v57, s[0:3], 0 offen
	buffer_load_dword v8, v57, s[0:3], 0 offen offset:4
	buffer_load_dword v9, v57, s[0:3], 0 offen offset:8
	buffer_load_dword v10, v57, s[0:3], 0 offen offset:12
	buffer_load_dword v57, v61, s[0:3], 0 offen
	buffer_load_dword v58, v61, s[0:3], 0 offen offset:4
	buffer_load_dword v59, v61, s[0:3], 0 offen offset:8
	buffer_load_dword v60, v61, s[0:3], 0 offen offset:12
	s_waitcnt vmcnt(62)
	global_store_dwordx4 v[15:16], v[141:144], off
	s_clause 0x7
	buffer_load_dword v83, v62, s[0:3], 0 offen
	buffer_load_dword v84, v62, s[0:3], 0 offen offset:4
	buffer_load_dword v85, v62, s[0:3], 0 offen offset:8
	buffer_load_dword v86, v62, s[0:3], 0 offen offset:12
	buffer_load_dword v87, v79, s[0:3], 0 offen
	buffer_load_dword v88, v79, s[0:3], 0 offen offset:4
	buffer_load_dword v89, v79, s[0:3], 0 offen offset:8
	buffer_load_dword v90, v79, s[0:3], 0 offen offset:12
	;; [unrolled: 11-line block ×3, first 2 shown]
	v_mov_b32_e32 v4, s11
	global_store_dwordx4 v[11:12], v[145:148], off
	s_clause 0x7
	buffer_load_dword v137, v178, s[0:3], 0 offen
	buffer_load_dword v138, v178, s[0:3], 0 offen offset:4
	buffer_load_dword v139, v178, s[0:3], 0 offen offset:8
	;; [unrolled: 1-line block ×3, first 2 shown]
	buffer_load_dword v141, v179, s[0:3], 0 offen
	buffer_load_dword v142, v179, s[0:3], 0 offen offset:4
	buffer_load_dword v143, v179, s[0:3], 0 offen offset:8
	;; [unrolled: 1-line block ×3, first 2 shown]
	s_waitcnt vmcnt(62)
	global_store_dwordx4 v[17:18], v[149:152], off
	s_clause 0x7
	buffer_load_dword v17, v180, s[0:3], 0 offen
	buffer_load_dword v18, v180, s[0:3], 0 offen offset:4
	buffer_load_dword v19, v180, s[0:3], 0 offen offset:8
	buffer_load_dword v20, v180, s[0:3], 0 offen offset:12
	buffer_load_dword v145, v181, s[0:3], 0 offen
	buffer_load_dword v146, v181, s[0:3], 0 offen offset:4
	buffer_load_dword v147, v181, s[0:3], 0 offen offset:8
	;; [unrolled: 1-line block ×3, first 2 shown]
	v_mov_b32_e32 v11, s10
	global_store_dwordx4 v[21:22], v[193:196], off
	s_clause 0x7
	buffer_load_dword v149, v182, s[0:3], 0 offen
	buffer_load_dword v150, v182, s[0:3], 0 offen offset:4
	buffer_load_dword v151, v182, s[0:3], 0 offen offset:8
	buffer_load_dword v152, v182, s[0:3], 0 offen offset:12
	buffer_load_dword v177, v49, s[0:3], 0 offen
	buffer_load_dword v178, v49, s[0:3], 0 offen offset:4
	buffer_load_dword v179, v49, s[0:3], 0 offen offset:8
	buffer_load_dword v180, v49, s[0:3], 0 offen offset:12
	global_store_dwordx4 v[23:24], v[75:78], off
	s_clause 0x7
	buffer_load_dword v21, v50, s[0:3], 0 offen
	buffer_load_dword v22, v50, s[0:3], 0 offen offset:4
	buffer_load_dword v23, v50, s[0:3], 0 offen offset:8
	buffer_load_dword v24, v50, s[0:3], 0 offen offset:12
	buffer_load_dword v75, v183, s[0:3], 0 offen
	buffer_load_dword v76, v183, s[0:3], 0 offen offset:4
	buffer_load_dword v77, v183, s[0:3], 0 offen offset:8
	buffer_load_dword v78, v183, s[0:3], 0 offen offset:12
	;; [unrolled: 10-line block ×3, first 2 shown]
	s_waitcnt vmcnt(62)
	global_store_dwordx4 v[25:26], v[157:160], off
	s_clause 0x7
	buffer_load_dword v25, v198, s[0:3], 0 offen
	buffer_load_dword v26, v198, s[0:3], 0 offen offset:4
	buffer_load_dword v27, v198, s[0:3], 0 offen offset:8
	buffer_load_dword v28, v198, s[0:3], 0 offen offset:12
	buffer_load_dword v157, v31, s[0:3], 0 offen
	buffer_load_dword v158, v31, s[0:3], 0 offen offset:4
	buffer_load_dword v159, v31, s[0:3], 0 offen offset:8
	buffer_load_dword v160, v31, s[0:3], 0 offen offset:12
	global_store_dwordx4 v[35:36], v[65:68], off
	s_clause 0x7
	buffer_load_dword v65, v32, s[0:3], 0 offen
	buffer_load_dword v66, v32, s[0:3], 0 offen offset:4
	buffer_load_dword v67, v32, s[0:3], 0 offen offset:8
	buffer_load_dword v68, v32, s[0:3], 0 offen offset:12
	buffer_load_dword v185, v188, s[0:3], 0 offen
	buffer_load_dword v186, v188, s[0:3], 0 offen offset:4
	buffer_load_dword v187, v188, s[0:3], 0 offen offset:8
	buffer_load_dword v188, v188, s[0:3], 0 offen offset:12
	;; [unrolled: 10-line block ×4, first 2 shown]
	global_store_dwordx4 v[39:40], v[71:74], off
	global_store_dwordx4 v[47:48], v[169:172], off
	;; [unrolled: 1-line block ×3, first 2 shown]
	s_clause 0xf
	buffer_load_dword v39, v203, s[0:3], 0 offen
	buffer_load_dword v40, v203, s[0:3], 0 offen offset:4
	buffer_load_dword v41, v203, s[0:3], 0 offen offset:8
	buffer_load_dword v42, v203, s[0:3], 0 offen offset:12
	buffer_load_dword v47, v204, s[0:3], 0 offen
	buffer_load_dword v48, v204, s[0:3], 0 offen offset:4
	buffer_load_dword v49, v204, s[0:3], 0 offen offset:8
	buffer_load_dword v50, v204, s[0:3], 0 offen offset:12
	;; [unrolled: 4-line block ×4, first 2 shown]
	v_mov_b32_e32 v4, s9
	s_clause 0x7
	buffer_load_dword v173, v11, s[0:3], 0 offen
	buffer_load_dword v174, v11, s[0:3], 0 offen offset:4
	buffer_load_dword v175, v11, s[0:3], 0 offen offset:8
	;; [unrolled: 1-line block ×3, first 2 shown]
	buffer_load_dword v193, v4, s[0:3], 0 offen
	buffer_load_dword v194, v4, s[0:3], 0 offen offset:4
	buffer_load_dword v195, v4, s[0:3], 0 offen offset:8
	;; [unrolled: 1-line block ×3, first 2 shown]
	global_store_dwordx4 v[33:34], v[0:3], off
	s_waitcnt vmcnt(62)
	global_store_dwordx4 v[37:38], v[7:10], off
	global_store_dwordx4 v[43:44], v[57:60], off
	global_store_dwordx4 v[45:46], v[83:86], off
	global_store_dwordx4 v[53:54], v[87:90], off
	global_store_dwordx4 v[55:56], v[13:16], off
	global_store_dwordx4 v[63:64], v[133:136], off
	global_store_dwordx4 v[69:70], v[137:140], off
	global_store_dwordx4 v[81:82], v[141:144], off
	global_store_dwordx4 v[91:92], v[17:20], off
	global_store_dwordx4 v[93:94], v[145:148], off
	global_store_dwordx4 v[95:96], v[149:152], off
	global_store_dwordx4 v[97:98], v[177:180], off
	global_store_dwordx4 v[99:100], v[21:24], off
	global_store_dwordx4 v[101:102], v[75:78], off
	s_waitcnt vmcnt(60)
	global_store_dwordx4 v[103:104], v[153:156], off
	s_waitcnt vmcnt(56)
	global_store_dwordx4 v[105:106], v[181:184], off
	;; [unrolled: 2-line block ×16, first 2 shown]
.LBB63_1389:
	s_endpgm
	.section	.rodata,"a",@progbits
	.p2align	6, 0x0
	.amdhsa_kernel _ZN9rocsolver6v33100L18trti2_kernel_smallILi64E19rocblas_complex_numIdEPS3_EEv13rocblas_fill_17rocblas_diagonal_T1_iil
		.amdhsa_group_segment_fixed_size 2048
		.amdhsa_private_segment_fixed_size 1040
		.amdhsa_kernarg_size 32
		.amdhsa_user_sgpr_count 6
		.amdhsa_user_sgpr_private_segment_buffer 1
		.amdhsa_user_sgpr_dispatch_ptr 0
		.amdhsa_user_sgpr_queue_ptr 0
		.amdhsa_user_sgpr_kernarg_segment_ptr 1
		.amdhsa_user_sgpr_dispatch_id 0
		.amdhsa_user_sgpr_flat_scratch_init 0
		.amdhsa_user_sgpr_private_segment_size 0
		.amdhsa_wavefront_size32 1
		.amdhsa_uses_dynamic_stack 0
		.amdhsa_system_sgpr_private_segment_wavefront_offset 1
		.amdhsa_system_sgpr_workgroup_id_x 1
		.amdhsa_system_sgpr_workgroup_id_y 0
		.amdhsa_system_sgpr_workgroup_id_z 0
		.amdhsa_system_sgpr_workgroup_info 0
		.amdhsa_system_vgpr_workitem_id 0
		.amdhsa_next_free_vgpr 218
		.amdhsa_next_free_sgpr 101
		.amdhsa_reserve_vcc 1
		.amdhsa_reserve_flat_scratch 0
		.amdhsa_float_round_mode_32 0
		.amdhsa_float_round_mode_16_64 0
		.amdhsa_float_denorm_mode_32 3
		.amdhsa_float_denorm_mode_16_64 3
		.amdhsa_dx10_clamp 1
		.amdhsa_ieee_mode 1
		.amdhsa_fp16_overflow 0
		.amdhsa_workgroup_processor_mode 1
		.amdhsa_memory_ordered 1
		.amdhsa_forward_progress 1
		.amdhsa_shared_vgpr_count 0
		.amdhsa_exception_fp_ieee_invalid_op 0
		.amdhsa_exception_fp_denorm_src 0
		.amdhsa_exception_fp_ieee_div_zero 0
		.amdhsa_exception_fp_ieee_overflow 0
		.amdhsa_exception_fp_ieee_underflow 0
		.amdhsa_exception_fp_ieee_inexact 0
		.amdhsa_exception_int_div_zero 0
	.end_amdhsa_kernel
	.section	.text._ZN9rocsolver6v33100L18trti2_kernel_smallILi64E19rocblas_complex_numIdEPS3_EEv13rocblas_fill_17rocblas_diagonal_T1_iil,"axG",@progbits,_ZN9rocsolver6v33100L18trti2_kernel_smallILi64E19rocblas_complex_numIdEPS3_EEv13rocblas_fill_17rocblas_diagonal_T1_iil,comdat
.Lfunc_end63:
	.size	_ZN9rocsolver6v33100L18trti2_kernel_smallILi64E19rocblas_complex_numIdEPS3_EEv13rocblas_fill_17rocblas_diagonal_T1_iil, .Lfunc_end63-_ZN9rocsolver6v33100L18trti2_kernel_smallILi64E19rocblas_complex_numIdEPS3_EEv13rocblas_fill_17rocblas_diagonal_T1_iil
                                        ; -- End function
	.set _ZN9rocsolver6v33100L18trti2_kernel_smallILi64E19rocblas_complex_numIdEPS3_EEv13rocblas_fill_17rocblas_diagonal_T1_iil.num_vgpr, 218
	.set _ZN9rocsolver6v33100L18trti2_kernel_smallILi64E19rocblas_complex_numIdEPS3_EEv13rocblas_fill_17rocblas_diagonal_T1_iil.num_agpr, 0
	.set _ZN9rocsolver6v33100L18trti2_kernel_smallILi64E19rocblas_complex_numIdEPS3_EEv13rocblas_fill_17rocblas_diagonal_T1_iil.numbered_sgpr, 101
	.set _ZN9rocsolver6v33100L18trti2_kernel_smallILi64E19rocblas_complex_numIdEPS3_EEv13rocblas_fill_17rocblas_diagonal_T1_iil.num_named_barrier, 0
	.set _ZN9rocsolver6v33100L18trti2_kernel_smallILi64E19rocblas_complex_numIdEPS3_EEv13rocblas_fill_17rocblas_diagonal_T1_iil.private_seg_size, 1040
	.set _ZN9rocsolver6v33100L18trti2_kernel_smallILi64E19rocblas_complex_numIdEPS3_EEv13rocblas_fill_17rocblas_diagonal_T1_iil.uses_vcc, 1
	.set _ZN9rocsolver6v33100L18trti2_kernel_smallILi64E19rocblas_complex_numIdEPS3_EEv13rocblas_fill_17rocblas_diagonal_T1_iil.uses_flat_scratch, 0
	.set _ZN9rocsolver6v33100L18trti2_kernel_smallILi64E19rocblas_complex_numIdEPS3_EEv13rocblas_fill_17rocblas_diagonal_T1_iil.has_dyn_sized_stack, 0
	.set _ZN9rocsolver6v33100L18trti2_kernel_smallILi64E19rocblas_complex_numIdEPS3_EEv13rocblas_fill_17rocblas_diagonal_T1_iil.has_recursion, 0
	.set _ZN9rocsolver6v33100L18trti2_kernel_smallILi64E19rocblas_complex_numIdEPS3_EEv13rocblas_fill_17rocblas_diagonal_T1_iil.has_indirect_call, 0
	.section	.AMDGPU.csdata,"",@progbits
; Kernel info:
; codeLenInByte = 120600
; TotalNumSgprs: 103
; NumVgprs: 218
; ScratchSize: 1040
; MemoryBound: 0
; FloatMode: 240
; IeeeMode: 1
; LDSByteSize: 2048 bytes/workgroup (compile time only)
; SGPRBlocks: 0
; VGPRBlocks: 27
; NumSGPRsForWavesPerEU: 103
; NumVGPRsForWavesPerEU: 218
; Occupancy: 4
; WaveLimiterHint : 0
; COMPUTE_PGM_RSRC2:SCRATCH_EN: 1
; COMPUTE_PGM_RSRC2:USER_SGPR: 6
; COMPUTE_PGM_RSRC2:TRAP_HANDLER: 0
; COMPUTE_PGM_RSRC2:TGID_X_EN: 1
; COMPUTE_PGM_RSRC2:TGID_Y_EN: 0
; COMPUTE_PGM_RSRC2:TGID_Z_EN: 0
; COMPUTE_PGM_RSRC2:TIDIG_COMP_CNT: 0
	.section	.text._ZN9rocsolver6v33100L18trti2_kernel_smallILi1E19rocblas_complex_numIdEPKPS3_EEv13rocblas_fill_17rocblas_diagonal_T1_iil,"axG",@progbits,_ZN9rocsolver6v33100L18trti2_kernel_smallILi1E19rocblas_complex_numIdEPKPS3_EEv13rocblas_fill_17rocblas_diagonal_T1_iil,comdat
	.globl	_ZN9rocsolver6v33100L18trti2_kernel_smallILi1E19rocblas_complex_numIdEPKPS3_EEv13rocblas_fill_17rocblas_diagonal_T1_iil ; -- Begin function _ZN9rocsolver6v33100L18trti2_kernel_smallILi1E19rocblas_complex_numIdEPKPS3_EEv13rocblas_fill_17rocblas_diagonal_T1_iil
	.p2align	8
	.type	_ZN9rocsolver6v33100L18trti2_kernel_smallILi1E19rocblas_complex_numIdEPKPS3_EEv13rocblas_fill_17rocblas_diagonal_T1_iil,@function
_ZN9rocsolver6v33100L18trti2_kernel_smallILi1E19rocblas_complex_numIdEPKPS3_EEv13rocblas_fill_17rocblas_diagonal_T1_iil: ; @_ZN9rocsolver6v33100L18trti2_kernel_smallILi1E19rocblas_complex_numIdEPKPS3_EEv13rocblas_fill_17rocblas_diagonal_T1_iil
; %bb.0:
	s_mov_b32 s0, exec_lo
	v_cmpx_eq_u32_e32 0, v0
	s_cbranch_execz .LBB64_8
; %bb.1:
	s_clause 0x1
	s_load_dword s0, s[4:5], 0x10
	s_load_dwordx2 s[2:3], s[4:5], 0x8
	s_ashr_i32 s7, s6, 31
	s_lshl_b64 s[6:7], s[6:7], 3
	s_waitcnt lgkmcnt(0)
	s_ashr_i32 s1, s0, 31
	s_add_u32 s2, s2, s6
	s_addc_u32 s3, s3, s7
	s_lshl_b64 s[0:1], s[0:1], 4
	s_load_dwordx2 s[2:3], s[2:3], 0x0
	s_waitcnt lgkmcnt(0)
	s_add_u32 s0, s2, s0
	s_addc_u32 s1, s3, s1
	v_mov_b32_e32 v0, s0
	v_mov_b32_e32 v1, s1
	s_load_dword s2, s[4:5], 0x4
	flat_load_dwordx4 v[0:3], v[0:1]
	s_waitcnt lgkmcnt(0)
	s_cmpk_eq_i32 s2, 0x84
	s_cbranch_scc1 .LBB64_7
; %bb.2:
	s_waitcnt vmcnt(0)
	v_cmp_ngt_f64_e64 s2, |v[0:1]|, |v[2:3]|
	s_and_saveexec_b32 s3, s2
	s_xor_b32 s2, exec_lo, s3
	s_cbranch_execz .LBB64_4
; %bb.3:
	v_div_scale_f64 v[4:5], null, v[2:3], v[2:3], v[0:1]
	v_div_scale_f64 v[10:11], vcc_lo, v[0:1], v[2:3], v[0:1]
	v_rcp_f64_e32 v[6:7], v[4:5]
	v_fma_f64 v[8:9], -v[4:5], v[6:7], 1.0
	v_fma_f64 v[6:7], v[6:7], v[8:9], v[6:7]
	v_fma_f64 v[8:9], -v[4:5], v[6:7], 1.0
	v_fma_f64 v[6:7], v[6:7], v[8:9], v[6:7]
	v_mul_f64 v[8:9], v[10:11], v[6:7]
	v_fma_f64 v[4:5], -v[4:5], v[8:9], v[10:11]
	v_div_fmas_f64 v[4:5], v[4:5], v[6:7], v[8:9]
	v_div_fixup_f64 v[4:5], v[4:5], v[2:3], v[0:1]
	v_fma_f64 v[0:1], v[0:1], v[4:5], v[2:3]
	v_div_scale_f64 v[2:3], null, v[0:1], v[0:1], 1.0
	v_rcp_f64_e32 v[6:7], v[2:3]
	v_fma_f64 v[8:9], -v[2:3], v[6:7], 1.0
	v_fma_f64 v[6:7], v[6:7], v[8:9], v[6:7]
	v_fma_f64 v[8:9], -v[2:3], v[6:7], 1.0
	v_fma_f64 v[6:7], v[6:7], v[8:9], v[6:7]
	v_div_scale_f64 v[8:9], vcc_lo, 1.0, v[0:1], 1.0
	v_mul_f64 v[10:11], v[8:9], v[6:7]
	v_fma_f64 v[2:3], -v[2:3], v[10:11], v[8:9]
	v_div_fmas_f64 v[2:3], v[2:3], v[6:7], v[10:11]
	v_div_fixup_f64 v[2:3], v[2:3], v[0:1], 1.0
	v_mul_f64 v[0:1], v[4:5], v[2:3]
	v_xor_b32_e32 v3, 0x80000000, v3
.LBB64_4:
	s_andn2_saveexec_b32 s2, s2
	s_cbranch_execz .LBB64_6
; %bb.5:
	v_div_scale_f64 v[4:5], null, v[0:1], v[0:1], v[2:3]
	v_div_scale_f64 v[10:11], vcc_lo, v[2:3], v[0:1], v[2:3]
	v_rcp_f64_e32 v[6:7], v[4:5]
	v_fma_f64 v[8:9], -v[4:5], v[6:7], 1.0
	v_fma_f64 v[6:7], v[6:7], v[8:9], v[6:7]
	v_fma_f64 v[8:9], -v[4:5], v[6:7], 1.0
	v_fma_f64 v[6:7], v[6:7], v[8:9], v[6:7]
	v_mul_f64 v[8:9], v[10:11], v[6:7]
	v_fma_f64 v[4:5], -v[4:5], v[8:9], v[10:11]
	v_div_fmas_f64 v[4:5], v[4:5], v[6:7], v[8:9]
	v_div_fixup_f64 v[4:5], v[4:5], v[0:1], v[2:3]
	v_fma_f64 v[0:1], v[2:3], v[4:5], v[0:1]
	v_div_scale_f64 v[2:3], null, v[0:1], v[0:1], 1.0
	v_rcp_f64_e32 v[6:7], v[2:3]
	v_fma_f64 v[8:9], -v[2:3], v[6:7], 1.0
	v_fma_f64 v[6:7], v[6:7], v[8:9], v[6:7]
	v_fma_f64 v[8:9], -v[2:3], v[6:7], 1.0
	v_fma_f64 v[6:7], v[6:7], v[8:9], v[6:7]
	v_div_scale_f64 v[8:9], vcc_lo, 1.0, v[0:1], 1.0
	v_mul_f64 v[10:11], v[8:9], v[6:7]
	v_fma_f64 v[2:3], -v[2:3], v[10:11], v[8:9]
	v_div_fmas_f64 v[2:3], v[2:3], v[6:7], v[10:11]
	v_div_fixup_f64 v[0:1], v[2:3], v[0:1], 1.0
	v_mul_f64 v[2:3], v[4:5], -v[0:1]
.LBB64_6:
	s_or_b32 exec_lo, exec_lo, s2
.LBB64_7:
	v_mov_b32_e32 v5, s1
	v_mov_b32_e32 v4, s0
	s_waitcnt vmcnt(0)
	flat_store_dwordx4 v[4:5], v[0:3]
.LBB64_8:
	s_endpgm
	.section	.rodata,"a",@progbits
	.p2align	6, 0x0
	.amdhsa_kernel _ZN9rocsolver6v33100L18trti2_kernel_smallILi1E19rocblas_complex_numIdEPKPS3_EEv13rocblas_fill_17rocblas_diagonal_T1_iil
		.amdhsa_group_segment_fixed_size 0
		.amdhsa_private_segment_fixed_size 0
		.amdhsa_kernarg_size 32
		.amdhsa_user_sgpr_count 6
		.amdhsa_user_sgpr_private_segment_buffer 1
		.amdhsa_user_sgpr_dispatch_ptr 0
		.amdhsa_user_sgpr_queue_ptr 0
		.amdhsa_user_sgpr_kernarg_segment_ptr 1
		.amdhsa_user_sgpr_dispatch_id 0
		.amdhsa_user_sgpr_flat_scratch_init 0
		.amdhsa_user_sgpr_private_segment_size 0
		.amdhsa_wavefront_size32 1
		.amdhsa_uses_dynamic_stack 0
		.amdhsa_system_sgpr_private_segment_wavefront_offset 0
		.amdhsa_system_sgpr_workgroup_id_x 1
		.amdhsa_system_sgpr_workgroup_id_y 0
		.amdhsa_system_sgpr_workgroup_id_z 0
		.amdhsa_system_sgpr_workgroup_info 0
		.amdhsa_system_vgpr_workitem_id 0
		.amdhsa_next_free_vgpr 12
		.amdhsa_next_free_sgpr 8
		.amdhsa_reserve_vcc 1
		.amdhsa_reserve_flat_scratch 0
		.amdhsa_float_round_mode_32 0
		.amdhsa_float_round_mode_16_64 0
		.amdhsa_float_denorm_mode_32 3
		.amdhsa_float_denorm_mode_16_64 3
		.amdhsa_dx10_clamp 1
		.amdhsa_ieee_mode 1
		.amdhsa_fp16_overflow 0
		.amdhsa_workgroup_processor_mode 1
		.amdhsa_memory_ordered 1
		.amdhsa_forward_progress 1
		.amdhsa_shared_vgpr_count 0
		.amdhsa_exception_fp_ieee_invalid_op 0
		.amdhsa_exception_fp_denorm_src 0
		.amdhsa_exception_fp_ieee_div_zero 0
		.amdhsa_exception_fp_ieee_overflow 0
		.amdhsa_exception_fp_ieee_underflow 0
		.amdhsa_exception_fp_ieee_inexact 0
		.amdhsa_exception_int_div_zero 0
	.end_amdhsa_kernel
	.section	.text._ZN9rocsolver6v33100L18trti2_kernel_smallILi1E19rocblas_complex_numIdEPKPS3_EEv13rocblas_fill_17rocblas_diagonal_T1_iil,"axG",@progbits,_ZN9rocsolver6v33100L18trti2_kernel_smallILi1E19rocblas_complex_numIdEPKPS3_EEv13rocblas_fill_17rocblas_diagonal_T1_iil,comdat
.Lfunc_end64:
	.size	_ZN9rocsolver6v33100L18trti2_kernel_smallILi1E19rocblas_complex_numIdEPKPS3_EEv13rocblas_fill_17rocblas_diagonal_T1_iil, .Lfunc_end64-_ZN9rocsolver6v33100L18trti2_kernel_smallILi1E19rocblas_complex_numIdEPKPS3_EEv13rocblas_fill_17rocblas_diagonal_T1_iil
                                        ; -- End function
	.set _ZN9rocsolver6v33100L18trti2_kernel_smallILi1E19rocblas_complex_numIdEPKPS3_EEv13rocblas_fill_17rocblas_diagonal_T1_iil.num_vgpr, 12
	.set _ZN9rocsolver6v33100L18trti2_kernel_smallILi1E19rocblas_complex_numIdEPKPS3_EEv13rocblas_fill_17rocblas_diagonal_T1_iil.num_agpr, 0
	.set _ZN9rocsolver6v33100L18trti2_kernel_smallILi1E19rocblas_complex_numIdEPKPS3_EEv13rocblas_fill_17rocblas_diagonal_T1_iil.numbered_sgpr, 8
	.set _ZN9rocsolver6v33100L18trti2_kernel_smallILi1E19rocblas_complex_numIdEPKPS3_EEv13rocblas_fill_17rocblas_diagonal_T1_iil.num_named_barrier, 0
	.set _ZN9rocsolver6v33100L18trti2_kernel_smallILi1E19rocblas_complex_numIdEPKPS3_EEv13rocblas_fill_17rocblas_diagonal_T1_iil.private_seg_size, 0
	.set _ZN9rocsolver6v33100L18trti2_kernel_smallILi1E19rocblas_complex_numIdEPKPS3_EEv13rocblas_fill_17rocblas_diagonal_T1_iil.uses_vcc, 1
	.set _ZN9rocsolver6v33100L18trti2_kernel_smallILi1E19rocblas_complex_numIdEPKPS3_EEv13rocblas_fill_17rocblas_diagonal_T1_iil.uses_flat_scratch, 0
	.set _ZN9rocsolver6v33100L18trti2_kernel_smallILi1E19rocblas_complex_numIdEPKPS3_EEv13rocblas_fill_17rocblas_diagonal_T1_iil.has_dyn_sized_stack, 0
	.set _ZN9rocsolver6v33100L18trti2_kernel_smallILi1E19rocblas_complex_numIdEPKPS3_EEv13rocblas_fill_17rocblas_diagonal_T1_iil.has_recursion, 0
	.set _ZN9rocsolver6v33100L18trti2_kernel_smallILi1E19rocblas_complex_numIdEPKPS3_EEv13rocblas_fill_17rocblas_diagonal_T1_iil.has_indirect_call, 0
	.section	.AMDGPU.csdata,"",@progbits
; Kernel info:
; codeLenInByte = 552
; TotalNumSgprs: 10
; NumVgprs: 12
; ScratchSize: 0
; MemoryBound: 0
; FloatMode: 240
; IeeeMode: 1
; LDSByteSize: 0 bytes/workgroup (compile time only)
; SGPRBlocks: 0
; VGPRBlocks: 1
; NumSGPRsForWavesPerEU: 10
; NumVGPRsForWavesPerEU: 12
; Occupancy: 16
; WaveLimiterHint : 1
; COMPUTE_PGM_RSRC2:SCRATCH_EN: 0
; COMPUTE_PGM_RSRC2:USER_SGPR: 6
; COMPUTE_PGM_RSRC2:TRAP_HANDLER: 0
; COMPUTE_PGM_RSRC2:TGID_X_EN: 1
; COMPUTE_PGM_RSRC2:TGID_Y_EN: 0
; COMPUTE_PGM_RSRC2:TGID_Z_EN: 0
; COMPUTE_PGM_RSRC2:TIDIG_COMP_CNT: 0
	.section	.text._ZN9rocsolver6v33100L18trti2_kernel_smallILi2E19rocblas_complex_numIdEPKPS3_EEv13rocblas_fill_17rocblas_diagonal_T1_iil,"axG",@progbits,_ZN9rocsolver6v33100L18trti2_kernel_smallILi2E19rocblas_complex_numIdEPKPS3_EEv13rocblas_fill_17rocblas_diagonal_T1_iil,comdat
	.globl	_ZN9rocsolver6v33100L18trti2_kernel_smallILi2E19rocblas_complex_numIdEPKPS3_EEv13rocblas_fill_17rocblas_diagonal_T1_iil ; -- Begin function _ZN9rocsolver6v33100L18trti2_kernel_smallILi2E19rocblas_complex_numIdEPKPS3_EEv13rocblas_fill_17rocblas_diagonal_T1_iil
	.p2align	8
	.type	_ZN9rocsolver6v33100L18trti2_kernel_smallILi2E19rocblas_complex_numIdEPKPS3_EEv13rocblas_fill_17rocblas_diagonal_T1_iil,@function
_ZN9rocsolver6v33100L18trti2_kernel_smallILi2E19rocblas_complex_numIdEPKPS3_EEv13rocblas_fill_17rocblas_diagonal_T1_iil: ; @_ZN9rocsolver6v33100L18trti2_kernel_smallILi2E19rocblas_complex_numIdEPKPS3_EEv13rocblas_fill_17rocblas_diagonal_T1_iil
; %bb.0:
	s_add_u32 s0, s0, s7
	s_addc_u32 s1, s1, 0
	s_mov_b32 s7, exec_lo
	v_cmpx_gt_u32_e32 2, v0
	s_cbranch_execz .LBB65_21
; %bb.1:
	s_clause 0x1
	s_load_dwordx2 s[12:13], s[4:5], 0x10
	s_load_dwordx4 s[8:11], s[4:5], 0x0
	s_ashr_i32 s7, s6, 31
	v_lshlrev_b32_e32 v15, 4, v0
	s_lshl_b64 s[4:5], s[6:7], 3
	s_waitcnt lgkmcnt(0)
	s_ashr_i32 s7, s12, 31
	s_add_u32 s4, s10, s4
	s_addc_u32 s5, s11, s5
	s_mov_b32 s6, s12
	s_load_dwordx2 s[4:5], s[4:5], 0x0
	s_lshl_b64 s[6:7], s[6:7], 4
	s_mov_b32 s10, s13
	s_waitcnt lgkmcnt(0)
	s_add_u32 s4, s4, s6
	s_addc_u32 s5, s5, s7
	v_add_co_u32 v7, s4, s4, v15
	s_ashr_i32 s11, s13, 31
	v_add_co_ci_u32_e64 v8, null, s5, 0, s4
	s_lshl_b64 s[4:5], s[10:11], 4
	s_cmpk_lg_i32 s9, 0x84
	v_add_co_u32 v5, vcc_lo, v7, s4
	v_add_co_ci_u32_e64 v6, null, s5, v8, vcc_lo
	s_clause 0x1
	flat_load_dwordx4 v[1:4], v[7:8]
	flat_load_dwordx4 v[9:12], v[5:6]
	s_cselect_b32 s4, -1, 0
	s_cmpk_eq_i32 s9, 0x84
	s_waitcnt vmcnt(1) lgkmcnt(1)
	buffer_store_dword v4, off, s[0:3], 0 offset:12
	buffer_store_dword v3, off, s[0:3], 0 offset:8
	;; [unrolled: 1-line block ×3, first 2 shown]
	buffer_store_dword v1, off, s[0:3], 0
	s_waitcnt vmcnt(0) lgkmcnt(0)
	buffer_store_dword v12, off, s[0:3], 0 offset:28
	buffer_store_dword v11, off, s[0:3], 0 offset:24
	buffer_store_dword v10, off, s[0:3], 0 offset:20
	buffer_store_dword v9, off, s[0:3], 0 offset:16
	s_cbranch_scc1 .LBB65_7
; %bb.2:
	v_lshl_add_u32 v16, v0, 4, 0
                                        ; implicit-def: $vgpr11_vgpr12
                                        ; implicit-def: $vgpr3_vgpr4
	s_clause 0x3
	buffer_load_dword v9, v16, s[0:3], 0 offen
	buffer_load_dword v10, v16, s[0:3], 0 offen offset:4
	buffer_load_dword v13, v16, s[0:3], 0 offen offset:8
	;; [unrolled: 1-line block ×3, first 2 shown]
	s_waitcnt vmcnt(0)
	v_cmp_ngt_f64_e64 s5, |v[9:10]|, |v[13:14]|
	s_and_saveexec_b32 s6, s5
	s_xor_b32 s5, exec_lo, s6
	s_cbranch_execz .LBB65_4
; %bb.3:
	v_div_scale_f64 v[1:2], null, v[13:14], v[13:14], v[9:10]
	v_div_scale_f64 v[17:18], vcc_lo, v[9:10], v[13:14], v[9:10]
	v_rcp_f64_e32 v[3:4], v[1:2]
	v_fma_f64 v[11:12], -v[1:2], v[3:4], 1.0
	v_fma_f64 v[3:4], v[3:4], v[11:12], v[3:4]
	v_fma_f64 v[11:12], -v[1:2], v[3:4], 1.0
	v_fma_f64 v[3:4], v[3:4], v[11:12], v[3:4]
	v_mul_f64 v[11:12], v[17:18], v[3:4]
	v_fma_f64 v[1:2], -v[1:2], v[11:12], v[17:18]
	v_div_fmas_f64 v[1:2], v[1:2], v[3:4], v[11:12]
	v_div_fixup_f64 v[1:2], v[1:2], v[13:14], v[9:10]
	v_fma_f64 v[3:4], v[9:10], v[1:2], v[13:14]
	v_div_scale_f64 v[9:10], null, v[3:4], v[3:4], 1.0
	v_div_scale_f64 v[17:18], vcc_lo, 1.0, v[3:4], 1.0
	v_rcp_f64_e32 v[11:12], v[9:10]
	v_fma_f64 v[13:14], -v[9:10], v[11:12], 1.0
	v_fma_f64 v[11:12], v[11:12], v[13:14], v[11:12]
	v_fma_f64 v[13:14], -v[9:10], v[11:12], 1.0
	v_fma_f64 v[11:12], v[11:12], v[13:14], v[11:12]
	v_mul_f64 v[13:14], v[17:18], v[11:12]
	v_fma_f64 v[9:10], -v[9:10], v[13:14], v[17:18]
	v_div_fmas_f64 v[9:10], v[9:10], v[11:12], v[13:14]
                                        ; implicit-def: $vgpr13_vgpr14
	v_div_fixup_f64 v[3:4], v[9:10], v[3:4], 1.0
                                        ; implicit-def: $vgpr9_vgpr10
	v_mul_f64 v[11:12], v[1:2], v[3:4]
	v_xor_b32_e32 v4, 0x80000000, v4
	v_xor_b32_e32 v2, 0x80000000, v12
	v_mov_b32_e32 v1, v11
.LBB65_4:
	s_andn2_saveexec_b32 s5, s5
	s_cbranch_execz .LBB65_6
; %bb.5:
	v_div_scale_f64 v[1:2], null, v[9:10], v[9:10], v[13:14]
	v_div_scale_f64 v[17:18], vcc_lo, v[13:14], v[9:10], v[13:14]
	v_rcp_f64_e32 v[3:4], v[1:2]
	v_fma_f64 v[11:12], -v[1:2], v[3:4], 1.0
	v_fma_f64 v[3:4], v[3:4], v[11:12], v[3:4]
	v_fma_f64 v[11:12], -v[1:2], v[3:4], 1.0
	v_fma_f64 v[3:4], v[3:4], v[11:12], v[3:4]
	v_mul_f64 v[11:12], v[17:18], v[3:4]
	v_fma_f64 v[1:2], -v[1:2], v[11:12], v[17:18]
	v_div_fmas_f64 v[1:2], v[1:2], v[3:4], v[11:12]
	v_div_fixup_f64 v[1:2], v[1:2], v[9:10], v[13:14]
	v_fma_f64 v[3:4], v[13:14], v[1:2], v[9:10]
	v_div_scale_f64 v[9:10], null, v[3:4], v[3:4], 1.0
	v_rcp_f64_e32 v[11:12], v[9:10]
	v_fma_f64 v[13:14], -v[9:10], v[11:12], 1.0
	v_fma_f64 v[11:12], v[11:12], v[13:14], v[11:12]
	v_fma_f64 v[13:14], -v[9:10], v[11:12], 1.0
	v_fma_f64 v[11:12], v[11:12], v[13:14], v[11:12]
	v_div_scale_f64 v[13:14], vcc_lo, 1.0, v[3:4], 1.0
	v_mul_f64 v[17:18], v[13:14], v[11:12]
	v_fma_f64 v[9:10], -v[9:10], v[17:18], v[13:14]
	v_div_fmas_f64 v[9:10], v[9:10], v[11:12], v[17:18]
	v_div_fixup_f64 v[11:12], v[9:10], v[3:4], 1.0
	v_mul_f64 v[3:4], v[1:2], -v[11:12]
	v_xor_b32_e32 v2, 0x80000000, v12
	v_mov_b32_e32 v1, v11
.LBB65_6:
	s_or_b32 exec_lo, exec_lo, s5
	buffer_store_dword v4, v16, s[0:3], 0 offen offset:12
	v_xor_b32_e32 v4, 0x80000000, v4
	buffer_store_dword v12, v16, s[0:3], 0 offen offset:4
	buffer_store_dword v11, v16, s[0:3], 0 offen
	buffer_store_dword v3, v16, s[0:3], 0 offen offset:8
	s_branch .LBB65_8
.LBB65_7:
	v_mov_b32_e32 v1, 0
	v_mov_b32_e32 v3, 0
	;; [unrolled: 1-line block ×4, first 2 shown]
.LBB65_8:
	v_add_nc_u32_e32 v10, 32, v15
	v_mov_b32_e32 v9, v15
	s_mov_b32 s5, 16
	s_cmpk_eq_i32 s8, 0x79
	s_mov_b32 s6, -1
	ds_write_b128 v15, v[1:4]
	s_cbranch_scc1 .LBB65_14
; %bb.9:
	s_clause 0x3
	buffer_load_dword v1, off, s[0:3], 0
	buffer_load_dword v2, off, s[0:3], 0 offset:4
	buffer_load_dword v3, off, s[0:3], 0 offset:8
	;; [unrolled: 1-line block ×3, first 2 shown]
	s_mov_b32 s6, exec_lo
	s_waitcnt vmcnt(0)
	ds_write_b128 v10, v[1:4]
	s_waitcnt lgkmcnt(0)
	s_waitcnt_vscnt null, 0x0
	s_barrier
	buffer_gl0_inv
	v_cmpx_eq_u32_e32 1, v0
	s_cbranch_execz .LBB65_13
; %bb.10:
	ds_read_b128 v[1:4], v10
	s_andn2_b32 vcc_lo, exec_lo, s4
	s_cbranch_vccnz .LBB65_12
; %bb.11:
	s_clause 0x3
	buffer_load_dword v11, v9, s[0:3], 0 offen offset:8
	buffer_load_dword v12, v9, s[0:3], 0 offen offset:12
	buffer_load_dword v13, v9, s[0:3], 0 offen
	buffer_load_dword v14, v9, s[0:3], 0 offen offset:4
	s_waitcnt vmcnt(2) lgkmcnt(0)
	v_mul_f64 v[15:16], v[3:4], v[11:12]
	v_mul_f64 v[11:12], v[1:2], v[11:12]
	s_waitcnt vmcnt(0)
	v_fma_f64 v[1:2], v[1:2], v[13:14], -v[15:16]
	v_fma_f64 v[3:4], v[3:4], v[13:14], v[11:12]
.LBB65_12:
	v_mov_b32_e32 v11, 0
	ds_read_b128 v[11:14], v11
	s_waitcnt lgkmcnt(0)
	v_mul_f64 v[15:16], v[3:4], v[13:14]
	v_mul_f64 v[13:14], v[1:2], v[13:14]
	v_fma_f64 v[1:2], v[1:2], v[11:12], -v[15:16]
	v_fma_f64 v[3:4], v[3:4], v[11:12], v[13:14]
	buffer_store_dword v2, off, s[0:3], 0 offset:4
	buffer_store_dword v1, off, s[0:3], 0
	buffer_store_dword v4, off, s[0:3], 0 offset:12
	buffer_store_dword v3, off, s[0:3], 0 offset:8
.LBB65_13:
	s_or_b32 exec_lo, exec_lo, s6
	s_mov_b32 s6, 0
.LBB65_14:
	s_andn2_b32 vcc_lo, exec_lo, s6
	s_cbranch_vccnz .LBB65_20
; %bb.15:
	v_mov_b32_e32 v4, s5
	s_mov_b32 s6, exec_lo
	s_clause 0x3
	buffer_load_dword v1, v4, s[0:3], 0 offen
	buffer_load_dword v2, v4, s[0:3], 0 offen offset:4
	buffer_load_dword v3, v4, s[0:3], 0 offen offset:8
	;; [unrolled: 1-line block ×3, first 2 shown]
	s_waitcnt vmcnt(0)
	ds_write_b128 v10, v[1:4]
	s_waitcnt lgkmcnt(0)
	s_waitcnt_vscnt null, 0x0
	s_barrier
	buffer_gl0_inv
	v_cmpx_eq_u32_e32 0, v0
	s_cbranch_execz .LBB65_19
; %bb.16:
	ds_read_b128 v[0:3], v10
	s_andn2_b32 vcc_lo, exec_lo, s4
	s_cbranch_vccnz .LBB65_18
; %bb.17:
	s_clause 0x3
	buffer_load_dword v10, v9, s[0:3], 0 offen offset:8
	buffer_load_dword v11, v9, s[0:3], 0 offen offset:12
	buffer_load_dword v12, v9, s[0:3], 0 offen
	buffer_load_dword v13, v9, s[0:3], 0 offen offset:4
	s_waitcnt vmcnt(2) lgkmcnt(0)
	v_mul_f64 v[14:15], v[2:3], v[10:11]
	v_mul_f64 v[9:10], v[0:1], v[10:11]
	s_waitcnt vmcnt(0)
	v_fma_f64 v[0:1], v[0:1], v[12:13], -v[14:15]
	v_fma_f64 v[2:3], v[2:3], v[12:13], v[9:10]
.LBB65_18:
	v_mov_b32_e32 v4, 0
	ds_read_b128 v[9:12], v4 offset:16
	s_waitcnt lgkmcnt(0)
	v_mul_f64 v[13:14], v[2:3], v[11:12]
	v_mul_f64 v[11:12], v[0:1], v[11:12]
	v_fma_f64 v[0:1], v[0:1], v[9:10], -v[13:14]
	v_fma_f64 v[2:3], v[2:3], v[9:10], v[11:12]
	buffer_store_dword v1, off, s[0:3], 0 offset:20
	buffer_store_dword v0, off, s[0:3], 0 offset:16
	;; [unrolled: 1-line block ×4, first 2 shown]
.LBB65_19:
	s_or_b32 exec_lo, exec_lo, s6
.LBB65_20:
	v_mov_b32_e32 v4, s5
	s_clause 0x7
	buffer_load_dword v0, off, s[0:3], 0
	buffer_load_dword v1, off, s[0:3], 0 offset:4
	buffer_load_dword v2, off, s[0:3], 0 offset:8
	buffer_load_dword v3, off, s[0:3], 0 offset:12
	buffer_load_dword v9, v4, s[0:3], 0 offen
	buffer_load_dword v10, v4, s[0:3], 0 offen offset:4
	buffer_load_dword v11, v4, s[0:3], 0 offen offset:8
	;; [unrolled: 1-line block ×3, first 2 shown]
	s_waitcnt vmcnt(4)
	flat_store_dwordx4 v[7:8], v[0:3]
	s_waitcnt vmcnt(0)
	flat_store_dwordx4 v[5:6], v[9:12]
.LBB65_21:
	s_endpgm
	.section	.rodata,"a",@progbits
	.p2align	6, 0x0
	.amdhsa_kernel _ZN9rocsolver6v33100L18trti2_kernel_smallILi2E19rocblas_complex_numIdEPKPS3_EEv13rocblas_fill_17rocblas_diagonal_T1_iil
		.amdhsa_group_segment_fixed_size 64
		.amdhsa_private_segment_fixed_size 48
		.amdhsa_kernarg_size 32
		.amdhsa_user_sgpr_count 6
		.amdhsa_user_sgpr_private_segment_buffer 1
		.amdhsa_user_sgpr_dispatch_ptr 0
		.amdhsa_user_sgpr_queue_ptr 0
		.amdhsa_user_sgpr_kernarg_segment_ptr 1
		.amdhsa_user_sgpr_dispatch_id 0
		.amdhsa_user_sgpr_flat_scratch_init 0
		.amdhsa_user_sgpr_private_segment_size 0
		.amdhsa_wavefront_size32 1
		.amdhsa_uses_dynamic_stack 0
		.amdhsa_system_sgpr_private_segment_wavefront_offset 1
		.amdhsa_system_sgpr_workgroup_id_x 1
		.amdhsa_system_sgpr_workgroup_id_y 0
		.amdhsa_system_sgpr_workgroup_id_z 0
		.amdhsa_system_sgpr_workgroup_info 0
		.amdhsa_system_vgpr_workitem_id 0
		.amdhsa_next_free_vgpr 19
		.amdhsa_next_free_sgpr 14
		.amdhsa_reserve_vcc 1
		.amdhsa_reserve_flat_scratch 1
		.amdhsa_float_round_mode_32 0
		.amdhsa_float_round_mode_16_64 0
		.amdhsa_float_denorm_mode_32 3
		.amdhsa_float_denorm_mode_16_64 3
		.amdhsa_dx10_clamp 1
		.amdhsa_ieee_mode 1
		.amdhsa_fp16_overflow 0
		.amdhsa_workgroup_processor_mode 1
		.amdhsa_memory_ordered 1
		.amdhsa_forward_progress 1
		.amdhsa_shared_vgpr_count 0
		.amdhsa_exception_fp_ieee_invalid_op 0
		.amdhsa_exception_fp_denorm_src 0
		.amdhsa_exception_fp_ieee_div_zero 0
		.amdhsa_exception_fp_ieee_overflow 0
		.amdhsa_exception_fp_ieee_underflow 0
		.amdhsa_exception_fp_ieee_inexact 0
		.amdhsa_exception_int_div_zero 0
	.end_amdhsa_kernel
	.section	.text._ZN9rocsolver6v33100L18trti2_kernel_smallILi2E19rocblas_complex_numIdEPKPS3_EEv13rocblas_fill_17rocblas_diagonal_T1_iil,"axG",@progbits,_ZN9rocsolver6v33100L18trti2_kernel_smallILi2E19rocblas_complex_numIdEPKPS3_EEv13rocblas_fill_17rocblas_diagonal_T1_iil,comdat
.Lfunc_end65:
	.size	_ZN9rocsolver6v33100L18trti2_kernel_smallILi2E19rocblas_complex_numIdEPKPS3_EEv13rocblas_fill_17rocblas_diagonal_T1_iil, .Lfunc_end65-_ZN9rocsolver6v33100L18trti2_kernel_smallILi2E19rocblas_complex_numIdEPKPS3_EEv13rocblas_fill_17rocblas_diagonal_T1_iil
                                        ; -- End function
	.set _ZN9rocsolver6v33100L18trti2_kernel_smallILi2E19rocblas_complex_numIdEPKPS3_EEv13rocblas_fill_17rocblas_diagonal_T1_iil.num_vgpr, 19
	.set _ZN9rocsolver6v33100L18trti2_kernel_smallILi2E19rocblas_complex_numIdEPKPS3_EEv13rocblas_fill_17rocblas_diagonal_T1_iil.num_agpr, 0
	.set _ZN9rocsolver6v33100L18trti2_kernel_smallILi2E19rocblas_complex_numIdEPKPS3_EEv13rocblas_fill_17rocblas_diagonal_T1_iil.numbered_sgpr, 14
	.set _ZN9rocsolver6v33100L18trti2_kernel_smallILi2E19rocblas_complex_numIdEPKPS3_EEv13rocblas_fill_17rocblas_diagonal_T1_iil.num_named_barrier, 0
	.set _ZN9rocsolver6v33100L18trti2_kernel_smallILi2E19rocblas_complex_numIdEPKPS3_EEv13rocblas_fill_17rocblas_diagonal_T1_iil.private_seg_size, 48
	.set _ZN9rocsolver6v33100L18trti2_kernel_smallILi2E19rocblas_complex_numIdEPKPS3_EEv13rocblas_fill_17rocblas_diagonal_T1_iil.uses_vcc, 1
	.set _ZN9rocsolver6v33100L18trti2_kernel_smallILi2E19rocblas_complex_numIdEPKPS3_EEv13rocblas_fill_17rocblas_diagonal_T1_iil.uses_flat_scratch, 1
	.set _ZN9rocsolver6v33100L18trti2_kernel_smallILi2E19rocblas_complex_numIdEPKPS3_EEv13rocblas_fill_17rocblas_diagonal_T1_iil.has_dyn_sized_stack, 0
	.set _ZN9rocsolver6v33100L18trti2_kernel_smallILi2E19rocblas_complex_numIdEPKPS3_EEv13rocblas_fill_17rocblas_diagonal_T1_iil.has_recursion, 0
	.set _ZN9rocsolver6v33100L18trti2_kernel_smallILi2E19rocblas_complex_numIdEPKPS3_EEv13rocblas_fill_17rocblas_diagonal_T1_iil.has_indirect_call, 0
	.section	.AMDGPU.csdata,"",@progbits
; Kernel info:
; codeLenInByte = 1452
; TotalNumSgprs: 16
; NumVgprs: 19
; ScratchSize: 48
; MemoryBound: 0
; FloatMode: 240
; IeeeMode: 1
; LDSByteSize: 64 bytes/workgroup (compile time only)
; SGPRBlocks: 0
; VGPRBlocks: 2
; NumSGPRsForWavesPerEU: 16
; NumVGPRsForWavesPerEU: 19
; Occupancy: 16
; WaveLimiterHint : 1
; COMPUTE_PGM_RSRC2:SCRATCH_EN: 1
; COMPUTE_PGM_RSRC2:USER_SGPR: 6
; COMPUTE_PGM_RSRC2:TRAP_HANDLER: 0
; COMPUTE_PGM_RSRC2:TGID_X_EN: 1
; COMPUTE_PGM_RSRC2:TGID_Y_EN: 0
; COMPUTE_PGM_RSRC2:TGID_Z_EN: 0
; COMPUTE_PGM_RSRC2:TIDIG_COMP_CNT: 0
	.section	.text._ZN9rocsolver6v33100L18trti2_kernel_smallILi3E19rocblas_complex_numIdEPKPS3_EEv13rocblas_fill_17rocblas_diagonal_T1_iil,"axG",@progbits,_ZN9rocsolver6v33100L18trti2_kernel_smallILi3E19rocblas_complex_numIdEPKPS3_EEv13rocblas_fill_17rocblas_diagonal_T1_iil,comdat
	.globl	_ZN9rocsolver6v33100L18trti2_kernel_smallILi3E19rocblas_complex_numIdEPKPS3_EEv13rocblas_fill_17rocblas_diagonal_T1_iil ; -- Begin function _ZN9rocsolver6v33100L18trti2_kernel_smallILi3E19rocblas_complex_numIdEPKPS3_EEv13rocblas_fill_17rocblas_diagonal_T1_iil
	.p2align	8
	.type	_ZN9rocsolver6v33100L18trti2_kernel_smallILi3E19rocblas_complex_numIdEPKPS3_EEv13rocblas_fill_17rocblas_diagonal_T1_iil,@function
_ZN9rocsolver6v33100L18trti2_kernel_smallILi3E19rocblas_complex_numIdEPKPS3_EEv13rocblas_fill_17rocblas_diagonal_T1_iil: ; @_ZN9rocsolver6v33100L18trti2_kernel_smallILi3E19rocblas_complex_numIdEPKPS3_EEv13rocblas_fill_17rocblas_diagonal_T1_iil
; %bb.0:
	s_add_u32 s0, s0, s7
	s_addc_u32 s1, s1, 0
	s_mov_b32 s7, exec_lo
	v_cmpx_gt_u32_e32 3, v0
	s_cbranch_execz .LBB66_35
; %bb.1:
	s_clause 0x1
	s_load_dwordx2 s[12:13], s[4:5], 0x10
	s_load_dwordx4 s[8:11], s[4:5], 0x0
	s_ashr_i32 s7, s6, 31
	v_lshlrev_b32_e32 v17, 4, v0
	s_lshl_b64 s[4:5], s[6:7], 3
	s_waitcnt lgkmcnt(0)
	s_ashr_i32 s7, s12, 31
	s_add_u32 s4, s10, s4
	s_addc_u32 s5, s11, s5
	v_add3_u32 v1, s13, s13, v0
	s_load_dwordx2 s[4:5], s[4:5], 0x0
	s_mov_b32 s6, s12
	s_mov_b32 s10, s13
	s_lshl_b64 s[6:7], s[6:7], 4
	v_ashrrev_i32_e32 v2, 31, v1
	v_lshlrev_b64 v[1:2], 4, v[1:2]
	s_waitcnt lgkmcnt(0)
	s_add_u32 s6, s4, s6
	s_addc_u32 s7, s5, s7
	v_add_co_u32 v7, s4, s6, v17
	s_ashr_i32 s11, s13, 31
	v_add_co_ci_u32_e64 v8, null, s7, 0, s4
	s_lshl_b64 s[4:5], s[10:11], 4
	v_add_co_u32 v5, vcc_lo, s6, v1
	v_add_co_ci_u32_e64 v6, null, s7, v2, vcc_lo
	v_add_co_u32 v9, vcc_lo, v7, s4
	v_add_co_ci_u32_e64 v10, null, s5, v8, vcc_lo
	s_clause 0x2
	flat_load_dwordx4 v[1:4], v[7:8]
	flat_load_dwordx4 v[11:14], v[5:6]
	;; [unrolled: 1-line block ×3, first 2 shown]
	s_cmpk_lg_i32 s9, 0x84
	s_waitcnt vmcnt(2) lgkmcnt(2)
	buffer_store_dword v4, off, s[0:3], 0 offset:12
	buffer_store_dword v3, off, s[0:3], 0 offset:8
	;; [unrolled: 1-line block ×3, first 2 shown]
	buffer_store_dword v1, off, s[0:3], 0
	s_waitcnt vmcnt(1) lgkmcnt(1)
	buffer_store_dword v14, off, s[0:3], 0 offset:44
	buffer_store_dword v13, off, s[0:3], 0 offset:40
	;; [unrolled: 1-line block ×3, first 2 shown]
	s_waitcnt vmcnt(0) lgkmcnt(0)
	buffer_store_dword v21, off, s[0:3], 0 offset:28
	buffer_store_dword v20, off, s[0:3], 0 offset:24
	;; [unrolled: 1-line block ×5, first 2 shown]
	s_cselect_b32 s7, -1, 0
	s_cmpk_eq_i32 s9, 0x84
	s_cbranch_scc1 .LBB66_7
; %bb.2:
	v_lshl_add_u32 v18, v0, 4, 0
                                        ; implicit-def: $vgpr13_vgpr14
                                        ; implicit-def: $vgpr3_vgpr4
	s_clause 0x3
	buffer_load_dword v11, v18, s[0:3], 0 offen
	buffer_load_dword v12, v18, s[0:3], 0 offen offset:4
	buffer_load_dword v15, v18, s[0:3], 0 offen offset:8
	buffer_load_dword v16, v18, s[0:3], 0 offen offset:12
	s_waitcnt vmcnt(0)
	v_cmp_ngt_f64_e64 s4, |v[11:12]|, |v[15:16]|
	s_and_saveexec_b32 s5, s4
	s_xor_b32 s4, exec_lo, s5
	s_cbranch_execz .LBB66_4
; %bb.3:
	v_div_scale_f64 v[1:2], null, v[15:16], v[15:16], v[11:12]
	v_div_scale_f64 v[19:20], vcc_lo, v[11:12], v[15:16], v[11:12]
	v_rcp_f64_e32 v[3:4], v[1:2]
	v_fma_f64 v[13:14], -v[1:2], v[3:4], 1.0
	v_fma_f64 v[3:4], v[3:4], v[13:14], v[3:4]
	v_fma_f64 v[13:14], -v[1:2], v[3:4], 1.0
	v_fma_f64 v[3:4], v[3:4], v[13:14], v[3:4]
	v_mul_f64 v[13:14], v[19:20], v[3:4]
	v_fma_f64 v[1:2], -v[1:2], v[13:14], v[19:20]
	v_div_fmas_f64 v[1:2], v[1:2], v[3:4], v[13:14]
	v_div_fixup_f64 v[1:2], v[1:2], v[15:16], v[11:12]
	v_fma_f64 v[3:4], v[11:12], v[1:2], v[15:16]
	v_div_scale_f64 v[11:12], null, v[3:4], v[3:4], 1.0
	v_div_scale_f64 v[19:20], vcc_lo, 1.0, v[3:4], 1.0
	v_rcp_f64_e32 v[13:14], v[11:12]
	v_fma_f64 v[15:16], -v[11:12], v[13:14], 1.0
	v_fma_f64 v[13:14], v[13:14], v[15:16], v[13:14]
	v_fma_f64 v[15:16], -v[11:12], v[13:14], 1.0
	v_fma_f64 v[13:14], v[13:14], v[15:16], v[13:14]
	v_mul_f64 v[15:16], v[19:20], v[13:14]
	v_fma_f64 v[11:12], -v[11:12], v[15:16], v[19:20]
	v_div_fmas_f64 v[11:12], v[11:12], v[13:14], v[15:16]
                                        ; implicit-def: $vgpr15_vgpr16
	v_div_fixup_f64 v[3:4], v[11:12], v[3:4], 1.0
                                        ; implicit-def: $vgpr11_vgpr12
	v_mul_f64 v[13:14], v[1:2], v[3:4]
	v_xor_b32_e32 v4, 0x80000000, v4
	v_xor_b32_e32 v2, 0x80000000, v14
	v_mov_b32_e32 v1, v13
.LBB66_4:
	s_andn2_saveexec_b32 s4, s4
	s_cbranch_execz .LBB66_6
; %bb.5:
	v_div_scale_f64 v[1:2], null, v[11:12], v[11:12], v[15:16]
	v_div_scale_f64 v[19:20], vcc_lo, v[15:16], v[11:12], v[15:16]
	v_rcp_f64_e32 v[3:4], v[1:2]
	v_fma_f64 v[13:14], -v[1:2], v[3:4], 1.0
	v_fma_f64 v[3:4], v[3:4], v[13:14], v[3:4]
	v_fma_f64 v[13:14], -v[1:2], v[3:4], 1.0
	v_fma_f64 v[3:4], v[3:4], v[13:14], v[3:4]
	v_mul_f64 v[13:14], v[19:20], v[3:4]
	v_fma_f64 v[1:2], -v[1:2], v[13:14], v[19:20]
	v_div_fmas_f64 v[1:2], v[1:2], v[3:4], v[13:14]
	v_div_fixup_f64 v[1:2], v[1:2], v[11:12], v[15:16]
	v_fma_f64 v[3:4], v[15:16], v[1:2], v[11:12]
	v_div_scale_f64 v[11:12], null, v[3:4], v[3:4], 1.0
	v_rcp_f64_e32 v[13:14], v[11:12]
	v_fma_f64 v[15:16], -v[11:12], v[13:14], 1.0
	v_fma_f64 v[13:14], v[13:14], v[15:16], v[13:14]
	v_fma_f64 v[15:16], -v[11:12], v[13:14], 1.0
	v_fma_f64 v[13:14], v[13:14], v[15:16], v[13:14]
	v_div_scale_f64 v[15:16], vcc_lo, 1.0, v[3:4], 1.0
	v_mul_f64 v[19:20], v[15:16], v[13:14]
	v_fma_f64 v[11:12], -v[11:12], v[19:20], v[15:16]
	v_div_fmas_f64 v[11:12], v[11:12], v[13:14], v[19:20]
	v_div_fixup_f64 v[13:14], v[11:12], v[3:4], 1.0
	v_mul_f64 v[3:4], v[1:2], -v[13:14]
	v_xor_b32_e32 v2, 0x80000000, v14
	v_mov_b32_e32 v1, v13
.LBB66_6:
	s_or_b32 exec_lo, exec_lo, s4
	buffer_store_dword v4, v18, s[0:3], 0 offen offset:12
	v_xor_b32_e32 v4, 0x80000000, v4
	buffer_store_dword v14, v18, s[0:3], 0 offen offset:4
	buffer_store_dword v13, v18, s[0:3], 0 offen
	buffer_store_dword v3, v18, s[0:3], 0 offen offset:8
	s_branch .LBB66_8
.LBB66_7:
	v_mov_b32_e32 v1, 0
	v_mov_b32_e32 v3, 0
	;; [unrolled: 1-line block ×4, first 2 shown]
.LBB66_8:
	v_add_nc_u32_e32 v12, 48, v17
	v_mov_b32_e32 v11, v17
	s_mov_b32 s6, 16
	s_mov_b32 s5, 32
	s_cmpk_eq_i32 s8, 0x79
	ds_write_b128 v17, v[1:4]
	s_cbranch_scc1 .LBB66_20
; %bb.9:
	v_mov_b32_e32 v4, s6
	v_cmp_eq_u32_e64 s4, 2, v0
	s_clause 0x3
	buffer_load_dword v1, v4, s[0:3], 0 offen
	buffer_load_dword v2, v4, s[0:3], 0 offen offset:4
	buffer_load_dword v3, v4, s[0:3], 0 offen offset:8
	;; [unrolled: 1-line block ×3, first 2 shown]
	s_waitcnt vmcnt(0)
	ds_write_b128 v12, v[1:4]
	s_waitcnt lgkmcnt(0)
	s_waitcnt_vscnt null, 0x0
	s_barrier
	buffer_gl0_inv
	s_and_saveexec_b32 s8, s4
	s_cbranch_execz .LBB66_13
; %bb.10:
	ds_read_b128 v[1:4], v12
	s_andn2_b32 vcc_lo, exec_lo, s7
	s_cbranch_vccnz .LBB66_12
; %bb.11:
	s_clause 0x3
	buffer_load_dword v13, v11, s[0:3], 0 offen offset:8
	buffer_load_dword v14, v11, s[0:3], 0 offen offset:12
	buffer_load_dword v15, v11, s[0:3], 0 offen
	buffer_load_dword v16, v11, s[0:3], 0 offen offset:4
	s_waitcnt vmcnt(2) lgkmcnt(0)
	v_mul_f64 v[17:18], v[3:4], v[13:14]
	v_mul_f64 v[13:14], v[1:2], v[13:14]
	s_waitcnt vmcnt(0)
	v_fma_f64 v[1:2], v[1:2], v[15:16], -v[17:18]
	v_fma_f64 v[3:4], v[3:4], v[15:16], v[13:14]
.LBB66_12:
	v_mov_b32_e32 v13, 0
	ds_read_b128 v[13:16], v13 offset:16
	s_waitcnt lgkmcnt(0)
	v_mul_f64 v[17:18], v[3:4], v[15:16]
	v_mul_f64 v[15:16], v[1:2], v[15:16]
	v_fma_f64 v[1:2], v[1:2], v[13:14], -v[17:18]
	v_fma_f64 v[3:4], v[3:4], v[13:14], v[15:16]
	buffer_store_dword v2, off, s[0:3], 0 offset:20
	buffer_store_dword v1, off, s[0:3], 0 offset:16
	;; [unrolled: 1-line block ×4, first 2 shown]
.LBB66_13:
	s_or_b32 exec_lo, exec_lo, s8
	s_clause 0x3
	buffer_load_dword v1, off, s[0:3], 0
	buffer_load_dword v2, off, s[0:3], 0 offset:4
	buffer_load_dword v3, off, s[0:3], 0 offset:8
	;; [unrolled: 1-line block ×3, first 2 shown]
	s_mov_b32 s9, 0
	s_mov_b32 s8, 0
	s_mov_b32 s10, exec_lo
                                        ; implicit-def: $sgpr11
	s_waitcnt vmcnt(0)
	ds_write_b128 v12, v[1:4]
	s_waitcnt lgkmcnt(0)
	s_waitcnt_vscnt null, 0x0
	s_barrier
	buffer_gl0_inv
                                        ; implicit-def: $vgpr1_vgpr2
	v_cmpx_ne_u32_e32 0, v0
	s_cbranch_execz .LBB66_19
; %bb.14:
	ds_read_b128 v[1:4], v12
	s_andn2_b32 vcc_lo, exec_lo, s7
	s_cbranch_vccnz .LBB66_16
; %bb.15:
	s_clause 0x3
	buffer_load_dword v13, v11, s[0:3], 0 offen offset:8
	buffer_load_dword v14, v11, s[0:3], 0 offen offset:12
	buffer_load_dword v15, v11, s[0:3], 0 offen
	buffer_load_dword v16, v11, s[0:3], 0 offen offset:4
	s_waitcnt vmcnt(2) lgkmcnt(0)
	v_mul_f64 v[17:18], v[3:4], v[13:14]
	v_mul_f64 v[13:14], v[1:2], v[13:14]
	s_waitcnt vmcnt(0)
	v_fma_f64 v[1:2], v[1:2], v[15:16], -v[17:18]
	v_fma_f64 v[3:4], v[3:4], v[15:16], v[13:14]
.LBB66_16:
	s_and_saveexec_b32 s8, s4
	s_cbranch_execz .LBB66_18
; %bb.17:
	s_clause 0x3
	buffer_load_dword v17, off, s[0:3], 0 offset:24
	buffer_load_dword v18, off, s[0:3], 0 offset:28
	;; [unrolled: 1-line block ×4, first 2 shown]
	v_mov_b32_e32 v13, 0
	ds_read_b128 v[13:16], v13 offset:64
	s_waitcnt vmcnt(2) lgkmcnt(0)
	v_mul_f64 v[21:22], v[15:16], v[17:18]
	v_mul_f64 v[17:18], v[13:14], v[17:18]
	s_waitcnt vmcnt(0)
	v_fma_f64 v[13:14], v[13:14], v[19:20], -v[21:22]
	v_fma_f64 v[15:16], v[15:16], v[19:20], v[17:18]
	v_add_f64 v[1:2], v[1:2], v[13:14]
	v_add_f64 v[3:4], v[3:4], v[15:16]
.LBB66_18:
	s_or_b32 exec_lo, exec_lo, s8
	v_mov_b32_e32 v13, 0
	s_mov_b32 s8, exec_lo
	s_or_b32 s11, 0, 8
	ds_read_b128 v[13:16], v13
	s_waitcnt lgkmcnt(0)
	v_mul_f64 v[17:18], v[3:4], v[15:16]
	v_mul_f64 v[15:16], v[1:2], v[15:16]
	v_fma_f64 v[17:18], v[1:2], v[13:14], -v[17:18]
	v_fma_f64 v[1:2], v[3:4], v[13:14], v[15:16]
	buffer_store_dword v18, off, s[0:3], 0 offset:4
	buffer_store_dword v17, off, s[0:3], 0
.LBB66_19:
	s_or_b32 exec_lo, exec_lo, s10
	s_and_b32 vcc_lo, exec_lo, s9
	s_cbranch_vccnz .LBB66_21
	s_branch .LBB66_32
.LBB66_20:
	s_mov_b32 s8, 0
                                        ; implicit-def: $vgpr1_vgpr2
                                        ; implicit-def: $sgpr11
	s_cbranch_execz .LBB66_32
.LBB66_21:
	v_mov_b32_e32 v4, s6
	v_cmp_eq_u32_e64 s4, 0, v0
	v_cndmask_b32_e64 v13, 0, 1, s7
	s_clause 0x3
	buffer_load_dword v1, v4, s[0:3], 0 offen
	buffer_load_dword v2, v4, s[0:3], 0 offen offset:4
	buffer_load_dword v3, v4, s[0:3], 0 offen offset:8
	;; [unrolled: 1-line block ×3, first 2 shown]
	s_waitcnt vmcnt(0)
	ds_write_b128 v12, v[1:4]
	s_waitcnt lgkmcnt(0)
	s_waitcnt_vscnt null, 0x0
	s_barrier
	buffer_gl0_inv
	s_and_saveexec_b32 s9, s4
	s_cbranch_execz .LBB66_25
; %bb.22:
	ds_read_b128 v[1:4], v12
	s_andn2_b32 vcc_lo, exec_lo, s7
	s_cbranch_vccnz .LBB66_24
; %bb.23:
	s_clause 0x3
	buffer_load_dword v14, v11, s[0:3], 0 offen offset:8
	buffer_load_dword v15, v11, s[0:3], 0 offen offset:12
	buffer_load_dword v16, v11, s[0:3], 0 offen
	buffer_load_dword v17, v11, s[0:3], 0 offen offset:4
	s_waitcnt vmcnt(2) lgkmcnt(0)
	v_mul_f64 v[18:19], v[3:4], v[14:15]
	v_mul_f64 v[14:15], v[1:2], v[14:15]
	s_waitcnt vmcnt(0)
	v_fma_f64 v[1:2], v[1:2], v[16:17], -v[18:19]
	v_fma_f64 v[3:4], v[3:4], v[16:17], v[14:15]
.LBB66_24:
	v_mov_b32_e32 v14, 0
	ds_read_b128 v[14:17], v14 offset:16
	s_waitcnt lgkmcnt(0)
	v_mul_f64 v[18:19], v[3:4], v[16:17]
	v_mul_f64 v[16:17], v[1:2], v[16:17]
	v_fma_f64 v[1:2], v[1:2], v[14:15], -v[18:19]
	v_fma_f64 v[3:4], v[3:4], v[14:15], v[16:17]
	buffer_store_dword v2, off, s[0:3], 0 offset:20
	buffer_store_dword v1, off, s[0:3], 0 offset:16
	;; [unrolled: 1-line block ×4, first 2 shown]
.LBB66_25:
	s_or_b32 exec_lo, exec_lo, s9
	v_mov_b32_e32 v4, s5
	s_mov_b32 s7, exec_lo
                                        ; implicit-def: $sgpr11
	s_clause 0x3
	buffer_load_dword v1, v4, s[0:3], 0 offen
	buffer_load_dword v2, v4, s[0:3], 0 offen offset:4
	buffer_load_dword v3, v4, s[0:3], 0 offen offset:8
	;; [unrolled: 1-line block ×3, first 2 shown]
	s_waitcnt vmcnt(0)
	ds_write_b128 v12, v[1:4]
	s_waitcnt lgkmcnt(0)
	s_waitcnt_vscnt null, 0x0
	s_barrier
	buffer_gl0_inv
                                        ; implicit-def: $vgpr1_vgpr2
	v_cmpx_ne_u32_e32 2, v0
	s_cbranch_execz .LBB66_31
; %bb.26:
	ds_read_b128 v[0:3], v12
	v_cmp_ne_u32_e32 vcc_lo, 1, v13
	s_cbranch_vccnz .LBB66_28
; %bb.27:
	s_clause 0x3
	buffer_load_dword v12, v11, s[0:3], 0 offen offset:8
	buffer_load_dword v13, v11, s[0:3], 0 offen offset:12
	buffer_load_dword v14, v11, s[0:3], 0 offen
	buffer_load_dword v15, v11, s[0:3], 0 offen offset:4
	s_waitcnt vmcnt(2) lgkmcnt(0)
	v_mul_f64 v[16:17], v[2:3], v[12:13]
	v_mul_f64 v[11:12], v[0:1], v[12:13]
	s_waitcnt vmcnt(0)
	v_fma_f64 v[0:1], v[0:1], v[14:15], -v[16:17]
	v_fma_f64 v[2:3], v[2:3], v[14:15], v[11:12]
.LBB66_28:
	s_and_saveexec_b32 s9, s4
	s_cbranch_execz .LBB66_30
; %bb.29:
	s_clause 0x3
	buffer_load_dword v15, off, s[0:3], 0 offset:24
	buffer_load_dword v16, off, s[0:3], 0 offset:28
	;; [unrolled: 1-line block ×4, first 2 shown]
	v_mov_b32_e32 v4, 0
	ds_read_b128 v[11:14], v4 offset:64
	s_waitcnt vmcnt(2) lgkmcnt(0)
	v_mul_f64 v[19:20], v[13:14], v[15:16]
	v_mul_f64 v[15:16], v[11:12], v[15:16]
	s_waitcnt vmcnt(0)
	v_fma_f64 v[11:12], v[11:12], v[17:18], -v[19:20]
	v_fma_f64 v[13:14], v[13:14], v[17:18], v[15:16]
	v_add_f64 v[0:1], v[0:1], v[11:12]
	v_add_f64 v[2:3], v[2:3], v[13:14]
.LBB66_30:
	s_or_b32 exec_lo, exec_lo, s9
	v_mov_b32_e32 v4, 0
	s_mov_b32 s11, 40
	s_or_b32 s8, s8, exec_lo
	ds_read_b128 v[11:14], v4 offset:32
	s_waitcnt lgkmcnt(0)
	v_mul_f64 v[15:16], v[2:3], v[13:14]
	v_mul_f64 v[13:14], v[0:1], v[13:14]
	v_fma_f64 v[15:16], v[0:1], v[11:12], -v[15:16]
	v_fma_f64 v[1:2], v[2:3], v[11:12], v[13:14]
	buffer_store_dword v16, off, s[0:3], 0 offset:36
	buffer_store_dword v15, off, s[0:3], 0 offset:32
.LBB66_31:
	s_or_b32 exec_lo, exec_lo, s7
.LBB66_32:
	s_and_saveexec_b32 s4, s8
	s_cbranch_execz .LBB66_34
; %bb.33:
	v_mov_b32_e32 v0, s11
	buffer_store_dword v2, v0, s[0:3], 0 offen offset:4
	buffer_store_dword v1, v0, s[0:3], 0 offen
.LBB66_34:
	s_or_b32 exec_lo, exec_lo, s4
	v_mov_b32_e32 v4, s6
	v_mov_b32_e32 v18, s5
	s_clause 0xb
	buffer_load_dword v0, off, s[0:3], 0
	buffer_load_dword v1, off, s[0:3], 0 offset:4
	buffer_load_dword v2, off, s[0:3], 0 offset:8
	;; [unrolled: 1-line block ×3, first 2 shown]
	buffer_load_dword v11, v4, s[0:3], 0 offen
	buffer_load_dword v12, v4, s[0:3], 0 offen offset:4
	buffer_load_dword v13, v4, s[0:3], 0 offen offset:8
	;; [unrolled: 1-line block ×3, first 2 shown]
	buffer_load_dword v15, v18, s[0:3], 0 offen
	buffer_load_dword v16, v18, s[0:3], 0 offen offset:4
	buffer_load_dword v17, v18, s[0:3], 0 offen offset:8
	;; [unrolled: 1-line block ×3, first 2 shown]
	s_waitcnt vmcnt(8)
	flat_store_dwordx4 v[7:8], v[0:3]
	s_waitcnt vmcnt(4)
	flat_store_dwordx4 v[9:10], v[11:14]
	;; [unrolled: 2-line block ×3, first 2 shown]
.LBB66_35:
	s_endpgm
	.section	.rodata,"a",@progbits
	.p2align	6, 0x0
	.amdhsa_kernel _ZN9rocsolver6v33100L18trti2_kernel_smallILi3E19rocblas_complex_numIdEPKPS3_EEv13rocblas_fill_17rocblas_diagonal_T1_iil
		.amdhsa_group_segment_fixed_size 96
		.amdhsa_private_segment_fixed_size 64
		.amdhsa_kernarg_size 32
		.amdhsa_user_sgpr_count 6
		.amdhsa_user_sgpr_private_segment_buffer 1
		.amdhsa_user_sgpr_dispatch_ptr 0
		.amdhsa_user_sgpr_queue_ptr 0
		.amdhsa_user_sgpr_kernarg_segment_ptr 1
		.amdhsa_user_sgpr_dispatch_id 0
		.amdhsa_user_sgpr_flat_scratch_init 0
		.amdhsa_user_sgpr_private_segment_size 0
		.amdhsa_wavefront_size32 1
		.amdhsa_uses_dynamic_stack 0
		.amdhsa_system_sgpr_private_segment_wavefront_offset 1
		.amdhsa_system_sgpr_workgroup_id_x 1
		.amdhsa_system_sgpr_workgroup_id_y 0
		.amdhsa_system_sgpr_workgroup_id_z 0
		.amdhsa_system_sgpr_workgroup_info 0
		.amdhsa_system_vgpr_workitem_id 0
		.amdhsa_next_free_vgpr 23
		.amdhsa_next_free_sgpr 14
		.amdhsa_reserve_vcc 1
		.amdhsa_reserve_flat_scratch 1
		.amdhsa_float_round_mode_32 0
		.amdhsa_float_round_mode_16_64 0
		.amdhsa_float_denorm_mode_32 3
		.amdhsa_float_denorm_mode_16_64 3
		.amdhsa_dx10_clamp 1
		.amdhsa_ieee_mode 1
		.amdhsa_fp16_overflow 0
		.amdhsa_workgroup_processor_mode 1
		.amdhsa_memory_ordered 1
		.amdhsa_forward_progress 1
		.amdhsa_shared_vgpr_count 0
		.amdhsa_exception_fp_ieee_invalid_op 0
		.amdhsa_exception_fp_denorm_src 0
		.amdhsa_exception_fp_ieee_div_zero 0
		.amdhsa_exception_fp_ieee_overflow 0
		.amdhsa_exception_fp_ieee_underflow 0
		.amdhsa_exception_fp_ieee_inexact 0
		.amdhsa_exception_int_div_zero 0
	.end_amdhsa_kernel
	.section	.text._ZN9rocsolver6v33100L18trti2_kernel_smallILi3E19rocblas_complex_numIdEPKPS3_EEv13rocblas_fill_17rocblas_diagonal_T1_iil,"axG",@progbits,_ZN9rocsolver6v33100L18trti2_kernel_smallILi3E19rocblas_complex_numIdEPKPS3_EEv13rocblas_fill_17rocblas_diagonal_T1_iil,comdat
.Lfunc_end66:
	.size	_ZN9rocsolver6v33100L18trti2_kernel_smallILi3E19rocblas_complex_numIdEPKPS3_EEv13rocblas_fill_17rocblas_diagonal_T1_iil, .Lfunc_end66-_ZN9rocsolver6v33100L18trti2_kernel_smallILi3E19rocblas_complex_numIdEPKPS3_EEv13rocblas_fill_17rocblas_diagonal_T1_iil
                                        ; -- End function
	.set _ZN9rocsolver6v33100L18trti2_kernel_smallILi3E19rocblas_complex_numIdEPKPS3_EEv13rocblas_fill_17rocblas_diagonal_T1_iil.num_vgpr, 23
	.set _ZN9rocsolver6v33100L18trti2_kernel_smallILi3E19rocblas_complex_numIdEPKPS3_EEv13rocblas_fill_17rocblas_diagonal_T1_iil.num_agpr, 0
	.set _ZN9rocsolver6v33100L18trti2_kernel_smallILi3E19rocblas_complex_numIdEPKPS3_EEv13rocblas_fill_17rocblas_diagonal_T1_iil.numbered_sgpr, 14
	.set _ZN9rocsolver6v33100L18trti2_kernel_smallILi3E19rocblas_complex_numIdEPKPS3_EEv13rocblas_fill_17rocblas_diagonal_T1_iil.num_named_barrier, 0
	.set _ZN9rocsolver6v33100L18trti2_kernel_smallILi3E19rocblas_complex_numIdEPKPS3_EEv13rocblas_fill_17rocblas_diagonal_T1_iil.private_seg_size, 64
	.set _ZN9rocsolver6v33100L18trti2_kernel_smallILi3E19rocblas_complex_numIdEPKPS3_EEv13rocblas_fill_17rocblas_diagonal_T1_iil.uses_vcc, 1
	.set _ZN9rocsolver6v33100L18trti2_kernel_smallILi3E19rocblas_complex_numIdEPKPS3_EEv13rocblas_fill_17rocblas_diagonal_T1_iil.uses_flat_scratch, 1
	.set _ZN9rocsolver6v33100L18trti2_kernel_smallILi3E19rocblas_complex_numIdEPKPS3_EEv13rocblas_fill_17rocblas_diagonal_T1_iil.has_dyn_sized_stack, 0
	.set _ZN9rocsolver6v33100L18trti2_kernel_smallILi3E19rocblas_complex_numIdEPKPS3_EEv13rocblas_fill_17rocblas_diagonal_T1_iil.has_recursion, 0
	.set _ZN9rocsolver6v33100L18trti2_kernel_smallILi3E19rocblas_complex_numIdEPKPS3_EEv13rocblas_fill_17rocblas_diagonal_T1_iil.has_indirect_call, 0
	.section	.AMDGPU.csdata,"",@progbits
; Kernel info:
; codeLenInByte = 2380
; TotalNumSgprs: 16
; NumVgprs: 23
; ScratchSize: 64
; MemoryBound: 0
; FloatMode: 240
; IeeeMode: 1
; LDSByteSize: 96 bytes/workgroup (compile time only)
; SGPRBlocks: 0
; VGPRBlocks: 2
; NumSGPRsForWavesPerEU: 16
; NumVGPRsForWavesPerEU: 23
; Occupancy: 16
; WaveLimiterHint : 1
; COMPUTE_PGM_RSRC2:SCRATCH_EN: 1
; COMPUTE_PGM_RSRC2:USER_SGPR: 6
; COMPUTE_PGM_RSRC2:TRAP_HANDLER: 0
; COMPUTE_PGM_RSRC2:TGID_X_EN: 1
; COMPUTE_PGM_RSRC2:TGID_Y_EN: 0
; COMPUTE_PGM_RSRC2:TGID_Z_EN: 0
; COMPUTE_PGM_RSRC2:TIDIG_COMP_CNT: 0
	.section	.text._ZN9rocsolver6v33100L18trti2_kernel_smallILi4E19rocblas_complex_numIdEPKPS3_EEv13rocblas_fill_17rocblas_diagonal_T1_iil,"axG",@progbits,_ZN9rocsolver6v33100L18trti2_kernel_smallILi4E19rocblas_complex_numIdEPKPS3_EEv13rocblas_fill_17rocblas_diagonal_T1_iil,comdat
	.globl	_ZN9rocsolver6v33100L18trti2_kernel_smallILi4E19rocblas_complex_numIdEPKPS3_EEv13rocblas_fill_17rocblas_diagonal_T1_iil ; -- Begin function _ZN9rocsolver6v33100L18trti2_kernel_smallILi4E19rocblas_complex_numIdEPKPS3_EEv13rocblas_fill_17rocblas_diagonal_T1_iil
	.p2align	8
	.type	_ZN9rocsolver6v33100L18trti2_kernel_smallILi4E19rocblas_complex_numIdEPKPS3_EEv13rocblas_fill_17rocblas_diagonal_T1_iil,@function
_ZN9rocsolver6v33100L18trti2_kernel_smallILi4E19rocblas_complex_numIdEPKPS3_EEv13rocblas_fill_17rocblas_diagonal_T1_iil: ; @_ZN9rocsolver6v33100L18trti2_kernel_smallILi4E19rocblas_complex_numIdEPKPS3_EEv13rocblas_fill_17rocblas_diagonal_T1_iil
; %bb.0:
	s_add_u32 s0, s0, s7
	s_addc_u32 s1, s1, 0
	s_mov_b32 s7, exec_lo
	v_cmpx_gt_u32_e32 4, v0
	s_cbranch_execz .LBB67_51
; %bb.1:
	s_clause 0x1
	s_load_dwordx2 s[12:13], s[4:5], 0x10
	s_load_dwordx4 s[8:11], s[4:5], 0x0
	s_ashr_i32 s7, s6, 31
	v_lshlrev_b32_e32 v19, 4, v0
	s_lshl_b64 s[4:5], s[6:7], 3
	s_waitcnt lgkmcnt(0)
	s_ashr_i32 s7, s12, 31
	s_add_u32 s4, s10, s4
	s_addc_u32 s5, s11, s5
	v_add3_u32 v1, s13, s13, v0
	s_load_dwordx2 s[4:5], s[4:5], 0x0
	s_mov_b32 s6, s12
	s_mov_b32 s10, s13
	s_lshl_b64 s[6:7], s[6:7], 4
	v_add_nc_u32_e32 v3, s13, v1
	v_ashrrev_i32_e32 v2, 31, v1
	v_ashrrev_i32_e32 v4, 31, v3
	v_lshlrev_b64 v[1:2], 4, v[1:2]
	v_lshlrev_b64 v[5:6], 4, v[3:4]
	s_waitcnt lgkmcnt(0)
	s_add_u32 s6, s4, s6
	s_addc_u32 s7, s5, s7
	v_add_co_u32 v7, s4, s6, v19
	s_ashr_i32 s11, s13, 31
	v_add_co_u32 v9, vcc_lo, s6, v1
	v_add_co_ci_u32_e64 v8, null, s7, 0, s4
	s_lshl_b64 s[4:5], s[10:11], 4
	v_add_co_ci_u32_e64 v10, null, s7, v2, vcc_lo
	v_add_co_u32 v5, vcc_lo, s6, v5
	v_add_co_ci_u32_e64 v6, null, s7, v6, vcc_lo
	v_add_co_u32 v11, vcc_lo, v7, s4
	v_add_co_ci_u32_e64 v12, null, s5, v8, vcc_lo
	s_clause 0x3
	flat_load_dwordx4 v[1:4], v[7:8]
	flat_load_dwordx4 v[13:16], v[9:10]
	;; [unrolled: 1-line block ×4, first 2 shown]
	s_cmpk_lg_i32 s9, 0x84
	s_waitcnt vmcnt(3) lgkmcnt(3)
	buffer_store_dword v4, off, s[0:3], 0 offset:12
	buffer_store_dword v3, off, s[0:3], 0 offset:8
	;; [unrolled: 1-line block ×3, first 2 shown]
	buffer_store_dword v1, off, s[0:3], 0
	s_waitcnt vmcnt(2) lgkmcnt(2)
	buffer_store_dword v16, off, s[0:3], 0 offset:44
	buffer_store_dword v15, off, s[0:3], 0 offset:40
	;; [unrolled: 1-line block ×4, first 2 shown]
	s_waitcnt vmcnt(1) lgkmcnt(1)
	buffer_store_dword v23, off, s[0:3], 0 offset:60
	buffer_store_dword v22, off, s[0:3], 0 offset:56
	;; [unrolled: 1-line block ×3, first 2 shown]
	s_waitcnt vmcnt(0) lgkmcnt(0)
	buffer_store_dword v27, off, s[0:3], 0 offset:28
	buffer_store_dword v26, off, s[0:3], 0 offset:24
	;; [unrolled: 1-line block ×5, first 2 shown]
	s_cselect_b32 s10, -1, 0
	s_cmpk_eq_i32 s9, 0x84
	s_cbranch_scc1 .LBB67_7
; %bb.2:
	v_lshl_add_u32 v20, v0, 4, 0
                                        ; implicit-def: $vgpr15_vgpr16
                                        ; implicit-def: $vgpr3_vgpr4
	s_clause 0x3
	buffer_load_dword v13, v20, s[0:3], 0 offen
	buffer_load_dword v14, v20, s[0:3], 0 offen offset:4
	buffer_load_dword v17, v20, s[0:3], 0 offen offset:8
	;; [unrolled: 1-line block ×3, first 2 shown]
	s_waitcnt vmcnt(0)
	v_cmp_ngt_f64_e64 s4, |v[13:14]|, |v[17:18]|
	s_and_saveexec_b32 s5, s4
	s_xor_b32 s4, exec_lo, s5
	s_cbranch_execz .LBB67_4
; %bb.3:
	v_div_scale_f64 v[1:2], null, v[17:18], v[17:18], v[13:14]
	v_div_scale_f64 v[21:22], vcc_lo, v[13:14], v[17:18], v[13:14]
	v_rcp_f64_e32 v[3:4], v[1:2]
	v_fma_f64 v[15:16], -v[1:2], v[3:4], 1.0
	v_fma_f64 v[3:4], v[3:4], v[15:16], v[3:4]
	v_fma_f64 v[15:16], -v[1:2], v[3:4], 1.0
	v_fma_f64 v[3:4], v[3:4], v[15:16], v[3:4]
	v_mul_f64 v[15:16], v[21:22], v[3:4]
	v_fma_f64 v[1:2], -v[1:2], v[15:16], v[21:22]
	v_div_fmas_f64 v[1:2], v[1:2], v[3:4], v[15:16]
	v_div_fixup_f64 v[1:2], v[1:2], v[17:18], v[13:14]
	v_fma_f64 v[3:4], v[13:14], v[1:2], v[17:18]
	v_div_scale_f64 v[13:14], null, v[3:4], v[3:4], 1.0
	v_div_scale_f64 v[21:22], vcc_lo, 1.0, v[3:4], 1.0
	v_rcp_f64_e32 v[15:16], v[13:14]
	v_fma_f64 v[17:18], -v[13:14], v[15:16], 1.0
	v_fma_f64 v[15:16], v[15:16], v[17:18], v[15:16]
	v_fma_f64 v[17:18], -v[13:14], v[15:16], 1.0
	v_fma_f64 v[15:16], v[15:16], v[17:18], v[15:16]
	v_mul_f64 v[17:18], v[21:22], v[15:16]
	v_fma_f64 v[13:14], -v[13:14], v[17:18], v[21:22]
	v_div_fmas_f64 v[13:14], v[13:14], v[15:16], v[17:18]
                                        ; implicit-def: $vgpr17_vgpr18
	v_div_fixup_f64 v[3:4], v[13:14], v[3:4], 1.0
                                        ; implicit-def: $vgpr13_vgpr14
	v_mul_f64 v[15:16], v[1:2], v[3:4]
	v_xor_b32_e32 v4, 0x80000000, v4
	v_xor_b32_e32 v2, 0x80000000, v16
	v_mov_b32_e32 v1, v15
.LBB67_4:
	s_andn2_saveexec_b32 s4, s4
	s_cbranch_execz .LBB67_6
; %bb.5:
	v_div_scale_f64 v[1:2], null, v[13:14], v[13:14], v[17:18]
	v_div_scale_f64 v[21:22], vcc_lo, v[17:18], v[13:14], v[17:18]
	v_rcp_f64_e32 v[3:4], v[1:2]
	v_fma_f64 v[15:16], -v[1:2], v[3:4], 1.0
	v_fma_f64 v[3:4], v[3:4], v[15:16], v[3:4]
	v_fma_f64 v[15:16], -v[1:2], v[3:4], 1.0
	v_fma_f64 v[3:4], v[3:4], v[15:16], v[3:4]
	v_mul_f64 v[15:16], v[21:22], v[3:4]
	v_fma_f64 v[1:2], -v[1:2], v[15:16], v[21:22]
	v_div_fmas_f64 v[1:2], v[1:2], v[3:4], v[15:16]
	v_div_fixup_f64 v[1:2], v[1:2], v[13:14], v[17:18]
	v_fma_f64 v[3:4], v[17:18], v[1:2], v[13:14]
	v_div_scale_f64 v[13:14], null, v[3:4], v[3:4], 1.0
	v_rcp_f64_e32 v[15:16], v[13:14]
	v_fma_f64 v[17:18], -v[13:14], v[15:16], 1.0
	v_fma_f64 v[15:16], v[15:16], v[17:18], v[15:16]
	v_fma_f64 v[17:18], -v[13:14], v[15:16], 1.0
	v_fma_f64 v[15:16], v[15:16], v[17:18], v[15:16]
	v_div_scale_f64 v[17:18], vcc_lo, 1.0, v[3:4], 1.0
	v_mul_f64 v[21:22], v[17:18], v[15:16]
	v_fma_f64 v[13:14], -v[13:14], v[21:22], v[17:18]
	v_div_fmas_f64 v[13:14], v[13:14], v[15:16], v[21:22]
	v_div_fixup_f64 v[15:16], v[13:14], v[3:4], 1.0
	v_mul_f64 v[3:4], v[1:2], -v[15:16]
	v_xor_b32_e32 v2, 0x80000000, v16
	v_mov_b32_e32 v1, v15
.LBB67_6:
	s_or_b32 exec_lo, exec_lo, s4
	buffer_store_dword v4, v20, s[0:3], 0 offen offset:12
	v_xor_b32_e32 v4, 0x80000000, v4
	buffer_store_dword v16, v20, s[0:3], 0 offen offset:4
	buffer_store_dword v15, v20, s[0:3], 0 offen
	buffer_store_dword v3, v20, s[0:3], 0 offen offset:8
	s_branch .LBB67_8
.LBB67_7:
	v_mov_b32_e32 v1, 0
	v_mov_b32_e32 v3, 0
	v_mov_b32_e32 v2, 0xbff00000
	v_mov_b32_e32 v4, 0
.LBB67_8:
	v_add_nc_u32_e32 v13, 64, v19
	v_mov_b32_e32 v14, v19
	s_mov_b32 s9, 16
	s_mov_b32 s7, 32
	;; [unrolled: 1-line block ×3, first 2 shown]
	s_cmpk_eq_i32 s8, 0x79
	ds_write_b128 v19, v[1:4]
	s_cbranch_scc1 .LBB67_28
; %bb.9:
	v_mov_b32_e32 v4, s7
	v_cmp_eq_u32_e64 s5, 3, v0
	s_clause 0x3
	buffer_load_dword v1, v4, s[0:3], 0 offen
	buffer_load_dword v2, v4, s[0:3], 0 offen offset:4
	buffer_load_dword v3, v4, s[0:3], 0 offen offset:8
	;; [unrolled: 1-line block ×3, first 2 shown]
	s_waitcnt vmcnt(0)
	ds_write_b128 v13, v[1:4]
	s_waitcnt lgkmcnt(0)
	s_waitcnt_vscnt null, 0x0
	s_barrier
	buffer_gl0_inv
	s_and_saveexec_b32 s4, s5
	s_cbranch_execz .LBB67_13
; %bb.10:
	ds_read_b128 v[1:4], v13
	s_andn2_b32 vcc_lo, exec_lo, s10
	s_cbranch_vccnz .LBB67_12
; %bb.11:
	s_clause 0x3
	buffer_load_dword v15, v14, s[0:3], 0 offen offset:8
	buffer_load_dword v16, v14, s[0:3], 0 offen offset:12
	buffer_load_dword v17, v14, s[0:3], 0 offen
	buffer_load_dword v18, v14, s[0:3], 0 offen offset:4
	s_waitcnt vmcnt(2) lgkmcnt(0)
	v_mul_f64 v[19:20], v[3:4], v[15:16]
	v_mul_f64 v[15:16], v[1:2], v[15:16]
	s_waitcnt vmcnt(0)
	v_fma_f64 v[1:2], v[1:2], v[17:18], -v[19:20]
	v_fma_f64 v[3:4], v[3:4], v[17:18], v[15:16]
.LBB67_12:
	v_mov_b32_e32 v15, 0
	ds_read_b128 v[15:18], v15 offset:32
	s_waitcnt lgkmcnt(0)
	v_mul_f64 v[19:20], v[3:4], v[17:18]
	v_mul_f64 v[17:18], v[1:2], v[17:18]
	v_fma_f64 v[1:2], v[1:2], v[15:16], -v[19:20]
	v_fma_f64 v[3:4], v[3:4], v[15:16], v[17:18]
	buffer_store_dword v2, off, s[0:3], 0 offset:36
	buffer_store_dword v1, off, s[0:3], 0 offset:32
	;; [unrolled: 1-line block ×4, first 2 shown]
.LBB67_13:
	s_or_b32 exec_lo, exec_lo, s4
	v_mov_b32_e32 v4, s9
	v_cmp_lt_u32_e64 s4, 1, v0
	s_clause 0x3
	buffer_load_dword v1, v4, s[0:3], 0 offen
	buffer_load_dword v2, v4, s[0:3], 0 offen offset:4
	buffer_load_dword v3, v4, s[0:3], 0 offen offset:8
	;; [unrolled: 1-line block ×3, first 2 shown]
	s_waitcnt vmcnt(0)
	ds_write_b128 v13, v[1:4]
	s_waitcnt lgkmcnt(0)
	s_waitcnt_vscnt null, 0x0
	s_barrier
	buffer_gl0_inv
	s_and_saveexec_b32 s8, s4
	s_cbranch_execz .LBB67_19
; %bb.14:
	ds_read_b128 v[1:4], v13
	s_andn2_b32 vcc_lo, exec_lo, s10
	s_cbranch_vccnz .LBB67_16
; %bb.15:
	s_clause 0x3
	buffer_load_dword v15, v14, s[0:3], 0 offen offset:8
	buffer_load_dword v16, v14, s[0:3], 0 offen offset:12
	buffer_load_dword v17, v14, s[0:3], 0 offen
	buffer_load_dword v18, v14, s[0:3], 0 offen offset:4
	s_waitcnt vmcnt(2) lgkmcnt(0)
	v_mul_f64 v[19:20], v[3:4], v[15:16]
	v_mul_f64 v[15:16], v[1:2], v[15:16]
	s_waitcnt vmcnt(0)
	v_fma_f64 v[1:2], v[1:2], v[17:18], -v[19:20]
	v_fma_f64 v[3:4], v[3:4], v[17:18], v[15:16]
.LBB67_16:
	s_and_saveexec_b32 s11, s5
	s_cbranch_execz .LBB67_18
; %bb.17:
	s_clause 0x3
	buffer_load_dword v19, off, s[0:3], 0 offset:40
	buffer_load_dword v20, off, s[0:3], 0 offset:44
	;; [unrolled: 1-line block ×4, first 2 shown]
	v_mov_b32_e32 v15, 0
	ds_read_b128 v[15:18], v15 offset:96
	s_waitcnt vmcnt(2) lgkmcnt(0)
	v_mul_f64 v[23:24], v[15:16], v[19:20]
	v_mul_f64 v[19:20], v[17:18], v[19:20]
	s_waitcnt vmcnt(0)
	v_fma_f64 v[17:18], v[17:18], v[21:22], v[23:24]
	v_fma_f64 v[15:16], v[15:16], v[21:22], -v[19:20]
	v_add_f64 v[3:4], v[3:4], v[17:18]
	v_add_f64 v[1:2], v[1:2], v[15:16]
.LBB67_18:
	s_or_b32 exec_lo, exec_lo, s11
	v_mov_b32_e32 v15, 0
	ds_read_b128 v[15:18], v15 offset:16
	s_waitcnt lgkmcnt(0)
	v_mul_f64 v[19:20], v[3:4], v[17:18]
	v_mul_f64 v[17:18], v[1:2], v[17:18]
	v_fma_f64 v[1:2], v[1:2], v[15:16], -v[19:20]
	v_fma_f64 v[3:4], v[3:4], v[15:16], v[17:18]
	buffer_store_dword v2, off, s[0:3], 0 offset:20
	buffer_store_dword v1, off, s[0:3], 0 offset:16
	;; [unrolled: 1-line block ×4, first 2 shown]
.LBB67_19:
	s_or_b32 exec_lo, exec_lo, s8
	s_clause 0x3
	buffer_load_dword v1, off, s[0:3], 0
	buffer_load_dword v2, off, s[0:3], 0 offset:4
	buffer_load_dword v3, off, s[0:3], 0 offset:8
	;; [unrolled: 1-line block ×3, first 2 shown]
	s_mov_b32 s5, 0
	s_mov_b32 s8, 0
	s_mov_b32 s11, exec_lo
                                        ; implicit-def: $sgpr12
	s_waitcnt vmcnt(0)
	ds_write_b128 v13, v[1:4]
	s_waitcnt lgkmcnt(0)
	s_waitcnt_vscnt null, 0x0
	s_barrier
	buffer_gl0_inv
                                        ; implicit-def: $vgpr1_vgpr2
	v_cmpx_ne_u32_e32 0, v0
	s_cbranch_execz .LBB67_27
; %bb.20:
	ds_read_b128 v[1:4], v13
	s_andn2_b32 vcc_lo, exec_lo, s10
	s_cbranch_vccnz .LBB67_22
; %bb.21:
	s_clause 0x3
	buffer_load_dword v15, v14, s[0:3], 0 offen offset:8
	buffer_load_dword v16, v14, s[0:3], 0 offen offset:12
	buffer_load_dword v17, v14, s[0:3], 0 offen
	buffer_load_dword v18, v14, s[0:3], 0 offen offset:4
	s_waitcnt vmcnt(2) lgkmcnt(0)
	v_mul_f64 v[19:20], v[3:4], v[15:16]
	v_mul_f64 v[15:16], v[1:2], v[15:16]
	s_waitcnt vmcnt(0)
	v_fma_f64 v[1:2], v[1:2], v[17:18], -v[19:20]
	v_fma_f64 v[3:4], v[3:4], v[17:18], v[15:16]
.LBB67_22:
	s_and_saveexec_b32 s8, s4
	s_cbranch_execz .LBB67_26
; %bb.23:
	v_add_nc_u32_e32 v15, -1, v0
	s_movk_i32 s12, 0x50
	s_mov_b32 s4, 0
	s_mov_b32 s13, s9
	.p2align	6
.LBB67_24:                              ; =>This Inner Loop Header: Depth=1
	v_mov_b32_e32 v16, s13
	v_add_nc_u32_e32 v15, -1, v15
	s_add_i32 s13, s13, 16
	s_clause 0x3
	buffer_load_dword v20, v16, s[0:3], 0 offen offset:8
	buffer_load_dword v21, v16, s[0:3], 0 offen offset:12
	buffer_load_dword v22, v16, s[0:3], 0 offen
	buffer_load_dword v23, v16, s[0:3], 0 offen offset:4
	v_mov_b32_e32 v16, s12
	v_cmp_eq_u32_e32 vcc_lo, 0, v15
	s_add_i32 s12, s12, 16
	ds_read_b128 v[16:19], v16
	s_or_b32 s4, vcc_lo, s4
	s_waitcnt vmcnt(2) lgkmcnt(0)
	v_mul_f64 v[24:25], v[18:19], v[20:21]
	v_mul_f64 v[20:21], v[16:17], v[20:21]
	s_waitcnt vmcnt(0)
	v_fma_f64 v[16:17], v[16:17], v[22:23], -v[24:25]
	v_fma_f64 v[18:19], v[18:19], v[22:23], v[20:21]
	v_add_f64 v[1:2], v[1:2], v[16:17]
	v_add_f64 v[3:4], v[3:4], v[18:19]
	s_andn2_b32 exec_lo, exec_lo, s4
	s_cbranch_execnz .LBB67_24
; %bb.25:
	s_or_b32 exec_lo, exec_lo, s4
.LBB67_26:
	s_or_b32 exec_lo, exec_lo, s8
	v_mov_b32_e32 v15, 0
	s_mov_b32 s8, exec_lo
	s_or_b32 s12, 0, 8
	ds_read_b128 v[15:18], v15
	s_waitcnt lgkmcnt(0)
	v_mul_f64 v[19:20], v[3:4], v[17:18]
	v_mul_f64 v[17:18], v[1:2], v[17:18]
	v_fma_f64 v[19:20], v[1:2], v[15:16], -v[19:20]
	v_fma_f64 v[1:2], v[3:4], v[15:16], v[17:18]
	buffer_store_dword v20, off, s[0:3], 0 offset:4
	buffer_store_dword v19, off, s[0:3], 0
.LBB67_27:
	s_or_b32 exec_lo, exec_lo, s11
	s_and_b32 vcc_lo, exec_lo, s5
	s_cbranch_vccnz .LBB67_29
	s_branch .LBB67_48
.LBB67_28:
	s_mov_b32 s8, 0
                                        ; implicit-def: $vgpr1_vgpr2
                                        ; implicit-def: $sgpr12
	s_cbranch_execz .LBB67_48
.LBB67_29:
	v_mov_b32_e32 v4, s9
	v_cmp_eq_u32_e64 s4, 0, v0
	v_cndmask_b32_e64 v15, 0, 1, s10
	s_clause 0x3
	buffer_load_dword v1, v4, s[0:3], 0 offen
	buffer_load_dword v2, v4, s[0:3], 0 offen offset:4
	buffer_load_dword v3, v4, s[0:3], 0 offen offset:8
	buffer_load_dword v4, v4, s[0:3], 0 offen offset:12
	s_waitcnt vmcnt(0)
	ds_write_b128 v13, v[1:4]
	s_waitcnt lgkmcnt(0)
	s_waitcnt_vscnt null, 0x0
	s_barrier
	buffer_gl0_inv
	s_and_saveexec_b32 s5, s4
	s_cbranch_execz .LBB67_33
; %bb.30:
	ds_read_b128 v[1:4], v13
	s_andn2_b32 vcc_lo, exec_lo, s10
	s_cbranch_vccnz .LBB67_32
; %bb.31:
	s_clause 0x3
	buffer_load_dword v16, v14, s[0:3], 0 offen offset:8
	buffer_load_dword v17, v14, s[0:3], 0 offen offset:12
	buffer_load_dword v18, v14, s[0:3], 0 offen
	buffer_load_dword v19, v14, s[0:3], 0 offen offset:4
	s_waitcnt vmcnt(2) lgkmcnt(0)
	v_mul_f64 v[20:21], v[3:4], v[16:17]
	v_mul_f64 v[16:17], v[1:2], v[16:17]
	s_waitcnt vmcnt(0)
	v_fma_f64 v[1:2], v[1:2], v[18:19], -v[20:21]
	v_fma_f64 v[3:4], v[3:4], v[18:19], v[16:17]
.LBB67_32:
	v_mov_b32_e32 v16, 0
	ds_read_b128 v[16:19], v16 offset:16
	s_waitcnt lgkmcnt(0)
	v_mul_f64 v[20:21], v[3:4], v[18:19]
	v_mul_f64 v[18:19], v[1:2], v[18:19]
	v_fma_f64 v[1:2], v[1:2], v[16:17], -v[20:21]
	v_fma_f64 v[3:4], v[3:4], v[16:17], v[18:19]
	buffer_store_dword v2, off, s[0:3], 0 offset:20
	buffer_store_dword v1, off, s[0:3], 0 offset:16
	;; [unrolled: 1-line block ×4, first 2 shown]
.LBB67_33:
	s_or_b32 exec_lo, exec_lo, s5
	v_mov_b32_e32 v4, s7
	v_cmp_gt_u32_e64 s5, 2, v0
	s_clause 0x3
	buffer_load_dword v1, v4, s[0:3], 0 offen
	buffer_load_dword v2, v4, s[0:3], 0 offen offset:4
	buffer_load_dword v3, v4, s[0:3], 0 offen offset:8
	;; [unrolled: 1-line block ×3, first 2 shown]
	s_waitcnt vmcnt(0)
	ds_write_b128 v13, v[1:4]
	s_waitcnt lgkmcnt(0)
	s_waitcnt_vscnt null, 0x0
	s_barrier
	buffer_gl0_inv
	s_and_saveexec_b32 s10, s5
	s_cbranch_execz .LBB67_39
; %bb.34:
	ds_read_b128 v[1:4], v13
	v_cmp_ne_u32_e32 vcc_lo, 1, v15
	s_cbranch_vccnz .LBB67_36
; %bb.35:
	s_clause 0x3
	buffer_load_dword v16, v14, s[0:3], 0 offen offset:8
	buffer_load_dword v17, v14, s[0:3], 0 offen offset:12
	buffer_load_dword v18, v14, s[0:3], 0 offen
	buffer_load_dword v19, v14, s[0:3], 0 offen offset:4
	s_waitcnt vmcnt(2) lgkmcnt(0)
	v_mul_f64 v[20:21], v[3:4], v[16:17]
	v_mul_f64 v[16:17], v[1:2], v[16:17]
	s_waitcnt vmcnt(0)
	v_fma_f64 v[1:2], v[1:2], v[18:19], -v[20:21]
	v_fma_f64 v[3:4], v[3:4], v[18:19], v[16:17]
.LBB67_36:
	s_and_saveexec_b32 s11, s4
	s_cbranch_execz .LBB67_38
; %bb.37:
	s_clause 0x3
	buffer_load_dword v20, off, s[0:3], 0 offset:24
	buffer_load_dword v21, off, s[0:3], 0 offset:28
	;; [unrolled: 1-line block ×4, first 2 shown]
	v_mov_b32_e32 v16, 0
	ds_read_b128 v[16:19], v16 offset:80
	s_waitcnt vmcnt(2) lgkmcnt(0)
	v_mul_f64 v[24:25], v[18:19], v[20:21]
	v_mul_f64 v[20:21], v[16:17], v[20:21]
	s_waitcnt vmcnt(0)
	v_fma_f64 v[16:17], v[16:17], v[22:23], -v[24:25]
	v_fma_f64 v[18:19], v[18:19], v[22:23], v[20:21]
	v_add_f64 v[1:2], v[1:2], v[16:17]
	v_add_f64 v[3:4], v[3:4], v[18:19]
.LBB67_38:
	s_or_b32 exec_lo, exec_lo, s11
	v_mov_b32_e32 v16, 0
	ds_read_b128 v[16:19], v16 offset:32
	s_waitcnt lgkmcnt(0)
	v_mul_f64 v[20:21], v[3:4], v[18:19]
	v_mul_f64 v[18:19], v[1:2], v[18:19]
	v_fma_f64 v[1:2], v[1:2], v[16:17], -v[20:21]
	v_fma_f64 v[3:4], v[3:4], v[16:17], v[18:19]
	buffer_store_dword v2, off, s[0:3], 0 offset:36
	buffer_store_dword v1, off, s[0:3], 0 offset:32
	buffer_store_dword v4, off, s[0:3], 0 offset:44
	buffer_store_dword v3, off, s[0:3], 0 offset:40
.LBB67_39:
	s_or_b32 exec_lo, exec_lo, s10
	v_mov_b32_e32 v4, s6
	s_mov_b32 s10, exec_lo
                                        ; implicit-def: $sgpr12
	s_clause 0x3
	buffer_load_dword v1, v4, s[0:3], 0 offen
	buffer_load_dword v2, v4, s[0:3], 0 offen offset:4
	buffer_load_dword v3, v4, s[0:3], 0 offen offset:8
	;; [unrolled: 1-line block ×3, first 2 shown]
	s_waitcnt vmcnt(0)
	ds_write_b128 v13, v[1:4]
	s_waitcnt lgkmcnt(0)
	s_waitcnt_vscnt null, 0x0
	s_barrier
	buffer_gl0_inv
                                        ; implicit-def: $vgpr1_vgpr2
	v_cmpx_ne_u32_e32 3, v0
	s_cbranch_execz .LBB67_47
; %bb.40:
	ds_read_b128 v[0:3], v13
	v_cmp_ne_u32_e32 vcc_lo, 1, v15
	s_cbranch_vccnz .LBB67_42
; %bb.41:
	s_clause 0x3
	buffer_load_dword v15, v14, s[0:3], 0 offen offset:8
	buffer_load_dword v16, v14, s[0:3], 0 offen offset:12
	buffer_load_dword v17, v14, s[0:3], 0 offen
	buffer_load_dword v18, v14, s[0:3], 0 offen offset:4
	s_waitcnt vmcnt(2) lgkmcnt(0)
	v_mul_f64 v[19:20], v[2:3], v[15:16]
	v_mul_f64 v[15:16], v[0:1], v[15:16]
	s_waitcnt vmcnt(0)
	v_fma_f64 v[0:1], v[0:1], v[17:18], -v[19:20]
	v_fma_f64 v[2:3], v[2:3], v[17:18], v[15:16]
.LBB67_42:
	s_and_saveexec_b32 s11, s5
	s_cbranch_execz .LBB67_46
; %bb.43:
	s_clause 0x3
	buffer_load_dword v17, v14, s[0:3], 0 offen offset:24
	buffer_load_dword v18, v14, s[0:3], 0 offen offset:28
	buffer_load_dword v19, v14, s[0:3], 0 offen offset:16
	buffer_load_dword v20, v14, s[0:3], 0 offen offset:20
	ds_read_b128 v[13:16], v13 offset:16
	s_waitcnt vmcnt(2) lgkmcnt(0)
	v_mul_f64 v[21:22], v[15:16], v[17:18]
	v_mul_f64 v[17:18], v[13:14], v[17:18]
	s_waitcnt vmcnt(0)
	v_fma_f64 v[13:14], v[13:14], v[19:20], -v[21:22]
	v_fma_f64 v[15:16], v[15:16], v[19:20], v[17:18]
	v_add_f64 v[0:1], v[0:1], v[13:14]
	v_add_f64 v[2:3], v[2:3], v[15:16]
	s_and_saveexec_b32 s5, s4
	s_cbranch_execz .LBB67_45
; %bb.44:
	s_clause 0x3
	buffer_load_dword v17, off, s[0:3], 0 offset:40
	buffer_load_dword v18, off, s[0:3], 0 offset:44
	;; [unrolled: 1-line block ×4, first 2 shown]
	v_mov_b32_e32 v4, 0
	ds_read_b128 v[13:16], v4 offset:96
	s_waitcnt vmcnt(2) lgkmcnt(0)
	v_mul_f64 v[21:22], v[13:14], v[17:18]
	v_mul_f64 v[17:18], v[15:16], v[17:18]
	s_waitcnt vmcnt(0)
	v_fma_f64 v[15:16], v[15:16], v[19:20], v[21:22]
	v_fma_f64 v[13:14], v[13:14], v[19:20], -v[17:18]
	v_add_f64 v[2:3], v[2:3], v[15:16]
	v_add_f64 v[0:1], v[0:1], v[13:14]
.LBB67_45:
	s_or_b32 exec_lo, exec_lo, s5
.LBB67_46:
	s_or_b32 exec_lo, exec_lo, s11
	v_mov_b32_e32 v4, 0
	s_mov_b32 s12, 56
	s_or_b32 s8, s8, exec_lo
	ds_read_b128 v[13:16], v4 offset:48
	s_waitcnt lgkmcnt(0)
	v_mul_f64 v[17:18], v[2:3], v[15:16]
	v_mul_f64 v[15:16], v[0:1], v[15:16]
	v_fma_f64 v[17:18], v[0:1], v[13:14], -v[17:18]
	v_fma_f64 v[1:2], v[2:3], v[13:14], v[15:16]
	buffer_store_dword v18, off, s[0:3], 0 offset:52
	buffer_store_dword v17, off, s[0:3], 0 offset:48
.LBB67_47:
	s_or_b32 exec_lo, exec_lo, s10
.LBB67_48:
	s_and_saveexec_b32 s4, s8
	s_cbranch_execz .LBB67_50
; %bb.49:
	v_mov_b32_e32 v0, s12
	buffer_store_dword v2, v0, s[0:3], 0 offen offset:4
	buffer_store_dword v1, v0, s[0:3], 0 offen
.LBB67_50:
	s_or_b32 exec_lo, exec_lo, s4
	v_mov_b32_e32 v20, s7
	v_mov_b32_e32 v4, s9
	s_clause 0x7
	buffer_load_dword v0, off, s[0:3], 0
	buffer_load_dword v1, off, s[0:3], 0 offset:4
	buffer_load_dword v2, off, s[0:3], 0 offset:8
	;; [unrolled: 1-line block ×3, first 2 shown]
	buffer_load_dword v13, v4, s[0:3], 0 offen
	buffer_load_dword v14, v4, s[0:3], 0 offen offset:4
	buffer_load_dword v15, v4, s[0:3], 0 offen offset:8
	;; [unrolled: 1-line block ×3, first 2 shown]
	v_mov_b32_e32 v4, s6
	s_clause 0x7
	buffer_load_dword v17, v20, s[0:3], 0 offen
	buffer_load_dword v18, v20, s[0:3], 0 offen offset:4
	buffer_load_dword v19, v20, s[0:3], 0 offen offset:8
	;; [unrolled: 1-line block ×3, first 2 shown]
	buffer_load_dword v21, v4, s[0:3], 0 offen
	buffer_load_dword v22, v4, s[0:3], 0 offen offset:4
	buffer_load_dword v23, v4, s[0:3], 0 offen offset:8
	;; [unrolled: 1-line block ×3, first 2 shown]
	s_waitcnt vmcnt(12)
	flat_store_dwordx4 v[7:8], v[0:3]
	s_waitcnt vmcnt(8)
	flat_store_dwordx4 v[11:12], v[13:16]
	;; [unrolled: 2-line block ×4, first 2 shown]
.LBB67_51:
	s_endpgm
	.section	.rodata,"a",@progbits
	.p2align	6, 0x0
	.amdhsa_kernel _ZN9rocsolver6v33100L18trti2_kernel_smallILi4E19rocblas_complex_numIdEPKPS3_EEv13rocblas_fill_17rocblas_diagonal_T1_iil
		.amdhsa_group_segment_fixed_size 128
		.amdhsa_private_segment_fixed_size 80
		.amdhsa_kernarg_size 32
		.amdhsa_user_sgpr_count 6
		.amdhsa_user_sgpr_private_segment_buffer 1
		.amdhsa_user_sgpr_dispatch_ptr 0
		.amdhsa_user_sgpr_queue_ptr 0
		.amdhsa_user_sgpr_kernarg_segment_ptr 1
		.amdhsa_user_sgpr_dispatch_id 0
		.amdhsa_user_sgpr_flat_scratch_init 0
		.amdhsa_user_sgpr_private_segment_size 0
		.amdhsa_wavefront_size32 1
		.amdhsa_uses_dynamic_stack 0
		.amdhsa_system_sgpr_private_segment_wavefront_offset 1
		.amdhsa_system_sgpr_workgroup_id_x 1
		.amdhsa_system_sgpr_workgroup_id_y 0
		.amdhsa_system_sgpr_workgroup_id_z 0
		.amdhsa_system_sgpr_workgroup_info 0
		.amdhsa_system_vgpr_workitem_id 0
		.amdhsa_next_free_vgpr 28
		.amdhsa_next_free_sgpr 14
		.amdhsa_reserve_vcc 1
		.amdhsa_reserve_flat_scratch 1
		.amdhsa_float_round_mode_32 0
		.amdhsa_float_round_mode_16_64 0
		.amdhsa_float_denorm_mode_32 3
		.amdhsa_float_denorm_mode_16_64 3
		.amdhsa_dx10_clamp 1
		.amdhsa_ieee_mode 1
		.amdhsa_fp16_overflow 0
		.amdhsa_workgroup_processor_mode 1
		.amdhsa_memory_ordered 1
		.amdhsa_forward_progress 1
		.amdhsa_shared_vgpr_count 0
		.amdhsa_exception_fp_ieee_invalid_op 0
		.amdhsa_exception_fp_denorm_src 0
		.amdhsa_exception_fp_ieee_div_zero 0
		.amdhsa_exception_fp_ieee_overflow 0
		.amdhsa_exception_fp_ieee_underflow 0
		.amdhsa_exception_fp_ieee_inexact 0
		.amdhsa_exception_int_div_zero 0
	.end_amdhsa_kernel
	.section	.text._ZN9rocsolver6v33100L18trti2_kernel_smallILi4E19rocblas_complex_numIdEPKPS3_EEv13rocblas_fill_17rocblas_diagonal_T1_iil,"axG",@progbits,_ZN9rocsolver6v33100L18trti2_kernel_smallILi4E19rocblas_complex_numIdEPKPS3_EEv13rocblas_fill_17rocblas_diagonal_T1_iil,comdat
.Lfunc_end67:
	.size	_ZN9rocsolver6v33100L18trti2_kernel_smallILi4E19rocblas_complex_numIdEPKPS3_EEv13rocblas_fill_17rocblas_diagonal_T1_iil, .Lfunc_end67-_ZN9rocsolver6v33100L18trti2_kernel_smallILi4E19rocblas_complex_numIdEPKPS3_EEv13rocblas_fill_17rocblas_diagonal_T1_iil
                                        ; -- End function
	.set _ZN9rocsolver6v33100L18trti2_kernel_smallILi4E19rocblas_complex_numIdEPKPS3_EEv13rocblas_fill_17rocblas_diagonal_T1_iil.num_vgpr, 28
	.set _ZN9rocsolver6v33100L18trti2_kernel_smallILi4E19rocblas_complex_numIdEPKPS3_EEv13rocblas_fill_17rocblas_diagonal_T1_iil.num_agpr, 0
	.set _ZN9rocsolver6v33100L18trti2_kernel_smallILi4E19rocblas_complex_numIdEPKPS3_EEv13rocblas_fill_17rocblas_diagonal_T1_iil.numbered_sgpr, 14
	.set _ZN9rocsolver6v33100L18trti2_kernel_smallILi4E19rocblas_complex_numIdEPKPS3_EEv13rocblas_fill_17rocblas_diagonal_T1_iil.num_named_barrier, 0
	.set _ZN9rocsolver6v33100L18trti2_kernel_smallILi4E19rocblas_complex_numIdEPKPS3_EEv13rocblas_fill_17rocblas_diagonal_T1_iil.private_seg_size, 80
	.set _ZN9rocsolver6v33100L18trti2_kernel_smallILi4E19rocblas_complex_numIdEPKPS3_EEv13rocblas_fill_17rocblas_diagonal_T1_iil.uses_vcc, 1
	.set _ZN9rocsolver6v33100L18trti2_kernel_smallILi4E19rocblas_complex_numIdEPKPS3_EEv13rocblas_fill_17rocblas_diagonal_T1_iil.uses_flat_scratch, 1
	.set _ZN9rocsolver6v33100L18trti2_kernel_smallILi4E19rocblas_complex_numIdEPKPS3_EEv13rocblas_fill_17rocblas_diagonal_T1_iil.has_dyn_sized_stack, 0
	.set _ZN9rocsolver6v33100L18trti2_kernel_smallILi4E19rocblas_complex_numIdEPKPS3_EEv13rocblas_fill_17rocblas_diagonal_T1_iil.has_recursion, 0
	.set _ZN9rocsolver6v33100L18trti2_kernel_smallILi4E19rocblas_complex_numIdEPKPS3_EEv13rocblas_fill_17rocblas_diagonal_T1_iil.has_indirect_call, 0
	.section	.AMDGPU.csdata,"",@progbits
; Kernel info:
; codeLenInByte = 3460
; TotalNumSgprs: 16
; NumVgprs: 28
; ScratchSize: 80
; MemoryBound: 0
; FloatMode: 240
; IeeeMode: 1
; LDSByteSize: 128 bytes/workgroup (compile time only)
; SGPRBlocks: 0
; VGPRBlocks: 3
; NumSGPRsForWavesPerEU: 16
; NumVGPRsForWavesPerEU: 28
; Occupancy: 16
; WaveLimiterHint : 1
; COMPUTE_PGM_RSRC2:SCRATCH_EN: 1
; COMPUTE_PGM_RSRC2:USER_SGPR: 6
; COMPUTE_PGM_RSRC2:TRAP_HANDLER: 0
; COMPUTE_PGM_RSRC2:TGID_X_EN: 1
; COMPUTE_PGM_RSRC2:TGID_Y_EN: 0
; COMPUTE_PGM_RSRC2:TGID_Z_EN: 0
; COMPUTE_PGM_RSRC2:TIDIG_COMP_CNT: 0
	.section	.text._ZN9rocsolver6v33100L18trti2_kernel_smallILi5E19rocblas_complex_numIdEPKPS3_EEv13rocblas_fill_17rocblas_diagonal_T1_iil,"axG",@progbits,_ZN9rocsolver6v33100L18trti2_kernel_smallILi5E19rocblas_complex_numIdEPKPS3_EEv13rocblas_fill_17rocblas_diagonal_T1_iil,comdat
	.globl	_ZN9rocsolver6v33100L18trti2_kernel_smallILi5E19rocblas_complex_numIdEPKPS3_EEv13rocblas_fill_17rocblas_diagonal_T1_iil ; -- Begin function _ZN9rocsolver6v33100L18trti2_kernel_smallILi5E19rocblas_complex_numIdEPKPS3_EEv13rocblas_fill_17rocblas_diagonal_T1_iil
	.p2align	8
	.type	_ZN9rocsolver6v33100L18trti2_kernel_smallILi5E19rocblas_complex_numIdEPKPS3_EEv13rocblas_fill_17rocblas_diagonal_T1_iil,@function
_ZN9rocsolver6v33100L18trti2_kernel_smallILi5E19rocblas_complex_numIdEPKPS3_EEv13rocblas_fill_17rocblas_diagonal_T1_iil: ; @_ZN9rocsolver6v33100L18trti2_kernel_smallILi5E19rocblas_complex_numIdEPKPS3_EEv13rocblas_fill_17rocblas_diagonal_T1_iil
; %bb.0:
	s_add_u32 s0, s0, s7
	s_addc_u32 s1, s1, 0
	s_mov_b32 s7, exec_lo
	v_cmpx_gt_u32_e32 5, v0
	s_cbranch_execz .LBB68_67
; %bb.1:
	s_clause 0x1
	s_load_dwordx2 s[12:13], s[4:5], 0x10
	s_load_dwordx4 s[8:11], s[4:5], 0x0
	s_ashr_i32 s7, s6, 31
	v_lshlrev_b32_e32 v21, 4, v0
	s_lshl_b64 s[4:5], s[6:7], 3
	s_waitcnt lgkmcnt(0)
	s_ashr_i32 s7, s12, 31
	s_add_u32 s4, s10, s4
	s_addc_u32 s5, s11, s5
	s_mov_b32 s6, s12
	s_load_dwordx2 s[4:5], s[4:5], 0x0
	s_lshl_b64 s[6:7], s[6:7], 4
	v_add3_u32 v11, s13, s13, v0
	v_ashrrev_i32_e32 v12, 31, v11
	v_add_nc_u32_e32 v13, s13, v11
	v_lshlrev_b64 v[9:10], 4, v[11:12]
	v_ashrrev_i32_e32 v14, 31, v13
	v_lshlrev_b64 v[11:12], 4, v[13:14]
	v_add_nc_u32_e32 v13, s13, v13
	s_waitcnt lgkmcnt(0)
	s_add_u32 s6, s4, s6
	s_addc_u32 s7, s5, s7
	v_add_co_u32 v5, s4, s6, v21
	v_add_co_ci_u32_e64 v6, null, s7, 0, s4
	s_mov_b32 s4, s13
	s_ashr_i32 s5, s13, 31
	v_ashrrev_i32_e32 v14, 31, v13
	flat_load_dwordx4 v[1:4], v[5:6]
	s_lshl_b64 s[4:5], s[4:5], 4
	s_cmpk_lg_i32 s9, 0x84
	v_add_co_u32 v7, vcc_lo, v5, s4
	v_add_co_ci_u32_e64 v8, null, s5, v6, vcc_lo
	v_add_co_u32 v9, vcc_lo, s6, v9
	v_add_co_ci_u32_e64 v10, null, s7, v10, vcc_lo
	;; [unrolled: 2-line block ×3, first 2 shown]
	v_lshlrev_b64 v[13:14], 4, v[13:14]
	s_cselect_b32 s11, -1, 0
	s_cmpk_eq_i32 s9, 0x84
	s_waitcnt vmcnt(0) lgkmcnt(0)
	buffer_store_dword v4, off, s[0:3], 0 offset:12
	buffer_store_dword v3, off, s[0:3], 0 offset:8
	;; [unrolled: 1-line block ×3, first 2 shown]
	buffer_store_dword v1, off, s[0:3], 0
	flat_load_dwordx4 v[1:4], v[7:8]
	v_add_co_u32 v13, vcc_lo, s6, v13
	v_add_co_ci_u32_e64 v14, null, s7, v14, vcc_lo
	s_waitcnt vmcnt(0) lgkmcnt(0)
	buffer_store_dword v4, off, s[0:3], 0 offset:28
	buffer_store_dword v3, off, s[0:3], 0 offset:24
	buffer_store_dword v2, off, s[0:3], 0 offset:20
	buffer_store_dword v1, off, s[0:3], 0 offset:16
	flat_load_dwordx4 v[1:4], v[9:10]
	s_waitcnt vmcnt(0) lgkmcnt(0)
	buffer_store_dword v4, off, s[0:3], 0 offset:44
	buffer_store_dword v3, off, s[0:3], 0 offset:40
	buffer_store_dword v2, off, s[0:3], 0 offset:36
	buffer_store_dword v1, off, s[0:3], 0 offset:32
	flat_load_dwordx4 v[1:4], v[11:12]
	s_waitcnt vmcnt(0) lgkmcnt(0)
	buffer_store_dword v4, off, s[0:3], 0 offset:60
	buffer_store_dword v3, off, s[0:3], 0 offset:56
	buffer_store_dword v2, off, s[0:3], 0 offset:52
	buffer_store_dword v1, off, s[0:3], 0 offset:48
	flat_load_dwordx4 v[1:4], v[13:14]
	s_waitcnt vmcnt(0) lgkmcnt(0)
	buffer_store_dword v4, off, s[0:3], 0 offset:76
	buffer_store_dword v3, off, s[0:3], 0 offset:72
	;; [unrolled: 1-line block ×4, first 2 shown]
	s_cbranch_scc1 .LBB68_7
; %bb.2:
	v_lshl_add_u32 v22, v0, 4, 0
                                        ; implicit-def: $vgpr17_vgpr18
                                        ; implicit-def: $vgpr3_vgpr4
	s_clause 0x3
	buffer_load_dword v15, v22, s[0:3], 0 offen
	buffer_load_dword v16, v22, s[0:3], 0 offen offset:4
	buffer_load_dword v19, v22, s[0:3], 0 offen offset:8
	;; [unrolled: 1-line block ×3, first 2 shown]
	s_waitcnt vmcnt(0)
	v_cmp_ngt_f64_e64 s4, |v[15:16]|, |v[19:20]|
	s_and_saveexec_b32 s5, s4
	s_xor_b32 s4, exec_lo, s5
	s_cbranch_execz .LBB68_4
; %bb.3:
	v_div_scale_f64 v[1:2], null, v[19:20], v[19:20], v[15:16]
	v_div_scale_f64 v[23:24], vcc_lo, v[15:16], v[19:20], v[15:16]
	v_rcp_f64_e32 v[3:4], v[1:2]
	v_fma_f64 v[17:18], -v[1:2], v[3:4], 1.0
	v_fma_f64 v[3:4], v[3:4], v[17:18], v[3:4]
	v_fma_f64 v[17:18], -v[1:2], v[3:4], 1.0
	v_fma_f64 v[3:4], v[3:4], v[17:18], v[3:4]
	v_mul_f64 v[17:18], v[23:24], v[3:4]
	v_fma_f64 v[1:2], -v[1:2], v[17:18], v[23:24]
	v_div_fmas_f64 v[1:2], v[1:2], v[3:4], v[17:18]
	v_div_fixup_f64 v[1:2], v[1:2], v[19:20], v[15:16]
	v_fma_f64 v[3:4], v[15:16], v[1:2], v[19:20]
	v_div_scale_f64 v[15:16], null, v[3:4], v[3:4], 1.0
	v_div_scale_f64 v[23:24], vcc_lo, 1.0, v[3:4], 1.0
	v_rcp_f64_e32 v[17:18], v[15:16]
	v_fma_f64 v[19:20], -v[15:16], v[17:18], 1.0
	v_fma_f64 v[17:18], v[17:18], v[19:20], v[17:18]
	v_fma_f64 v[19:20], -v[15:16], v[17:18], 1.0
	v_fma_f64 v[17:18], v[17:18], v[19:20], v[17:18]
	v_mul_f64 v[19:20], v[23:24], v[17:18]
	v_fma_f64 v[15:16], -v[15:16], v[19:20], v[23:24]
	v_div_fmas_f64 v[15:16], v[15:16], v[17:18], v[19:20]
                                        ; implicit-def: $vgpr19_vgpr20
	v_div_fixup_f64 v[3:4], v[15:16], v[3:4], 1.0
                                        ; implicit-def: $vgpr15_vgpr16
	v_mul_f64 v[17:18], v[1:2], v[3:4]
	v_xor_b32_e32 v4, 0x80000000, v4
	v_xor_b32_e32 v2, 0x80000000, v18
	v_mov_b32_e32 v1, v17
.LBB68_4:
	s_andn2_saveexec_b32 s4, s4
	s_cbranch_execz .LBB68_6
; %bb.5:
	v_div_scale_f64 v[1:2], null, v[15:16], v[15:16], v[19:20]
	v_div_scale_f64 v[23:24], vcc_lo, v[19:20], v[15:16], v[19:20]
	v_rcp_f64_e32 v[3:4], v[1:2]
	v_fma_f64 v[17:18], -v[1:2], v[3:4], 1.0
	v_fma_f64 v[3:4], v[3:4], v[17:18], v[3:4]
	v_fma_f64 v[17:18], -v[1:2], v[3:4], 1.0
	v_fma_f64 v[3:4], v[3:4], v[17:18], v[3:4]
	v_mul_f64 v[17:18], v[23:24], v[3:4]
	v_fma_f64 v[1:2], -v[1:2], v[17:18], v[23:24]
	v_div_fmas_f64 v[1:2], v[1:2], v[3:4], v[17:18]
	v_div_fixup_f64 v[1:2], v[1:2], v[15:16], v[19:20]
	v_fma_f64 v[3:4], v[19:20], v[1:2], v[15:16]
	v_div_scale_f64 v[15:16], null, v[3:4], v[3:4], 1.0
	v_rcp_f64_e32 v[17:18], v[15:16]
	v_fma_f64 v[19:20], -v[15:16], v[17:18], 1.0
	v_fma_f64 v[17:18], v[17:18], v[19:20], v[17:18]
	v_fma_f64 v[19:20], -v[15:16], v[17:18], 1.0
	v_fma_f64 v[17:18], v[17:18], v[19:20], v[17:18]
	v_div_scale_f64 v[19:20], vcc_lo, 1.0, v[3:4], 1.0
	v_mul_f64 v[23:24], v[19:20], v[17:18]
	v_fma_f64 v[15:16], -v[15:16], v[23:24], v[19:20]
	v_div_fmas_f64 v[15:16], v[15:16], v[17:18], v[23:24]
	v_div_fixup_f64 v[17:18], v[15:16], v[3:4], 1.0
	v_mul_f64 v[3:4], v[1:2], -v[17:18]
	v_xor_b32_e32 v2, 0x80000000, v18
	v_mov_b32_e32 v1, v17
.LBB68_6:
	s_or_b32 exec_lo, exec_lo, s4
	buffer_store_dword v4, v22, s[0:3], 0 offen offset:12
	v_xor_b32_e32 v4, 0x80000000, v4
	buffer_store_dword v18, v22, s[0:3], 0 offen offset:4
	buffer_store_dword v17, v22, s[0:3], 0 offen
	buffer_store_dword v3, v22, s[0:3], 0 offen offset:8
	s_branch .LBB68_8
.LBB68_7:
	v_mov_b32_e32 v1, 0
	v_mov_b32_e32 v3, 0
	;; [unrolled: 1-line block ×4, first 2 shown]
.LBB68_8:
	v_add_nc_u32_e32 v16, 0x50, v21
	v_mov_b32_e32 v15, v21
	s_mov_b32 s10, 16
	s_mov_b32 s9, 32
	;; [unrolled: 1-line block ×4, first 2 shown]
	s_cmpk_eq_i32 s8, 0x79
	ds_write_b128 v21, v[1:4]
	s_cbranch_scc1 .LBB68_36
; %bb.9:
	v_mov_b32_e32 v4, s7
	v_cmp_eq_u32_e64 s4, 4, v0
	s_clause 0x3
	buffer_load_dword v1, v4, s[0:3], 0 offen
	buffer_load_dword v2, v4, s[0:3], 0 offen offset:4
	buffer_load_dword v3, v4, s[0:3], 0 offen offset:8
	;; [unrolled: 1-line block ×3, first 2 shown]
	s_waitcnt vmcnt(0)
	ds_write_b128 v16, v[1:4]
	s_waitcnt lgkmcnt(0)
	s_waitcnt_vscnt null, 0x0
	s_barrier
	buffer_gl0_inv
	s_and_saveexec_b32 s5, s4
	s_cbranch_execz .LBB68_13
; %bb.10:
	ds_read_b128 v[1:4], v16
	s_andn2_b32 vcc_lo, exec_lo, s11
	s_cbranch_vccnz .LBB68_12
; %bb.11:
	s_clause 0x3
	buffer_load_dword v17, v15, s[0:3], 0 offen offset:8
	buffer_load_dword v18, v15, s[0:3], 0 offen offset:12
	buffer_load_dword v19, v15, s[0:3], 0 offen
	buffer_load_dword v20, v15, s[0:3], 0 offen offset:4
	s_waitcnt vmcnt(2) lgkmcnt(0)
	v_mul_f64 v[22:23], v[3:4], v[17:18]
	v_mul_f64 v[17:18], v[1:2], v[17:18]
	s_waitcnt vmcnt(0)
	v_fma_f64 v[1:2], v[1:2], v[19:20], -v[22:23]
	v_fma_f64 v[3:4], v[3:4], v[19:20], v[17:18]
.LBB68_12:
	v_mov_b32_e32 v17, 0
	ds_read_b128 v[17:20], v17 offset:48
	s_waitcnt lgkmcnt(0)
	v_mul_f64 v[22:23], v[3:4], v[19:20]
	v_mul_f64 v[19:20], v[1:2], v[19:20]
	v_fma_f64 v[1:2], v[1:2], v[17:18], -v[22:23]
	v_fma_f64 v[3:4], v[3:4], v[17:18], v[19:20]
	buffer_store_dword v2, off, s[0:3], 0 offset:52
	buffer_store_dword v1, off, s[0:3], 0 offset:48
	;; [unrolled: 1-line block ×4, first 2 shown]
.LBB68_13:
	s_or_b32 exec_lo, exec_lo, s5
	v_mov_b32_e32 v4, s9
	v_cmp_lt_u32_e64 s5, 2, v0
	s_clause 0x3
	buffer_load_dword v1, v4, s[0:3], 0 offen
	buffer_load_dword v2, v4, s[0:3], 0 offen offset:4
	buffer_load_dword v3, v4, s[0:3], 0 offen offset:8
	;; [unrolled: 1-line block ×3, first 2 shown]
	s_waitcnt vmcnt(0)
	ds_write_b128 v16, v[1:4]
	s_waitcnt lgkmcnt(0)
	s_waitcnt_vscnt null, 0x0
	s_barrier
	buffer_gl0_inv
	s_and_saveexec_b32 s8, s5
	s_cbranch_execz .LBB68_19
; %bb.14:
	ds_read_b128 v[1:4], v16
	s_andn2_b32 vcc_lo, exec_lo, s11
	s_cbranch_vccnz .LBB68_16
; %bb.15:
	s_clause 0x3
	buffer_load_dword v17, v15, s[0:3], 0 offen offset:8
	buffer_load_dword v18, v15, s[0:3], 0 offen offset:12
	buffer_load_dword v19, v15, s[0:3], 0 offen
	buffer_load_dword v20, v15, s[0:3], 0 offen offset:4
	s_waitcnt vmcnt(2) lgkmcnt(0)
	v_mul_f64 v[22:23], v[3:4], v[17:18]
	v_mul_f64 v[17:18], v[1:2], v[17:18]
	s_waitcnt vmcnt(0)
	v_fma_f64 v[1:2], v[1:2], v[19:20], -v[22:23]
	v_fma_f64 v[3:4], v[3:4], v[19:20], v[17:18]
.LBB68_16:
	s_and_saveexec_b32 s12, s4
	s_cbranch_execz .LBB68_18
; %bb.17:
	s_clause 0x3
	buffer_load_dword v22, off, s[0:3], 0 offset:56
	buffer_load_dword v23, off, s[0:3], 0 offset:60
	buffer_load_dword v24, off, s[0:3], 0 offset:48
	buffer_load_dword v25, off, s[0:3], 0 offset:52
	v_mov_b32_e32 v17, 0
	ds_read_b128 v[17:20], v17 offset:128
	s_waitcnt vmcnt(2) lgkmcnt(0)
	v_mul_f64 v[26:27], v[17:18], v[22:23]
	v_mul_f64 v[22:23], v[19:20], v[22:23]
	s_waitcnt vmcnt(0)
	v_fma_f64 v[19:20], v[19:20], v[24:25], v[26:27]
	v_fma_f64 v[17:18], v[17:18], v[24:25], -v[22:23]
	v_add_f64 v[3:4], v[3:4], v[19:20]
	v_add_f64 v[1:2], v[1:2], v[17:18]
.LBB68_18:
	s_or_b32 exec_lo, exec_lo, s12
	v_mov_b32_e32 v17, 0
	ds_read_b128 v[17:20], v17 offset:32
	s_waitcnt lgkmcnt(0)
	v_mul_f64 v[22:23], v[3:4], v[19:20]
	v_mul_f64 v[19:20], v[1:2], v[19:20]
	v_fma_f64 v[1:2], v[1:2], v[17:18], -v[22:23]
	v_fma_f64 v[3:4], v[3:4], v[17:18], v[19:20]
	buffer_store_dword v2, off, s[0:3], 0 offset:36
	buffer_store_dword v1, off, s[0:3], 0 offset:32
	;; [unrolled: 1-line block ×4, first 2 shown]
.LBB68_19:
	s_or_b32 exec_lo, exec_lo, s8
	v_mov_b32_e32 v4, s10
	v_cmp_lt_u32_e64 s4, 1, v0
	s_clause 0x3
	buffer_load_dword v1, v4, s[0:3], 0 offen
	buffer_load_dword v2, v4, s[0:3], 0 offen offset:4
	buffer_load_dword v3, v4, s[0:3], 0 offen offset:8
	buffer_load_dword v4, v4, s[0:3], 0 offen offset:12
	s_waitcnt vmcnt(0)
	ds_write_b128 v16, v[1:4]
	s_waitcnt lgkmcnt(0)
	s_waitcnt_vscnt null, 0x0
	s_barrier
	buffer_gl0_inv
	s_and_saveexec_b32 s8, s4
	s_cbranch_execz .LBB68_27
; %bb.20:
	ds_read_b128 v[1:4], v16
	s_andn2_b32 vcc_lo, exec_lo, s11
	s_cbranch_vccnz .LBB68_22
; %bb.21:
	s_clause 0x3
	buffer_load_dword v17, v15, s[0:3], 0 offen offset:8
	buffer_load_dword v18, v15, s[0:3], 0 offen offset:12
	buffer_load_dword v19, v15, s[0:3], 0 offen
	buffer_load_dword v20, v15, s[0:3], 0 offen offset:4
	s_waitcnt vmcnt(2) lgkmcnt(0)
	v_mul_f64 v[22:23], v[3:4], v[17:18]
	v_mul_f64 v[17:18], v[1:2], v[17:18]
	s_waitcnt vmcnt(0)
	v_fma_f64 v[1:2], v[1:2], v[19:20], -v[22:23]
	v_fma_f64 v[3:4], v[3:4], v[19:20], v[17:18]
.LBB68_22:
	s_and_saveexec_b32 s12, s5
	s_cbranch_execz .LBB68_26
; %bb.23:
	v_add_nc_u32_e32 v17, -2, v0
	s_movk_i32 s13, 0x70
	s_mov_b32 s5, 0
	s_mov_b32 s14, s9
	.p2align	6
.LBB68_24:                              ; =>This Inner Loop Header: Depth=1
	v_mov_b32_e32 v20, s14
	v_add_nc_u32_e32 v17, -1, v17
	s_add_i32 s14, s14, 16
	s_clause 0x3
	buffer_load_dword v18, v20, s[0:3], 0 offen offset:8
	buffer_load_dword v19, v20, s[0:3], 0 offen offset:12
	buffer_load_dword v26, v20, s[0:3], 0 offen
	buffer_load_dword v27, v20, s[0:3], 0 offen offset:4
	v_mov_b32_e32 v20, s13
	v_cmp_eq_u32_e32 vcc_lo, 0, v17
	s_add_i32 s13, s13, 16
	ds_read_b128 v[22:25], v20
	s_or_b32 s5, vcc_lo, s5
	s_waitcnt vmcnt(2) lgkmcnt(0)
	v_mul_f64 v[28:29], v[24:25], v[18:19]
	v_mul_f64 v[18:19], v[22:23], v[18:19]
	s_waitcnt vmcnt(0)
	v_fma_f64 v[22:23], v[22:23], v[26:27], -v[28:29]
	v_fma_f64 v[18:19], v[24:25], v[26:27], v[18:19]
	v_add_f64 v[1:2], v[1:2], v[22:23]
	v_add_f64 v[3:4], v[3:4], v[18:19]
	s_andn2_b32 exec_lo, exec_lo, s5
	s_cbranch_execnz .LBB68_24
; %bb.25:
	s_or_b32 exec_lo, exec_lo, s5
.LBB68_26:
	s_or_b32 exec_lo, exec_lo, s12
	v_mov_b32_e32 v17, 0
	ds_read_b128 v[17:20], v17 offset:16
	s_waitcnt lgkmcnt(0)
	v_mul_f64 v[22:23], v[3:4], v[19:20]
	v_mul_f64 v[19:20], v[1:2], v[19:20]
	v_fma_f64 v[1:2], v[1:2], v[17:18], -v[22:23]
	v_fma_f64 v[3:4], v[3:4], v[17:18], v[19:20]
	buffer_store_dword v2, off, s[0:3], 0 offset:20
	buffer_store_dword v1, off, s[0:3], 0 offset:16
	;; [unrolled: 1-line block ×4, first 2 shown]
.LBB68_27:
	s_or_b32 exec_lo, exec_lo, s8
	s_clause 0x3
	buffer_load_dword v1, off, s[0:3], 0
	buffer_load_dword v2, off, s[0:3], 0 offset:4
	buffer_load_dword v3, off, s[0:3], 0 offset:8
	;; [unrolled: 1-line block ×3, first 2 shown]
	s_mov_b32 s5, 0
	s_mov_b32 s8, 0
	s_mov_b32 s12, exec_lo
                                        ; implicit-def: $sgpr13
	s_waitcnt vmcnt(0)
	ds_write_b128 v16, v[1:4]
	s_waitcnt lgkmcnt(0)
	s_waitcnt_vscnt null, 0x0
	s_barrier
	buffer_gl0_inv
                                        ; implicit-def: $vgpr1_vgpr2
	v_cmpx_ne_u32_e32 0, v0
	s_cbranch_execz .LBB68_35
; %bb.28:
	ds_read_b128 v[1:4], v16
	s_andn2_b32 vcc_lo, exec_lo, s11
	s_cbranch_vccnz .LBB68_30
; %bb.29:
	s_clause 0x3
	buffer_load_dword v17, v15, s[0:3], 0 offen offset:8
	buffer_load_dword v18, v15, s[0:3], 0 offen offset:12
	buffer_load_dword v19, v15, s[0:3], 0 offen
	buffer_load_dword v20, v15, s[0:3], 0 offen offset:4
	s_waitcnt vmcnt(2) lgkmcnt(0)
	v_mul_f64 v[22:23], v[3:4], v[17:18]
	v_mul_f64 v[17:18], v[1:2], v[17:18]
	s_waitcnt vmcnt(0)
	v_fma_f64 v[1:2], v[1:2], v[19:20], -v[22:23]
	v_fma_f64 v[3:4], v[3:4], v[19:20], v[17:18]
.LBB68_30:
	s_and_saveexec_b32 s8, s4
	s_cbranch_execz .LBB68_34
; %bb.31:
	v_add_nc_u32_e32 v17, -1, v0
	s_movk_i32 s13, 0x60
	s_mov_b32 s4, 0
	s_mov_b32 s14, s10
	.p2align	6
.LBB68_32:                              ; =>This Inner Loop Header: Depth=1
	v_mov_b32_e32 v20, s14
	v_add_nc_u32_e32 v17, -1, v17
	s_add_i32 s14, s14, 16
	s_clause 0x3
	buffer_load_dword v18, v20, s[0:3], 0 offen offset:8
	buffer_load_dword v19, v20, s[0:3], 0 offen offset:12
	buffer_load_dword v26, v20, s[0:3], 0 offen
	buffer_load_dword v27, v20, s[0:3], 0 offen offset:4
	v_mov_b32_e32 v20, s13
	v_cmp_eq_u32_e32 vcc_lo, 0, v17
	s_add_i32 s13, s13, 16
	ds_read_b128 v[22:25], v20
	s_or_b32 s4, vcc_lo, s4
	s_waitcnt vmcnt(2) lgkmcnt(0)
	v_mul_f64 v[28:29], v[24:25], v[18:19]
	v_mul_f64 v[18:19], v[22:23], v[18:19]
	s_waitcnt vmcnt(0)
	v_fma_f64 v[22:23], v[22:23], v[26:27], -v[28:29]
	v_fma_f64 v[18:19], v[24:25], v[26:27], v[18:19]
	v_add_f64 v[1:2], v[1:2], v[22:23]
	v_add_f64 v[3:4], v[3:4], v[18:19]
	s_andn2_b32 exec_lo, exec_lo, s4
	s_cbranch_execnz .LBB68_32
; %bb.33:
	s_or_b32 exec_lo, exec_lo, s4
.LBB68_34:
	s_or_b32 exec_lo, exec_lo, s8
	v_mov_b32_e32 v17, 0
	s_mov_b32 s8, exec_lo
	s_or_b32 s13, 0, 8
	ds_read_b128 v[17:20], v17
	s_waitcnt lgkmcnt(0)
	v_mul_f64 v[22:23], v[3:4], v[19:20]
	v_mul_f64 v[19:20], v[1:2], v[19:20]
	v_fma_f64 v[22:23], v[1:2], v[17:18], -v[22:23]
	v_fma_f64 v[1:2], v[3:4], v[17:18], v[19:20]
	buffer_store_dword v23, off, s[0:3], 0 offset:4
	buffer_store_dword v22, off, s[0:3], 0
.LBB68_35:
	s_or_b32 exec_lo, exec_lo, s12
	s_and_b32 vcc_lo, exec_lo, s5
	s_cbranch_vccnz .LBB68_37
	s_branch .LBB68_64
.LBB68_36:
	s_mov_b32 s8, 0
                                        ; implicit-def: $vgpr1_vgpr2
                                        ; implicit-def: $sgpr13
	s_cbranch_execz .LBB68_64
.LBB68_37:
	v_mov_b32_e32 v4, s10
	v_cmp_eq_u32_e64 s4, 0, v0
	v_cndmask_b32_e64 v17, 0, 1, s11
	s_clause 0x3
	buffer_load_dword v1, v4, s[0:3], 0 offen
	buffer_load_dword v2, v4, s[0:3], 0 offen offset:4
	buffer_load_dword v3, v4, s[0:3], 0 offen offset:8
	;; [unrolled: 1-line block ×3, first 2 shown]
	s_waitcnt vmcnt(0)
	ds_write_b128 v16, v[1:4]
	s_waitcnt lgkmcnt(0)
	s_waitcnt_vscnt null, 0x0
	s_barrier
	buffer_gl0_inv
	s_and_saveexec_b32 s5, s4
	s_cbranch_execz .LBB68_41
; %bb.38:
	ds_read_b128 v[1:4], v16
	s_andn2_b32 vcc_lo, exec_lo, s11
	s_cbranch_vccnz .LBB68_40
; %bb.39:
	s_clause 0x3
	buffer_load_dword v18, v15, s[0:3], 0 offen offset:8
	buffer_load_dword v19, v15, s[0:3], 0 offen offset:12
	buffer_load_dword v22, v15, s[0:3], 0 offen
	buffer_load_dword v23, v15, s[0:3], 0 offen offset:4
	s_waitcnt vmcnt(2) lgkmcnt(0)
	v_mul_f64 v[24:25], v[3:4], v[18:19]
	v_mul_f64 v[18:19], v[1:2], v[18:19]
	s_waitcnt vmcnt(0)
	v_fma_f64 v[1:2], v[1:2], v[22:23], -v[24:25]
	v_fma_f64 v[3:4], v[3:4], v[22:23], v[18:19]
.LBB68_40:
	v_mov_b32_e32 v18, 0
	ds_read_b128 v[22:25], v18 offset:16
	s_waitcnt lgkmcnt(0)
	v_mul_f64 v[18:19], v[3:4], v[24:25]
	v_mul_f64 v[24:25], v[1:2], v[24:25]
	v_fma_f64 v[1:2], v[1:2], v[22:23], -v[18:19]
	v_fma_f64 v[3:4], v[3:4], v[22:23], v[24:25]
	buffer_store_dword v2, off, s[0:3], 0 offset:20
	buffer_store_dword v1, off, s[0:3], 0 offset:16
	;; [unrolled: 1-line block ×4, first 2 shown]
.LBB68_41:
	s_or_b32 exec_lo, exec_lo, s5
	v_mov_b32_e32 v4, s9
	s_mov_b32 s5, exec_lo
	s_clause 0x3
	buffer_load_dword v1, v4, s[0:3], 0 offen
	buffer_load_dword v2, v4, s[0:3], 0 offen offset:4
	buffer_load_dword v3, v4, s[0:3], 0 offen offset:8
	;; [unrolled: 1-line block ×3, first 2 shown]
	s_waitcnt vmcnt(0)
	ds_write_b128 v16, v[1:4]
	s_waitcnt lgkmcnt(0)
	s_waitcnt_vscnt null, 0x0
	s_barrier
	buffer_gl0_inv
	v_cmpx_gt_u32_e32 2, v0
	s_cbranch_execz .LBB68_47
; %bb.42:
	ds_read_b128 v[1:4], v16
	v_cmp_ne_u32_e32 vcc_lo, 1, v17
	s_cbranch_vccnz .LBB68_44
; %bb.43:
	s_clause 0x3
	buffer_load_dword v18, v15, s[0:3], 0 offen offset:8
	buffer_load_dword v19, v15, s[0:3], 0 offen offset:12
	buffer_load_dword v22, v15, s[0:3], 0 offen
	buffer_load_dword v23, v15, s[0:3], 0 offen offset:4
	s_waitcnt vmcnt(2) lgkmcnt(0)
	v_mul_f64 v[24:25], v[3:4], v[18:19]
	v_mul_f64 v[18:19], v[1:2], v[18:19]
	s_waitcnt vmcnt(0)
	v_fma_f64 v[1:2], v[1:2], v[22:23], -v[24:25]
	v_fma_f64 v[3:4], v[3:4], v[22:23], v[18:19]
.LBB68_44:
	s_and_saveexec_b32 s11, s4
	s_cbranch_execz .LBB68_46
; %bb.45:
	s_clause 0x3
	buffer_load_dword v18, off, s[0:3], 0 offset:24
	buffer_load_dword v19, off, s[0:3], 0 offset:28
	;; [unrolled: 1-line block ×4, first 2 shown]
	v_mov_b32_e32 v20, 0
	ds_read_b128 v[22:25], v20 offset:96
	s_waitcnt vmcnt(2) lgkmcnt(0)
	v_mul_f64 v[28:29], v[24:25], v[18:19]
	v_mul_f64 v[18:19], v[22:23], v[18:19]
	s_waitcnt vmcnt(0)
	v_fma_f64 v[22:23], v[22:23], v[26:27], -v[28:29]
	v_fma_f64 v[18:19], v[24:25], v[26:27], v[18:19]
	v_add_f64 v[1:2], v[1:2], v[22:23]
	v_add_f64 v[3:4], v[3:4], v[18:19]
.LBB68_46:
	s_or_b32 exec_lo, exec_lo, s11
	v_mov_b32_e32 v18, 0
	ds_read_b128 v[22:25], v18 offset:32
	s_waitcnt lgkmcnt(0)
	v_mul_f64 v[18:19], v[3:4], v[24:25]
	v_mul_f64 v[24:25], v[1:2], v[24:25]
	v_fma_f64 v[1:2], v[1:2], v[22:23], -v[18:19]
	v_fma_f64 v[3:4], v[3:4], v[22:23], v[24:25]
	buffer_store_dword v2, off, s[0:3], 0 offset:36
	buffer_store_dword v1, off, s[0:3], 0 offset:32
	;; [unrolled: 1-line block ×4, first 2 shown]
.LBB68_47:
	s_or_b32 exec_lo, exec_lo, s5
	v_mov_b32_e32 v4, s7
	v_cmp_gt_u32_e64 s5, 3, v0
	s_clause 0x3
	buffer_load_dword v1, v4, s[0:3], 0 offen
	buffer_load_dword v2, v4, s[0:3], 0 offen offset:4
	buffer_load_dword v3, v4, s[0:3], 0 offen offset:8
	;; [unrolled: 1-line block ×3, first 2 shown]
	s_waitcnt vmcnt(0)
	ds_write_b128 v16, v[1:4]
	s_waitcnt lgkmcnt(0)
	s_waitcnt_vscnt null, 0x0
	s_barrier
	buffer_gl0_inv
	s_and_saveexec_b32 s11, s5
	s_cbranch_execz .LBB68_55
; %bb.48:
	ds_read_b128 v[1:4], v16
	v_cmp_ne_u32_e32 vcc_lo, 1, v17
	s_cbranch_vccnz .LBB68_50
; %bb.49:
	s_clause 0x3
	buffer_load_dword v18, v15, s[0:3], 0 offen offset:8
	buffer_load_dword v19, v15, s[0:3], 0 offen offset:12
	buffer_load_dword v22, v15, s[0:3], 0 offen
	buffer_load_dword v23, v15, s[0:3], 0 offen offset:4
	s_waitcnt vmcnt(2) lgkmcnt(0)
	v_mul_f64 v[24:25], v[3:4], v[18:19]
	v_mul_f64 v[18:19], v[1:2], v[18:19]
	s_waitcnt vmcnt(0)
	v_fma_f64 v[1:2], v[1:2], v[22:23], -v[24:25]
	v_fma_f64 v[3:4], v[3:4], v[22:23], v[18:19]
.LBB68_50:
	s_mov_b32 s12, exec_lo
	v_cmpx_ne_u32_e32 2, v0
	s_cbranch_execz .LBB68_54
; %bb.51:
	s_clause 0x3
	buffer_load_dword v18, v15, s[0:3], 0 offen offset:24
	buffer_load_dword v19, v15, s[0:3], 0 offen offset:28
	;; [unrolled: 1-line block ×4, first 2 shown]
	ds_read_b128 v[22:25], v16 offset:16
	s_waitcnt vmcnt(2) lgkmcnt(0)
	v_mul_f64 v[28:29], v[24:25], v[18:19]
	v_mul_f64 v[18:19], v[22:23], v[18:19]
	s_waitcnt vmcnt(0)
	v_fma_f64 v[22:23], v[22:23], v[26:27], -v[28:29]
	v_fma_f64 v[18:19], v[24:25], v[26:27], v[18:19]
	v_add_f64 v[1:2], v[1:2], v[22:23]
	v_add_f64 v[3:4], v[3:4], v[18:19]
	s_and_saveexec_b32 s13, s4
	s_cbranch_execz .LBB68_53
; %bb.52:
	s_clause 0x3
	buffer_load_dword v18, off, s[0:3], 0 offset:40
	buffer_load_dword v19, off, s[0:3], 0 offset:44
	buffer_load_dword v26, off, s[0:3], 0 offset:32
	buffer_load_dword v27, off, s[0:3], 0 offset:36
	v_mov_b32_e32 v20, 0
	ds_read_b128 v[22:25], v20 offset:112
	s_waitcnt vmcnt(2) lgkmcnt(0)
	v_mul_f64 v[28:29], v[22:23], v[18:19]
	v_mul_f64 v[18:19], v[24:25], v[18:19]
	s_waitcnt vmcnt(0)
	v_fma_f64 v[24:25], v[24:25], v[26:27], v[28:29]
	v_fma_f64 v[18:19], v[22:23], v[26:27], -v[18:19]
	v_add_f64 v[3:4], v[3:4], v[24:25]
	v_add_f64 v[1:2], v[1:2], v[18:19]
.LBB68_53:
	s_or_b32 exec_lo, exec_lo, s13
.LBB68_54:
	s_or_b32 exec_lo, exec_lo, s12
	v_mov_b32_e32 v18, 0
	ds_read_b128 v[22:25], v18 offset:48
	s_waitcnt lgkmcnt(0)
	v_mul_f64 v[18:19], v[3:4], v[24:25]
	v_mul_f64 v[24:25], v[1:2], v[24:25]
	v_fma_f64 v[1:2], v[1:2], v[22:23], -v[18:19]
	v_fma_f64 v[3:4], v[3:4], v[22:23], v[24:25]
	buffer_store_dword v2, off, s[0:3], 0 offset:52
	buffer_store_dword v1, off, s[0:3], 0 offset:48
	;; [unrolled: 1-line block ×4, first 2 shown]
.LBB68_55:
	s_or_b32 exec_lo, exec_lo, s11
	v_mov_b32_e32 v4, s6
	s_mov_b32 s4, exec_lo
                                        ; implicit-def: $sgpr13
	s_clause 0x3
	buffer_load_dword v1, v4, s[0:3], 0 offen
	buffer_load_dword v2, v4, s[0:3], 0 offen offset:4
	buffer_load_dword v3, v4, s[0:3], 0 offen offset:8
	;; [unrolled: 1-line block ×3, first 2 shown]
	s_waitcnt vmcnt(0)
	ds_write_b128 v16, v[1:4]
	s_waitcnt lgkmcnt(0)
	s_waitcnt_vscnt null, 0x0
	s_barrier
	buffer_gl0_inv
                                        ; implicit-def: $vgpr1_vgpr2
	v_cmpx_ne_u32_e32 4, v0
	s_cbranch_execz .LBB68_63
; %bb.56:
	ds_read_b128 v[1:4], v16
	v_cmp_ne_u32_e32 vcc_lo, 1, v17
	s_cbranch_vccnz .LBB68_58
; %bb.57:
	s_clause 0x3
	buffer_load_dword v16, v15, s[0:3], 0 offen offset:8
	buffer_load_dword v17, v15, s[0:3], 0 offen offset:12
	buffer_load_dword v18, v15, s[0:3], 0 offen
	buffer_load_dword v19, v15, s[0:3], 0 offen offset:4
	s_waitcnt vmcnt(2) lgkmcnt(0)
	v_mul_f64 v[22:23], v[3:4], v[16:17]
	v_mul_f64 v[15:16], v[1:2], v[16:17]
	s_waitcnt vmcnt(0)
	v_fma_f64 v[1:2], v[1:2], v[18:19], -v[22:23]
	v_fma_f64 v[3:4], v[3:4], v[18:19], v[15:16]
.LBB68_58:
	s_and_saveexec_b32 s11, s5
	s_cbranch_execz .LBB68_62
; %bb.59:
	v_add_nc_u32_e32 v15, 0x60, v21
	v_add3_u32 v16, 0, v21, 16
	s_mov_b32 s5, 0
	.p2align	6
.LBB68_60:                              ; =>This Inner Loop Header: Depth=1
	s_clause 0x3
	buffer_load_dword v21, v16, s[0:3], 0 offen offset:8
	buffer_load_dword v22, v16, s[0:3], 0 offen offset:12
	buffer_load_dword v23, v16, s[0:3], 0 offen
	buffer_load_dword v24, v16, s[0:3], 0 offen offset:4
	ds_read_b128 v[17:20], v15
	v_add_nc_u32_e32 v0, 1, v0
	v_add_nc_u32_e32 v15, 16, v15
	;; [unrolled: 1-line block ×3, first 2 shown]
	v_cmp_lt_u32_e32 vcc_lo, 2, v0
	s_or_b32 s5, vcc_lo, s5
	s_waitcnt vmcnt(2) lgkmcnt(0)
	v_mul_f64 v[25:26], v[19:20], v[21:22]
	v_mul_f64 v[21:22], v[17:18], v[21:22]
	s_waitcnt vmcnt(0)
	v_fma_f64 v[17:18], v[17:18], v[23:24], -v[25:26]
	v_fma_f64 v[19:20], v[19:20], v[23:24], v[21:22]
	v_add_f64 v[1:2], v[1:2], v[17:18]
	v_add_f64 v[3:4], v[3:4], v[19:20]
	s_andn2_b32 exec_lo, exec_lo, s5
	s_cbranch_execnz .LBB68_60
; %bb.61:
	s_or_b32 exec_lo, exec_lo, s5
.LBB68_62:
	s_or_b32 exec_lo, exec_lo, s11
	v_mov_b32_e32 v0, 0
	s_movk_i32 s13, 0x48
	s_or_b32 s8, s8, exec_lo
	ds_read_b128 v[15:18], v0 offset:64
	s_waitcnt lgkmcnt(0)
	v_mul_f64 v[19:20], v[3:4], v[17:18]
	v_mul_f64 v[17:18], v[1:2], v[17:18]
	v_fma_f64 v[19:20], v[1:2], v[15:16], -v[19:20]
	v_fma_f64 v[1:2], v[3:4], v[15:16], v[17:18]
	buffer_store_dword v20, off, s[0:3], 0 offset:68
	buffer_store_dword v19, off, s[0:3], 0 offset:64
.LBB68_63:
	s_or_b32 exec_lo, exec_lo, s4
.LBB68_64:
	s_and_saveexec_b32 s4, s8
	s_cbranch_execz .LBB68_66
; %bb.65:
	v_mov_b32_e32 v0, s13
	buffer_store_dword v2, v0, s[0:3], 0 offen offset:4
	buffer_store_dword v1, v0, s[0:3], 0 offen
.LBB68_66:
	s_or_b32 exec_lo, exec_lo, s4
	s_clause 0x3
	buffer_load_dword v0, off, s[0:3], 0
	buffer_load_dword v1, off, s[0:3], 0 offset:4
	buffer_load_dword v2, off, s[0:3], 0 offset:8
	;; [unrolled: 1-line block ×3, first 2 shown]
	v_mov_b32_e32 v4, s10
	s_waitcnt vmcnt(0)
	flat_store_dwordx4 v[5:6], v[0:3]
	s_clause 0x3
	buffer_load_dword v0, v4, s[0:3], 0 offen
	buffer_load_dword v1, v4, s[0:3], 0 offen offset:4
	buffer_load_dword v2, v4, s[0:3], 0 offen offset:8
	buffer_load_dword v3, v4, s[0:3], 0 offen offset:12
	v_mov_b32_e32 v4, s9
	s_waitcnt vmcnt(0)
	flat_store_dwordx4 v[7:8], v[0:3]
	s_clause 0x3
	buffer_load_dword v0, v4, s[0:3], 0 offen
	buffer_load_dword v1, v4, s[0:3], 0 offen offset:4
	buffer_load_dword v2, v4, s[0:3], 0 offen offset:8
	buffer_load_dword v3, v4, s[0:3], 0 offen offset:12
	;; [unrolled: 8-line block ×4, first 2 shown]
	s_waitcnt vmcnt(0)
	flat_store_dwordx4 v[13:14], v[0:3]
.LBB68_67:
	s_endpgm
	.section	.rodata,"a",@progbits
	.p2align	6, 0x0
	.amdhsa_kernel _ZN9rocsolver6v33100L18trti2_kernel_smallILi5E19rocblas_complex_numIdEPKPS3_EEv13rocblas_fill_17rocblas_diagonal_T1_iil
		.amdhsa_group_segment_fixed_size 160
		.amdhsa_private_segment_fixed_size 96
		.amdhsa_kernarg_size 32
		.amdhsa_user_sgpr_count 6
		.amdhsa_user_sgpr_private_segment_buffer 1
		.amdhsa_user_sgpr_dispatch_ptr 0
		.amdhsa_user_sgpr_queue_ptr 0
		.amdhsa_user_sgpr_kernarg_segment_ptr 1
		.amdhsa_user_sgpr_dispatch_id 0
		.amdhsa_user_sgpr_flat_scratch_init 0
		.amdhsa_user_sgpr_private_segment_size 0
		.amdhsa_wavefront_size32 1
		.amdhsa_uses_dynamic_stack 0
		.amdhsa_system_sgpr_private_segment_wavefront_offset 1
		.amdhsa_system_sgpr_workgroup_id_x 1
		.amdhsa_system_sgpr_workgroup_id_y 0
		.amdhsa_system_sgpr_workgroup_id_z 0
		.amdhsa_system_sgpr_workgroup_info 0
		.amdhsa_system_vgpr_workitem_id 0
		.amdhsa_next_free_vgpr 30
		.amdhsa_next_free_sgpr 15
		.amdhsa_reserve_vcc 1
		.amdhsa_reserve_flat_scratch 0
		.amdhsa_float_round_mode_32 0
		.amdhsa_float_round_mode_16_64 0
		.amdhsa_float_denorm_mode_32 3
		.amdhsa_float_denorm_mode_16_64 3
		.amdhsa_dx10_clamp 1
		.amdhsa_ieee_mode 1
		.amdhsa_fp16_overflow 0
		.amdhsa_workgroup_processor_mode 1
		.amdhsa_memory_ordered 1
		.amdhsa_forward_progress 1
		.amdhsa_shared_vgpr_count 0
		.amdhsa_exception_fp_ieee_invalid_op 0
		.amdhsa_exception_fp_denorm_src 0
		.amdhsa_exception_fp_ieee_div_zero 0
		.amdhsa_exception_fp_ieee_overflow 0
		.amdhsa_exception_fp_ieee_underflow 0
		.amdhsa_exception_fp_ieee_inexact 0
		.amdhsa_exception_int_div_zero 0
	.end_amdhsa_kernel
	.section	.text._ZN9rocsolver6v33100L18trti2_kernel_smallILi5E19rocblas_complex_numIdEPKPS3_EEv13rocblas_fill_17rocblas_diagonal_T1_iil,"axG",@progbits,_ZN9rocsolver6v33100L18trti2_kernel_smallILi5E19rocblas_complex_numIdEPKPS3_EEv13rocblas_fill_17rocblas_diagonal_T1_iil,comdat
.Lfunc_end68:
	.size	_ZN9rocsolver6v33100L18trti2_kernel_smallILi5E19rocblas_complex_numIdEPKPS3_EEv13rocblas_fill_17rocblas_diagonal_T1_iil, .Lfunc_end68-_ZN9rocsolver6v33100L18trti2_kernel_smallILi5E19rocblas_complex_numIdEPKPS3_EEv13rocblas_fill_17rocblas_diagonal_T1_iil
                                        ; -- End function
	.set _ZN9rocsolver6v33100L18trti2_kernel_smallILi5E19rocblas_complex_numIdEPKPS3_EEv13rocblas_fill_17rocblas_diagonal_T1_iil.num_vgpr, 30
	.set _ZN9rocsolver6v33100L18trti2_kernel_smallILi5E19rocblas_complex_numIdEPKPS3_EEv13rocblas_fill_17rocblas_diagonal_T1_iil.num_agpr, 0
	.set _ZN9rocsolver6v33100L18trti2_kernel_smallILi5E19rocblas_complex_numIdEPKPS3_EEv13rocblas_fill_17rocblas_diagonal_T1_iil.numbered_sgpr, 15
	.set _ZN9rocsolver6v33100L18trti2_kernel_smallILi5E19rocblas_complex_numIdEPKPS3_EEv13rocblas_fill_17rocblas_diagonal_T1_iil.num_named_barrier, 0
	.set _ZN9rocsolver6v33100L18trti2_kernel_smallILi5E19rocblas_complex_numIdEPKPS3_EEv13rocblas_fill_17rocblas_diagonal_T1_iil.private_seg_size, 96
	.set _ZN9rocsolver6v33100L18trti2_kernel_smallILi5E19rocblas_complex_numIdEPKPS3_EEv13rocblas_fill_17rocblas_diagonal_T1_iil.uses_vcc, 1
	.set _ZN9rocsolver6v33100L18trti2_kernel_smallILi5E19rocblas_complex_numIdEPKPS3_EEv13rocblas_fill_17rocblas_diagonal_T1_iil.uses_flat_scratch, 0
	.set _ZN9rocsolver6v33100L18trti2_kernel_smallILi5E19rocblas_complex_numIdEPKPS3_EEv13rocblas_fill_17rocblas_diagonal_T1_iil.has_dyn_sized_stack, 0
	.set _ZN9rocsolver6v33100L18trti2_kernel_smallILi5E19rocblas_complex_numIdEPKPS3_EEv13rocblas_fill_17rocblas_diagonal_T1_iil.has_recursion, 0
	.set _ZN9rocsolver6v33100L18trti2_kernel_smallILi5E19rocblas_complex_numIdEPKPS3_EEv13rocblas_fill_17rocblas_diagonal_T1_iil.has_indirect_call, 0
	.section	.AMDGPU.csdata,"",@progbits
; Kernel info:
; codeLenInByte = 4472
; TotalNumSgprs: 17
; NumVgprs: 30
; ScratchSize: 96
; MemoryBound: 0
; FloatMode: 240
; IeeeMode: 1
; LDSByteSize: 160 bytes/workgroup (compile time only)
; SGPRBlocks: 0
; VGPRBlocks: 3
; NumSGPRsForWavesPerEU: 17
; NumVGPRsForWavesPerEU: 30
; Occupancy: 16
; WaveLimiterHint : 1
; COMPUTE_PGM_RSRC2:SCRATCH_EN: 1
; COMPUTE_PGM_RSRC2:USER_SGPR: 6
; COMPUTE_PGM_RSRC2:TRAP_HANDLER: 0
; COMPUTE_PGM_RSRC2:TGID_X_EN: 1
; COMPUTE_PGM_RSRC2:TGID_Y_EN: 0
; COMPUTE_PGM_RSRC2:TGID_Z_EN: 0
; COMPUTE_PGM_RSRC2:TIDIG_COMP_CNT: 0
	.section	.text._ZN9rocsolver6v33100L18trti2_kernel_smallILi6E19rocblas_complex_numIdEPKPS3_EEv13rocblas_fill_17rocblas_diagonal_T1_iil,"axG",@progbits,_ZN9rocsolver6v33100L18trti2_kernel_smallILi6E19rocblas_complex_numIdEPKPS3_EEv13rocblas_fill_17rocblas_diagonal_T1_iil,comdat
	.globl	_ZN9rocsolver6v33100L18trti2_kernel_smallILi6E19rocblas_complex_numIdEPKPS3_EEv13rocblas_fill_17rocblas_diagonal_T1_iil ; -- Begin function _ZN9rocsolver6v33100L18trti2_kernel_smallILi6E19rocblas_complex_numIdEPKPS3_EEv13rocblas_fill_17rocblas_diagonal_T1_iil
	.p2align	8
	.type	_ZN9rocsolver6v33100L18trti2_kernel_smallILi6E19rocblas_complex_numIdEPKPS3_EEv13rocblas_fill_17rocblas_diagonal_T1_iil,@function
_ZN9rocsolver6v33100L18trti2_kernel_smallILi6E19rocblas_complex_numIdEPKPS3_EEv13rocblas_fill_17rocblas_diagonal_T1_iil: ; @_ZN9rocsolver6v33100L18trti2_kernel_smallILi6E19rocblas_complex_numIdEPKPS3_EEv13rocblas_fill_17rocblas_diagonal_T1_iil
; %bb.0:
	s_add_u32 s0, s0, s7
	s_addc_u32 s1, s1, 0
	s_mov_b32 s7, exec_lo
	v_cmpx_gt_u32_e32 6, v0
	s_cbranch_execz .LBB69_83
; %bb.1:
	s_clause 0x1
	s_load_dwordx2 s[12:13], s[4:5], 0x10
	s_load_dwordx4 s[8:11], s[4:5], 0x0
	s_ashr_i32 s7, s6, 31
	v_lshlrev_b32_e32 v23, 4, v0
	s_lshl_b64 s[4:5], s[6:7], 3
	s_waitcnt lgkmcnt(0)
	s_ashr_i32 s7, s12, 31
	s_add_u32 s4, s10, s4
	s_addc_u32 s5, s11, s5
	s_mov_b32 s6, s12
	s_load_dwordx2 s[4:5], s[4:5], 0x0
	s_lshl_b64 s[6:7], s[6:7], 4
	v_add3_u32 v11, s13, s13, v0
	v_ashrrev_i32_e32 v12, 31, v11
	v_add_nc_u32_e32 v13, s13, v11
	v_lshlrev_b64 v[9:10], 4, v[11:12]
	v_ashrrev_i32_e32 v14, 31, v13
	v_add_nc_u32_e32 v15, s13, v13
	v_lshlrev_b64 v[11:12], 4, v[13:14]
	v_ashrrev_i32_e32 v16, 31, v15
	s_waitcnt lgkmcnt(0)
	s_add_u32 s6, s4, s6
	s_addc_u32 s7, s5, s7
	v_add_co_u32 v5, s4, s6, v23
	v_add_co_ci_u32_e64 v6, null, s7, 0, s4
	s_mov_b32 s4, s13
	s_ashr_i32 s5, s13, 31
	v_lshlrev_b64 v[13:14], 4, v[15:16]
	flat_load_dwordx4 v[1:4], v[5:6]
	s_lshl_b64 s[4:5], s[4:5], 4
	v_add_nc_u32_e32 v15, s13, v15
	v_add_co_u32 v7, vcc_lo, v5, s4
	v_add_co_ci_u32_e64 v8, null, s5, v6, vcc_lo
	v_add_co_u32 v9, vcc_lo, s6, v9
	v_add_co_ci_u32_e64 v10, null, s7, v10, vcc_lo
	;; [unrolled: 2-line block ×4, first 2 shown]
	v_ashrrev_i32_e32 v16, 31, v15
	s_cmpk_lg_i32 s9, 0x84
	s_movk_i32 s4, 0x50
	s_cselect_b32 s12, -1, 0
	s_cmpk_eq_i32 s9, 0x84
	v_lshlrev_b64 v[15:16], 4, v[15:16]
	s_waitcnt vmcnt(0) lgkmcnt(0)
	buffer_store_dword v4, off, s[0:3], 0 offset:12
	buffer_store_dword v3, off, s[0:3], 0 offset:8
	;; [unrolled: 1-line block ×3, first 2 shown]
	buffer_store_dword v1, off, s[0:3], 0
	flat_load_dwordx4 v[1:4], v[7:8]
	v_add_co_u32 v15, vcc_lo, s6, v15
	v_add_co_ci_u32_e64 v16, null, s7, v16, vcc_lo
	s_waitcnt vmcnt(0) lgkmcnt(0)
	buffer_store_dword v4, off, s[0:3], 0 offset:28
	buffer_store_dword v3, off, s[0:3], 0 offset:24
	buffer_store_dword v2, off, s[0:3], 0 offset:20
	buffer_store_dword v1, off, s[0:3], 0 offset:16
	flat_load_dwordx4 v[1:4], v[9:10]
	s_waitcnt vmcnt(0) lgkmcnt(0)
	buffer_store_dword v4, off, s[0:3], 0 offset:44
	buffer_store_dword v3, off, s[0:3], 0 offset:40
	buffer_store_dword v2, off, s[0:3], 0 offset:36
	buffer_store_dword v1, off, s[0:3], 0 offset:32
	flat_load_dwordx4 v[1:4], v[11:12]
	;; [unrolled: 6-line block ×4, first 2 shown]
	s_waitcnt vmcnt(0) lgkmcnt(0)
	buffer_store_dword v4, off, s[0:3], 0 offset:92
	buffer_store_dword v3, off, s[0:3], 0 offset:88
	;; [unrolled: 1-line block ×4, first 2 shown]
	s_cbranch_scc1 .LBB69_7
; %bb.2:
	v_lshl_add_u32 v24, v0, 4, 0
                                        ; implicit-def: $vgpr19_vgpr20
                                        ; implicit-def: $vgpr3_vgpr4
	s_clause 0x3
	buffer_load_dword v17, v24, s[0:3], 0 offen
	buffer_load_dword v18, v24, s[0:3], 0 offen offset:4
	buffer_load_dword v21, v24, s[0:3], 0 offen offset:8
	;; [unrolled: 1-line block ×3, first 2 shown]
	s_waitcnt vmcnt(0)
	v_cmp_ngt_f64_e64 s5, |v[17:18]|, |v[21:22]|
	s_and_saveexec_b32 s6, s5
	s_xor_b32 s5, exec_lo, s6
	s_cbranch_execz .LBB69_4
; %bb.3:
	v_div_scale_f64 v[1:2], null, v[21:22], v[21:22], v[17:18]
	v_div_scale_f64 v[25:26], vcc_lo, v[17:18], v[21:22], v[17:18]
	v_rcp_f64_e32 v[3:4], v[1:2]
	v_fma_f64 v[19:20], -v[1:2], v[3:4], 1.0
	v_fma_f64 v[3:4], v[3:4], v[19:20], v[3:4]
	v_fma_f64 v[19:20], -v[1:2], v[3:4], 1.0
	v_fma_f64 v[3:4], v[3:4], v[19:20], v[3:4]
	v_mul_f64 v[19:20], v[25:26], v[3:4]
	v_fma_f64 v[1:2], -v[1:2], v[19:20], v[25:26]
	v_div_fmas_f64 v[1:2], v[1:2], v[3:4], v[19:20]
	v_div_fixup_f64 v[1:2], v[1:2], v[21:22], v[17:18]
	v_fma_f64 v[3:4], v[17:18], v[1:2], v[21:22]
	v_div_scale_f64 v[17:18], null, v[3:4], v[3:4], 1.0
	v_div_scale_f64 v[25:26], vcc_lo, 1.0, v[3:4], 1.0
	v_rcp_f64_e32 v[19:20], v[17:18]
	v_fma_f64 v[21:22], -v[17:18], v[19:20], 1.0
	v_fma_f64 v[19:20], v[19:20], v[21:22], v[19:20]
	v_fma_f64 v[21:22], -v[17:18], v[19:20], 1.0
	v_fma_f64 v[19:20], v[19:20], v[21:22], v[19:20]
	v_mul_f64 v[21:22], v[25:26], v[19:20]
	v_fma_f64 v[17:18], -v[17:18], v[21:22], v[25:26]
	v_div_fmas_f64 v[17:18], v[17:18], v[19:20], v[21:22]
                                        ; implicit-def: $vgpr21_vgpr22
	v_div_fixup_f64 v[3:4], v[17:18], v[3:4], 1.0
                                        ; implicit-def: $vgpr17_vgpr18
	v_mul_f64 v[19:20], v[1:2], v[3:4]
	v_xor_b32_e32 v4, 0x80000000, v4
	v_xor_b32_e32 v2, 0x80000000, v20
	v_mov_b32_e32 v1, v19
.LBB69_4:
	s_andn2_saveexec_b32 s5, s5
	s_cbranch_execz .LBB69_6
; %bb.5:
	v_div_scale_f64 v[1:2], null, v[17:18], v[17:18], v[21:22]
	v_div_scale_f64 v[25:26], vcc_lo, v[21:22], v[17:18], v[21:22]
	v_rcp_f64_e32 v[3:4], v[1:2]
	v_fma_f64 v[19:20], -v[1:2], v[3:4], 1.0
	v_fma_f64 v[3:4], v[3:4], v[19:20], v[3:4]
	v_fma_f64 v[19:20], -v[1:2], v[3:4], 1.0
	v_fma_f64 v[3:4], v[3:4], v[19:20], v[3:4]
	v_mul_f64 v[19:20], v[25:26], v[3:4]
	v_fma_f64 v[1:2], -v[1:2], v[19:20], v[25:26]
	v_div_fmas_f64 v[1:2], v[1:2], v[3:4], v[19:20]
	v_div_fixup_f64 v[1:2], v[1:2], v[17:18], v[21:22]
	v_fma_f64 v[3:4], v[21:22], v[1:2], v[17:18]
	v_div_scale_f64 v[17:18], null, v[3:4], v[3:4], 1.0
	v_rcp_f64_e32 v[19:20], v[17:18]
	v_fma_f64 v[21:22], -v[17:18], v[19:20], 1.0
	v_fma_f64 v[19:20], v[19:20], v[21:22], v[19:20]
	v_fma_f64 v[21:22], -v[17:18], v[19:20], 1.0
	v_fma_f64 v[19:20], v[19:20], v[21:22], v[19:20]
	v_div_scale_f64 v[21:22], vcc_lo, 1.0, v[3:4], 1.0
	v_mul_f64 v[25:26], v[21:22], v[19:20]
	v_fma_f64 v[17:18], -v[17:18], v[25:26], v[21:22]
	v_div_fmas_f64 v[17:18], v[17:18], v[19:20], v[25:26]
	v_div_fixup_f64 v[19:20], v[17:18], v[3:4], 1.0
	v_mul_f64 v[3:4], v[1:2], -v[19:20]
	v_xor_b32_e32 v2, 0x80000000, v20
	v_mov_b32_e32 v1, v19
.LBB69_6:
	s_or_b32 exec_lo, exec_lo, s5
	buffer_store_dword v4, v24, s[0:3], 0 offen offset:12
	v_xor_b32_e32 v4, 0x80000000, v4
	buffer_store_dword v20, v24, s[0:3], 0 offen offset:4
	buffer_store_dword v19, v24, s[0:3], 0 offen
	buffer_store_dword v3, v24, s[0:3], 0 offen offset:8
	s_branch .LBB69_8
.LBB69_7:
	v_mov_b32_e32 v1, 0
	v_mov_b32_e32 v3, 0
	;; [unrolled: 1-line block ×4, first 2 shown]
.LBB69_8:
	v_add_nc_u32_e32 v18, 0x60, v23
	v_mov_b32_e32 v17, v23
	s_mov_b32 s11, 16
	s_mov_b32 s10, 32
	;; [unrolled: 1-line block ×5, first 2 shown]
	s_cmpk_eq_i32 s8, 0x79
	ds_write_b128 v23, v[1:4]
	s_cbranch_scc1 .LBB69_44
; %bb.9:
	v_mov_b32_e32 v4, s7
	v_cmp_eq_u32_e64 s5, 5, v0
	s_clause 0x3
	buffer_load_dword v1, v4, s[0:3], 0 offen
	buffer_load_dword v2, v4, s[0:3], 0 offen offset:4
	buffer_load_dword v3, v4, s[0:3], 0 offen offset:8
	;; [unrolled: 1-line block ×3, first 2 shown]
	s_waitcnt vmcnt(0)
	ds_write_b128 v18, v[1:4]
	s_waitcnt lgkmcnt(0)
	s_waitcnt_vscnt null, 0x0
	s_barrier
	buffer_gl0_inv
	s_and_saveexec_b32 s4, s5
	s_cbranch_execz .LBB69_13
; %bb.10:
	ds_read_b128 v[1:4], v18
	s_andn2_b32 vcc_lo, exec_lo, s12
	s_cbranch_vccnz .LBB69_12
; %bb.11:
	s_clause 0x3
	buffer_load_dword v19, v17, s[0:3], 0 offen offset:8
	buffer_load_dword v20, v17, s[0:3], 0 offen offset:12
	buffer_load_dword v21, v17, s[0:3], 0 offen
	buffer_load_dword v22, v17, s[0:3], 0 offen offset:4
	s_waitcnt vmcnt(2) lgkmcnt(0)
	v_mul_f64 v[24:25], v[3:4], v[19:20]
	v_mul_f64 v[19:20], v[1:2], v[19:20]
	s_waitcnt vmcnt(0)
	v_fma_f64 v[1:2], v[1:2], v[21:22], -v[24:25]
	v_fma_f64 v[3:4], v[3:4], v[21:22], v[19:20]
.LBB69_12:
	v_mov_b32_e32 v19, 0
	ds_read_b128 v[19:22], v19 offset:64
	s_waitcnt lgkmcnt(0)
	v_mul_f64 v[24:25], v[3:4], v[21:22]
	v_mul_f64 v[21:22], v[1:2], v[21:22]
	v_fma_f64 v[1:2], v[1:2], v[19:20], -v[24:25]
	v_fma_f64 v[3:4], v[3:4], v[19:20], v[21:22]
	buffer_store_dword v2, off, s[0:3], 0 offset:68
	buffer_store_dword v1, off, s[0:3], 0 offset:64
	;; [unrolled: 1-line block ×4, first 2 shown]
.LBB69_13:
	s_or_b32 exec_lo, exec_lo, s4
	v_mov_b32_e32 v4, s9
	v_cmp_lt_u32_e64 s4, 3, v0
	s_clause 0x3
	buffer_load_dword v1, v4, s[0:3], 0 offen
	buffer_load_dword v2, v4, s[0:3], 0 offen offset:4
	buffer_load_dword v3, v4, s[0:3], 0 offen offset:8
	;; [unrolled: 1-line block ×3, first 2 shown]
	s_waitcnt vmcnt(0)
	ds_write_b128 v18, v[1:4]
	s_waitcnt lgkmcnt(0)
	s_waitcnt_vscnt null, 0x0
	s_barrier
	buffer_gl0_inv
	s_and_saveexec_b32 s8, s4
	s_cbranch_execz .LBB69_19
; %bb.14:
	ds_read_b128 v[1:4], v18
	s_andn2_b32 vcc_lo, exec_lo, s12
	s_cbranch_vccnz .LBB69_16
; %bb.15:
	s_clause 0x3
	buffer_load_dword v19, v17, s[0:3], 0 offen offset:8
	buffer_load_dword v20, v17, s[0:3], 0 offen offset:12
	buffer_load_dword v21, v17, s[0:3], 0 offen
	buffer_load_dword v22, v17, s[0:3], 0 offen offset:4
	s_waitcnt vmcnt(2) lgkmcnt(0)
	v_mul_f64 v[24:25], v[3:4], v[19:20]
	v_mul_f64 v[19:20], v[1:2], v[19:20]
	s_waitcnt vmcnt(0)
	v_fma_f64 v[1:2], v[1:2], v[21:22], -v[24:25]
	v_fma_f64 v[3:4], v[3:4], v[21:22], v[19:20]
.LBB69_16:
	s_and_saveexec_b32 s13, s5
	s_cbranch_execz .LBB69_18
; %bb.17:
	s_clause 0x3
	buffer_load_dword v24, off, s[0:3], 0 offset:72
	buffer_load_dword v25, off, s[0:3], 0 offset:76
	;; [unrolled: 1-line block ×4, first 2 shown]
	v_mov_b32_e32 v19, 0
	ds_read_b128 v[19:22], v19 offset:160
	s_waitcnt vmcnt(2) lgkmcnt(0)
	v_mul_f64 v[28:29], v[19:20], v[24:25]
	v_mul_f64 v[24:25], v[21:22], v[24:25]
	s_waitcnt vmcnt(0)
	v_fma_f64 v[21:22], v[21:22], v[26:27], v[28:29]
	v_fma_f64 v[19:20], v[19:20], v[26:27], -v[24:25]
	v_add_f64 v[3:4], v[3:4], v[21:22]
	v_add_f64 v[1:2], v[1:2], v[19:20]
.LBB69_18:
	s_or_b32 exec_lo, exec_lo, s13
	v_mov_b32_e32 v19, 0
	ds_read_b128 v[19:22], v19 offset:48
	s_waitcnt lgkmcnt(0)
	v_mul_f64 v[24:25], v[3:4], v[21:22]
	v_mul_f64 v[21:22], v[1:2], v[21:22]
	v_fma_f64 v[1:2], v[1:2], v[19:20], -v[24:25]
	v_fma_f64 v[3:4], v[3:4], v[19:20], v[21:22]
	buffer_store_dword v2, off, s[0:3], 0 offset:52
	buffer_store_dword v1, off, s[0:3], 0 offset:48
	;; [unrolled: 1-line block ×4, first 2 shown]
.LBB69_19:
	s_or_b32 exec_lo, exec_lo, s8
	v_mov_b32_e32 v4, s10
	v_cmp_lt_u32_e64 s5, 2, v0
	s_clause 0x3
	buffer_load_dword v1, v4, s[0:3], 0 offen
	buffer_load_dword v2, v4, s[0:3], 0 offen offset:4
	buffer_load_dword v3, v4, s[0:3], 0 offen offset:8
	;; [unrolled: 1-line block ×3, first 2 shown]
	s_waitcnt vmcnt(0)
	ds_write_b128 v18, v[1:4]
	s_waitcnt lgkmcnt(0)
	s_waitcnt_vscnt null, 0x0
	s_barrier
	buffer_gl0_inv
	s_and_saveexec_b32 s8, s5
	s_cbranch_execz .LBB69_27
; %bb.20:
	ds_read_b128 v[1:4], v18
	s_andn2_b32 vcc_lo, exec_lo, s12
	s_cbranch_vccnz .LBB69_22
; %bb.21:
	s_clause 0x3
	buffer_load_dword v19, v17, s[0:3], 0 offen offset:8
	buffer_load_dword v20, v17, s[0:3], 0 offen offset:12
	buffer_load_dword v21, v17, s[0:3], 0 offen
	buffer_load_dword v22, v17, s[0:3], 0 offen offset:4
	s_waitcnt vmcnt(2) lgkmcnt(0)
	v_mul_f64 v[24:25], v[3:4], v[19:20]
	v_mul_f64 v[19:20], v[1:2], v[19:20]
	s_waitcnt vmcnt(0)
	v_fma_f64 v[1:2], v[1:2], v[21:22], -v[24:25]
	v_fma_f64 v[3:4], v[3:4], v[21:22], v[19:20]
.LBB69_22:
	s_and_saveexec_b32 s13, s4
	s_cbranch_execz .LBB69_26
; %bb.23:
	v_add_nc_u32_e32 v19, -3, v0
	s_movk_i32 s14, 0x90
	s_mov_b32 s4, 0
	s_mov_b32 s15, s9
	.p2align	6
.LBB69_24:                              ; =>This Inner Loop Header: Depth=1
	v_mov_b32_e32 v22, s15
	v_add_nc_u32_e32 v19, -1, v19
	s_add_i32 s15, s15, 16
	s_clause 0x3
	buffer_load_dword v20, v22, s[0:3], 0 offen offset:8
	buffer_load_dword v21, v22, s[0:3], 0 offen offset:12
	buffer_load_dword v28, v22, s[0:3], 0 offen
	buffer_load_dword v29, v22, s[0:3], 0 offen offset:4
	v_mov_b32_e32 v22, s14
	v_cmp_eq_u32_e32 vcc_lo, 0, v19
	s_add_i32 s14, s14, 16
	ds_read_b128 v[24:27], v22
	s_or_b32 s4, vcc_lo, s4
	s_waitcnt vmcnt(2) lgkmcnt(0)
	v_mul_f64 v[30:31], v[26:27], v[20:21]
	v_mul_f64 v[20:21], v[24:25], v[20:21]
	s_waitcnt vmcnt(0)
	v_fma_f64 v[24:25], v[24:25], v[28:29], -v[30:31]
	v_fma_f64 v[20:21], v[26:27], v[28:29], v[20:21]
	v_add_f64 v[1:2], v[1:2], v[24:25]
	v_add_f64 v[3:4], v[3:4], v[20:21]
	s_andn2_b32 exec_lo, exec_lo, s4
	s_cbranch_execnz .LBB69_24
; %bb.25:
	s_or_b32 exec_lo, exec_lo, s4
.LBB69_26:
	s_or_b32 exec_lo, exec_lo, s13
	v_mov_b32_e32 v19, 0
	ds_read_b128 v[19:22], v19 offset:32
	s_waitcnt lgkmcnt(0)
	v_mul_f64 v[24:25], v[3:4], v[21:22]
	v_mul_f64 v[21:22], v[1:2], v[21:22]
	v_fma_f64 v[1:2], v[1:2], v[19:20], -v[24:25]
	v_fma_f64 v[3:4], v[3:4], v[19:20], v[21:22]
	buffer_store_dword v2, off, s[0:3], 0 offset:36
	buffer_store_dword v1, off, s[0:3], 0 offset:32
	;; [unrolled: 1-line block ×4, first 2 shown]
.LBB69_27:
	s_or_b32 exec_lo, exec_lo, s8
	v_mov_b32_e32 v4, s11
	v_cmp_lt_u32_e64 s4, 1, v0
	s_clause 0x3
	buffer_load_dword v1, v4, s[0:3], 0 offen
	buffer_load_dword v2, v4, s[0:3], 0 offen offset:4
	buffer_load_dword v3, v4, s[0:3], 0 offen offset:8
	;; [unrolled: 1-line block ×3, first 2 shown]
	s_waitcnt vmcnt(0)
	ds_write_b128 v18, v[1:4]
	s_waitcnt lgkmcnt(0)
	s_waitcnt_vscnt null, 0x0
	s_barrier
	buffer_gl0_inv
	s_and_saveexec_b32 s8, s4
	s_cbranch_execz .LBB69_35
; %bb.28:
	ds_read_b128 v[1:4], v18
	s_andn2_b32 vcc_lo, exec_lo, s12
	s_cbranch_vccnz .LBB69_30
; %bb.29:
	s_clause 0x3
	buffer_load_dword v19, v17, s[0:3], 0 offen offset:8
	buffer_load_dword v20, v17, s[0:3], 0 offen offset:12
	buffer_load_dword v21, v17, s[0:3], 0 offen
	buffer_load_dword v22, v17, s[0:3], 0 offen offset:4
	s_waitcnt vmcnt(2) lgkmcnt(0)
	v_mul_f64 v[24:25], v[3:4], v[19:20]
	v_mul_f64 v[19:20], v[1:2], v[19:20]
	s_waitcnt vmcnt(0)
	v_fma_f64 v[1:2], v[1:2], v[21:22], -v[24:25]
	v_fma_f64 v[3:4], v[3:4], v[21:22], v[19:20]
.LBB69_30:
	s_and_saveexec_b32 s13, s5
	s_cbranch_execz .LBB69_34
; %bb.31:
	v_add_nc_u32_e32 v19, -2, v0
	s_movk_i32 s14, 0x80
	s_mov_b32 s5, 0
	s_mov_b32 s15, s10
	.p2align	6
.LBB69_32:                              ; =>This Inner Loop Header: Depth=1
	v_mov_b32_e32 v22, s15
	v_add_nc_u32_e32 v19, -1, v19
	s_add_i32 s15, s15, 16
	s_clause 0x3
	buffer_load_dword v20, v22, s[0:3], 0 offen offset:8
	buffer_load_dword v21, v22, s[0:3], 0 offen offset:12
	buffer_load_dword v28, v22, s[0:3], 0 offen
	buffer_load_dword v29, v22, s[0:3], 0 offen offset:4
	v_mov_b32_e32 v22, s14
	v_cmp_eq_u32_e32 vcc_lo, 0, v19
	s_add_i32 s14, s14, 16
	ds_read_b128 v[24:27], v22
	s_or_b32 s5, vcc_lo, s5
	s_waitcnt vmcnt(2) lgkmcnt(0)
	v_mul_f64 v[30:31], v[26:27], v[20:21]
	v_mul_f64 v[20:21], v[24:25], v[20:21]
	s_waitcnt vmcnt(0)
	v_fma_f64 v[24:25], v[24:25], v[28:29], -v[30:31]
	v_fma_f64 v[20:21], v[26:27], v[28:29], v[20:21]
	v_add_f64 v[1:2], v[1:2], v[24:25]
	v_add_f64 v[3:4], v[3:4], v[20:21]
	s_andn2_b32 exec_lo, exec_lo, s5
	s_cbranch_execnz .LBB69_32
; %bb.33:
	s_or_b32 exec_lo, exec_lo, s5
.LBB69_34:
	s_or_b32 exec_lo, exec_lo, s13
	v_mov_b32_e32 v19, 0
	ds_read_b128 v[19:22], v19 offset:16
	s_waitcnt lgkmcnt(0)
	v_mul_f64 v[24:25], v[3:4], v[21:22]
	v_mul_f64 v[21:22], v[1:2], v[21:22]
	v_fma_f64 v[1:2], v[1:2], v[19:20], -v[24:25]
	v_fma_f64 v[3:4], v[3:4], v[19:20], v[21:22]
	buffer_store_dword v2, off, s[0:3], 0 offset:20
	buffer_store_dword v1, off, s[0:3], 0 offset:16
	;; [unrolled: 1-line block ×4, first 2 shown]
.LBB69_35:
	s_or_b32 exec_lo, exec_lo, s8
	s_clause 0x3
	buffer_load_dword v1, off, s[0:3], 0
	buffer_load_dword v2, off, s[0:3], 0 offset:4
	buffer_load_dword v3, off, s[0:3], 0 offset:8
	;; [unrolled: 1-line block ×3, first 2 shown]
	s_mov_b32 s8, 0
	s_mov_b32 s5, 0
	s_mov_b32 s13, exec_lo
                                        ; implicit-def: $sgpr14
	s_waitcnt vmcnt(0)
	ds_write_b128 v18, v[1:4]
	s_waitcnt lgkmcnt(0)
	s_waitcnt_vscnt null, 0x0
	s_barrier
	buffer_gl0_inv
                                        ; implicit-def: $vgpr1_vgpr2
	v_cmpx_ne_u32_e32 0, v0
	s_cbranch_execz .LBB69_43
; %bb.36:
	ds_read_b128 v[1:4], v18
	s_andn2_b32 vcc_lo, exec_lo, s12
	s_cbranch_vccnz .LBB69_38
; %bb.37:
	s_clause 0x3
	buffer_load_dword v19, v17, s[0:3], 0 offen offset:8
	buffer_load_dword v20, v17, s[0:3], 0 offen offset:12
	buffer_load_dword v21, v17, s[0:3], 0 offen
	buffer_load_dword v22, v17, s[0:3], 0 offen offset:4
	s_waitcnt vmcnt(2) lgkmcnt(0)
	v_mul_f64 v[24:25], v[3:4], v[19:20]
	v_mul_f64 v[19:20], v[1:2], v[19:20]
	s_waitcnt vmcnt(0)
	v_fma_f64 v[1:2], v[1:2], v[21:22], -v[24:25]
	v_fma_f64 v[3:4], v[3:4], v[21:22], v[19:20]
.LBB69_38:
	s_and_saveexec_b32 s5, s4
	s_cbranch_execz .LBB69_42
; %bb.39:
	v_add_nc_u32_e32 v19, -1, v0
	s_movk_i32 s14, 0x70
	s_mov_b32 s4, 0
	s_mov_b32 s15, s11
	.p2align	6
.LBB69_40:                              ; =>This Inner Loop Header: Depth=1
	v_mov_b32_e32 v22, s15
	v_add_nc_u32_e32 v19, -1, v19
	s_add_i32 s15, s15, 16
	s_clause 0x3
	buffer_load_dword v20, v22, s[0:3], 0 offen offset:8
	buffer_load_dword v21, v22, s[0:3], 0 offen offset:12
	buffer_load_dword v28, v22, s[0:3], 0 offen
	buffer_load_dword v29, v22, s[0:3], 0 offen offset:4
	v_mov_b32_e32 v22, s14
	v_cmp_eq_u32_e32 vcc_lo, 0, v19
	s_add_i32 s14, s14, 16
	ds_read_b128 v[24:27], v22
	s_or_b32 s4, vcc_lo, s4
	s_waitcnt vmcnt(2) lgkmcnt(0)
	v_mul_f64 v[30:31], v[26:27], v[20:21]
	v_mul_f64 v[20:21], v[24:25], v[20:21]
	s_waitcnt vmcnt(0)
	v_fma_f64 v[24:25], v[24:25], v[28:29], -v[30:31]
	v_fma_f64 v[20:21], v[26:27], v[28:29], v[20:21]
	v_add_f64 v[1:2], v[1:2], v[24:25]
	v_add_f64 v[3:4], v[3:4], v[20:21]
	s_andn2_b32 exec_lo, exec_lo, s4
	s_cbranch_execnz .LBB69_40
; %bb.41:
	s_or_b32 exec_lo, exec_lo, s4
.LBB69_42:
	s_or_b32 exec_lo, exec_lo, s5
	v_mov_b32_e32 v19, 0
	s_mov_b32 s5, exec_lo
	s_or_b32 s14, 0, 8
	ds_read_b128 v[19:22], v19
	s_waitcnt lgkmcnt(0)
	v_mul_f64 v[24:25], v[3:4], v[21:22]
	v_mul_f64 v[21:22], v[1:2], v[21:22]
	v_fma_f64 v[24:25], v[1:2], v[19:20], -v[24:25]
	v_fma_f64 v[1:2], v[3:4], v[19:20], v[21:22]
	buffer_store_dword v25, off, s[0:3], 0 offset:4
	buffer_store_dword v24, off, s[0:3], 0
.LBB69_43:
	s_or_b32 exec_lo, exec_lo, s13
	s_and_b32 vcc_lo, exec_lo, s8
	s_cbranch_vccnz .LBB69_45
	s_branch .LBB69_80
.LBB69_44:
	s_mov_b32 s5, 0
                                        ; implicit-def: $vgpr1_vgpr2
                                        ; implicit-def: $sgpr14
	s_cbranch_execz .LBB69_80
.LBB69_45:
	v_mov_b32_e32 v4, s11
	v_cmp_eq_u32_e64 s4, 0, v0
	v_cndmask_b32_e64 v19, 0, 1, s12
	s_clause 0x3
	buffer_load_dword v1, v4, s[0:3], 0 offen
	buffer_load_dword v2, v4, s[0:3], 0 offen offset:4
	buffer_load_dword v3, v4, s[0:3], 0 offen offset:8
	;; [unrolled: 1-line block ×3, first 2 shown]
	s_waitcnt vmcnt(0)
	ds_write_b128 v18, v[1:4]
	s_waitcnt lgkmcnt(0)
	s_waitcnt_vscnt null, 0x0
	s_barrier
	buffer_gl0_inv
	s_and_saveexec_b32 s8, s4
	s_cbranch_execz .LBB69_49
; %bb.46:
	ds_read_b128 v[1:4], v18
	s_andn2_b32 vcc_lo, exec_lo, s12
	s_cbranch_vccnz .LBB69_48
; %bb.47:
	s_clause 0x3
	buffer_load_dword v20, v17, s[0:3], 0 offen offset:8
	buffer_load_dword v21, v17, s[0:3], 0 offen offset:12
	buffer_load_dword v24, v17, s[0:3], 0 offen
	buffer_load_dword v25, v17, s[0:3], 0 offen offset:4
	s_waitcnt vmcnt(2) lgkmcnt(0)
	v_mul_f64 v[26:27], v[3:4], v[20:21]
	v_mul_f64 v[20:21], v[1:2], v[20:21]
	s_waitcnt vmcnt(0)
	v_fma_f64 v[1:2], v[1:2], v[24:25], -v[26:27]
	v_fma_f64 v[3:4], v[3:4], v[24:25], v[20:21]
.LBB69_48:
	v_mov_b32_e32 v20, 0
	ds_read_b128 v[24:27], v20 offset:16
	s_waitcnt lgkmcnt(0)
	v_mul_f64 v[20:21], v[3:4], v[26:27]
	v_mul_f64 v[26:27], v[1:2], v[26:27]
	v_fma_f64 v[1:2], v[1:2], v[24:25], -v[20:21]
	v_fma_f64 v[3:4], v[3:4], v[24:25], v[26:27]
	buffer_store_dword v2, off, s[0:3], 0 offset:20
	buffer_store_dword v1, off, s[0:3], 0 offset:16
	;; [unrolled: 1-line block ×4, first 2 shown]
.LBB69_49:
	s_or_b32 exec_lo, exec_lo, s8
	v_mov_b32_e32 v4, s10
	s_mov_b32 s8, exec_lo
	s_clause 0x3
	buffer_load_dword v1, v4, s[0:3], 0 offen
	buffer_load_dword v2, v4, s[0:3], 0 offen offset:4
	buffer_load_dword v3, v4, s[0:3], 0 offen offset:8
	;; [unrolled: 1-line block ×3, first 2 shown]
	s_waitcnt vmcnt(0)
	ds_write_b128 v18, v[1:4]
	s_waitcnt lgkmcnt(0)
	s_waitcnt_vscnt null, 0x0
	s_barrier
	buffer_gl0_inv
	v_cmpx_gt_u32_e32 2, v0
	s_cbranch_execz .LBB69_55
; %bb.50:
	ds_read_b128 v[1:4], v18
	v_cmp_ne_u32_e32 vcc_lo, 1, v19
	s_cbranch_vccnz .LBB69_52
; %bb.51:
	s_clause 0x3
	buffer_load_dword v20, v17, s[0:3], 0 offen offset:8
	buffer_load_dword v21, v17, s[0:3], 0 offen offset:12
	buffer_load_dword v24, v17, s[0:3], 0 offen
	buffer_load_dword v25, v17, s[0:3], 0 offen offset:4
	s_waitcnt vmcnt(2) lgkmcnt(0)
	v_mul_f64 v[26:27], v[3:4], v[20:21]
	v_mul_f64 v[20:21], v[1:2], v[20:21]
	s_waitcnt vmcnt(0)
	v_fma_f64 v[1:2], v[1:2], v[24:25], -v[26:27]
	v_fma_f64 v[3:4], v[3:4], v[24:25], v[20:21]
.LBB69_52:
	s_and_saveexec_b32 s12, s4
	s_cbranch_execz .LBB69_54
; %bb.53:
	s_clause 0x3
	buffer_load_dword v20, off, s[0:3], 0 offset:24
	buffer_load_dword v21, off, s[0:3], 0 offset:28
	;; [unrolled: 1-line block ×4, first 2 shown]
	v_mov_b32_e32 v22, 0
	ds_read_b128 v[24:27], v22 offset:112
	s_waitcnt vmcnt(2) lgkmcnt(0)
	v_mul_f64 v[30:31], v[26:27], v[20:21]
	v_mul_f64 v[20:21], v[24:25], v[20:21]
	s_waitcnt vmcnt(0)
	v_fma_f64 v[24:25], v[24:25], v[28:29], -v[30:31]
	v_fma_f64 v[20:21], v[26:27], v[28:29], v[20:21]
	v_add_f64 v[1:2], v[1:2], v[24:25]
	v_add_f64 v[3:4], v[3:4], v[20:21]
.LBB69_54:
	s_or_b32 exec_lo, exec_lo, s12
	v_mov_b32_e32 v20, 0
	ds_read_b128 v[24:27], v20 offset:32
	s_waitcnt lgkmcnt(0)
	v_mul_f64 v[20:21], v[3:4], v[26:27]
	v_mul_f64 v[26:27], v[1:2], v[26:27]
	v_fma_f64 v[1:2], v[1:2], v[24:25], -v[20:21]
	v_fma_f64 v[3:4], v[3:4], v[24:25], v[26:27]
	buffer_store_dword v2, off, s[0:3], 0 offset:36
	buffer_store_dword v1, off, s[0:3], 0 offset:32
	;; [unrolled: 1-line block ×4, first 2 shown]
.LBB69_55:
	s_or_b32 exec_lo, exec_lo, s8
	v_mov_b32_e32 v4, s9
	s_mov_b32 s8, exec_lo
	s_clause 0x3
	buffer_load_dword v1, v4, s[0:3], 0 offen
	buffer_load_dword v2, v4, s[0:3], 0 offen offset:4
	buffer_load_dword v3, v4, s[0:3], 0 offen offset:8
	;; [unrolled: 1-line block ×3, first 2 shown]
	s_waitcnt vmcnt(0)
	ds_write_b128 v18, v[1:4]
	s_waitcnt lgkmcnt(0)
	s_waitcnt_vscnt null, 0x0
	s_barrier
	buffer_gl0_inv
	v_cmpx_gt_u32_e32 3, v0
	s_cbranch_execz .LBB69_63
; %bb.56:
	ds_read_b128 v[1:4], v18
	v_cmp_ne_u32_e32 vcc_lo, 1, v19
	s_cbranch_vccnz .LBB69_58
; %bb.57:
	s_clause 0x3
	buffer_load_dword v20, v17, s[0:3], 0 offen offset:8
	buffer_load_dword v21, v17, s[0:3], 0 offen offset:12
	buffer_load_dword v24, v17, s[0:3], 0 offen
	buffer_load_dword v25, v17, s[0:3], 0 offen offset:4
	s_waitcnt vmcnt(2) lgkmcnt(0)
	v_mul_f64 v[26:27], v[3:4], v[20:21]
	v_mul_f64 v[20:21], v[1:2], v[20:21]
	s_waitcnt vmcnt(0)
	v_fma_f64 v[1:2], v[1:2], v[24:25], -v[26:27]
	v_fma_f64 v[3:4], v[3:4], v[24:25], v[20:21]
.LBB69_58:
	s_mov_b32 s12, exec_lo
	v_cmpx_ne_u32_e32 2, v0
	s_cbranch_execz .LBB69_62
; %bb.59:
	s_clause 0x3
	buffer_load_dword v20, v17, s[0:3], 0 offen offset:24
	buffer_load_dword v21, v17, s[0:3], 0 offen offset:28
	;; [unrolled: 1-line block ×4, first 2 shown]
	ds_read_b128 v[24:27], v18 offset:16
	s_waitcnt vmcnt(2) lgkmcnt(0)
	v_mul_f64 v[30:31], v[26:27], v[20:21]
	v_mul_f64 v[20:21], v[24:25], v[20:21]
	s_waitcnt vmcnt(0)
	v_fma_f64 v[24:25], v[24:25], v[28:29], -v[30:31]
	v_fma_f64 v[20:21], v[26:27], v[28:29], v[20:21]
	v_add_f64 v[1:2], v[1:2], v[24:25]
	v_add_f64 v[3:4], v[3:4], v[20:21]
	s_and_saveexec_b32 s13, s4
	s_cbranch_execz .LBB69_61
; %bb.60:
	s_clause 0x3
	buffer_load_dword v20, off, s[0:3], 0 offset:40
	buffer_load_dword v21, off, s[0:3], 0 offset:44
	;; [unrolled: 1-line block ×4, first 2 shown]
	v_mov_b32_e32 v22, 0
	ds_read_b128 v[24:27], v22 offset:128
	s_waitcnt vmcnt(2) lgkmcnt(0)
	v_mul_f64 v[30:31], v[24:25], v[20:21]
	v_mul_f64 v[20:21], v[26:27], v[20:21]
	s_waitcnt vmcnt(0)
	v_fma_f64 v[26:27], v[26:27], v[28:29], v[30:31]
	v_fma_f64 v[20:21], v[24:25], v[28:29], -v[20:21]
	v_add_f64 v[3:4], v[3:4], v[26:27]
	v_add_f64 v[1:2], v[1:2], v[20:21]
.LBB69_61:
	s_or_b32 exec_lo, exec_lo, s13
.LBB69_62:
	s_or_b32 exec_lo, exec_lo, s12
	v_mov_b32_e32 v20, 0
	ds_read_b128 v[24:27], v20 offset:48
	s_waitcnt lgkmcnt(0)
	v_mul_f64 v[20:21], v[3:4], v[26:27]
	v_mul_f64 v[26:27], v[1:2], v[26:27]
	v_fma_f64 v[1:2], v[1:2], v[24:25], -v[20:21]
	v_fma_f64 v[3:4], v[3:4], v[24:25], v[26:27]
	buffer_store_dword v2, off, s[0:3], 0 offset:52
	buffer_store_dword v1, off, s[0:3], 0 offset:48
	;; [unrolled: 1-line block ×4, first 2 shown]
.LBB69_63:
	s_or_b32 exec_lo, exec_lo, s8
	v_mov_b32_e32 v4, s7
	v_cmp_gt_u32_e64 s4, 4, v0
	s_clause 0x3
	buffer_load_dword v1, v4, s[0:3], 0 offen
	buffer_load_dword v2, v4, s[0:3], 0 offen offset:4
	buffer_load_dword v3, v4, s[0:3], 0 offen offset:8
	;; [unrolled: 1-line block ×3, first 2 shown]
	s_waitcnt vmcnt(0)
	ds_write_b128 v18, v[1:4]
	s_waitcnt lgkmcnt(0)
	s_waitcnt_vscnt null, 0x0
	s_barrier
	buffer_gl0_inv
	s_and_saveexec_b32 s8, s4
	s_cbranch_execz .LBB69_71
; %bb.64:
	ds_read_b128 v[1:4], v18
	v_cmp_ne_u32_e32 vcc_lo, 1, v19
	s_cbranch_vccnz .LBB69_66
; %bb.65:
	s_clause 0x3
	buffer_load_dword v20, v17, s[0:3], 0 offen offset:8
	buffer_load_dword v21, v17, s[0:3], 0 offen offset:12
	buffer_load_dword v24, v17, s[0:3], 0 offen
	buffer_load_dword v25, v17, s[0:3], 0 offen offset:4
	s_waitcnt vmcnt(2) lgkmcnt(0)
	v_mul_f64 v[26:27], v[3:4], v[20:21]
	v_mul_f64 v[20:21], v[1:2], v[20:21]
	s_waitcnt vmcnt(0)
	v_fma_f64 v[1:2], v[1:2], v[24:25], -v[26:27]
	v_fma_f64 v[3:4], v[3:4], v[24:25], v[20:21]
.LBB69_66:
	s_mov_b32 s12, exec_lo
	v_cmpx_ne_u32_e32 3, v0
	s_cbranch_execz .LBB69_70
; %bb.67:
	v_add_nc_u32_e32 v20, 0x70, v23
	v_add3_u32 v21, 0, v23, 16
	v_mov_b32_e32 v22, v0
	s_mov_b32 s13, 0
	.p2align	6
.LBB69_68:                              ; =>This Inner Loop Header: Depth=1
	s_clause 0x3
	buffer_load_dword v28, v21, s[0:3], 0 offen offset:8
	buffer_load_dword v29, v21, s[0:3], 0 offen offset:12
	buffer_load_dword v30, v21, s[0:3], 0 offen
	buffer_load_dword v31, v21, s[0:3], 0 offen offset:4
	ds_read_b128 v[24:27], v20
	v_add_nc_u32_e32 v22, 1, v22
	v_add_nc_u32_e32 v20, 16, v20
	;; [unrolled: 1-line block ×3, first 2 shown]
	v_cmp_lt_u32_e32 vcc_lo, 2, v22
	s_or_b32 s13, vcc_lo, s13
	s_waitcnt vmcnt(2) lgkmcnt(0)
	v_mul_f64 v[32:33], v[26:27], v[28:29]
	v_mul_f64 v[28:29], v[24:25], v[28:29]
	s_waitcnt vmcnt(0)
	v_fma_f64 v[24:25], v[24:25], v[30:31], -v[32:33]
	v_fma_f64 v[26:27], v[26:27], v[30:31], v[28:29]
	v_add_f64 v[1:2], v[1:2], v[24:25]
	v_add_f64 v[3:4], v[3:4], v[26:27]
	s_andn2_b32 exec_lo, exec_lo, s13
	s_cbranch_execnz .LBB69_68
; %bb.69:
	s_or_b32 exec_lo, exec_lo, s13
.LBB69_70:
	s_or_b32 exec_lo, exec_lo, s12
	v_mov_b32_e32 v20, 0
	ds_read_b128 v[24:27], v20 offset:64
	s_waitcnt lgkmcnt(0)
	v_mul_f64 v[20:21], v[3:4], v[26:27]
	v_mul_f64 v[26:27], v[1:2], v[26:27]
	v_fma_f64 v[1:2], v[1:2], v[24:25], -v[20:21]
	v_fma_f64 v[3:4], v[3:4], v[24:25], v[26:27]
	buffer_store_dword v2, off, s[0:3], 0 offset:68
	buffer_store_dword v1, off, s[0:3], 0 offset:64
	;; [unrolled: 1-line block ×4, first 2 shown]
.LBB69_71:
	s_or_b32 exec_lo, exec_lo, s8
	v_mov_b32_e32 v4, s6
	s_mov_b32 s8, exec_lo
                                        ; implicit-def: $sgpr14
	s_clause 0x3
	buffer_load_dword v1, v4, s[0:3], 0 offen
	buffer_load_dword v2, v4, s[0:3], 0 offen offset:4
	buffer_load_dword v3, v4, s[0:3], 0 offen offset:8
	;; [unrolled: 1-line block ×3, first 2 shown]
	s_waitcnt vmcnt(0)
	ds_write_b128 v18, v[1:4]
	s_waitcnt lgkmcnt(0)
	s_waitcnt_vscnt null, 0x0
	s_barrier
	buffer_gl0_inv
                                        ; implicit-def: $vgpr1_vgpr2
	v_cmpx_ne_u32_e32 5, v0
	s_cbranch_execz .LBB69_79
; %bb.72:
	ds_read_b128 v[1:4], v18
	v_cmp_ne_u32_e32 vcc_lo, 1, v19
	s_cbranch_vccnz .LBB69_74
; %bb.73:
	s_clause 0x3
	buffer_load_dword v18, v17, s[0:3], 0 offen offset:8
	buffer_load_dword v19, v17, s[0:3], 0 offen offset:12
	buffer_load_dword v20, v17, s[0:3], 0 offen
	buffer_load_dword v21, v17, s[0:3], 0 offen offset:4
	s_waitcnt vmcnt(2) lgkmcnt(0)
	v_mul_f64 v[24:25], v[3:4], v[18:19]
	v_mul_f64 v[17:18], v[1:2], v[18:19]
	s_waitcnt vmcnt(0)
	v_fma_f64 v[1:2], v[1:2], v[20:21], -v[24:25]
	v_fma_f64 v[3:4], v[3:4], v[20:21], v[17:18]
.LBB69_74:
	s_and_saveexec_b32 s12, s4
	s_cbranch_execz .LBB69_78
; %bb.75:
	v_add_nc_u32_e32 v17, 0x70, v23
	v_add3_u32 v18, 0, v23, 16
	s_mov_b32 s4, 0
	.p2align	6
.LBB69_76:                              ; =>This Inner Loop Header: Depth=1
	s_clause 0x3
	buffer_load_dword v23, v18, s[0:3], 0 offen offset:8
	buffer_load_dword v24, v18, s[0:3], 0 offen offset:12
	buffer_load_dword v25, v18, s[0:3], 0 offen
	buffer_load_dword v26, v18, s[0:3], 0 offen offset:4
	ds_read_b128 v[19:22], v17
	v_add_nc_u32_e32 v0, 1, v0
	v_add_nc_u32_e32 v17, 16, v17
	;; [unrolled: 1-line block ×3, first 2 shown]
	v_cmp_lt_u32_e32 vcc_lo, 3, v0
	s_or_b32 s4, vcc_lo, s4
	s_waitcnt vmcnt(2) lgkmcnt(0)
	v_mul_f64 v[27:28], v[21:22], v[23:24]
	v_mul_f64 v[23:24], v[19:20], v[23:24]
	s_waitcnt vmcnt(0)
	v_fma_f64 v[19:20], v[19:20], v[25:26], -v[27:28]
	v_fma_f64 v[21:22], v[21:22], v[25:26], v[23:24]
	v_add_f64 v[1:2], v[1:2], v[19:20]
	v_add_f64 v[3:4], v[3:4], v[21:22]
	s_andn2_b32 exec_lo, exec_lo, s4
	s_cbranch_execnz .LBB69_76
; %bb.77:
	s_or_b32 exec_lo, exec_lo, s4
.LBB69_78:
	s_or_b32 exec_lo, exec_lo, s12
	v_mov_b32_e32 v0, 0
	s_movk_i32 s14, 0x58
	s_or_b32 s5, s5, exec_lo
	ds_read_b128 v[17:20], v0 offset:80
	s_waitcnt lgkmcnt(0)
	v_mul_f64 v[21:22], v[3:4], v[19:20]
	v_mul_f64 v[19:20], v[1:2], v[19:20]
	v_fma_f64 v[21:22], v[1:2], v[17:18], -v[21:22]
	v_fma_f64 v[1:2], v[3:4], v[17:18], v[19:20]
	buffer_store_dword v22, off, s[0:3], 0 offset:84
	buffer_store_dword v21, off, s[0:3], 0 offset:80
.LBB69_79:
	s_or_b32 exec_lo, exec_lo, s8
.LBB69_80:
	s_and_saveexec_b32 s4, s5
	s_cbranch_execz .LBB69_82
; %bb.81:
	v_mov_b32_e32 v0, s14
	buffer_store_dword v2, v0, s[0:3], 0 offen offset:4
	buffer_store_dword v1, v0, s[0:3], 0 offen
.LBB69_82:
	s_or_b32 exec_lo, exec_lo, s4
	s_clause 0x3
	buffer_load_dword v0, off, s[0:3], 0
	buffer_load_dword v1, off, s[0:3], 0 offset:4
	buffer_load_dword v2, off, s[0:3], 0 offset:8
	;; [unrolled: 1-line block ×3, first 2 shown]
	v_mov_b32_e32 v4, s11
	s_waitcnt vmcnt(0)
	flat_store_dwordx4 v[5:6], v[0:3]
	s_clause 0x3
	buffer_load_dword v0, v4, s[0:3], 0 offen
	buffer_load_dword v1, v4, s[0:3], 0 offen offset:4
	buffer_load_dword v2, v4, s[0:3], 0 offen offset:8
	buffer_load_dword v3, v4, s[0:3], 0 offen offset:12
	v_mov_b32_e32 v4, s10
	s_waitcnt vmcnt(0)
	flat_store_dwordx4 v[7:8], v[0:3]
	s_clause 0x3
	buffer_load_dword v0, v4, s[0:3], 0 offen
	buffer_load_dword v1, v4, s[0:3], 0 offen offset:4
	buffer_load_dword v2, v4, s[0:3], 0 offen offset:8
	buffer_load_dword v3, v4, s[0:3], 0 offen offset:12
	;; [unrolled: 8-line block ×5, first 2 shown]
	s_waitcnt vmcnt(0)
	flat_store_dwordx4 v[15:16], v[0:3]
.LBB69_83:
	s_endpgm
	.section	.rodata,"a",@progbits
	.p2align	6, 0x0
	.amdhsa_kernel _ZN9rocsolver6v33100L18trti2_kernel_smallILi6E19rocblas_complex_numIdEPKPS3_EEv13rocblas_fill_17rocblas_diagonal_T1_iil
		.amdhsa_group_segment_fixed_size 192
		.amdhsa_private_segment_fixed_size 112
		.amdhsa_kernarg_size 32
		.amdhsa_user_sgpr_count 6
		.amdhsa_user_sgpr_private_segment_buffer 1
		.amdhsa_user_sgpr_dispatch_ptr 0
		.amdhsa_user_sgpr_queue_ptr 0
		.amdhsa_user_sgpr_kernarg_segment_ptr 1
		.amdhsa_user_sgpr_dispatch_id 0
		.amdhsa_user_sgpr_flat_scratch_init 0
		.amdhsa_user_sgpr_private_segment_size 0
		.amdhsa_wavefront_size32 1
		.amdhsa_uses_dynamic_stack 0
		.amdhsa_system_sgpr_private_segment_wavefront_offset 1
		.amdhsa_system_sgpr_workgroup_id_x 1
		.amdhsa_system_sgpr_workgroup_id_y 0
		.amdhsa_system_sgpr_workgroup_id_z 0
		.amdhsa_system_sgpr_workgroup_info 0
		.amdhsa_system_vgpr_workitem_id 0
		.amdhsa_next_free_vgpr 34
		.amdhsa_next_free_sgpr 16
		.amdhsa_reserve_vcc 1
		.amdhsa_reserve_flat_scratch 0
		.amdhsa_float_round_mode_32 0
		.amdhsa_float_round_mode_16_64 0
		.amdhsa_float_denorm_mode_32 3
		.amdhsa_float_denorm_mode_16_64 3
		.amdhsa_dx10_clamp 1
		.amdhsa_ieee_mode 1
		.amdhsa_fp16_overflow 0
		.amdhsa_workgroup_processor_mode 1
		.amdhsa_memory_ordered 1
		.amdhsa_forward_progress 1
		.amdhsa_shared_vgpr_count 0
		.amdhsa_exception_fp_ieee_invalid_op 0
		.amdhsa_exception_fp_denorm_src 0
		.amdhsa_exception_fp_ieee_div_zero 0
		.amdhsa_exception_fp_ieee_overflow 0
		.amdhsa_exception_fp_ieee_underflow 0
		.amdhsa_exception_fp_ieee_inexact 0
		.amdhsa_exception_int_div_zero 0
	.end_amdhsa_kernel
	.section	.text._ZN9rocsolver6v33100L18trti2_kernel_smallILi6E19rocblas_complex_numIdEPKPS3_EEv13rocblas_fill_17rocblas_diagonal_T1_iil,"axG",@progbits,_ZN9rocsolver6v33100L18trti2_kernel_smallILi6E19rocblas_complex_numIdEPKPS3_EEv13rocblas_fill_17rocblas_diagonal_T1_iil,comdat
.Lfunc_end69:
	.size	_ZN9rocsolver6v33100L18trti2_kernel_smallILi6E19rocblas_complex_numIdEPKPS3_EEv13rocblas_fill_17rocblas_diagonal_T1_iil, .Lfunc_end69-_ZN9rocsolver6v33100L18trti2_kernel_smallILi6E19rocblas_complex_numIdEPKPS3_EEv13rocblas_fill_17rocblas_diagonal_T1_iil
                                        ; -- End function
	.set _ZN9rocsolver6v33100L18trti2_kernel_smallILi6E19rocblas_complex_numIdEPKPS3_EEv13rocblas_fill_17rocblas_diagonal_T1_iil.num_vgpr, 34
	.set _ZN9rocsolver6v33100L18trti2_kernel_smallILi6E19rocblas_complex_numIdEPKPS3_EEv13rocblas_fill_17rocblas_diagonal_T1_iil.num_agpr, 0
	.set _ZN9rocsolver6v33100L18trti2_kernel_smallILi6E19rocblas_complex_numIdEPKPS3_EEv13rocblas_fill_17rocblas_diagonal_T1_iil.numbered_sgpr, 16
	.set _ZN9rocsolver6v33100L18trti2_kernel_smallILi6E19rocblas_complex_numIdEPKPS3_EEv13rocblas_fill_17rocblas_diagonal_T1_iil.num_named_barrier, 0
	.set _ZN9rocsolver6v33100L18trti2_kernel_smallILi6E19rocblas_complex_numIdEPKPS3_EEv13rocblas_fill_17rocblas_diagonal_T1_iil.private_seg_size, 112
	.set _ZN9rocsolver6v33100L18trti2_kernel_smallILi6E19rocblas_complex_numIdEPKPS3_EEv13rocblas_fill_17rocblas_diagonal_T1_iil.uses_vcc, 1
	.set _ZN9rocsolver6v33100L18trti2_kernel_smallILi6E19rocblas_complex_numIdEPKPS3_EEv13rocblas_fill_17rocblas_diagonal_T1_iil.uses_flat_scratch, 0
	.set _ZN9rocsolver6v33100L18trti2_kernel_smallILi6E19rocblas_complex_numIdEPKPS3_EEv13rocblas_fill_17rocblas_diagonal_T1_iil.has_dyn_sized_stack, 0
	.set _ZN9rocsolver6v33100L18trti2_kernel_smallILi6E19rocblas_complex_numIdEPKPS3_EEv13rocblas_fill_17rocblas_diagonal_T1_iil.has_recursion, 0
	.set _ZN9rocsolver6v33100L18trti2_kernel_smallILi6E19rocblas_complex_numIdEPKPS3_EEv13rocblas_fill_17rocblas_diagonal_T1_iil.has_indirect_call, 0
	.section	.AMDGPU.csdata,"",@progbits
; Kernel info:
; codeLenInByte = 5548
; TotalNumSgprs: 18
; NumVgprs: 34
; ScratchSize: 112
; MemoryBound: 0
; FloatMode: 240
; IeeeMode: 1
; LDSByteSize: 192 bytes/workgroup (compile time only)
; SGPRBlocks: 0
; VGPRBlocks: 4
; NumSGPRsForWavesPerEU: 18
; NumVGPRsForWavesPerEU: 34
; Occupancy: 16
; WaveLimiterHint : 1
; COMPUTE_PGM_RSRC2:SCRATCH_EN: 1
; COMPUTE_PGM_RSRC2:USER_SGPR: 6
; COMPUTE_PGM_RSRC2:TRAP_HANDLER: 0
; COMPUTE_PGM_RSRC2:TGID_X_EN: 1
; COMPUTE_PGM_RSRC2:TGID_Y_EN: 0
; COMPUTE_PGM_RSRC2:TGID_Z_EN: 0
; COMPUTE_PGM_RSRC2:TIDIG_COMP_CNT: 0
	.section	.text._ZN9rocsolver6v33100L18trti2_kernel_smallILi7E19rocblas_complex_numIdEPKPS3_EEv13rocblas_fill_17rocblas_diagonal_T1_iil,"axG",@progbits,_ZN9rocsolver6v33100L18trti2_kernel_smallILi7E19rocblas_complex_numIdEPKPS3_EEv13rocblas_fill_17rocblas_diagonal_T1_iil,comdat
	.globl	_ZN9rocsolver6v33100L18trti2_kernel_smallILi7E19rocblas_complex_numIdEPKPS3_EEv13rocblas_fill_17rocblas_diagonal_T1_iil ; -- Begin function _ZN9rocsolver6v33100L18trti2_kernel_smallILi7E19rocblas_complex_numIdEPKPS3_EEv13rocblas_fill_17rocblas_diagonal_T1_iil
	.p2align	8
	.type	_ZN9rocsolver6v33100L18trti2_kernel_smallILi7E19rocblas_complex_numIdEPKPS3_EEv13rocblas_fill_17rocblas_diagonal_T1_iil,@function
_ZN9rocsolver6v33100L18trti2_kernel_smallILi7E19rocblas_complex_numIdEPKPS3_EEv13rocblas_fill_17rocblas_diagonal_T1_iil: ; @_ZN9rocsolver6v33100L18trti2_kernel_smallILi7E19rocblas_complex_numIdEPKPS3_EEv13rocblas_fill_17rocblas_diagonal_T1_iil
; %bb.0:
	s_add_u32 s0, s0, s7
	s_addc_u32 s1, s1, 0
	s_mov_b32 s7, exec_lo
	v_cmpx_gt_u32_e32 7, v0
	s_cbranch_execz .LBB70_99
; %bb.1:
	s_clause 0x1
	s_load_dwordx2 s[12:13], s[4:5], 0x10
	s_load_dwordx4 s[8:11], s[4:5], 0x0
	s_ashr_i32 s7, s6, 31
	v_lshlrev_b32_e32 v25, 4, v0
	s_lshl_b64 s[4:5], s[6:7], 3
	s_waitcnt lgkmcnt(0)
	s_ashr_i32 s7, s12, 31
	s_add_u32 s4, s10, s4
	s_addc_u32 s5, s11, s5
	s_mov_b32 s6, s12
	s_load_dwordx2 s[4:5], s[4:5], 0x0
	s_lshl_b64 s[6:7], s[6:7], 4
	v_add3_u32 v11, s13, s13, v0
	v_ashrrev_i32_e32 v12, 31, v11
	v_add_nc_u32_e32 v13, s13, v11
	v_lshlrev_b64 v[9:10], 4, v[11:12]
	v_ashrrev_i32_e32 v14, 31, v13
	v_add_nc_u32_e32 v15, s13, v13
	v_lshlrev_b64 v[11:12], 4, v[13:14]
	v_ashrrev_i32_e32 v16, 31, v15
	s_waitcnt lgkmcnt(0)
	s_add_u32 s6, s4, s6
	s_addc_u32 s7, s5, s7
	v_add_co_u32 v5, s4, s6, v25
	v_add_co_ci_u32_e64 v6, null, s7, 0, s4
	s_mov_b32 s4, s13
	s_ashr_i32 s5, s13, 31
	v_lshlrev_b64 v[13:14], 4, v[15:16]
	flat_load_dwordx4 v[1:4], v[5:6]
	s_lshl_b64 s[4:5], s[4:5], 4
	v_add_nc_u32_e32 v17, s13, v15
	v_add_co_u32 v7, vcc_lo, v5, s4
	v_add_co_ci_u32_e64 v8, null, s5, v6, vcc_lo
	v_add_co_u32 v9, vcc_lo, s6, v9
	v_add_co_ci_u32_e64 v10, null, s7, v10, vcc_lo
	;; [unrolled: 2-line block ×4, first 2 shown]
	v_ashrrev_i32_e32 v18, 31, v17
	s_cmpk_lg_i32 s9, 0x84
	s_movk_i32 s4, 0x50
	s_movk_i32 s5, 0x60
	s_waitcnt vmcnt(0) lgkmcnt(0)
	buffer_store_dword v4, off, s[0:3], 0 offset:12
	buffer_store_dword v3, off, s[0:3], 0 offset:8
	;; [unrolled: 1-line block ×3, first 2 shown]
	buffer_store_dword v1, off, s[0:3], 0
	flat_load_dwordx4 v[1:4], v[7:8]
	v_lshlrev_b64 v[15:16], 4, v[17:18]
	v_add_nc_u32_e32 v17, s13, v17
	s_cselect_b32 s13, -1, 0
	s_cmpk_eq_i32 s9, 0x84
	s_waitcnt vmcnt(0) lgkmcnt(0)
	buffer_store_dword v4, off, s[0:3], 0 offset:28
	buffer_store_dword v3, off, s[0:3], 0 offset:24
	buffer_store_dword v2, off, s[0:3], 0 offset:20
	buffer_store_dword v1, off, s[0:3], 0 offset:16
	flat_load_dwordx4 v[1:4], v[9:10]
	v_add_co_u32 v15, vcc_lo, s6, v15
	v_add_co_ci_u32_e64 v16, null, s7, v16, vcc_lo
	v_ashrrev_i32_e32 v18, 31, v17
	s_waitcnt vmcnt(0) lgkmcnt(0)
	buffer_store_dword v4, off, s[0:3], 0 offset:44
	buffer_store_dword v3, off, s[0:3], 0 offset:40
	;; [unrolled: 1-line block ×4, first 2 shown]
	flat_load_dwordx4 v[1:4], v[11:12]
	v_lshlrev_b64 v[17:18], 4, v[17:18]
	s_waitcnt vmcnt(0) lgkmcnt(0)
	buffer_store_dword v4, off, s[0:3], 0 offset:60
	buffer_store_dword v3, off, s[0:3], 0 offset:56
	;; [unrolled: 1-line block ×4, first 2 shown]
	flat_load_dwordx4 v[1:4], v[13:14]
	v_add_co_u32 v17, vcc_lo, s6, v17
	v_add_co_ci_u32_e64 v18, null, s7, v18, vcc_lo
	s_waitcnt vmcnt(0) lgkmcnt(0)
	buffer_store_dword v4, off, s[0:3], 0 offset:76
	buffer_store_dword v3, off, s[0:3], 0 offset:72
	;; [unrolled: 1-line block ×4, first 2 shown]
	flat_load_dwordx4 v[1:4], v[15:16]
	s_waitcnt vmcnt(0) lgkmcnt(0)
	buffer_store_dword v4, off, s[0:3], 0 offset:92
	buffer_store_dword v3, off, s[0:3], 0 offset:88
	;; [unrolled: 1-line block ×4, first 2 shown]
	flat_load_dwordx4 v[1:4], v[17:18]
	s_waitcnt vmcnt(0) lgkmcnt(0)
	buffer_store_dword v4, off, s[0:3], 0 offset:108
	buffer_store_dword v3, off, s[0:3], 0 offset:104
	;; [unrolled: 1-line block ×4, first 2 shown]
	s_cbranch_scc1 .LBB70_7
; %bb.2:
	v_lshl_add_u32 v26, v0, 4, 0
                                        ; implicit-def: $vgpr21_vgpr22
                                        ; implicit-def: $vgpr3_vgpr4
	s_clause 0x3
	buffer_load_dword v19, v26, s[0:3], 0 offen
	buffer_load_dword v20, v26, s[0:3], 0 offen offset:4
	buffer_load_dword v23, v26, s[0:3], 0 offen offset:8
	;; [unrolled: 1-line block ×3, first 2 shown]
	s_waitcnt vmcnt(0)
	v_cmp_ngt_f64_e64 s6, |v[19:20]|, |v[23:24]|
	s_and_saveexec_b32 s7, s6
	s_xor_b32 s6, exec_lo, s7
	s_cbranch_execz .LBB70_4
; %bb.3:
	v_div_scale_f64 v[1:2], null, v[23:24], v[23:24], v[19:20]
	v_div_scale_f64 v[27:28], vcc_lo, v[19:20], v[23:24], v[19:20]
	v_rcp_f64_e32 v[3:4], v[1:2]
	v_fma_f64 v[21:22], -v[1:2], v[3:4], 1.0
	v_fma_f64 v[3:4], v[3:4], v[21:22], v[3:4]
	v_fma_f64 v[21:22], -v[1:2], v[3:4], 1.0
	v_fma_f64 v[3:4], v[3:4], v[21:22], v[3:4]
	v_mul_f64 v[21:22], v[27:28], v[3:4]
	v_fma_f64 v[1:2], -v[1:2], v[21:22], v[27:28]
	v_div_fmas_f64 v[1:2], v[1:2], v[3:4], v[21:22]
	v_div_fixup_f64 v[1:2], v[1:2], v[23:24], v[19:20]
	v_fma_f64 v[3:4], v[19:20], v[1:2], v[23:24]
	v_div_scale_f64 v[19:20], null, v[3:4], v[3:4], 1.0
	v_div_scale_f64 v[27:28], vcc_lo, 1.0, v[3:4], 1.0
	v_rcp_f64_e32 v[21:22], v[19:20]
	v_fma_f64 v[23:24], -v[19:20], v[21:22], 1.0
	v_fma_f64 v[21:22], v[21:22], v[23:24], v[21:22]
	v_fma_f64 v[23:24], -v[19:20], v[21:22], 1.0
	v_fma_f64 v[21:22], v[21:22], v[23:24], v[21:22]
	v_mul_f64 v[23:24], v[27:28], v[21:22]
	v_fma_f64 v[19:20], -v[19:20], v[23:24], v[27:28]
	v_div_fmas_f64 v[19:20], v[19:20], v[21:22], v[23:24]
                                        ; implicit-def: $vgpr23_vgpr24
	v_div_fixup_f64 v[3:4], v[19:20], v[3:4], 1.0
                                        ; implicit-def: $vgpr19_vgpr20
	v_mul_f64 v[21:22], v[1:2], v[3:4]
	v_xor_b32_e32 v4, 0x80000000, v4
	v_xor_b32_e32 v2, 0x80000000, v22
	v_mov_b32_e32 v1, v21
.LBB70_4:
	s_andn2_saveexec_b32 s6, s6
	s_cbranch_execz .LBB70_6
; %bb.5:
	v_div_scale_f64 v[1:2], null, v[19:20], v[19:20], v[23:24]
	v_div_scale_f64 v[27:28], vcc_lo, v[23:24], v[19:20], v[23:24]
	v_rcp_f64_e32 v[3:4], v[1:2]
	v_fma_f64 v[21:22], -v[1:2], v[3:4], 1.0
	v_fma_f64 v[3:4], v[3:4], v[21:22], v[3:4]
	v_fma_f64 v[21:22], -v[1:2], v[3:4], 1.0
	v_fma_f64 v[3:4], v[3:4], v[21:22], v[3:4]
	v_mul_f64 v[21:22], v[27:28], v[3:4]
	v_fma_f64 v[1:2], -v[1:2], v[21:22], v[27:28]
	v_div_fmas_f64 v[1:2], v[1:2], v[3:4], v[21:22]
	v_div_fixup_f64 v[1:2], v[1:2], v[19:20], v[23:24]
	v_fma_f64 v[3:4], v[23:24], v[1:2], v[19:20]
	v_div_scale_f64 v[19:20], null, v[3:4], v[3:4], 1.0
	v_rcp_f64_e32 v[21:22], v[19:20]
	v_fma_f64 v[23:24], -v[19:20], v[21:22], 1.0
	v_fma_f64 v[21:22], v[21:22], v[23:24], v[21:22]
	v_fma_f64 v[23:24], -v[19:20], v[21:22], 1.0
	v_fma_f64 v[21:22], v[21:22], v[23:24], v[21:22]
	v_div_scale_f64 v[23:24], vcc_lo, 1.0, v[3:4], 1.0
	v_mul_f64 v[27:28], v[23:24], v[21:22]
	v_fma_f64 v[19:20], -v[19:20], v[27:28], v[23:24]
	v_div_fmas_f64 v[19:20], v[19:20], v[21:22], v[27:28]
	v_div_fixup_f64 v[21:22], v[19:20], v[3:4], 1.0
	v_mul_f64 v[3:4], v[1:2], -v[21:22]
	v_xor_b32_e32 v2, 0x80000000, v22
	v_mov_b32_e32 v1, v21
.LBB70_6:
	s_or_b32 exec_lo, exec_lo, s6
	buffer_store_dword v4, v26, s[0:3], 0 offen offset:12
	v_xor_b32_e32 v4, 0x80000000, v4
	buffer_store_dword v22, v26, s[0:3], 0 offen offset:4
	buffer_store_dword v21, v26, s[0:3], 0 offen
	buffer_store_dword v3, v26, s[0:3], 0 offen offset:8
	s_branch .LBB70_8
.LBB70_7:
	v_mov_b32_e32 v1, 0
	v_mov_b32_e32 v3, 0
	;; [unrolled: 1-line block ×4, first 2 shown]
.LBB70_8:
	v_add_nc_u32_e32 v20, 0x70, v25
	v_mov_b32_e32 v19, v25
	s_mov_b32 s12, 16
	s_mov_b32 s11, 32
	;; [unrolled: 1-line block ×6, first 2 shown]
	s_cmpk_eq_i32 s8, 0x79
	ds_write_b128 v25, v[1:4]
	s_cbranch_scc1 .LBB70_52
; %bb.9:
	v_mov_b32_e32 v4, s7
	v_cmp_eq_u32_e64 s4, 6, v0
	s_clause 0x3
	buffer_load_dword v1, v4, s[0:3], 0 offen
	buffer_load_dword v2, v4, s[0:3], 0 offen offset:4
	buffer_load_dword v3, v4, s[0:3], 0 offen offset:8
	;; [unrolled: 1-line block ×3, first 2 shown]
	s_waitcnt vmcnt(0)
	ds_write_b128 v20, v[1:4]
	s_waitcnt lgkmcnt(0)
	s_waitcnt_vscnt null, 0x0
	s_barrier
	buffer_gl0_inv
	s_and_saveexec_b32 s5, s4
	s_cbranch_execz .LBB70_13
; %bb.10:
	ds_read_b128 v[1:4], v20
	s_andn2_b32 vcc_lo, exec_lo, s13
	s_cbranch_vccnz .LBB70_12
; %bb.11:
	s_clause 0x3
	buffer_load_dword v21, v19, s[0:3], 0 offen offset:8
	buffer_load_dword v22, v19, s[0:3], 0 offen offset:12
	buffer_load_dword v23, v19, s[0:3], 0 offen
	buffer_load_dword v24, v19, s[0:3], 0 offen offset:4
	s_waitcnt vmcnt(2) lgkmcnt(0)
	v_mul_f64 v[26:27], v[3:4], v[21:22]
	v_mul_f64 v[21:22], v[1:2], v[21:22]
	s_waitcnt vmcnt(0)
	v_fma_f64 v[1:2], v[1:2], v[23:24], -v[26:27]
	v_fma_f64 v[3:4], v[3:4], v[23:24], v[21:22]
.LBB70_12:
	v_mov_b32_e32 v21, 0
	ds_read_b128 v[21:24], v21 offset:80
	s_waitcnt lgkmcnt(0)
	v_mul_f64 v[26:27], v[3:4], v[23:24]
	v_mul_f64 v[23:24], v[1:2], v[23:24]
	v_fma_f64 v[1:2], v[1:2], v[21:22], -v[26:27]
	v_fma_f64 v[3:4], v[3:4], v[21:22], v[23:24]
	buffer_store_dword v2, off, s[0:3], 0 offset:84
	buffer_store_dword v1, off, s[0:3], 0 offset:80
	;; [unrolled: 1-line block ×4, first 2 shown]
.LBB70_13:
	s_or_b32 exec_lo, exec_lo, s5
	v_mov_b32_e32 v4, s9
	v_cmp_lt_u32_e64 s5, 4, v0
	s_clause 0x3
	buffer_load_dword v1, v4, s[0:3], 0 offen
	buffer_load_dword v2, v4, s[0:3], 0 offen offset:4
	buffer_load_dword v3, v4, s[0:3], 0 offen offset:8
	;; [unrolled: 1-line block ×3, first 2 shown]
	s_waitcnt vmcnt(0)
	ds_write_b128 v20, v[1:4]
	s_waitcnt lgkmcnt(0)
	s_waitcnt_vscnt null, 0x0
	s_barrier
	buffer_gl0_inv
	s_and_saveexec_b32 s8, s5
	s_cbranch_execz .LBB70_19
; %bb.14:
	ds_read_b128 v[1:4], v20
	s_andn2_b32 vcc_lo, exec_lo, s13
	s_cbranch_vccnz .LBB70_16
; %bb.15:
	s_clause 0x3
	buffer_load_dword v21, v19, s[0:3], 0 offen offset:8
	buffer_load_dword v22, v19, s[0:3], 0 offen offset:12
	buffer_load_dword v23, v19, s[0:3], 0 offen
	buffer_load_dword v24, v19, s[0:3], 0 offen offset:4
	s_waitcnt vmcnt(2) lgkmcnt(0)
	v_mul_f64 v[26:27], v[3:4], v[21:22]
	v_mul_f64 v[21:22], v[1:2], v[21:22]
	s_waitcnt vmcnt(0)
	v_fma_f64 v[1:2], v[1:2], v[23:24], -v[26:27]
	v_fma_f64 v[3:4], v[3:4], v[23:24], v[21:22]
.LBB70_16:
	s_and_saveexec_b32 s14, s4
	s_cbranch_execz .LBB70_18
; %bb.17:
	s_clause 0x3
	buffer_load_dword v26, off, s[0:3], 0 offset:88
	buffer_load_dword v27, off, s[0:3], 0 offset:92
	;; [unrolled: 1-line block ×4, first 2 shown]
	v_mov_b32_e32 v21, 0
	ds_read_b128 v[21:24], v21 offset:192
	s_waitcnt vmcnt(2) lgkmcnt(0)
	v_mul_f64 v[30:31], v[21:22], v[26:27]
	v_mul_f64 v[26:27], v[23:24], v[26:27]
	s_waitcnt vmcnt(0)
	v_fma_f64 v[23:24], v[23:24], v[28:29], v[30:31]
	v_fma_f64 v[21:22], v[21:22], v[28:29], -v[26:27]
	v_add_f64 v[3:4], v[3:4], v[23:24]
	v_add_f64 v[1:2], v[1:2], v[21:22]
.LBB70_18:
	s_or_b32 exec_lo, exec_lo, s14
	v_mov_b32_e32 v21, 0
	ds_read_b128 v[21:24], v21 offset:64
	s_waitcnt lgkmcnt(0)
	v_mul_f64 v[26:27], v[3:4], v[23:24]
	v_mul_f64 v[23:24], v[1:2], v[23:24]
	v_fma_f64 v[1:2], v[1:2], v[21:22], -v[26:27]
	v_fma_f64 v[3:4], v[3:4], v[21:22], v[23:24]
	buffer_store_dword v2, off, s[0:3], 0 offset:68
	buffer_store_dword v1, off, s[0:3], 0 offset:64
	;; [unrolled: 1-line block ×4, first 2 shown]
.LBB70_19:
	s_or_b32 exec_lo, exec_lo, s8
	v_mov_b32_e32 v4, s10
	v_cmp_lt_u32_e64 s4, 3, v0
	s_clause 0x3
	buffer_load_dword v1, v4, s[0:3], 0 offen
	buffer_load_dword v2, v4, s[0:3], 0 offen offset:4
	buffer_load_dword v3, v4, s[0:3], 0 offen offset:8
	;; [unrolled: 1-line block ×3, first 2 shown]
	s_waitcnt vmcnt(0)
	ds_write_b128 v20, v[1:4]
	s_waitcnt lgkmcnt(0)
	s_waitcnt_vscnt null, 0x0
	s_barrier
	buffer_gl0_inv
	s_and_saveexec_b32 s8, s4
	s_cbranch_execz .LBB70_27
; %bb.20:
	ds_read_b128 v[1:4], v20
	s_andn2_b32 vcc_lo, exec_lo, s13
	s_cbranch_vccnz .LBB70_22
; %bb.21:
	s_clause 0x3
	buffer_load_dword v21, v19, s[0:3], 0 offen offset:8
	buffer_load_dword v22, v19, s[0:3], 0 offen offset:12
	buffer_load_dword v23, v19, s[0:3], 0 offen
	buffer_load_dword v24, v19, s[0:3], 0 offen offset:4
	s_waitcnt vmcnt(2) lgkmcnt(0)
	v_mul_f64 v[26:27], v[3:4], v[21:22]
	v_mul_f64 v[21:22], v[1:2], v[21:22]
	s_waitcnt vmcnt(0)
	v_fma_f64 v[1:2], v[1:2], v[23:24], -v[26:27]
	v_fma_f64 v[3:4], v[3:4], v[23:24], v[21:22]
.LBB70_22:
	s_and_saveexec_b32 s14, s5
	s_cbranch_execz .LBB70_26
; %bb.23:
	v_add_nc_u32_e32 v21, -4, v0
	s_movk_i32 s15, 0xb0
	s_mov_b32 s5, 0
	s_mov_b32 s16, s9
	.p2align	6
.LBB70_24:                              ; =>This Inner Loop Header: Depth=1
	v_mov_b32_e32 v24, s16
	v_add_nc_u32_e32 v21, -1, v21
	s_add_i32 s16, s16, 16
	s_clause 0x3
	buffer_load_dword v22, v24, s[0:3], 0 offen offset:8
	buffer_load_dword v23, v24, s[0:3], 0 offen offset:12
	buffer_load_dword v30, v24, s[0:3], 0 offen
	buffer_load_dword v31, v24, s[0:3], 0 offen offset:4
	v_mov_b32_e32 v24, s15
	v_cmp_eq_u32_e32 vcc_lo, 0, v21
	s_add_i32 s15, s15, 16
	ds_read_b128 v[26:29], v24
	s_or_b32 s5, vcc_lo, s5
	s_waitcnt vmcnt(2) lgkmcnt(0)
	v_mul_f64 v[32:33], v[28:29], v[22:23]
	v_mul_f64 v[22:23], v[26:27], v[22:23]
	s_waitcnt vmcnt(0)
	v_fma_f64 v[26:27], v[26:27], v[30:31], -v[32:33]
	v_fma_f64 v[22:23], v[28:29], v[30:31], v[22:23]
	v_add_f64 v[1:2], v[1:2], v[26:27]
	v_add_f64 v[3:4], v[3:4], v[22:23]
	s_andn2_b32 exec_lo, exec_lo, s5
	s_cbranch_execnz .LBB70_24
; %bb.25:
	s_or_b32 exec_lo, exec_lo, s5
.LBB70_26:
	s_or_b32 exec_lo, exec_lo, s14
	v_mov_b32_e32 v21, 0
	ds_read_b128 v[21:24], v21 offset:48
	s_waitcnt lgkmcnt(0)
	v_mul_f64 v[26:27], v[3:4], v[23:24]
	v_mul_f64 v[23:24], v[1:2], v[23:24]
	v_fma_f64 v[1:2], v[1:2], v[21:22], -v[26:27]
	v_fma_f64 v[3:4], v[3:4], v[21:22], v[23:24]
	buffer_store_dword v2, off, s[0:3], 0 offset:52
	buffer_store_dword v1, off, s[0:3], 0 offset:48
	;; [unrolled: 1-line block ×4, first 2 shown]
.LBB70_27:
	s_or_b32 exec_lo, exec_lo, s8
	v_mov_b32_e32 v4, s11
	v_cmp_lt_u32_e64 s5, 2, v0
	s_clause 0x3
	buffer_load_dword v1, v4, s[0:3], 0 offen
	buffer_load_dword v2, v4, s[0:3], 0 offen offset:4
	buffer_load_dword v3, v4, s[0:3], 0 offen offset:8
	;; [unrolled: 1-line block ×3, first 2 shown]
	s_waitcnt vmcnt(0)
	ds_write_b128 v20, v[1:4]
	s_waitcnt lgkmcnt(0)
	s_waitcnt_vscnt null, 0x0
	s_barrier
	buffer_gl0_inv
	s_and_saveexec_b32 s8, s5
	s_cbranch_execz .LBB70_35
; %bb.28:
	ds_read_b128 v[1:4], v20
	s_andn2_b32 vcc_lo, exec_lo, s13
	s_cbranch_vccnz .LBB70_30
; %bb.29:
	s_clause 0x3
	buffer_load_dword v21, v19, s[0:3], 0 offen offset:8
	buffer_load_dword v22, v19, s[0:3], 0 offen offset:12
	buffer_load_dword v23, v19, s[0:3], 0 offen
	buffer_load_dword v24, v19, s[0:3], 0 offen offset:4
	s_waitcnt vmcnt(2) lgkmcnt(0)
	v_mul_f64 v[26:27], v[3:4], v[21:22]
	v_mul_f64 v[21:22], v[1:2], v[21:22]
	s_waitcnt vmcnt(0)
	v_fma_f64 v[1:2], v[1:2], v[23:24], -v[26:27]
	v_fma_f64 v[3:4], v[3:4], v[23:24], v[21:22]
.LBB70_30:
	s_and_saveexec_b32 s14, s4
	s_cbranch_execz .LBB70_34
; %bb.31:
	v_add_nc_u32_e32 v21, -3, v0
	s_movk_i32 s15, 0xa0
	s_mov_b32 s4, 0
	s_mov_b32 s16, s10
	.p2align	6
.LBB70_32:                              ; =>This Inner Loop Header: Depth=1
	v_mov_b32_e32 v24, s16
	v_add_nc_u32_e32 v21, -1, v21
	s_add_i32 s16, s16, 16
	s_clause 0x3
	buffer_load_dword v22, v24, s[0:3], 0 offen offset:8
	buffer_load_dword v23, v24, s[0:3], 0 offen offset:12
	buffer_load_dword v30, v24, s[0:3], 0 offen
	buffer_load_dword v31, v24, s[0:3], 0 offen offset:4
	v_mov_b32_e32 v24, s15
	v_cmp_eq_u32_e32 vcc_lo, 0, v21
	s_add_i32 s15, s15, 16
	ds_read_b128 v[26:29], v24
	s_or_b32 s4, vcc_lo, s4
	s_waitcnt vmcnt(2) lgkmcnt(0)
	v_mul_f64 v[32:33], v[28:29], v[22:23]
	v_mul_f64 v[22:23], v[26:27], v[22:23]
	s_waitcnt vmcnt(0)
	v_fma_f64 v[26:27], v[26:27], v[30:31], -v[32:33]
	v_fma_f64 v[22:23], v[28:29], v[30:31], v[22:23]
	v_add_f64 v[1:2], v[1:2], v[26:27]
	v_add_f64 v[3:4], v[3:4], v[22:23]
	s_andn2_b32 exec_lo, exec_lo, s4
	s_cbranch_execnz .LBB70_32
; %bb.33:
	s_or_b32 exec_lo, exec_lo, s4
.LBB70_34:
	s_or_b32 exec_lo, exec_lo, s14
	v_mov_b32_e32 v21, 0
	ds_read_b128 v[21:24], v21 offset:32
	s_waitcnt lgkmcnt(0)
	v_mul_f64 v[26:27], v[3:4], v[23:24]
	v_mul_f64 v[23:24], v[1:2], v[23:24]
	v_fma_f64 v[1:2], v[1:2], v[21:22], -v[26:27]
	v_fma_f64 v[3:4], v[3:4], v[21:22], v[23:24]
	buffer_store_dword v2, off, s[0:3], 0 offset:36
	buffer_store_dword v1, off, s[0:3], 0 offset:32
	;; [unrolled: 1-line block ×4, first 2 shown]
.LBB70_35:
	s_or_b32 exec_lo, exec_lo, s8
	v_mov_b32_e32 v4, s12
	v_cmp_lt_u32_e64 s4, 1, v0
	s_clause 0x3
	buffer_load_dword v1, v4, s[0:3], 0 offen
	buffer_load_dword v2, v4, s[0:3], 0 offen offset:4
	buffer_load_dword v3, v4, s[0:3], 0 offen offset:8
	;; [unrolled: 1-line block ×3, first 2 shown]
	s_waitcnt vmcnt(0)
	ds_write_b128 v20, v[1:4]
	s_waitcnt lgkmcnt(0)
	s_waitcnt_vscnt null, 0x0
	s_barrier
	buffer_gl0_inv
	s_and_saveexec_b32 s8, s4
	s_cbranch_execz .LBB70_43
; %bb.36:
	ds_read_b128 v[1:4], v20
	s_andn2_b32 vcc_lo, exec_lo, s13
	s_cbranch_vccnz .LBB70_38
; %bb.37:
	s_clause 0x3
	buffer_load_dword v21, v19, s[0:3], 0 offen offset:8
	buffer_load_dword v22, v19, s[0:3], 0 offen offset:12
	buffer_load_dword v23, v19, s[0:3], 0 offen
	buffer_load_dword v24, v19, s[0:3], 0 offen offset:4
	s_waitcnt vmcnt(2) lgkmcnt(0)
	v_mul_f64 v[26:27], v[3:4], v[21:22]
	v_mul_f64 v[21:22], v[1:2], v[21:22]
	s_waitcnt vmcnt(0)
	v_fma_f64 v[1:2], v[1:2], v[23:24], -v[26:27]
	v_fma_f64 v[3:4], v[3:4], v[23:24], v[21:22]
.LBB70_38:
	s_and_saveexec_b32 s14, s5
	s_cbranch_execz .LBB70_42
; %bb.39:
	v_add_nc_u32_e32 v21, -2, v0
	s_movk_i32 s15, 0x90
	s_mov_b32 s5, 0
	s_mov_b32 s16, s11
	.p2align	6
.LBB70_40:                              ; =>This Inner Loop Header: Depth=1
	v_mov_b32_e32 v24, s16
	v_add_nc_u32_e32 v21, -1, v21
	s_add_i32 s16, s16, 16
	s_clause 0x3
	buffer_load_dword v22, v24, s[0:3], 0 offen offset:8
	buffer_load_dword v23, v24, s[0:3], 0 offen offset:12
	buffer_load_dword v30, v24, s[0:3], 0 offen
	buffer_load_dword v31, v24, s[0:3], 0 offen offset:4
	v_mov_b32_e32 v24, s15
	v_cmp_eq_u32_e32 vcc_lo, 0, v21
	s_add_i32 s15, s15, 16
	ds_read_b128 v[26:29], v24
	s_or_b32 s5, vcc_lo, s5
	s_waitcnt vmcnt(2) lgkmcnt(0)
	v_mul_f64 v[32:33], v[28:29], v[22:23]
	v_mul_f64 v[22:23], v[26:27], v[22:23]
	s_waitcnt vmcnt(0)
	v_fma_f64 v[26:27], v[26:27], v[30:31], -v[32:33]
	v_fma_f64 v[22:23], v[28:29], v[30:31], v[22:23]
	v_add_f64 v[1:2], v[1:2], v[26:27]
	v_add_f64 v[3:4], v[3:4], v[22:23]
	s_andn2_b32 exec_lo, exec_lo, s5
	s_cbranch_execnz .LBB70_40
; %bb.41:
	s_or_b32 exec_lo, exec_lo, s5
.LBB70_42:
	s_or_b32 exec_lo, exec_lo, s14
	v_mov_b32_e32 v21, 0
	ds_read_b128 v[21:24], v21 offset:16
	s_waitcnt lgkmcnt(0)
	v_mul_f64 v[26:27], v[3:4], v[23:24]
	v_mul_f64 v[23:24], v[1:2], v[23:24]
	v_fma_f64 v[1:2], v[1:2], v[21:22], -v[26:27]
	v_fma_f64 v[3:4], v[3:4], v[21:22], v[23:24]
	buffer_store_dword v2, off, s[0:3], 0 offset:20
	buffer_store_dword v1, off, s[0:3], 0 offset:16
	;; [unrolled: 1-line block ×4, first 2 shown]
.LBB70_43:
	s_or_b32 exec_lo, exec_lo, s8
	s_clause 0x3
	buffer_load_dword v1, off, s[0:3], 0
	buffer_load_dword v2, off, s[0:3], 0 offset:4
	buffer_load_dword v3, off, s[0:3], 0 offset:8
	;; [unrolled: 1-line block ×3, first 2 shown]
	s_mov_b32 s8, 0
	s_mov_b32 s5, 0
	s_mov_b32 s14, exec_lo
                                        ; implicit-def: $sgpr15
	s_waitcnt vmcnt(0)
	ds_write_b128 v20, v[1:4]
	s_waitcnt lgkmcnt(0)
	s_waitcnt_vscnt null, 0x0
	s_barrier
	buffer_gl0_inv
                                        ; implicit-def: $vgpr1_vgpr2
	v_cmpx_ne_u32_e32 0, v0
	s_cbranch_execz .LBB70_51
; %bb.44:
	ds_read_b128 v[1:4], v20
	s_andn2_b32 vcc_lo, exec_lo, s13
	s_cbranch_vccnz .LBB70_46
; %bb.45:
	s_clause 0x3
	buffer_load_dword v21, v19, s[0:3], 0 offen offset:8
	buffer_load_dword v22, v19, s[0:3], 0 offen offset:12
	buffer_load_dword v23, v19, s[0:3], 0 offen
	buffer_load_dword v24, v19, s[0:3], 0 offen offset:4
	s_waitcnt vmcnt(2) lgkmcnt(0)
	v_mul_f64 v[26:27], v[3:4], v[21:22]
	v_mul_f64 v[21:22], v[1:2], v[21:22]
	s_waitcnt vmcnt(0)
	v_fma_f64 v[1:2], v[1:2], v[23:24], -v[26:27]
	v_fma_f64 v[3:4], v[3:4], v[23:24], v[21:22]
.LBB70_46:
	s_and_saveexec_b32 s5, s4
	s_cbranch_execz .LBB70_50
; %bb.47:
	v_add_nc_u32_e32 v21, -1, v0
	s_movk_i32 s15, 0x80
	s_mov_b32 s4, 0
	s_mov_b32 s16, s12
	.p2align	6
.LBB70_48:                              ; =>This Inner Loop Header: Depth=1
	v_mov_b32_e32 v24, s16
	v_add_nc_u32_e32 v21, -1, v21
	s_add_i32 s16, s16, 16
	s_clause 0x3
	buffer_load_dword v22, v24, s[0:3], 0 offen offset:8
	buffer_load_dword v23, v24, s[0:3], 0 offen offset:12
	buffer_load_dword v30, v24, s[0:3], 0 offen
	buffer_load_dword v31, v24, s[0:3], 0 offen offset:4
	v_mov_b32_e32 v24, s15
	v_cmp_eq_u32_e32 vcc_lo, 0, v21
	s_add_i32 s15, s15, 16
	ds_read_b128 v[26:29], v24
	s_or_b32 s4, vcc_lo, s4
	s_waitcnt vmcnt(2) lgkmcnt(0)
	v_mul_f64 v[32:33], v[28:29], v[22:23]
	v_mul_f64 v[22:23], v[26:27], v[22:23]
	s_waitcnt vmcnt(0)
	v_fma_f64 v[26:27], v[26:27], v[30:31], -v[32:33]
	v_fma_f64 v[22:23], v[28:29], v[30:31], v[22:23]
	v_add_f64 v[1:2], v[1:2], v[26:27]
	v_add_f64 v[3:4], v[3:4], v[22:23]
	s_andn2_b32 exec_lo, exec_lo, s4
	s_cbranch_execnz .LBB70_48
; %bb.49:
	s_or_b32 exec_lo, exec_lo, s4
.LBB70_50:
	s_or_b32 exec_lo, exec_lo, s5
	v_mov_b32_e32 v21, 0
	s_mov_b32 s5, exec_lo
	s_or_b32 s15, 0, 8
	ds_read_b128 v[21:24], v21
	s_waitcnt lgkmcnt(0)
	v_mul_f64 v[26:27], v[3:4], v[23:24]
	v_mul_f64 v[23:24], v[1:2], v[23:24]
	v_fma_f64 v[26:27], v[1:2], v[21:22], -v[26:27]
	v_fma_f64 v[1:2], v[3:4], v[21:22], v[23:24]
	buffer_store_dword v27, off, s[0:3], 0 offset:4
	buffer_store_dword v26, off, s[0:3], 0
.LBB70_51:
	s_or_b32 exec_lo, exec_lo, s14
	s_and_b32 vcc_lo, exec_lo, s8
	s_cbranch_vccnz .LBB70_53
	s_branch .LBB70_96
.LBB70_52:
	s_mov_b32 s5, 0
                                        ; implicit-def: $vgpr1_vgpr2
                                        ; implicit-def: $sgpr15
	s_cbranch_execz .LBB70_96
.LBB70_53:
	v_mov_b32_e32 v4, s12
	v_cmp_eq_u32_e64 s4, 0, v0
	v_cndmask_b32_e64 v21, 0, 1, s13
	s_clause 0x3
	buffer_load_dword v1, v4, s[0:3], 0 offen
	buffer_load_dword v2, v4, s[0:3], 0 offen offset:4
	buffer_load_dword v3, v4, s[0:3], 0 offen offset:8
	;; [unrolled: 1-line block ×3, first 2 shown]
	s_waitcnt vmcnt(0)
	ds_write_b128 v20, v[1:4]
	s_waitcnt lgkmcnt(0)
	s_waitcnt_vscnt null, 0x0
	s_barrier
	buffer_gl0_inv
	s_and_saveexec_b32 s8, s4
	s_cbranch_execz .LBB70_57
; %bb.54:
	ds_read_b128 v[1:4], v20
	s_andn2_b32 vcc_lo, exec_lo, s13
	s_cbranch_vccnz .LBB70_56
; %bb.55:
	s_clause 0x3
	buffer_load_dword v22, v19, s[0:3], 0 offen offset:8
	buffer_load_dword v23, v19, s[0:3], 0 offen offset:12
	buffer_load_dword v26, v19, s[0:3], 0 offen
	buffer_load_dword v27, v19, s[0:3], 0 offen offset:4
	s_waitcnt vmcnt(2) lgkmcnt(0)
	v_mul_f64 v[28:29], v[3:4], v[22:23]
	v_mul_f64 v[22:23], v[1:2], v[22:23]
	s_waitcnt vmcnt(0)
	v_fma_f64 v[1:2], v[1:2], v[26:27], -v[28:29]
	v_fma_f64 v[3:4], v[3:4], v[26:27], v[22:23]
.LBB70_56:
	v_mov_b32_e32 v22, 0
	ds_read_b128 v[26:29], v22 offset:16
	s_waitcnt lgkmcnt(0)
	v_mul_f64 v[22:23], v[3:4], v[28:29]
	v_mul_f64 v[28:29], v[1:2], v[28:29]
	v_fma_f64 v[1:2], v[1:2], v[26:27], -v[22:23]
	v_fma_f64 v[3:4], v[3:4], v[26:27], v[28:29]
	buffer_store_dword v2, off, s[0:3], 0 offset:20
	buffer_store_dword v1, off, s[0:3], 0 offset:16
	;; [unrolled: 1-line block ×4, first 2 shown]
.LBB70_57:
	s_or_b32 exec_lo, exec_lo, s8
	v_mov_b32_e32 v4, s11
	s_mov_b32 s8, exec_lo
	s_clause 0x3
	buffer_load_dword v1, v4, s[0:3], 0 offen
	buffer_load_dword v2, v4, s[0:3], 0 offen offset:4
	buffer_load_dword v3, v4, s[0:3], 0 offen offset:8
	;; [unrolled: 1-line block ×3, first 2 shown]
	s_waitcnt vmcnt(0)
	ds_write_b128 v20, v[1:4]
	s_waitcnt lgkmcnt(0)
	s_waitcnt_vscnt null, 0x0
	s_barrier
	buffer_gl0_inv
	v_cmpx_gt_u32_e32 2, v0
	s_cbranch_execz .LBB70_63
; %bb.58:
	ds_read_b128 v[1:4], v20
	v_cmp_ne_u32_e32 vcc_lo, 1, v21
	s_cbranch_vccnz .LBB70_60
; %bb.59:
	s_clause 0x3
	buffer_load_dword v22, v19, s[0:3], 0 offen offset:8
	buffer_load_dword v23, v19, s[0:3], 0 offen offset:12
	buffer_load_dword v26, v19, s[0:3], 0 offen
	buffer_load_dword v27, v19, s[0:3], 0 offen offset:4
	s_waitcnt vmcnt(2) lgkmcnt(0)
	v_mul_f64 v[28:29], v[3:4], v[22:23]
	v_mul_f64 v[22:23], v[1:2], v[22:23]
	s_waitcnt vmcnt(0)
	v_fma_f64 v[1:2], v[1:2], v[26:27], -v[28:29]
	v_fma_f64 v[3:4], v[3:4], v[26:27], v[22:23]
.LBB70_60:
	s_and_saveexec_b32 s13, s4
	s_cbranch_execz .LBB70_62
; %bb.61:
	s_clause 0x3
	buffer_load_dword v22, off, s[0:3], 0 offset:24
	buffer_load_dword v23, off, s[0:3], 0 offset:28
	;; [unrolled: 1-line block ×4, first 2 shown]
	v_mov_b32_e32 v24, 0
	ds_read_b128 v[26:29], v24 offset:128
	s_waitcnt vmcnt(2) lgkmcnt(0)
	v_mul_f64 v[32:33], v[28:29], v[22:23]
	v_mul_f64 v[22:23], v[26:27], v[22:23]
	s_waitcnt vmcnt(0)
	v_fma_f64 v[26:27], v[26:27], v[30:31], -v[32:33]
	v_fma_f64 v[22:23], v[28:29], v[30:31], v[22:23]
	v_add_f64 v[1:2], v[1:2], v[26:27]
	v_add_f64 v[3:4], v[3:4], v[22:23]
.LBB70_62:
	s_or_b32 exec_lo, exec_lo, s13
	v_mov_b32_e32 v22, 0
	ds_read_b128 v[26:29], v22 offset:32
	s_waitcnt lgkmcnt(0)
	v_mul_f64 v[22:23], v[3:4], v[28:29]
	v_mul_f64 v[28:29], v[1:2], v[28:29]
	v_fma_f64 v[1:2], v[1:2], v[26:27], -v[22:23]
	v_fma_f64 v[3:4], v[3:4], v[26:27], v[28:29]
	buffer_store_dword v2, off, s[0:3], 0 offset:36
	buffer_store_dword v1, off, s[0:3], 0 offset:32
	;; [unrolled: 1-line block ×4, first 2 shown]
.LBB70_63:
	s_or_b32 exec_lo, exec_lo, s8
	v_mov_b32_e32 v4, s10
	s_mov_b32 s8, exec_lo
	s_clause 0x3
	buffer_load_dword v1, v4, s[0:3], 0 offen
	buffer_load_dword v2, v4, s[0:3], 0 offen offset:4
	buffer_load_dword v3, v4, s[0:3], 0 offen offset:8
	;; [unrolled: 1-line block ×3, first 2 shown]
	s_waitcnt vmcnt(0)
	ds_write_b128 v20, v[1:4]
	s_waitcnt lgkmcnt(0)
	s_waitcnt_vscnt null, 0x0
	s_barrier
	buffer_gl0_inv
	v_cmpx_gt_u32_e32 3, v0
	s_cbranch_execz .LBB70_71
; %bb.64:
	ds_read_b128 v[1:4], v20
	v_cmp_ne_u32_e32 vcc_lo, 1, v21
	s_cbranch_vccnz .LBB70_66
; %bb.65:
	s_clause 0x3
	buffer_load_dword v22, v19, s[0:3], 0 offen offset:8
	buffer_load_dword v23, v19, s[0:3], 0 offen offset:12
	buffer_load_dword v26, v19, s[0:3], 0 offen
	buffer_load_dword v27, v19, s[0:3], 0 offen offset:4
	s_waitcnt vmcnt(2) lgkmcnt(0)
	v_mul_f64 v[28:29], v[3:4], v[22:23]
	v_mul_f64 v[22:23], v[1:2], v[22:23]
	s_waitcnt vmcnt(0)
	v_fma_f64 v[1:2], v[1:2], v[26:27], -v[28:29]
	v_fma_f64 v[3:4], v[3:4], v[26:27], v[22:23]
.LBB70_66:
	s_mov_b32 s13, exec_lo
	v_cmpx_ne_u32_e32 2, v0
	s_cbranch_execz .LBB70_70
; %bb.67:
	s_clause 0x3
	buffer_load_dword v22, v19, s[0:3], 0 offen offset:24
	buffer_load_dword v23, v19, s[0:3], 0 offen offset:28
	;; [unrolled: 1-line block ×4, first 2 shown]
	ds_read_b128 v[26:29], v20 offset:16
	s_waitcnt vmcnt(2) lgkmcnt(0)
	v_mul_f64 v[32:33], v[28:29], v[22:23]
	v_mul_f64 v[22:23], v[26:27], v[22:23]
	s_waitcnt vmcnt(0)
	v_fma_f64 v[26:27], v[26:27], v[30:31], -v[32:33]
	v_fma_f64 v[22:23], v[28:29], v[30:31], v[22:23]
	v_add_f64 v[1:2], v[1:2], v[26:27]
	v_add_f64 v[3:4], v[3:4], v[22:23]
	s_and_saveexec_b32 s14, s4
	s_cbranch_execz .LBB70_69
; %bb.68:
	s_clause 0x3
	buffer_load_dword v22, off, s[0:3], 0 offset:40
	buffer_load_dword v23, off, s[0:3], 0 offset:44
	;; [unrolled: 1-line block ×4, first 2 shown]
	v_mov_b32_e32 v24, 0
	ds_read_b128 v[26:29], v24 offset:144
	s_waitcnt vmcnt(2) lgkmcnt(0)
	v_mul_f64 v[32:33], v[26:27], v[22:23]
	v_mul_f64 v[22:23], v[28:29], v[22:23]
	s_waitcnt vmcnt(0)
	v_fma_f64 v[28:29], v[28:29], v[30:31], v[32:33]
	v_fma_f64 v[22:23], v[26:27], v[30:31], -v[22:23]
	v_add_f64 v[3:4], v[3:4], v[28:29]
	v_add_f64 v[1:2], v[1:2], v[22:23]
.LBB70_69:
	s_or_b32 exec_lo, exec_lo, s14
.LBB70_70:
	s_or_b32 exec_lo, exec_lo, s13
	v_mov_b32_e32 v22, 0
	ds_read_b128 v[26:29], v22 offset:48
	s_waitcnt lgkmcnt(0)
	v_mul_f64 v[22:23], v[3:4], v[28:29]
	v_mul_f64 v[28:29], v[1:2], v[28:29]
	v_fma_f64 v[1:2], v[1:2], v[26:27], -v[22:23]
	v_fma_f64 v[3:4], v[3:4], v[26:27], v[28:29]
	buffer_store_dword v2, off, s[0:3], 0 offset:52
	buffer_store_dword v1, off, s[0:3], 0 offset:48
	;; [unrolled: 1-line block ×4, first 2 shown]
.LBB70_71:
	s_or_b32 exec_lo, exec_lo, s8
	v_mov_b32_e32 v4, s9
	s_mov_b32 s4, exec_lo
	s_clause 0x3
	buffer_load_dword v1, v4, s[0:3], 0 offen
	buffer_load_dword v2, v4, s[0:3], 0 offen offset:4
	buffer_load_dword v3, v4, s[0:3], 0 offen offset:8
	;; [unrolled: 1-line block ×3, first 2 shown]
	s_waitcnt vmcnt(0)
	ds_write_b128 v20, v[1:4]
	s_waitcnt lgkmcnt(0)
	s_waitcnt_vscnt null, 0x0
	s_barrier
	buffer_gl0_inv
	v_cmpx_gt_u32_e32 4, v0
	s_cbranch_execz .LBB70_79
; %bb.72:
	ds_read_b128 v[1:4], v20
	v_cmp_ne_u32_e32 vcc_lo, 1, v21
	s_cbranch_vccnz .LBB70_74
; %bb.73:
	s_clause 0x3
	buffer_load_dword v22, v19, s[0:3], 0 offen offset:8
	buffer_load_dword v23, v19, s[0:3], 0 offen offset:12
	buffer_load_dword v26, v19, s[0:3], 0 offen
	buffer_load_dword v27, v19, s[0:3], 0 offen offset:4
	s_waitcnt vmcnt(2) lgkmcnt(0)
	v_mul_f64 v[28:29], v[3:4], v[22:23]
	v_mul_f64 v[22:23], v[1:2], v[22:23]
	s_waitcnt vmcnt(0)
	v_fma_f64 v[1:2], v[1:2], v[26:27], -v[28:29]
	v_fma_f64 v[3:4], v[3:4], v[26:27], v[22:23]
.LBB70_74:
	s_mov_b32 s8, exec_lo
	v_cmpx_ne_u32_e32 3, v0
	s_cbranch_execz .LBB70_78
; %bb.75:
	v_add_nc_u32_e32 v22, 0x80, v25
	v_add3_u32 v23, 0, v25, 16
	v_mov_b32_e32 v24, v0
	s_mov_b32 s13, 0
	.p2align	6
.LBB70_76:                              ; =>This Inner Loop Header: Depth=1
	s_clause 0x3
	buffer_load_dword v30, v23, s[0:3], 0 offen offset:8
	buffer_load_dword v31, v23, s[0:3], 0 offen offset:12
	buffer_load_dword v32, v23, s[0:3], 0 offen
	buffer_load_dword v33, v23, s[0:3], 0 offen offset:4
	ds_read_b128 v[26:29], v22
	v_add_nc_u32_e32 v24, 1, v24
	v_add_nc_u32_e32 v22, 16, v22
	;; [unrolled: 1-line block ×3, first 2 shown]
	v_cmp_lt_u32_e32 vcc_lo, 2, v24
	s_or_b32 s13, vcc_lo, s13
	s_waitcnt vmcnt(2) lgkmcnt(0)
	v_mul_f64 v[34:35], v[28:29], v[30:31]
	v_mul_f64 v[30:31], v[26:27], v[30:31]
	s_waitcnt vmcnt(0)
	v_fma_f64 v[26:27], v[26:27], v[32:33], -v[34:35]
	v_fma_f64 v[28:29], v[28:29], v[32:33], v[30:31]
	v_add_f64 v[1:2], v[1:2], v[26:27]
	v_add_f64 v[3:4], v[3:4], v[28:29]
	s_andn2_b32 exec_lo, exec_lo, s13
	s_cbranch_execnz .LBB70_76
; %bb.77:
	s_or_b32 exec_lo, exec_lo, s13
.LBB70_78:
	s_or_b32 exec_lo, exec_lo, s8
	v_mov_b32_e32 v22, 0
	ds_read_b128 v[26:29], v22 offset:64
	s_waitcnt lgkmcnt(0)
	v_mul_f64 v[22:23], v[3:4], v[28:29]
	v_mul_f64 v[28:29], v[1:2], v[28:29]
	v_fma_f64 v[1:2], v[1:2], v[26:27], -v[22:23]
	v_fma_f64 v[3:4], v[3:4], v[26:27], v[28:29]
	buffer_store_dword v2, off, s[0:3], 0 offset:68
	buffer_store_dword v1, off, s[0:3], 0 offset:64
	;; [unrolled: 1-line block ×4, first 2 shown]
.LBB70_79:
	s_or_b32 exec_lo, exec_lo, s4
	v_mov_b32_e32 v4, s7
	v_cmp_gt_u32_e64 s4, 5, v0
	s_clause 0x3
	buffer_load_dword v1, v4, s[0:3], 0 offen
	buffer_load_dword v2, v4, s[0:3], 0 offen offset:4
	buffer_load_dword v3, v4, s[0:3], 0 offen offset:8
	;; [unrolled: 1-line block ×3, first 2 shown]
	s_waitcnt vmcnt(0)
	ds_write_b128 v20, v[1:4]
	s_waitcnt lgkmcnt(0)
	s_waitcnt_vscnt null, 0x0
	s_barrier
	buffer_gl0_inv
	s_and_saveexec_b32 s8, s4
	s_cbranch_execz .LBB70_87
; %bb.80:
	ds_read_b128 v[1:4], v20
	v_cmp_ne_u32_e32 vcc_lo, 1, v21
	s_cbranch_vccnz .LBB70_82
; %bb.81:
	s_clause 0x3
	buffer_load_dword v22, v19, s[0:3], 0 offen offset:8
	buffer_load_dword v23, v19, s[0:3], 0 offen offset:12
	buffer_load_dword v26, v19, s[0:3], 0 offen
	buffer_load_dword v27, v19, s[0:3], 0 offen offset:4
	s_waitcnt vmcnt(2) lgkmcnt(0)
	v_mul_f64 v[28:29], v[3:4], v[22:23]
	v_mul_f64 v[22:23], v[1:2], v[22:23]
	s_waitcnt vmcnt(0)
	v_fma_f64 v[1:2], v[1:2], v[26:27], -v[28:29]
	v_fma_f64 v[3:4], v[3:4], v[26:27], v[22:23]
.LBB70_82:
	s_mov_b32 s13, exec_lo
	v_cmpx_ne_u32_e32 4, v0
	s_cbranch_execz .LBB70_86
; %bb.83:
	v_add_nc_u32_e32 v22, 0x80, v25
	v_add3_u32 v23, 0, v25, 16
	v_mov_b32_e32 v24, v0
	s_mov_b32 s14, 0
	.p2align	6
.LBB70_84:                              ; =>This Inner Loop Header: Depth=1
	s_clause 0x3
	buffer_load_dword v30, v23, s[0:3], 0 offen offset:8
	buffer_load_dword v31, v23, s[0:3], 0 offen offset:12
	buffer_load_dword v32, v23, s[0:3], 0 offen
	buffer_load_dword v33, v23, s[0:3], 0 offen offset:4
	ds_read_b128 v[26:29], v22
	v_add_nc_u32_e32 v24, 1, v24
	v_add_nc_u32_e32 v22, 16, v22
	;; [unrolled: 1-line block ×3, first 2 shown]
	v_cmp_lt_u32_e32 vcc_lo, 3, v24
	s_or_b32 s14, vcc_lo, s14
	s_waitcnt vmcnt(2) lgkmcnt(0)
	v_mul_f64 v[34:35], v[28:29], v[30:31]
	v_mul_f64 v[30:31], v[26:27], v[30:31]
	s_waitcnt vmcnt(0)
	v_fma_f64 v[26:27], v[26:27], v[32:33], -v[34:35]
	v_fma_f64 v[28:29], v[28:29], v[32:33], v[30:31]
	v_add_f64 v[1:2], v[1:2], v[26:27]
	v_add_f64 v[3:4], v[3:4], v[28:29]
	s_andn2_b32 exec_lo, exec_lo, s14
	s_cbranch_execnz .LBB70_84
; %bb.85:
	s_or_b32 exec_lo, exec_lo, s14
.LBB70_86:
	s_or_b32 exec_lo, exec_lo, s13
	v_mov_b32_e32 v22, 0
	ds_read_b128 v[26:29], v22 offset:80
	s_waitcnt lgkmcnt(0)
	v_mul_f64 v[22:23], v[3:4], v[28:29]
	v_mul_f64 v[28:29], v[1:2], v[28:29]
	v_fma_f64 v[1:2], v[1:2], v[26:27], -v[22:23]
	v_fma_f64 v[3:4], v[3:4], v[26:27], v[28:29]
	buffer_store_dword v2, off, s[0:3], 0 offset:84
	buffer_store_dword v1, off, s[0:3], 0 offset:80
	buffer_store_dword v4, off, s[0:3], 0 offset:92
	buffer_store_dword v3, off, s[0:3], 0 offset:88
.LBB70_87:
	s_or_b32 exec_lo, exec_lo, s8
	v_mov_b32_e32 v4, s6
	s_mov_b32 s8, exec_lo
                                        ; implicit-def: $sgpr15
	s_clause 0x3
	buffer_load_dword v1, v4, s[0:3], 0 offen
	buffer_load_dword v2, v4, s[0:3], 0 offen offset:4
	buffer_load_dword v3, v4, s[0:3], 0 offen offset:8
	;; [unrolled: 1-line block ×3, first 2 shown]
	s_waitcnt vmcnt(0)
	ds_write_b128 v20, v[1:4]
	s_waitcnt lgkmcnt(0)
	s_waitcnt_vscnt null, 0x0
	s_barrier
	buffer_gl0_inv
                                        ; implicit-def: $vgpr1_vgpr2
	v_cmpx_ne_u32_e32 6, v0
	s_cbranch_execz .LBB70_95
; %bb.88:
	ds_read_b128 v[1:4], v20
	v_cmp_ne_u32_e32 vcc_lo, 1, v21
	s_cbranch_vccnz .LBB70_90
; %bb.89:
	s_clause 0x3
	buffer_load_dword v20, v19, s[0:3], 0 offen offset:8
	buffer_load_dword v21, v19, s[0:3], 0 offen offset:12
	buffer_load_dword v22, v19, s[0:3], 0 offen
	buffer_load_dword v23, v19, s[0:3], 0 offen offset:4
	s_waitcnt vmcnt(2) lgkmcnt(0)
	v_mul_f64 v[26:27], v[3:4], v[20:21]
	v_mul_f64 v[19:20], v[1:2], v[20:21]
	s_waitcnt vmcnt(0)
	v_fma_f64 v[1:2], v[1:2], v[22:23], -v[26:27]
	v_fma_f64 v[3:4], v[3:4], v[22:23], v[19:20]
.LBB70_90:
	s_and_saveexec_b32 s13, s4
	s_cbranch_execz .LBB70_94
; %bb.91:
	v_add_nc_u32_e32 v19, 0x80, v25
	v_add3_u32 v20, 0, v25, 16
	s_mov_b32 s4, 0
	.p2align	6
.LBB70_92:                              ; =>This Inner Loop Header: Depth=1
	s_clause 0x3
	buffer_load_dword v25, v20, s[0:3], 0 offen offset:8
	buffer_load_dword v26, v20, s[0:3], 0 offen offset:12
	buffer_load_dword v27, v20, s[0:3], 0 offen
	buffer_load_dword v28, v20, s[0:3], 0 offen offset:4
	ds_read_b128 v[21:24], v19
	v_add_nc_u32_e32 v0, 1, v0
	v_add_nc_u32_e32 v19, 16, v19
	;; [unrolled: 1-line block ×3, first 2 shown]
	v_cmp_lt_u32_e32 vcc_lo, 4, v0
	s_or_b32 s4, vcc_lo, s4
	s_waitcnt vmcnt(2) lgkmcnt(0)
	v_mul_f64 v[29:30], v[23:24], v[25:26]
	v_mul_f64 v[25:26], v[21:22], v[25:26]
	s_waitcnt vmcnt(0)
	v_fma_f64 v[21:22], v[21:22], v[27:28], -v[29:30]
	v_fma_f64 v[23:24], v[23:24], v[27:28], v[25:26]
	v_add_f64 v[1:2], v[1:2], v[21:22]
	v_add_f64 v[3:4], v[3:4], v[23:24]
	s_andn2_b32 exec_lo, exec_lo, s4
	s_cbranch_execnz .LBB70_92
; %bb.93:
	s_or_b32 exec_lo, exec_lo, s4
.LBB70_94:
	s_or_b32 exec_lo, exec_lo, s13
	v_mov_b32_e32 v0, 0
	s_movk_i32 s15, 0x68
	s_or_b32 s5, s5, exec_lo
	ds_read_b128 v[19:22], v0 offset:96
	s_waitcnt lgkmcnt(0)
	v_mul_f64 v[23:24], v[3:4], v[21:22]
	v_mul_f64 v[21:22], v[1:2], v[21:22]
	v_fma_f64 v[23:24], v[1:2], v[19:20], -v[23:24]
	v_fma_f64 v[1:2], v[3:4], v[19:20], v[21:22]
	buffer_store_dword v24, off, s[0:3], 0 offset:100
	buffer_store_dword v23, off, s[0:3], 0 offset:96
.LBB70_95:
	s_or_b32 exec_lo, exec_lo, s8
.LBB70_96:
	s_and_saveexec_b32 s4, s5
	s_cbranch_execz .LBB70_98
; %bb.97:
	v_mov_b32_e32 v0, s15
	buffer_store_dword v2, v0, s[0:3], 0 offen offset:4
	buffer_store_dword v1, v0, s[0:3], 0 offen
.LBB70_98:
	s_or_b32 exec_lo, exec_lo, s4
	s_clause 0x3
	buffer_load_dword v0, off, s[0:3], 0
	buffer_load_dword v1, off, s[0:3], 0 offset:4
	buffer_load_dword v2, off, s[0:3], 0 offset:8
	;; [unrolled: 1-line block ×3, first 2 shown]
	v_mov_b32_e32 v4, s12
	s_waitcnt vmcnt(0)
	flat_store_dwordx4 v[5:6], v[0:3]
	s_clause 0x3
	buffer_load_dword v0, v4, s[0:3], 0 offen
	buffer_load_dword v1, v4, s[0:3], 0 offen offset:4
	buffer_load_dword v2, v4, s[0:3], 0 offen offset:8
	buffer_load_dword v3, v4, s[0:3], 0 offen offset:12
	v_mov_b32_e32 v4, s11
	s_waitcnt vmcnt(0)
	flat_store_dwordx4 v[7:8], v[0:3]
	s_clause 0x3
	buffer_load_dword v0, v4, s[0:3], 0 offen
	buffer_load_dword v1, v4, s[0:3], 0 offen offset:4
	buffer_load_dword v2, v4, s[0:3], 0 offen offset:8
	buffer_load_dword v3, v4, s[0:3], 0 offen offset:12
	;; [unrolled: 8-line block ×6, first 2 shown]
	s_waitcnt vmcnt(0)
	flat_store_dwordx4 v[17:18], v[0:3]
.LBB70_99:
	s_endpgm
	.section	.rodata,"a",@progbits
	.p2align	6, 0x0
	.amdhsa_kernel _ZN9rocsolver6v33100L18trti2_kernel_smallILi7E19rocblas_complex_numIdEPKPS3_EEv13rocblas_fill_17rocblas_diagonal_T1_iil
		.amdhsa_group_segment_fixed_size 224
		.amdhsa_private_segment_fixed_size 128
		.amdhsa_kernarg_size 32
		.amdhsa_user_sgpr_count 6
		.amdhsa_user_sgpr_private_segment_buffer 1
		.amdhsa_user_sgpr_dispatch_ptr 0
		.amdhsa_user_sgpr_queue_ptr 0
		.amdhsa_user_sgpr_kernarg_segment_ptr 1
		.amdhsa_user_sgpr_dispatch_id 0
		.amdhsa_user_sgpr_flat_scratch_init 0
		.amdhsa_user_sgpr_private_segment_size 0
		.amdhsa_wavefront_size32 1
		.amdhsa_uses_dynamic_stack 0
		.amdhsa_system_sgpr_private_segment_wavefront_offset 1
		.amdhsa_system_sgpr_workgroup_id_x 1
		.amdhsa_system_sgpr_workgroup_id_y 0
		.amdhsa_system_sgpr_workgroup_id_z 0
		.amdhsa_system_sgpr_workgroup_info 0
		.amdhsa_system_vgpr_workitem_id 0
		.amdhsa_next_free_vgpr 36
		.amdhsa_next_free_sgpr 17
		.amdhsa_reserve_vcc 1
		.amdhsa_reserve_flat_scratch 0
		.amdhsa_float_round_mode_32 0
		.amdhsa_float_round_mode_16_64 0
		.amdhsa_float_denorm_mode_32 3
		.amdhsa_float_denorm_mode_16_64 3
		.amdhsa_dx10_clamp 1
		.amdhsa_ieee_mode 1
		.amdhsa_fp16_overflow 0
		.amdhsa_workgroup_processor_mode 1
		.amdhsa_memory_ordered 1
		.amdhsa_forward_progress 1
		.amdhsa_shared_vgpr_count 0
		.amdhsa_exception_fp_ieee_invalid_op 0
		.amdhsa_exception_fp_denorm_src 0
		.amdhsa_exception_fp_ieee_div_zero 0
		.amdhsa_exception_fp_ieee_overflow 0
		.amdhsa_exception_fp_ieee_underflow 0
		.amdhsa_exception_fp_ieee_inexact 0
		.amdhsa_exception_int_div_zero 0
	.end_amdhsa_kernel
	.section	.text._ZN9rocsolver6v33100L18trti2_kernel_smallILi7E19rocblas_complex_numIdEPKPS3_EEv13rocblas_fill_17rocblas_diagonal_T1_iil,"axG",@progbits,_ZN9rocsolver6v33100L18trti2_kernel_smallILi7E19rocblas_complex_numIdEPKPS3_EEv13rocblas_fill_17rocblas_diagonal_T1_iil,comdat
.Lfunc_end70:
	.size	_ZN9rocsolver6v33100L18trti2_kernel_smallILi7E19rocblas_complex_numIdEPKPS3_EEv13rocblas_fill_17rocblas_diagonal_T1_iil, .Lfunc_end70-_ZN9rocsolver6v33100L18trti2_kernel_smallILi7E19rocblas_complex_numIdEPKPS3_EEv13rocblas_fill_17rocblas_diagonal_T1_iil
                                        ; -- End function
	.set _ZN9rocsolver6v33100L18trti2_kernel_smallILi7E19rocblas_complex_numIdEPKPS3_EEv13rocblas_fill_17rocblas_diagonal_T1_iil.num_vgpr, 36
	.set _ZN9rocsolver6v33100L18trti2_kernel_smallILi7E19rocblas_complex_numIdEPKPS3_EEv13rocblas_fill_17rocblas_diagonal_T1_iil.num_agpr, 0
	.set _ZN9rocsolver6v33100L18trti2_kernel_smallILi7E19rocblas_complex_numIdEPKPS3_EEv13rocblas_fill_17rocblas_diagonal_T1_iil.numbered_sgpr, 17
	.set _ZN9rocsolver6v33100L18trti2_kernel_smallILi7E19rocblas_complex_numIdEPKPS3_EEv13rocblas_fill_17rocblas_diagonal_T1_iil.num_named_barrier, 0
	.set _ZN9rocsolver6v33100L18trti2_kernel_smallILi7E19rocblas_complex_numIdEPKPS3_EEv13rocblas_fill_17rocblas_diagonal_T1_iil.private_seg_size, 128
	.set _ZN9rocsolver6v33100L18trti2_kernel_smallILi7E19rocblas_complex_numIdEPKPS3_EEv13rocblas_fill_17rocblas_diagonal_T1_iil.uses_vcc, 1
	.set _ZN9rocsolver6v33100L18trti2_kernel_smallILi7E19rocblas_complex_numIdEPKPS3_EEv13rocblas_fill_17rocblas_diagonal_T1_iil.uses_flat_scratch, 0
	.set _ZN9rocsolver6v33100L18trti2_kernel_smallILi7E19rocblas_complex_numIdEPKPS3_EEv13rocblas_fill_17rocblas_diagonal_T1_iil.has_dyn_sized_stack, 0
	.set _ZN9rocsolver6v33100L18trti2_kernel_smallILi7E19rocblas_complex_numIdEPKPS3_EEv13rocblas_fill_17rocblas_diagonal_T1_iil.has_recursion, 0
	.set _ZN9rocsolver6v33100L18trti2_kernel_smallILi7E19rocblas_complex_numIdEPKPS3_EEv13rocblas_fill_17rocblas_diagonal_T1_iil.has_indirect_call, 0
	.section	.AMDGPU.csdata,"",@progbits
; Kernel info:
; codeLenInByte = 6560
; TotalNumSgprs: 19
; NumVgprs: 36
; ScratchSize: 128
; MemoryBound: 0
; FloatMode: 240
; IeeeMode: 1
; LDSByteSize: 224 bytes/workgroup (compile time only)
; SGPRBlocks: 0
; VGPRBlocks: 4
; NumSGPRsForWavesPerEU: 19
; NumVGPRsForWavesPerEU: 36
; Occupancy: 16
; WaveLimiterHint : 1
; COMPUTE_PGM_RSRC2:SCRATCH_EN: 1
; COMPUTE_PGM_RSRC2:USER_SGPR: 6
; COMPUTE_PGM_RSRC2:TRAP_HANDLER: 0
; COMPUTE_PGM_RSRC2:TGID_X_EN: 1
; COMPUTE_PGM_RSRC2:TGID_Y_EN: 0
; COMPUTE_PGM_RSRC2:TGID_Z_EN: 0
; COMPUTE_PGM_RSRC2:TIDIG_COMP_CNT: 0
	.section	.text._ZN9rocsolver6v33100L18trti2_kernel_smallILi8E19rocblas_complex_numIdEPKPS3_EEv13rocblas_fill_17rocblas_diagonal_T1_iil,"axG",@progbits,_ZN9rocsolver6v33100L18trti2_kernel_smallILi8E19rocblas_complex_numIdEPKPS3_EEv13rocblas_fill_17rocblas_diagonal_T1_iil,comdat
	.globl	_ZN9rocsolver6v33100L18trti2_kernel_smallILi8E19rocblas_complex_numIdEPKPS3_EEv13rocblas_fill_17rocblas_diagonal_T1_iil ; -- Begin function _ZN9rocsolver6v33100L18trti2_kernel_smallILi8E19rocblas_complex_numIdEPKPS3_EEv13rocblas_fill_17rocblas_diagonal_T1_iil
	.p2align	8
	.type	_ZN9rocsolver6v33100L18trti2_kernel_smallILi8E19rocblas_complex_numIdEPKPS3_EEv13rocblas_fill_17rocblas_diagonal_T1_iil,@function
_ZN9rocsolver6v33100L18trti2_kernel_smallILi8E19rocblas_complex_numIdEPKPS3_EEv13rocblas_fill_17rocblas_diagonal_T1_iil: ; @_ZN9rocsolver6v33100L18trti2_kernel_smallILi8E19rocblas_complex_numIdEPKPS3_EEv13rocblas_fill_17rocblas_diagonal_T1_iil
; %bb.0:
	s_add_u32 s0, s0, s7
	s_addc_u32 s1, s1, 0
	s_mov_b32 s7, exec_lo
	v_cmpx_gt_u32_e32 8, v0
	s_cbranch_execz .LBB71_115
; %bb.1:
	s_clause 0x1
	s_load_dwordx2 s[12:13], s[4:5], 0x10
	s_load_dwordx4 s[8:11], s[4:5], 0x0
	s_ashr_i32 s7, s6, 31
	v_lshlrev_b32_e32 v27, 4, v0
	s_lshl_b64 s[4:5], s[6:7], 3
	s_waitcnt lgkmcnt(0)
	s_ashr_i32 s7, s12, 31
	s_add_u32 s4, s10, s4
	s_addc_u32 s5, s11, s5
	s_mov_b32 s6, s12
	s_load_dwordx2 s[4:5], s[4:5], 0x0
	s_lshl_b64 s[6:7], s[6:7], 4
	v_add3_u32 v11, s13, s13, v0
	v_ashrrev_i32_e32 v12, 31, v11
	v_add_nc_u32_e32 v13, s13, v11
	v_lshlrev_b64 v[9:10], 4, v[11:12]
	v_ashrrev_i32_e32 v14, 31, v13
	v_add_nc_u32_e32 v15, s13, v13
	v_lshlrev_b64 v[11:12], 4, v[13:14]
	v_ashrrev_i32_e32 v16, 31, v15
	s_waitcnt lgkmcnt(0)
	s_add_u32 s6, s4, s6
	s_addc_u32 s7, s5, s7
	v_add_co_u32 v5, s4, s6, v27
	v_add_co_ci_u32_e64 v6, null, s7, 0, s4
	s_mov_b32 s4, s13
	s_ashr_i32 s5, s13, 31
	v_lshlrev_b64 v[13:14], 4, v[15:16]
	flat_load_dwordx4 v[1:4], v[5:6]
	s_lshl_b64 s[4:5], s[4:5], 4
	v_add_nc_u32_e32 v17, s13, v15
	v_add_co_u32 v7, vcc_lo, v5, s4
	v_add_co_ci_u32_e64 v8, null, s5, v6, vcc_lo
	v_add_co_u32 v9, vcc_lo, s6, v9
	v_add_co_ci_u32_e64 v10, null, s7, v10, vcc_lo
	;; [unrolled: 2-line block ×4, first 2 shown]
	v_ashrrev_i32_e32 v18, 31, v17
	v_add_nc_u32_e32 v19, s13, v17
	s_cmpk_lg_i32 s9, 0x84
	s_movk_i32 s4, 0x50
	s_movk_i32 s5, 0x60
	v_lshlrev_b64 v[15:16], 4, v[17:18]
	v_ashrrev_i32_e32 v20, 31, v19
	s_cselect_b32 s15, -1, 0
	s_cmpk_eq_i32 s9, 0x84
	s_waitcnt vmcnt(0) lgkmcnt(0)
	buffer_store_dword v4, off, s[0:3], 0 offset:12
	buffer_store_dword v3, off, s[0:3], 0 offset:8
	;; [unrolled: 1-line block ×3, first 2 shown]
	buffer_store_dword v1, off, s[0:3], 0
	flat_load_dwordx4 v[1:4], v[7:8]
	v_add_co_u32 v15, vcc_lo, s6, v15
	v_add_co_ci_u32_e64 v16, null, s7, v16, vcc_lo
	v_lshlrev_b64 v[17:18], 4, v[19:20]
	v_add_nc_u32_e32 v19, s13, v19
	s_waitcnt vmcnt(0) lgkmcnt(0)
	buffer_store_dword v4, off, s[0:3], 0 offset:28
	buffer_store_dword v3, off, s[0:3], 0 offset:24
	;; [unrolled: 1-line block ×4, first 2 shown]
	flat_load_dwordx4 v[1:4], v[9:10]
	v_add_co_u32 v17, vcc_lo, s6, v17
	v_add_co_ci_u32_e64 v18, null, s7, v18, vcc_lo
	v_ashrrev_i32_e32 v20, 31, v19
	s_waitcnt vmcnt(0) lgkmcnt(0)
	buffer_store_dword v4, off, s[0:3], 0 offset:44
	buffer_store_dword v3, off, s[0:3], 0 offset:40
	;; [unrolled: 1-line block ×4, first 2 shown]
	flat_load_dwordx4 v[1:4], v[11:12]
	v_lshlrev_b64 v[19:20], 4, v[19:20]
	s_waitcnt vmcnt(0) lgkmcnt(0)
	buffer_store_dword v4, off, s[0:3], 0 offset:60
	buffer_store_dword v3, off, s[0:3], 0 offset:56
	;; [unrolled: 1-line block ×4, first 2 shown]
	flat_load_dwordx4 v[1:4], v[13:14]
	v_add_co_u32 v19, vcc_lo, s6, v19
	v_add_co_ci_u32_e64 v20, null, s7, v20, vcc_lo
	s_movk_i32 s6, 0x70
	s_waitcnt vmcnt(0) lgkmcnt(0)
	buffer_store_dword v4, off, s[0:3], 0 offset:76
	buffer_store_dword v3, off, s[0:3], 0 offset:72
	buffer_store_dword v2, off, s[0:3], 0 offset:68
	buffer_store_dword v1, off, s[0:3], 0 offset:64
	flat_load_dwordx4 v[1:4], v[15:16]
	s_waitcnt vmcnt(0) lgkmcnt(0)
	buffer_store_dword v4, off, s[0:3], 0 offset:92
	buffer_store_dword v3, off, s[0:3], 0 offset:88
	buffer_store_dword v2, off, s[0:3], 0 offset:84
	buffer_store_dword v1, off, s[0:3], 0 offset:80
	flat_load_dwordx4 v[1:4], v[17:18]
	;; [unrolled: 6-line block ×3, first 2 shown]
	s_waitcnt vmcnt(0) lgkmcnt(0)
	buffer_store_dword v4, off, s[0:3], 0 offset:124
	buffer_store_dword v3, off, s[0:3], 0 offset:120
	;; [unrolled: 1-line block ×4, first 2 shown]
	s_cbranch_scc1 .LBB71_7
; %bb.2:
	v_lshl_add_u32 v28, v0, 4, 0
                                        ; implicit-def: $vgpr23_vgpr24
                                        ; implicit-def: $vgpr3_vgpr4
	s_clause 0x3
	buffer_load_dword v21, v28, s[0:3], 0 offen
	buffer_load_dword v22, v28, s[0:3], 0 offen offset:4
	buffer_load_dword v25, v28, s[0:3], 0 offen offset:8
	;; [unrolled: 1-line block ×3, first 2 shown]
	s_waitcnt vmcnt(0)
	v_cmp_ngt_f64_e64 s7, |v[21:22]|, |v[25:26]|
	s_and_saveexec_b32 s9, s7
	s_xor_b32 s7, exec_lo, s9
	s_cbranch_execz .LBB71_4
; %bb.3:
	v_div_scale_f64 v[1:2], null, v[25:26], v[25:26], v[21:22]
	v_div_scale_f64 v[29:30], vcc_lo, v[21:22], v[25:26], v[21:22]
	v_rcp_f64_e32 v[3:4], v[1:2]
	v_fma_f64 v[23:24], -v[1:2], v[3:4], 1.0
	v_fma_f64 v[3:4], v[3:4], v[23:24], v[3:4]
	v_fma_f64 v[23:24], -v[1:2], v[3:4], 1.0
	v_fma_f64 v[3:4], v[3:4], v[23:24], v[3:4]
	v_mul_f64 v[23:24], v[29:30], v[3:4]
	v_fma_f64 v[1:2], -v[1:2], v[23:24], v[29:30]
	v_div_fmas_f64 v[1:2], v[1:2], v[3:4], v[23:24]
	v_div_fixup_f64 v[1:2], v[1:2], v[25:26], v[21:22]
	v_fma_f64 v[3:4], v[21:22], v[1:2], v[25:26]
	v_div_scale_f64 v[21:22], null, v[3:4], v[3:4], 1.0
	v_div_scale_f64 v[29:30], vcc_lo, 1.0, v[3:4], 1.0
	v_rcp_f64_e32 v[23:24], v[21:22]
	v_fma_f64 v[25:26], -v[21:22], v[23:24], 1.0
	v_fma_f64 v[23:24], v[23:24], v[25:26], v[23:24]
	v_fma_f64 v[25:26], -v[21:22], v[23:24], 1.0
	v_fma_f64 v[23:24], v[23:24], v[25:26], v[23:24]
	v_mul_f64 v[25:26], v[29:30], v[23:24]
	v_fma_f64 v[21:22], -v[21:22], v[25:26], v[29:30]
	v_div_fmas_f64 v[21:22], v[21:22], v[23:24], v[25:26]
                                        ; implicit-def: $vgpr25_vgpr26
	v_div_fixup_f64 v[3:4], v[21:22], v[3:4], 1.0
                                        ; implicit-def: $vgpr21_vgpr22
	v_mul_f64 v[23:24], v[1:2], v[3:4]
	v_xor_b32_e32 v4, 0x80000000, v4
	v_xor_b32_e32 v2, 0x80000000, v24
	v_mov_b32_e32 v1, v23
.LBB71_4:
	s_andn2_saveexec_b32 s7, s7
	s_cbranch_execz .LBB71_6
; %bb.5:
	v_div_scale_f64 v[1:2], null, v[21:22], v[21:22], v[25:26]
	v_div_scale_f64 v[29:30], vcc_lo, v[25:26], v[21:22], v[25:26]
	v_rcp_f64_e32 v[3:4], v[1:2]
	v_fma_f64 v[23:24], -v[1:2], v[3:4], 1.0
	v_fma_f64 v[3:4], v[3:4], v[23:24], v[3:4]
	v_fma_f64 v[23:24], -v[1:2], v[3:4], 1.0
	v_fma_f64 v[3:4], v[3:4], v[23:24], v[3:4]
	v_mul_f64 v[23:24], v[29:30], v[3:4]
	v_fma_f64 v[1:2], -v[1:2], v[23:24], v[29:30]
	v_div_fmas_f64 v[1:2], v[1:2], v[3:4], v[23:24]
	v_div_fixup_f64 v[1:2], v[1:2], v[21:22], v[25:26]
	v_fma_f64 v[3:4], v[25:26], v[1:2], v[21:22]
	v_div_scale_f64 v[21:22], null, v[3:4], v[3:4], 1.0
	v_rcp_f64_e32 v[23:24], v[21:22]
	v_fma_f64 v[25:26], -v[21:22], v[23:24], 1.0
	v_fma_f64 v[23:24], v[23:24], v[25:26], v[23:24]
	v_fma_f64 v[25:26], -v[21:22], v[23:24], 1.0
	v_fma_f64 v[23:24], v[23:24], v[25:26], v[23:24]
	v_div_scale_f64 v[25:26], vcc_lo, 1.0, v[3:4], 1.0
	v_mul_f64 v[29:30], v[25:26], v[23:24]
	v_fma_f64 v[21:22], -v[21:22], v[29:30], v[25:26]
	v_div_fmas_f64 v[21:22], v[21:22], v[23:24], v[29:30]
	v_div_fixup_f64 v[23:24], v[21:22], v[3:4], 1.0
	v_mul_f64 v[3:4], v[1:2], -v[23:24]
	v_xor_b32_e32 v2, 0x80000000, v24
	v_mov_b32_e32 v1, v23
.LBB71_6:
	s_or_b32 exec_lo, exec_lo, s7
	buffer_store_dword v4, v28, s[0:3], 0 offen offset:12
	v_xor_b32_e32 v4, 0x80000000, v4
	buffer_store_dword v24, v28, s[0:3], 0 offen offset:4
	buffer_store_dword v23, v28, s[0:3], 0 offen
	buffer_store_dword v3, v28, s[0:3], 0 offen offset:8
	s_branch .LBB71_8
.LBB71_7:
	v_mov_b32_e32 v1, 0
	v_mov_b32_e32 v3, 0
	;; [unrolled: 1-line block ×4, first 2 shown]
.LBB71_8:
	v_add_nc_u32_e32 v22, 0x80, v27
	v_mov_b32_e32 v21, v27
	s_mov_b32 s14, 16
	s_mov_b32 s13, 32
	;; [unrolled: 1-line block ×7, first 2 shown]
	s_cmpk_eq_i32 s8, 0x79
	ds_write_b128 v27, v[1:4]
	s_cbranch_scc1 .LBB71_60
; %bb.9:
	v_mov_b32_e32 v4, s9
	v_cmp_eq_u32_e64 s4, 7, v0
	s_clause 0x3
	buffer_load_dword v1, v4, s[0:3], 0 offen
	buffer_load_dword v2, v4, s[0:3], 0 offen offset:4
	buffer_load_dword v3, v4, s[0:3], 0 offen offset:8
	buffer_load_dword v4, v4, s[0:3], 0 offen offset:12
	s_waitcnt vmcnt(0)
	ds_write_b128 v22, v[1:4]
	s_waitcnt lgkmcnt(0)
	s_waitcnt_vscnt null, 0x0
	s_barrier
	buffer_gl0_inv
	s_and_saveexec_b32 s5, s4
	s_cbranch_execz .LBB71_13
; %bb.10:
	ds_read_b128 v[1:4], v22
	s_andn2_b32 vcc_lo, exec_lo, s15
	s_cbranch_vccnz .LBB71_12
; %bb.11:
	s_clause 0x3
	buffer_load_dword v23, v21, s[0:3], 0 offen offset:8
	buffer_load_dword v24, v21, s[0:3], 0 offen offset:12
	buffer_load_dword v25, v21, s[0:3], 0 offen
	buffer_load_dword v26, v21, s[0:3], 0 offen offset:4
	s_waitcnt vmcnt(2) lgkmcnt(0)
	v_mul_f64 v[28:29], v[3:4], v[23:24]
	v_mul_f64 v[23:24], v[1:2], v[23:24]
	s_waitcnt vmcnt(0)
	v_fma_f64 v[1:2], v[1:2], v[25:26], -v[28:29]
	v_fma_f64 v[3:4], v[3:4], v[25:26], v[23:24]
.LBB71_12:
	v_mov_b32_e32 v23, 0
	ds_read_b128 v[23:26], v23 offset:96
	s_waitcnt lgkmcnt(0)
	v_mul_f64 v[28:29], v[3:4], v[25:26]
	v_mul_f64 v[25:26], v[1:2], v[25:26]
	v_fma_f64 v[1:2], v[1:2], v[23:24], -v[28:29]
	v_fma_f64 v[3:4], v[3:4], v[23:24], v[25:26]
	buffer_store_dword v2, off, s[0:3], 0 offset:100
	buffer_store_dword v1, off, s[0:3], 0 offset:96
	;; [unrolled: 1-line block ×4, first 2 shown]
.LBB71_13:
	s_or_b32 exec_lo, exec_lo, s5
	v_mov_b32_e32 v4, s10
	v_cmp_lt_u32_e64 s5, 5, v0
	s_clause 0x3
	buffer_load_dword v1, v4, s[0:3], 0 offen
	buffer_load_dword v2, v4, s[0:3], 0 offen offset:4
	buffer_load_dword v3, v4, s[0:3], 0 offen offset:8
	;; [unrolled: 1-line block ×3, first 2 shown]
	s_waitcnt vmcnt(0)
	ds_write_b128 v22, v[1:4]
	s_waitcnt lgkmcnt(0)
	s_waitcnt_vscnt null, 0x0
	s_barrier
	buffer_gl0_inv
	s_and_saveexec_b32 s6, s5
	s_cbranch_execz .LBB71_19
; %bb.14:
	ds_read_b128 v[1:4], v22
	s_andn2_b32 vcc_lo, exec_lo, s15
	s_cbranch_vccnz .LBB71_16
; %bb.15:
	s_clause 0x3
	buffer_load_dword v23, v21, s[0:3], 0 offen offset:8
	buffer_load_dword v24, v21, s[0:3], 0 offen offset:12
	buffer_load_dword v25, v21, s[0:3], 0 offen
	buffer_load_dword v26, v21, s[0:3], 0 offen offset:4
	s_waitcnt vmcnt(2) lgkmcnt(0)
	v_mul_f64 v[28:29], v[3:4], v[23:24]
	v_mul_f64 v[23:24], v[1:2], v[23:24]
	s_waitcnt vmcnt(0)
	v_fma_f64 v[1:2], v[1:2], v[25:26], -v[28:29]
	v_fma_f64 v[3:4], v[3:4], v[25:26], v[23:24]
.LBB71_16:
	s_and_saveexec_b32 s8, s4
	s_cbranch_execz .LBB71_18
; %bb.17:
	s_clause 0x3
	buffer_load_dword v28, off, s[0:3], 0 offset:104
	buffer_load_dword v29, off, s[0:3], 0 offset:108
	;; [unrolled: 1-line block ×4, first 2 shown]
	v_mov_b32_e32 v23, 0
	ds_read_b128 v[23:26], v23 offset:224
	s_waitcnt vmcnt(2) lgkmcnt(0)
	v_mul_f64 v[32:33], v[23:24], v[28:29]
	v_mul_f64 v[28:29], v[25:26], v[28:29]
	s_waitcnt vmcnt(0)
	v_fma_f64 v[25:26], v[25:26], v[30:31], v[32:33]
	v_fma_f64 v[23:24], v[23:24], v[30:31], -v[28:29]
	v_add_f64 v[3:4], v[3:4], v[25:26]
	v_add_f64 v[1:2], v[1:2], v[23:24]
.LBB71_18:
	s_or_b32 exec_lo, exec_lo, s8
	v_mov_b32_e32 v23, 0
	ds_read_b128 v[23:26], v23 offset:80
	s_waitcnt lgkmcnt(0)
	v_mul_f64 v[28:29], v[3:4], v[25:26]
	v_mul_f64 v[25:26], v[1:2], v[25:26]
	v_fma_f64 v[1:2], v[1:2], v[23:24], -v[28:29]
	v_fma_f64 v[3:4], v[3:4], v[23:24], v[25:26]
	buffer_store_dword v2, off, s[0:3], 0 offset:84
	buffer_store_dword v1, off, s[0:3], 0 offset:80
	;; [unrolled: 1-line block ×4, first 2 shown]
.LBB71_19:
	s_or_b32 exec_lo, exec_lo, s6
	v_mov_b32_e32 v4, s11
	v_cmp_lt_u32_e64 s4, 4, v0
	s_clause 0x3
	buffer_load_dword v1, v4, s[0:3], 0 offen
	buffer_load_dword v2, v4, s[0:3], 0 offen offset:4
	buffer_load_dword v3, v4, s[0:3], 0 offen offset:8
	;; [unrolled: 1-line block ×3, first 2 shown]
	s_waitcnt vmcnt(0)
	ds_write_b128 v22, v[1:4]
	s_waitcnt lgkmcnt(0)
	s_waitcnt_vscnt null, 0x0
	s_barrier
	buffer_gl0_inv
	s_and_saveexec_b32 s6, s4
	s_cbranch_execz .LBB71_27
; %bb.20:
	ds_read_b128 v[1:4], v22
	s_andn2_b32 vcc_lo, exec_lo, s15
	s_cbranch_vccnz .LBB71_22
; %bb.21:
	s_clause 0x3
	buffer_load_dword v23, v21, s[0:3], 0 offen offset:8
	buffer_load_dword v24, v21, s[0:3], 0 offen offset:12
	buffer_load_dword v25, v21, s[0:3], 0 offen
	buffer_load_dword v26, v21, s[0:3], 0 offen offset:4
	s_waitcnt vmcnt(2) lgkmcnt(0)
	v_mul_f64 v[28:29], v[3:4], v[23:24]
	v_mul_f64 v[23:24], v[1:2], v[23:24]
	s_waitcnt vmcnt(0)
	v_fma_f64 v[1:2], v[1:2], v[25:26], -v[28:29]
	v_fma_f64 v[3:4], v[3:4], v[25:26], v[23:24]
.LBB71_22:
	s_and_saveexec_b32 s8, s5
	s_cbranch_execz .LBB71_26
; %bb.23:
	v_add_nc_u32_e32 v23, -5, v0
	s_movk_i32 s16, 0xd0
	s_mov_b32 s5, 0
	s_mov_b32 s17, s10
	.p2align	6
.LBB71_24:                              ; =>This Inner Loop Header: Depth=1
	v_mov_b32_e32 v26, s17
	v_add_nc_u32_e32 v23, -1, v23
	s_add_i32 s17, s17, 16
	s_clause 0x3
	buffer_load_dword v24, v26, s[0:3], 0 offen offset:8
	buffer_load_dword v25, v26, s[0:3], 0 offen offset:12
	buffer_load_dword v32, v26, s[0:3], 0 offen
	buffer_load_dword v33, v26, s[0:3], 0 offen offset:4
	v_mov_b32_e32 v26, s16
	v_cmp_eq_u32_e32 vcc_lo, 0, v23
	s_add_i32 s16, s16, 16
	ds_read_b128 v[28:31], v26
	s_or_b32 s5, vcc_lo, s5
	s_waitcnt vmcnt(2) lgkmcnt(0)
	v_mul_f64 v[34:35], v[30:31], v[24:25]
	v_mul_f64 v[24:25], v[28:29], v[24:25]
	s_waitcnt vmcnt(0)
	v_fma_f64 v[28:29], v[28:29], v[32:33], -v[34:35]
	v_fma_f64 v[24:25], v[30:31], v[32:33], v[24:25]
	v_add_f64 v[1:2], v[1:2], v[28:29]
	v_add_f64 v[3:4], v[3:4], v[24:25]
	s_andn2_b32 exec_lo, exec_lo, s5
	s_cbranch_execnz .LBB71_24
; %bb.25:
	s_or_b32 exec_lo, exec_lo, s5
.LBB71_26:
	s_or_b32 exec_lo, exec_lo, s8
	v_mov_b32_e32 v23, 0
	ds_read_b128 v[23:26], v23 offset:64
	s_waitcnt lgkmcnt(0)
	v_mul_f64 v[28:29], v[3:4], v[25:26]
	v_mul_f64 v[25:26], v[1:2], v[25:26]
	v_fma_f64 v[1:2], v[1:2], v[23:24], -v[28:29]
	v_fma_f64 v[3:4], v[3:4], v[23:24], v[25:26]
	buffer_store_dword v2, off, s[0:3], 0 offset:68
	buffer_store_dword v1, off, s[0:3], 0 offset:64
	;; [unrolled: 1-line block ×4, first 2 shown]
.LBB71_27:
	s_or_b32 exec_lo, exec_lo, s6
	v_mov_b32_e32 v4, s12
	v_cmp_lt_u32_e64 s5, 3, v0
	s_clause 0x3
	buffer_load_dword v1, v4, s[0:3], 0 offen
	buffer_load_dword v2, v4, s[0:3], 0 offen offset:4
	buffer_load_dword v3, v4, s[0:3], 0 offen offset:8
	;; [unrolled: 1-line block ×3, first 2 shown]
	s_waitcnt vmcnt(0)
	ds_write_b128 v22, v[1:4]
	s_waitcnt lgkmcnt(0)
	s_waitcnt_vscnt null, 0x0
	s_barrier
	buffer_gl0_inv
	s_and_saveexec_b32 s6, s5
	s_cbranch_execz .LBB71_35
; %bb.28:
	ds_read_b128 v[1:4], v22
	s_andn2_b32 vcc_lo, exec_lo, s15
	s_cbranch_vccnz .LBB71_30
; %bb.29:
	s_clause 0x3
	buffer_load_dword v23, v21, s[0:3], 0 offen offset:8
	buffer_load_dword v24, v21, s[0:3], 0 offen offset:12
	buffer_load_dword v25, v21, s[0:3], 0 offen
	buffer_load_dword v26, v21, s[0:3], 0 offen offset:4
	s_waitcnt vmcnt(2) lgkmcnt(0)
	v_mul_f64 v[28:29], v[3:4], v[23:24]
	v_mul_f64 v[23:24], v[1:2], v[23:24]
	s_waitcnt vmcnt(0)
	v_fma_f64 v[1:2], v[1:2], v[25:26], -v[28:29]
	v_fma_f64 v[3:4], v[3:4], v[25:26], v[23:24]
.LBB71_30:
	s_and_saveexec_b32 s8, s4
	s_cbranch_execz .LBB71_34
; %bb.31:
	v_add_nc_u32_e32 v23, -4, v0
	s_movk_i32 s16, 0xc0
	s_mov_b32 s4, 0
	s_mov_b32 s17, s11
	.p2align	6
.LBB71_32:                              ; =>This Inner Loop Header: Depth=1
	v_mov_b32_e32 v26, s17
	v_add_nc_u32_e32 v23, -1, v23
	s_add_i32 s17, s17, 16
	s_clause 0x3
	buffer_load_dword v24, v26, s[0:3], 0 offen offset:8
	buffer_load_dword v25, v26, s[0:3], 0 offen offset:12
	buffer_load_dword v32, v26, s[0:3], 0 offen
	buffer_load_dword v33, v26, s[0:3], 0 offen offset:4
	v_mov_b32_e32 v26, s16
	v_cmp_eq_u32_e32 vcc_lo, 0, v23
	s_add_i32 s16, s16, 16
	ds_read_b128 v[28:31], v26
	s_or_b32 s4, vcc_lo, s4
	s_waitcnt vmcnt(2) lgkmcnt(0)
	v_mul_f64 v[34:35], v[30:31], v[24:25]
	v_mul_f64 v[24:25], v[28:29], v[24:25]
	s_waitcnt vmcnt(0)
	v_fma_f64 v[28:29], v[28:29], v[32:33], -v[34:35]
	v_fma_f64 v[24:25], v[30:31], v[32:33], v[24:25]
	v_add_f64 v[1:2], v[1:2], v[28:29]
	v_add_f64 v[3:4], v[3:4], v[24:25]
	s_andn2_b32 exec_lo, exec_lo, s4
	s_cbranch_execnz .LBB71_32
; %bb.33:
	s_or_b32 exec_lo, exec_lo, s4
.LBB71_34:
	s_or_b32 exec_lo, exec_lo, s8
	v_mov_b32_e32 v23, 0
	ds_read_b128 v[23:26], v23 offset:48
	s_waitcnt lgkmcnt(0)
	v_mul_f64 v[28:29], v[3:4], v[25:26]
	v_mul_f64 v[25:26], v[1:2], v[25:26]
	v_fma_f64 v[1:2], v[1:2], v[23:24], -v[28:29]
	v_fma_f64 v[3:4], v[3:4], v[23:24], v[25:26]
	buffer_store_dword v2, off, s[0:3], 0 offset:52
	buffer_store_dword v1, off, s[0:3], 0 offset:48
	;; [unrolled: 1-line block ×4, first 2 shown]
.LBB71_35:
	s_or_b32 exec_lo, exec_lo, s6
	v_mov_b32_e32 v4, s13
	v_cmp_lt_u32_e64 s6, 2, v0
	s_clause 0x3
	buffer_load_dword v1, v4, s[0:3], 0 offen
	buffer_load_dword v2, v4, s[0:3], 0 offen offset:4
	buffer_load_dword v3, v4, s[0:3], 0 offen offset:8
	;; [unrolled: 1-line block ×3, first 2 shown]
	s_waitcnt vmcnt(0)
	ds_write_b128 v22, v[1:4]
	s_waitcnt lgkmcnt(0)
	s_waitcnt_vscnt null, 0x0
	s_barrier
	buffer_gl0_inv
	s_and_saveexec_b32 s4, s6
	s_cbranch_execz .LBB71_43
; %bb.36:
	ds_read_b128 v[1:4], v22
	s_andn2_b32 vcc_lo, exec_lo, s15
	s_cbranch_vccnz .LBB71_38
; %bb.37:
	s_clause 0x3
	buffer_load_dword v23, v21, s[0:3], 0 offen offset:8
	buffer_load_dword v24, v21, s[0:3], 0 offen offset:12
	buffer_load_dword v25, v21, s[0:3], 0 offen
	buffer_load_dword v26, v21, s[0:3], 0 offen offset:4
	s_waitcnt vmcnt(2) lgkmcnt(0)
	v_mul_f64 v[28:29], v[3:4], v[23:24]
	v_mul_f64 v[23:24], v[1:2], v[23:24]
	s_waitcnt vmcnt(0)
	v_fma_f64 v[1:2], v[1:2], v[25:26], -v[28:29]
	v_fma_f64 v[3:4], v[3:4], v[25:26], v[23:24]
.LBB71_38:
	s_and_saveexec_b32 s8, s5
	s_cbranch_execz .LBB71_42
; %bb.39:
	v_add_nc_u32_e32 v23, -3, v0
	s_movk_i32 s16, 0xb0
	s_mov_b32 s5, 0
	s_mov_b32 s17, s12
	.p2align	6
.LBB71_40:                              ; =>This Inner Loop Header: Depth=1
	v_mov_b32_e32 v26, s17
	v_add_nc_u32_e32 v23, -1, v23
	s_add_i32 s17, s17, 16
	s_clause 0x3
	buffer_load_dword v24, v26, s[0:3], 0 offen offset:8
	buffer_load_dword v25, v26, s[0:3], 0 offen offset:12
	buffer_load_dword v32, v26, s[0:3], 0 offen
	buffer_load_dword v33, v26, s[0:3], 0 offen offset:4
	v_mov_b32_e32 v26, s16
	v_cmp_eq_u32_e32 vcc_lo, 0, v23
	s_add_i32 s16, s16, 16
	ds_read_b128 v[28:31], v26
	s_or_b32 s5, vcc_lo, s5
	s_waitcnt vmcnt(2) lgkmcnt(0)
	v_mul_f64 v[34:35], v[30:31], v[24:25]
	v_mul_f64 v[24:25], v[28:29], v[24:25]
	s_waitcnt vmcnt(0)
	v_fma_f64 v[28:29], v[28:29], v[32:33], -v[34:35]
	v_fma_f64 v[24:25], v[30:31], v[32:33], v[24:25]
	v_add_f64 v[1:2], v[1:2], v[28:29]
	v_add_f64 v[3:4], v[3:4], v[24:25]
	s_andn2_b32 exec_lo, exec_lo, s5
	s_cbranch_execnz .LBB71_40
; %bb.41:
	s_or_b32 exec_lo, exec_lo, s5
.LBB71_42:
	s_or_b32 exec_lo, exec_lo, s8
	v_mov_b32_e32 v23, 0
	ds_read_b128 v[23:26], v23 offset:32
	s_waitcnt lgkmcnt(0)
	v_mul_f64 v[28:29], v[3:4], v[25:26]
	v_mul_f64 v[25:26], v[1:2], v[25:26]
	v_fma_f64 v[1:2], v[1:2], v[23:24], -v[28:29]
	v_fma_f64 v[3:4], v[3:4], v[23:24], v[25:26]
	buffer_store_dword v2, off, s[0:3], 0 offset:36
	buffer_store_dword v1, off, s[0:3], 0 offset:32
	;; [unrolled: 1-line block ×4, first 2 shown]
.LBB71_43:
	s_or_b32 exec_lo, exec_lo, s4
	v_mov_b32_e32 v4, s14
	v_cmp_lt_u32_e64 s4, 1, v0
	s_clause 0x3
	buffer_load_dword v1, v4, s[0:3], 0 offen
	buffer_load_dword v2, v4, s[0:3], 0 offen offset:4
	buffer_load_dword v3, v4, s[0:3], 0 offen offset:8
	;; [unrolled: 1-line block ×3, first 2 shown]
	s_waitcnt vmcnt(0)
	ds_write_b128 v22, v[1:4]
	s_waitcnt lgkmcnt(0)
	s_waitcnt_vscnt null, 0x0
	s_barrier
	buffer_gl0_inv
	s_and_saveexec_b32 s5, s4
	s_cbranch_execz .LBB71_51
; %bb.44:
	ds_read_b128 v[1:4], v22
	s_andn2_b32 vcc_lo, exec_lo, s15
	s_cbranch_vccnz .LBB71_46
; %bb.45:
	s_clause 0x3
	buffer_load_dword v23, v21, s[0:3], 0 offen offset:8
	buffer_load_dword v24, v21, s[0:3], 0 offen offset:12
	buffer_load_dword v25, v21, s[0:3], 0 offen
	buffer_load_dword v26, v21, s[0:3], 0 offen offset:4
	s_waitcnt vmcnt(2) lgkmcnt(0)
	v_mul_f64 v[28:29], v[3:4], v[23:24]
	v_mul_f64 v[23:24], v[1:2], v[23:24]
	s_waitcnt vmcnt(0)
	v_fma_f64 v[1:2], v[1:2], v[25:26], -v[28:29]
	v_fma_f64 v[3:4], v[3:4], v[25:26], v[23:24]
.LBB71_46:
	s_and_saveexec_b32 s8, s6
	s_cbranch_execz .LBB71_50
; %bb.47:
	v_add_nc_u32_e32 v23, -2, v0
	s_movk_i32 s16, 0xa0
	s_mov_b32 s6, 0
	s_mov_b32 s17, s13
	.p2align	6
.LBB71_48:                              ; =>This Inner Loop Header: Depth=1
	v_mov_b32_e32 v26, s17
	v_add_nc_u32_e32 v23, -1, v23
	s_add_i32 s17, s17, 16
	s_clause 0x3
	buffer_load_dword v24, v26, s[0:3], 0 offen offset:8
	buffer_load_dword v25, v26, s[0:3], 0 offen offset:12
	buffer_load_dword v32, v26, s[0:3], 0 offen
	buffer_load_dword v33, v26, s[0:3], 0 offen offset:4
	v_mov_b32_e32 v26, s16
	v_cmp_eq_u32_e32 vcc_lo, 0, v23
	s_add_i32 s16, s16, 16
	ds_read_b128 v[28:31], v26
	s_or_b32 s6, vcc_lo, s6
	s_waitcnt vmcnt(2) lgkmcnt(0)
	v_mul_f64 v[34:35], v[30:31], v[24:25]
	v_mul_f64 v[24:25], v[28:29], v[24:25]
	s_waitcnt vmcnt(0)
	v_fma_f64 v[28:29], v[28:29], v[32:33], -v[34:35]
	v_fma_f64 v[24:25], v[30:31], v[32:33], v[24:25]
	v_add_f64 v[1:2], v[1:2], v[28:29]
	v_add_f64 v[3:4], v[3:4], v[24:25]
	s_andn2_b32 exec_lo, exec_lo, s6
	s_cbranch_execnz .LBB71_48
; %bb.49:
	s_or_b32 exec_lo, exec_lo, s6
.LBB71_50:
	s_or_b32 exec_lo, exec_lo, s8
	v_mov_b32_e32 v23, 0
	ds_read_b128 v[23:26], v23 offset:16
	s_waitcnt lgkmcnt(0)
	v_mul_f64 v[28:29], v[3:4], v[25:26]
	v_mul_f64 v[25:26], v[1:2], v[25:26]
	v_fma_f64 v[1:2], v[1:2], v[23:24], -v[28:29]
	v_fma_f64 v[3:4], v[3:4], v[23:24], v[25:26]
	buffer_store_dword v2, off, s[0:3], 0 offset:20
	buffer_store_dword v1, off, s[0:3], 0 offset:16
	;; [unrolled: 1-line block ×4, first 2 shown]
.LBB71_51:
	s_or_b32 exec_lo, exec_lo, s5
	s_clause 0x3
	buffer_load_dword v1, off, s[0:3], 0
	buffer_load_dword v2, off, s[0:3], 0 offset:4
	buffer_load_dword v3, off, s[0:3], 0 offset:8
	;; [unrolled: 1-line block ×3, first 2 shown]
	s_mov_b32 s6, 0
	s_mov_b32 s5, 0
	s_mov_b32 s8, exec_lo
                                        ; implicit-def: $sgpr16
	s_waitcnt vmcnt(0)
	ds_write_b128 v22, v[1:4]
	s_waitcnt lgkmcnt(0)
	s_waitcnt_vscnt null, 0x0
	s_barrier
	buffer_gl0_inv
                                        ; implicit-def: $vgpr1_vgpr2
	v_cmpx_ne_u32_e32 0, v0
	s_cbranch_execz .LBB71_59
; %bb.52:
	ds_read_b128 v[1:4], v22
	s_andn2_b32 vcc_lo, exec_lo, s15
	s_cbranch_vccnz .LBB71_54
; %bb.53:
	s_clause 0x3
	buffer_load_dword v23, v21, s[0:3], 0 offen offset:8
	buffer_load_dword v24, v21, s[0:3], 0 offen offset:12
	buffer_load_dword v25, v21, s[0:3], 0 offen
	buffer_load_dword v26, v21, s[0:3], 0 offen offset:4
	s_waitcnt vmcnt(2) lgkmcnt(0)
	v_mul_f64 v[28:29], v[3:4], v[23:24]
	v_mul_f64 v[23:24], v[1:2], v[23:24]
	s_waitcnt vmcnt(0)
	v_fma_f64 v[1:2], v[1:2], v[25:26], -v[28:29]
	v_fma_f64 v[3:4], v[3:4], v[25:26], v[23:24]
.LBB71_54:
	s_and_saveexec_b32 s5, s4
	s_cbranch_execz .LBB71_58
; %bb.55:
	v_add_nc_u32_e32 v23, -1, v0
	s_movk_i32 s16, 0x90
	s_mov_b32 s4, 0
	s_mov_b32 s17, s14
	.p2align	6
.LBB71_56:                              ; =>This Inner Loop Header: Depth=1
	v_mov_b32_e32 v26, s17
	v_add_nc_u32_e32 v23, -1, v23
	s_add_i32 s17, s17, 16
	s_clause 0x3
	buffer_load_dword v24, v26, s[0:3], 0 offen offset:8
	buffer_load_dword v25, v26, s[0:3], 0 offen offset:12
	buffer_load_dword v32, v26, s[0:3], 0 offen
	buffer_load_dword v33, v26, s[0:3], 0 offen offset:4
	v_mov_b32_e32 v26, s16
	v_cmp_eq_u32_e32 vcc_lo, 0, v23
	s_add_i32 s16, s16, 16
	ds_read_b128 v[28:31], v26
	s_or_b32 s4, vcc_lo, s4
	s_waitcnt vmcnt(2) lgkmcnt(0)
	v_mul_f64 v[34:35], v[30:31], v[24:25]
	v_mul_f64 v[24:25], v[28:29], v[24:25]
	s_waitcnt vmcnt(0)
	v_fma_f64 v[28:29], v[28:29], v[32:33], -v[34:35]
	v_fma_f64 v[24:25], v[30:31], v[32:33], v[24:25]
	v_add_f64 v[1:2], v[1:2], v[28:29]
	v_add_f64 v[3:4], v[3:4], v[24:25]
	s_andn2_b32 exec_lo, exec_lo, s4
	s_cbranch_execnz .LBB71_56
; %bb.57:
	s_or_b32 exec_lo, exec_lo, s4
.LBB71_58:
	s_or_b32 exec_lo, exec_lo, s5
	v_mov_b32_e32 v23, 0
	s_mov_b32 s5, exec_lo
	s_or_b32 s16, 0, 8
	ds_read_b128 v[23:26], v23
	s_waitcnt lgkmcnt(0)
	v_mul_f64 v[28:29], v[3:4], v[25:26]
	v_mul_f64 v[25:26], v[1:2], v[25:26]
	v_fma_f64 v[28:29], v[1:2], v[23:24], -v[28:29]
	v_fma_f64 v[1:2], v[3:4], v[23:24], v[25:26]
	buffer_store_dword v29, off, s[0:3], 0 offset:4
	buffer_store_dword v28, off, s[0:3], 0
.LBB71_59:
	s_or_b32 exec_lo, exec_lo, s8
	s_and_b32 vcc_lo, exec_lo, s6
	s_cbranch_vccnz .LBB71_61
	s_branch .LBB71_112
.LBB71_60:
	s_mov_b32 s5, 0
                                        ; implicit-def: $vgpr1_vgpr2
                                        ; implicit-def: $sgpr16
	s_cbranch_execz .LBB71_112
.LBB71_61:
	v_mov_b32_e32 v4, s14
	v_cmp_eq_u32_e64 s4, 0, v0
	v_cndmask_b32_e64 v23, 0, 1, s15
	s_clause 0x3
	buffer_load_dword v1, v4, s[0:3], 0 offen
	buffer_load_dword v2, v4, s[0:3], 0 offen offset:4
	buffer_load_dword v3, v4, s[0:3], 0 offen offset:8
	;; [unrolled: 1-line block ×3, first 2 shown]
	s_waitcnt vmcnt(0)
	ds_write_b128 v22, v[1:4]
	s_waitcnt lgkmcnt(0)
	s_waitcnt_vscnt null, 0x0
	s_barrier
	buffer_gl0_inv
	s_and_saveexec_b32 s6, s4
	s_cbranch_execz .LBB71_65
; %bb.62:
	ds_read_b128 v[1:4], v22
	s_andn2_b32 vcc_lo, exec_lo, s15
	s_cbranch_vccnz .LBB71_64
; %bb.63:
	s_clause 0x3
	buffer_load_dword v24, v21, s[0:3], 0 offen offset:8
	buffer_load_dword v25, v21, s[0:3], 0 offen offset:12
	buffer_load_dword v28, v21, s[0:3], 0 offen
	buffer_load_dword v29, v21, s[0:3], 0 offen offset:4
	s_waitcnt vmcnt(2) lgkmcnt(0)
	v_mul_f64 v[30:31], v[3:4], v[24:25]
	v_mul_f64 v[24:25], v[1:2], v[24:25]
	s_waitcnt vmcnt(0)
	v_fma_f64 v[1:2], v[1:2], v[28:29], -v[30:31]
	v_fma_f64 v[3:4], v[3:4], v[28:29], v[24:25]
.LBB71_64:
	v_mov_b32_e32 v24, 0
	ds_read_b128 v[28:31], v24 offset:16
	s_waitcnt lgkmcnt(0)
	v_mul_f64 v[24:25], v[3:4], v[30:31]
	v_mul_f64 v[30:31], v[1:2], v[30:31]
	v_fma_f64 v[1:2], v[1:2], v[28:29], -v[24:25]
	v_fma_f64 v[3:4], v[3:4], v[28:29], v[30:31]
	buffer_store_dword v2, off, s[0:3], 0 offset:20
	buffer_store_dword v1, off, s[0:3], 0 offset:16
	;; [unrolled: 1-line block ×4, first 2 shown]
.LBB71_65:
	s_or_b32 exec_lo, exec_lo, s6
	v_mov_b32_e32 v4, s13
	s_mov_b32 s6, exec_lo
	s_clause 0x3
	buffer_load_dword v1, v4, s[0:3], 0 offen
	buffer_load_dword v2, v4, s[0:3], 0 offen offset:4
	buffer_load_dword v3, v4, s[0:3], 0 offen offset:8
	;; [unrolled: 1-line block ×3, first 2 shown]
	s_waitcnt vmcnt(0)
	ds_write_b128 v22, v[1:4]
	s_waitcnt lgkmcnt(0)
	s_waitcnt_vscnt null, 0x0
	s_barrier
	buffer_gl0_inv
	v_cmpx_gt_u32_e32 2, v0
	s_cbranch_execz .LBB71_71
; %bb.66:
	ds_read_b128 v[1:4], v22
	v_cmp_ne_u32_e32 vcc_lo, 1, v23
	s_cbranch_vccnz .LBB71_68
; %bb.67:
	s_clause 0x3
	buffer_load_dword v24, v21, s[0:3], 0 offen offset:8
	buffer_load_dword v25, v21, s[0:3], 0 offen offset:12
	buffer_load_dword v28, v21, s[0:3], 0 offen
	buffer_load_dword v29, v21, s[0:3], 0 offen offset:4
	s_waitcnt vmcnt(2) lgkmcnt(0)
	v_mul_f64 v[30:31], v[3:4], v[24:25]
	v_mul_f64 v[24:25], v[1:2], v[24:25]
	s_waitcnt vmcnt(0)
	v_fma_f64 v[1:2], v[1:2], v[28:29], -v[30:31]
	v_fma_f64 v[3:4], v[3:4], v[28:29], v[24:25]
.LBB71_68:
	s_and_saveexec_b32 s8, s4
	s_cbranch_execz .LBB71_70
; %bb.69:
	s_clause 0x3
	buffer_load_dword v24, off, s[0:3], 0 offset:24
	buffer_load_dword v25, off, s[0:3], 0 offset:28
	buffer_load_dword v32, off, s[0:3], 0 offset:16
	buffer_load_dword v33, off, s[0:3], 0 offset:20
	v_mov_b32_e32 v26, 0
	ds_read_b128 v[28:31], v26 offset:144
	s_waitcnt vmcnt(2) lgkmcnt(0)
	v_mul_f64 v[34:35], v[30:31], v[24:25]
	v_mul_f64 v[24:25], v[28:29], v[24:25]
	s_waitcnt vmcnt(0)
	v_fma_f64 v[28:29], v[28:29], v[32:33], -v[34:35]
	v_fma_f64 v[24:25], v[30:31], v[32:33], v[24:25]
	v_add_f64 v[1:2], v[1:2], v[28:29]
	v_add_f64 v[3:4], v[3:4], v[24:25]
.LBB71_70:
	s_or_b32 exec_lo, exec_lo, s8
	v_mov_b32_e32 v24, 0
	ds_read_b128 v[28:31], v24 offset:32
	s_waitcnt lgkmcnt(0)
	v_mul_f64 v[24:25], v[3:4], v[30:31]
	v_mul_f64 v[30:31], v[1:2], v[30:31]
	v_fma_f64 v[1:2], v[1:2], v[28:29], -v[24:25]
	v_fma_f64 v[3:4], v[3:4], v[28:29], v[30:31]
	buffer_store_dword v2, off, s[0:3], 0 offset:36
	buffer_store_dword v1, off, s[0:3], 0 offset:32
	;; [unrolled: 1-line block ×4, first 2 shown]
.LBB71_71:
	s_or_b32 exec_lo, exec_lo, s6
	v_mov_b32_e32 v4, s12
	s_mov_b32 s6, exec_lo
	s_clause 0x3
	buffer_load_dword v1, v4, s[0:3], 0 offen
	buffer_load_dword v2, v4, s[0:3], 0 offen offset:4
	buffer_load_dword v3, v4, s[0:3], 0 offen offset:8
	;; [unrolled: 1-line block ×3, first 2 shown]
	s_waitcnt vmcnt(0)
	ds_write_b128 v22, v[1:4]
	s_waitcnt lgkmcnt(0)
	s_waitcnt_vscnt null, 0x0
	s_barrier
	buffer_gl0_inv
	v_cmpx_gt_u32_e32 3, v0
	s_cbranch_execz .LBB71_79
; %bb.72:
	ds_read_b128 v[1:4], v22
	v_cmp_ne_u32_e32 vcc_lo, 1, v23
	s_cbranch_vccnz .LBB71_74
; %bb.73:
	s_clause 0x3
	buffer_load_dword v24, v21, s[0:3], 0 offen offset:8
	buffer_load_dword v25, v21, s[0:3], 0 offen offset:12
	buffer_load_dword v28, v21, s[0:3], 0 offen
	buffer_load_dword v29, v21, s[0:3], 0 offen offset:4
	s_waitcnt vmcnt(2) lgkmcnt(0)
	v_mul_f64 v[30:31], v[3:4], v[24:25]
	v_mul_f64 v[24:25], v[1:2], v[24:25]
	s_waitcnt vmcnt(0)
	v_fma_f64 v[1:2], v[1:2], v[28:29], -v[30:31]
	v_fma_f64 v[3:4], v[3:4], v[28:29], v[24:25]
.LBB71_74:
	s_mov_b32 s8, exec_lo
	v_cmpx_ne_u32_e32 2, v0
	s_cbranch_execz .LBB71_78
; %bb.75:
	s_clause 0x3
	buffer_load_dword v24, v21, s[0:3], 0 offen offset:24
	buffer_load_dword v25, v21, s[0:3], 0 offen offset:28
	;; [unrolled: 1-line block ×4, first 2 shown]
	ds_read_b128 v[28:31], v22 offset:16
	s_waitcnt vmcnt(2) lgkmcnt(0)
	v_mul_f64 v[34:35], v[30:31], v[24:25]
	v_mul_f64 v[24:25], v[28:29], v[24:25]
	s_waitcnt vmcnt(0)
	v_fma_f64 v[28:29], v[28:29], v[32:33], -v[34:35]
	v_fma_f64 v[24:25], v[30:31], v[32:33], v[24:25]
	v_add_f64 v[1:2], v[1:2], v[28:29]
	v_add_f64 v[3:4], v[3:4], v[24:25]
	s_and_saveexec_b32 s15, s4
	s_cbranch_execz .LBB71_77
; %bb.76:
	s_clause 0x3
	buffer_load_dword v24, off, s[0:3], 0 offset:40
	buffer_load_dword v25, off, s[0:3], 0 offset:44
	;; [unrolled: 1-line block ×4, first 2 shown]
	v_mov_b32_e32 v26, 0
	ds_read_b128 v[28:31], v26 offset:160
	s_waitcnt vmcnt(2) lgkmcnt(0)
	v_mul_f64 v[34:35], v[28:29], v[24:25]
	v_mul_f64 v[24:25], v[30:31], v[24:25]
	s_waitcnt vmcnt(0)
	v_fma_f64 v[30:31], v[30:31], v[32:33], v[34:35]
	v_fma_f64 v[24:25], v[28:29], v[32:33], -v[24:25]
	v_add_f64 v[3:4], v[3:4], v[30:31]
	v_add_f64 v[1:2], v[1:2], v[24:25]
.LBB71_77:
	s_or_b32 exec_lo, exec_lo, s15
.LBB71_78:
	s_or_b32 exec_lo, exec_lo, s8
	v_mov_b32_e32 v24, 0
	ds_read_b128 v[28:31], v24 offset:48
	s_waitcnt lgkmcnt(0)
	v_mul_f64 v[24:25], v[3:4], v[30:31]
	v_mul_f64 v[30:31], v[1:2], v[30:31]
	v_fma_f64 v[1:2], v[1:2], v[28:29], -v[24:25]
	v_fma_f64 v[3:4], v[3:4], v[28:29], v[30:31]
	buffer_store_dword v2, off, s[0:3], 0 offset:52
	buffer_store_dword v1, off, s[0:3], 0 offset:48
	;; [unrolled: 1-line block ×4, first 2 shown]
.LBB71_79:
	s_or_b32 exec_lo, exec_lo, s6
	v_mov_b32_e32 v4, s11
	s_mov_b32 s4, exec_lo
	s_clause 0x3
	buffer_load_dword v1, v4, s[0:3], 0 offen
	buffer_load_dword v2, v4, s[0:3], 0 offen offset:4
	buffer_load_dword v3, v4, s[0:3], 0 offen offset:8
	;; [unrolled: 1-line block ×3, first 2 shown]
	s_waitcnt vmcnt(0)
	ds_write_b128 v22, v[1:4]
	s_waitcnt lgkmcnt(0)
	s_waitcnt_vscnt null, 0x0
	s_barrier
	buffer_gl0_inv
	v_cmpx_gt_u32_e32 4, v0
	s_cbranch_execz .LBB71_87
; %bb.80:
	ds_read_b128 v[1:4], v22
	v_cmp_ne_u32_e32 vcc_lo, 1, v23
	s_cbranch_vccnz .LBB71_82
; %bb.81:
	s_clause 0x3
	buffer_load_dword v24, v21, s[0:3], 0 offen offset:8
	buffer_load_dword v25, v21, s[0:3], 0 offen offset:12
	buffer_load_dword v28, v21, s[0:3], 0 offen
	buffer_load_dword v29, v21, s[0:3], 0 offen offset:4
	s_waitcnt vmcnt(2) lgkmcnt(0)
	v_mul_f64 v[30:31], v[3:4], v[24:25]
	v_mul_f64 v[24:25], v[1:2], v[24:25]
	s_waitcnt vmcnt(0)
	v_fma_f64 v[1:2], v[1:2], v[28:29], -v[30:31]
	v_fma_f64 v[3:4], v[3:4], v[28:29], v[24:25]
.LBB71_82:
	s_mov_b32 s6, exec_lo
	v_cmpx_ne_u32_e32 3, v0
	s_cbranch_execz .LBB71_86
; %bb.83:
	v_add_nc_u32_e32 v24, 0x90, v27
	v_add3_u32 v25, 0, v27, 16
	v_mov_b32_e32 v26, v0
	s_mov_b32 s8, 0
	.p2align	6
.LBB71_84:                              ; =>This Inner Loop Header: Depth=1
	s_clause 0x3
	buffer_load_dword v32, v25, s[0:3], 0 offen offset:8
	buffer_load_dword v33, v25, s[0:3], 0 offen offset:12
	buffer_load_dword v34, v25, s[0:3], 0 offen
	buffer_load_dword v35, v25, s[0:3], 0 offen offset:4
	ds_read_b128 v[28:31], v24
	v_add_nc_u32_e32 v26, 1, v26
	v_add_nc_u32_e32 v24, 16, v24
	;; [unrolled: 1-line block ×3, first 2 shown]
	v_cmp_lt_u32_e32 vcc_lo, 2, v26
	s_or_b32 s8, vcc_lo, s8
	s_waitcnt vmcnt(2) lgkmcnt(0)
	v_mul_f64 v[36:37], v[30:31], v[32:33]
	v_mul_f64 v[32:33], v[28:29], v[32:33]
	s_waitcnt vmcnt(0)
	v_fma_f64 v[28:29], v[28:29], v[34:35], -v[36:37]
	v_fma_f64 v[30:31], v[30:31], v[34:35], v[32:33]
	v_add_f64 v[1:2], v[1:2], v[28:29]
	v_add_f64 v[3:4], v[3:4], v[30:31]
	s_andn2_b32 exec_lo, exec_lo, s8
	s_cbranch_execnz .LBB71_84
; %bb.85:
	s_or_b32 exec_lo, exec_lo, s8
.LBB71_86:
	s_or_b32 exec_lo, exec_lo, s6
	v_mov_b32_e32 v24, 0
	ds_read_b128 v[28:31], v24 offset:64
	s_waitcnt lgkmcnt(0)
	v_mul_f64 v[24:25], v[3:4], v[30:31]
	v_mul_f64 v[30:31], v[1:2], v[30:31]
	v_fma_f64 v[1:2], v[1:2], v[28:29], -v[24:25]
	v_fma_f64 v[3:4], v[3:4], v[28:29], v[30:31]
	buffer_store_dword v2, off, s[0:3], 0 offset:68
	buffer_store_dword v1, off, s[0:3], 0 offset:64
	;; [unrolled: 1-line block ×4, first 2 shown]
.LBB71_87:
	s_or_b32 exec_lo, exec_lo, s4
	v_mov_b32_e32 v4, s10
	s_mov_b32 s4, exec_lo
	s_clause 0x3
	buffer_load_dword v1, v4, s[0:3], 0 offen
	buffer_load_dword v2, v4, s[0:3], 0 offen offset:4
	buffer_load_dword v3, v4, s[0:3], 0 offen offset:8
	;; [unrolled: 1-line block ×3, first 2 shown]
	s_waitcnt vmcnt(0)
	ds_write_b128 v22, v[1:4]
	s_waitcnt lgkmcnt(0)
	s_waitcnt_vscnt null, 0x0
	s_barrier
	buffer_gl0_inv
	v_cmpx_gt_u32_e32 5, v0
	s_cbranch_execz .LBB71_95
; %bb.88:
	ds_read_b128 v[1:4], v22
	v_cmp_ne_u32_e32 vcc_lo, 1, v23
	s_cbranch_vccnz .LBB71_90
; %bb.89:
	s_clause 0x3
	buffer_load_dword v24, v21, s[0:3], 0 offen offset:8
	buffer_load_dword v25, v21, s[0:3], 0 offen offset:12
	buffer_load_dword v28, v21, s[0:3], 0 offen
	buffer_load_dword v29, v21, s[0:3], 0 offen offset:4
	s_waitcnt vmcnt(2) lgkmcnt(0)
	v_mul_f64 v[30:31], v[3:4], v[24:25]
	v_mul_f64 v[24:25], v[1:2], v[24:25]
	s_waitcnt vmcnt(0)
	v_fma_f64 v[1:2], v[1:2], v[28:29], -v[30:31]
	v_fma_f64 v[3:4], v[3:4], v[28:29], v[24:25]
.LBB71_90:
	s_mov_b32 s6, exec_lo
	v_cmpx_ne_u32_e32 4, v0
	s_cbranch_execz .LBB71_94
; %bb.91:
	v_add_nc_u32_e32 v24, 0x90, v27
	v_add3_u32 v25, 0, v27, 16
	v_mov_b32_e32 v26, v0
	s_mov_b32 s8, 0
	.p2align	6
.LBB71_92:                              ; =>This Inner Loop Header: Depth=1
	s_clause 0x3
	buffer_load_dword v32, v25, s[0:3], 0 offen offset:8
	buffer_load_dword v33, v25, s[0:3], 0 offen offset:12
	buffer_load_dword v34, v25, s[0:3], 0 offen
	buffer_load_dword v35, v25, s[0:3], 0 offen offset:4
	ds_read_b128 v[28:31], v24
	v_add_nc_u32_e32 v26, 1, v26
	v_add_nc_u32_e32 v24, 16, v24
	;; [unrolled: 1-line block ×3, first 2 shown]
	v_cmp_lt_u32_e32 vcc_lo, 3, v26
	s_or_b32 s8, vcc_lo, s8
	s_waitcnt vmcnt(2) lgkmcnt(0)
	v_mul_f64 v[36:37], v[30:31], v[32:33]
	v_mul_f64 v[32:33], v[28:29], v[32:33]
	s_waitcnt vmcnt(0)
	v_fma_f64 v[28:29], v[28:29], v[34:35], -v[36:37]
	v_fma_f64 v[30:31], v[30:31], v[34:35], v[32:33]
	v_add_f64 v[1:2], v[1:2], v[28:29]
	v_add_f64 v[3:4], v[3:4], v[30:31]
	s_andn2_b32 exec_lo, exec_lo, s8
	s_cbranch_execnz .LBB71_92
; %bb.93:
	s_or_b32 exec_lo, exec_lo, s8
.LBB71_94:
	s_or_b32 exec_lo, exec_lo, s6
	v_mov_b32_e32 v24, 0
	ds_read_b128 v[28:31], v24 offset:80
	s_waitcnt lgkmcnt(0)
	v_mul_f64 v[24:25], v[3:4], v[30:31]
	v_mul_f64 v[30:31], v[1:2], v[30:31]
	v_fma_f64 v[1:2], v[1:2], v[28:29], -v[24:25]
	v_fma_f64 v[3:4], v[3:4], v[28:29], v[30:31]
	buffer_store_dword v2, off, s[0:3], 0 offset:84
	buffer_store_dword v1, off, s[0:3], 0 offset:80
	;; [unrolled: 1-line block ×4, first 2 shown]
.LBB71_95:
	s_or_b32 exec_lo, exec_lo, s4
	v_mov_b32_e32 v4, s9
	v_cmp_gt_u32_e64 s4, 6, v0
	s_clause 0x3
	buffer_load_dword v1, v4, s[0:3], 0 offen
	buffer_load_dword v2, v4, s[0:3], 0 offen offset:4
	buffer_load_dword v3, v4, s[0:3], 0 offen offset:8
	;; [unrolled: 1-line block ×3, first 2 shown]
	s_waitcnt vmcnt(0)
	ds_write_b128 v22, v[1:4]
	s_waitcnt lgkmcnt(0)
	s_waitcnt_vscnt null, 0x0
	s_barrier
	buffer_gl0_inv
	s_and_saveexec_b32 s6, s4
	s_cbranch_execz .LBB71_103
; %bb.96:
	ds_read_b128 v[1:4], v22
	v_cmp_ne_u32_e32 vcc_lo, 1, v23
	s_cbranch_vccnz .LBB71_98
; %bb.97:
	s_clause 0x3
	buffer_load_dword v24, v21, s[0:3], 0 offen offset:8
	buffer_load_dword v25, v21, s[0:3], 0 offen offset:12
	buffer_load_dword v28, v21, s[0:3], 0 offen
	buffer_load_dword v29, v21, s[0:3], 0 offen offset:4
	s_waitcnt vmcnt(2) lgkmcnt(0)
	v_mul_f64 v[30:31], v[3:4], v[24:25]
	v_mul_f64 v[24:25], v[1:2], v[24:25]
	s_waitcnt vmcnt(0)
	v_fma_f64 v[1:2], v[1:2], v[28:29], -v[30:31]
	v_fma_f64 v[3:4], v[3:4], v[28:29], v[24:25]
.LBB71_98:
	s_mov_b32 s8, exec_lo
	v_cmpx_ne_u32_e32 5, v0
	s_cbranch_execz .LBB71_102
; %bb.99:
	v_add_nc_u32_e32 v24, 0x90, v27
	v_add3_u32 v25, 0, v27, 16
	v_mov_b32_e32 v26, v0
	s_mov_b32 s15, 0
	.p2align	6
.LBB71_100:                             ; =>This Inner Loop Header: Depth=1
	s_clause 0x3
	buffer_load_dword v32, v25, s[0:3], 0 offen offset:8
	buffer_load_dword v33, v25, s[0:3], 0 offen offset:12
	buffer_load_dword v34, v25, s[0:3], 0 offen
	buffer_load_dword v35, v25, s[0:3], 0 offen offset:4
	ds_read_b128 v[28:31], v24
	v_add_nc_u32_e32 v26, 1, v26
	v_add_nc_u32_e32 v24, 16, v24
	;; [unrolled: 1-line block ×3, first 2 shown]
	v_cmp_lt_u32_e32 vcc_lo, 4, v26
	s_or_b32 s15, vcc_lo, s15
	s_waitcnt vmcnt(2) lgkmcnt(0)
	v_mul_f64 v[36:37], v[30:31], v[32:33]
	v_mul_f64 v[32:33], v[28:29], v[32:33]
	s_waitcnt vmcnt(0)
	v_fma_f64 v[28:29], v[28:29], v[34:35], -v[36:37]
	v_fma_f64 v[30:31], v[30:31], v[34:35], v[32:33]
	v_add_f64 v[1:2], v[1:2], v[28:29]
	v_add_f64 v[3:4], v[3:4], v[30:31]
	s_andn2_b32 exec_lo, exec_lo, s15
	s_cbranch_execnz .LBB71_100
; %bb.101:
	s_or_b32 exec_lo, exec_lo, s15
.LBB71_102:
	s_or_b32 exec_lo, exec_lo, s8
	v_mov_b32_e32 v24, 0
	ds_read_b128 v[28:31], v24 offset:96
	s_waitcnt lgkmcnt(0)
	v_mul_f64 v[24:25], v[3:4], v[30:31]
	v_mul_f64 v[30:31], v[1:2], v[30:31]
	v_fma_f64 v[1:2], v[1:2], v[28:29], -v[24:25]
	v_fma_f64 v[3:4], v[3:4], v[28:29], v[30:31]
	buffer_store_dword v2, off, s[0:3], 0 offset:100
	buffer_store_dword v1, off, s[0:3], 0 offset:96
	;; [unrolled: 1-line block ×4, first 2 shown]
.LBB71_103:
	s_or_b32 exec_lo, exec_lo, s6
	v_mov_b32_e32 v4, s7
	s_mov_b32 s6, exec_lo
                                        ; implicit-def: $sgpr16
	s_clause 0x3
	buffer_load_dword v1, v4, s[0:3], 0 offen
	buffer_load_dword v2, v4, s[0:3], 0 offen offset:4
	buffer_load_dword v3, v4, s[0:3], 0 offen offset:8
	;; [unrolled: 1-line block ×3, first 2 shown]
	s_waitcnt vmcnt(0)
	ds_write_b128 v22, v[1:4]
	s_waitcnt lgkmcnt(0)
	s_waitcnt_vscnt null, 0x0
	s_barrier
	buffer_gl0_inv
                                        ; implicit-def: $vgpr1_vgpr2
	v_cmpx_ne_u32_e32 7, v0
	s_cbranch_execz .LBB71_111
; %bb.104:
	ds_read_b128 v[1:4], v22
	v_cmp_ne_u32_e32 vcc_lo, 1, v23
	s_cbranch_vccnz .LBB71_106
; %bb.105:
	s_clause 0x3
	buffer_load_dword v22, v21, s[0:3], 0 offen offset:8
	buffer_load_dword v23, v21, s[0:3], 0 offen offset:12
	buffer_load_dword v24, v21, s[0:3], 0 offen
	buffer_load_dword v25, v21, s[0:3], 0 offen offset:4
	s_waitcnt vmcnt(2) lgkmcnt(0)
	v_mul_f64 v[28:29], v[3:4], v[22:23]
	v_mul_f64 v[21:22], v[1:2], v[22:23]
	s_waitcnt vmcnt(0)
	v_fma_f64 v[1:2], v[1:2], v[24:25], -v[28:29]
	v_fma_f64 v[3:4], v[3:4], v[24:25], v[21:22]
.LBB71_106:
	s_and_saveexec_b32 s8, s4
	s_cbranch_execz .LBB71_110
; %bb.107:
	v_add_nc_u32_e32 v21, 0x90, v27
	v_add3_u32 v22, 0, v27, 16
	s_mov_b32 s4, 0
	.p2align	6
.LBB71_108:                             ; =>This Inner Loop Header: Depth=1
	s_clause 0x3
	buffer_load_dword v27, v22, s[0:3], 0 offen offset:8
	buffer_load_dword v28, v22, s[0:3], 0 offen offset:12
	buffer_load_dword v29, v22, s[0:3], 0 offen
	buffer_load_dword v30, v22, s[0:3], 0 offen offset:4
	ds_read_b128 v[23:26], v21
	v_add_nc_u32_e32 v0, 1, v0
	v_add_nc_u32_e32 v21, 16, v21
	;; [unrolled: 1-line block ×3, first 2 shown]
	v_cmp_lt_u32_e32 vcc_lo, 5, v0
	s_or_b32 s4, vcc_lo, s4
	s_waitcnt vmcnt(2) lgkmcnt(0)
	v_mul_f64 v[31:32], v[25:26], v[27:28]
	v_mul_f64 v[27:28], v[23:24], v[27:28]
	s_waitcnt vmcnt(0)
	v_fma_f64 v[23:24], v[23:24], v[29:30], -v[31:32]
	v_fma_f64 v[25:26], v[25:26], v[29:30], v[27:28]
	v_add_f64 v[1:2], v[1:2], v[23:24]
	v_add_f64 v[3:4], v[3:4], v[25:26]
	s_andn2_b32 exec_lo, exec_lo, s4
	s_cbranch_execnz .LBB71_108
; %bb.109:
	s_or_b32 exec_lo, exec_lo, s4
.LBB71_110:
	s_or_b32 exec_lo, exec_lo, s8
	v_mov_b32_e32 v0, 0
	s_movk_i32 s16, 0x78
	s_or_b32 s5, s5, exec_lo
	ds_read_b128 v[21:24], v0 offset:112
	s_waitcnt lgkmcnt(0)
	v_mul_f64 v[25:26], v[3:4], v[23:24]
	v_mul_f64 v[23:24], v[1:2], v[23:24]
	v_fma_f64 v[25:26], v[1:2], v[21:22], -v[25:26]
	v_fma_f64 v[1:2], v[3:4], v[21:22], v[23:24]
	buffer_store_dword v26, off, s[0:3], 0 offset:116
	buffer_store_dword v25, off, s[0:3], 0 offset:112
.LBB71_111:
	s_or_b32 exec_lo, exec_lo, s6
.LBB71_112:
	s_and_saveexec_b32 s4, s5
	s_cbranch_execz .LBB71_114
; %bb.113:
	v_mov_b32_e32 v0, s16
	buffer_store_dword v2, v0, s[0:3], 0 offen offset:4
	buffer_store_dword v1, v0, s[0:3], 0 offen
.LBB71_114:
	s_or_b32 exec_lo, exec_lo, s4
	s_clause 0x3
	buffer_load_dword v0, off, s[0:3], 0
	buffer_load_dword v1, off, s[0:3], 0 offset:4
	buffer_load_dword v2, off, s[0:3], 0 offset:8
	;; [unrolled: 1-line block ×3, first 2 shown]
	v_mov_b32_e32 v4, s14
	s_waitcnt vmcnt(0)
	flat_store_dwordx4 v[5:6], v[0:3]
	s_clause 0x3
	buffer_load_dword v0, v4, s[0:3], 0 offen
	buffer_load_dword v1, v4, s[0:3], 0 offen offset:4
	buffer_load_dword v2, v4, s[0:3], 0 offen offset:8
	buffer_load_dword v3, v4, s[0:3], 0 offen offset:12
	v_mov_b32_e32 v4, s13
	s_waitcnt vmcnt(0)
	flat_store_dwordx4 v[7:8], v[0:3]
	s_clause 0x3
	buffer_load_dword v0, v4, s[0:3], 0 offen
	buffer_load_dword v1, v4, s[0:3], 0 offen offset:4
	buffer_load_dword v2, v4, s[0:3], 0 offen offset:8
	buffer_load_dword v3, v4, s[0:3], 0 offen offset:12
	;; [unrolled: 8-line block ×7, first 2 shown]
	s_waitcnt vmcnt(0)
	flat_store_dwordx4 v[19:20], v[0:3]
.LBB71_115:
	s_endpgm
	.section	.rodata,"a",@progbits
	.p2align	6, 0x0
	.amdhsa_kernel _ZN9rocsolver6v33100L18trti2_kernel_smallILi8E19rocblas_complex_numIdEPKPS3_EEv13rocblas_fill_17rocblas_diagonal_T1_iil
		.amdhsa_group_segment_fixed_size 256
		.amdhsa_private_segment_fixed_size 144
		.amdhsa_kernarg_size 32
		.amdhsa_user_sgpr_count 6
		.amdhsa_user_sgpr_private_segment_buffer 1
		.amdhsa_user_sgpr_dispatch_ptr 0
		.amdhsa_user_sgpr_queue_ptr 0
		.amdhsa_user_sgpr_kernarg_segment_ptr 1
		.amdhsa_user_sgpr_dispatch_id 0
		.amdhsa_user_sgpr_flat_scratch_init 0
		.amdhsa_user_sgpr_private_segment_size 0
		.amdhsa_wavefront_size32 1
		.amdhsa_uses_dynamic_stack 0
		.amdhsa_system_sgpr_private_segment_wavefront_offset 1
		.amdhsa_system_sgpr_workgroup_id_x 1
		.amdhsa_system_sgpr_workgroup_id_y 0
		.amdhsa_system_sgpr_workgroup_id_z 0
		.amdhsa_system_sgpr_workgroup_info 0
		.amdhsa_system_vgpr_workitem_id 0
		.amdhsa_next_free_vgpr 38
		.amdhsa_next_free_sgpr 18
		.amdhsa_reserve_vcc 1
		.amdhsa_reserve_flat_scratch 0
		.amdhsa_float_round_mode_32 0
		.amdhsa_float_round_mode_16_64 0
		.amdhsa_float_denorm_mode_32 3
		.amdhsa_float_denorm_mode_16_64 3
		.amdhsa_dx10_clamp 1
		.amdhsa_ieee_mode 1
		.amdhsa_fp16_overflow 0
		.amdhsa_workgroup_processor_mode 1
		.amdhsa_memory_ordered 1
		.amdhsa_forward_progress 1
		.amdhsa_shared_vgpr_count 0
		.amdhsa_exception_fp_ieee_invalid_op 0
		.amdhsa_exception_fp_denorm_src 0
		.amdhsa_exception_fp_ieee_div_zero 0
		.amdhsa_exception_fp_ieee_overflow 0
		.amdhsa_exception_fp_ieee_underflow 0
		.amdhsa_exception_fp_ieee_inexact 0
		.amdhsa_exception_int_div_zero 0
	.end_amdhsa_kernel
	.section	.text._ZN9rocsolver6v33100L18trti2_kernel_smallILi8E19rocblas_complex_numIdEPKPS3_EEv13rocblas_fill_17rocblas_diagonal_T1_iil,"axG",@progbits,_ZN9rocsolver6v33100L18trti2_kernel_smallILi8E19rocblas_complex_numIdEPKPS3_EEv13rocblas_fill_17rocblas_diagonal_T1_iil,comdat
.Lfunc_end71:
	.size	_ZN9rocsolver6v33100L18trti2_kernel_smallILi8E19rocblas_complex_numIdEPKPS3_EEv13rocblas_fill_17rocblas_diagonal_T1_iil, .Lfunc_end71-_ZN9rocsolver6v33100L18trti2_kernel_smallILi8E19rocblas_complex_numIdEPKPS3_EEv13rocblas_fill_17rocblas_diagonal_T1_iil
                                        ; -- End function
	.set _ZN9rocsolver6v33100L18trti2_kernel_smallILi8E19rocblas_complex_numIdEPKPS3_EEv13rocblas_fill_17rocblas_diagonal_T1_iil.num_vgpr, 38
	.set _ZN9rocsolver6v33100L18trti2_kernel_smallILi8E19rocblas_complex_numIdEPKPS3_EEv13rocblas_fill_17rocblas_diagonal_T1_iil.num_agpr, 0
	.set _ZN9rocsolver6v33100L18trti2_kernel_smallILi8E19rocblas_complex_numIdEPKPS3_EEv13rocblas_fill_17rocblas_diagonal_T1_iil.numbered_sgpr, 18
	.set _ZN9rocsolver6v33100L18trti2_kernel_smallILi8E19rocblas_complex_numIdEPKPS3_EEv13rocblas_fill_17rocblas_diagonal_T1_iil.num_named_barrier, 0
	.set _ZN9rocsolver6v33100L18trti2_kernel_smallILi8E19rocblas_complex_numIdEPKPS3_EEv13rocblas_fill_17rocblas_diagonal_T1_iil.private_seg_size, 144
	.set _ZN9rocsolver6v33100L18trti2_kernel_smallILi8E19rocblas_complex_numIdEPKPS3_EEv13rocblas_fill_17rocblas_diagonal_T1_iil.uses_vcc, 1
	.set _ZN9rocsolver6v33100L18trti2_kernel_smallILi8E19rocblas_complex_numIdEPKPS3_EEv13rocblas_fill_17rocblas_diagonal_T1_iil.uses_flat_scratch, 0
	.set _ZN9rocsolver6v33100L18trti2_kernel_smallILi8E19rocblas_complex_numIdEPKPS3_EEv13rocblas_fill_17rocblas_diagonal_T1_iil.has_dyn_sized_stack, 0
	.set _ZN9rocsolver6v33100L18trti2_kernel_smallILi8E19rocblas_complex_numIdEPKPS3_EEv13rocblas_fill_17rocblas_diagonal_T1_iil.has_recursion, 0
	.set _ZN9rocsolver6v33100L18trti2_kernel_smallILi8E19rocblas_complex_numIdEPKPS3_EEv13rocblas_fill_17rocblas_diagonal_T1_iil.has_indirect_call, 0
	.section	.AMDGPU.csdata,"",@progbits
; Kernel info:
; codeLenInByte = 7572
; TotalNumSgprs: 20
; NumVgprs: 38
; ScratchSize: 144
; MemoryBound: 0
; FloatMode: 240
; IeeeMode: 1
; LDSByteSize: 256 bytes/workgroup (compile time only)
; SGPRBlocks: 0
; VGPRBlocks: 4
; NumSGPRsForWavesPerEU: 20
; NumVGPRsForWavesPerEU: 38
; Occupancy: 16
; WaveLimiterHint : 1
; COMPUTE_PGM_RSRC2:SCRATCH_EN: 1
; COMPUTE_PGM_RSRC2:USER_SGPR: 6
; COMPUTE_PGM_RSRC2:TRAP_HANDLER: 0
; COMPUTE_PGM_RSRC2:TGID_X_EN: 1
; COMPUTE_PGM_RSRC2:TGID_Y_EN: 0
; COMPUTE_PGM_RSRC2:TGID_Z_EN: 0
; COMPUTE_PGM_RSRC2:TIDIG_COMP_CNT: 0
	.section	.text._ZN9rocsolver6v33100L18trti2_kernel_smallILi9E19rocblas_complex_numIdEPKPS3_EEv13rocblas_fill_17rocblas_diagonal_T1_iil,"axG",@progbits,_ZN9rocsolver6v33100L18trti2_kernel_smallILi9E19rocblas_complex_numIdEPKPS3_EEv13rocblas_fill_17rocblas_diagonal_T1_iil,comdat
	.globl	_ZN9rocsolver6v33100L18trti2_kernel_smallILi9E19rocblas_complex_numIdEPKPS3_EEv13rocblas_fill_17rocblas_diagonal_T1_iil ; -- Begin function _ZN9rocsolver6v33100L18trti2_kernel_smallILi9E19rocblas_complex_numIdEPKPS3_EEv13rocblas_fill_17rocblas_diagonal_T1_iil
	.p2align	8
	.type	_ZN9rocsolver6v33100L18trti2_kernel_smallILi9E19rocblas_complex_numIdEPKPS3_EEv13rocblas_fill_17rocblas_diagonal_T1_iil,@function
_ZN9rocsolver6v33100L18trti2_kernel_smallILi9E19rocblas_complex_numIdEPKPS3_EEv13rocblas_fill_17rocblas_diagonal_T1_iil: ; @_ZN9rocsolver6v33100L18trti2_kernel_smallILi9E19rocblas_complex_numIdEPKPS3_EEv13rocblas_fill_17rocblas_diagonal_T1_iil
; %bb.0:
	s_add_u32 s0, s0, s7
	s_addc_u32 s1, s1, 0
	s_mov_b32 s7, exec_lo
	v_cmpx_gt_u32_e32 9, v0
	s_cbranch_execz .LBB72_131
; %bb.1:
	s_clause 0x1
	s_load_dwordx2 s[12:13], s[4:5], 0x10
	s_load_dwordx4 s[8:11], s[4:5], 0x0
	s_ashr_i32 s7, s6, 31
	v_lshlrev_b32_e32 v29, 4, v0
	s_lshl_b64 s[4:5], s[6:7], 3
	s_movk_i32 s16, 0x80
	s_waitcnt lgkmcnt(0)
	s_ashr_i32 s7, s12, 31
	s_add_u32 s4, s10, s4
	s_addc_u32 s5, s11, s5
	s_mov_b32 s6, s12
	s_load_dwordx2 s[4:5], s[4:5], 0x0
	s_lshl_b64 s[6:7], s[6:7], 4
	v_add3_u32 v11, s13, s13, v0
	v_ashrrev_i32_e32 v12, 31, v11
	v_add_nc_u32_e32 v13, s13, v11
	v_lshlrev_b64 v[9:10], 4, v[11:12]
	v_ashrrev_i32_e32 v14, 31, v13
	v_add_nc_u32_e32 v15, s13, v13
	v_lshlrev_b64 v[11:12], 4, v[13:14]
	v_ashrrev_i32_e32 v16, 31, v15
	s_waitcnt lgkmcnt(0)
	s_add_u32 s6, s4, s6
	s_addc_u32 s7, s5, s7
	v_add_co_u32 v5, s4, s6, v29
	v_add_co_ci_u32_e64 v6, null, s7, 0, s4
	s_mov_b32 s4, s13
	s_ashr_i32 s5, s13, 31
	v_lshlrev_b64 v[13:14], 4, v[15:16]
	flat_load_dwordx4 v[1:4], v[5:6]
	s_lshl_b64 s[4:5], s[4:5], 4
	v_add_nc_u32_e32 v17, s13, v15
	v_add_co_u32 v7, vcc_lo, v5, s4
	v_add_co_ci_u32_e64 v8, null, s5, v6, vcc_lo
	v_add_co_u32 v9, vcc_lo, s6, v9
	v_add_co_ci_u32_e64 v10, null, s7, v10, vcc_lo
	;; [unrolled: 2-line block ×4, first 2 shown]
	v_ashrrev_i32_e32 v18, 31, v17
	v_add_nc_u32_e32 v19, s13, v17
	s_cmpk_lg_i32 s9, 0x84
	s_movk_i32 s4, 0x50
	s_movk_i32 s5, 0x60
	v_lshlrev_b64 v[15:16], 4, v[17:18]
	v_ashrrev_i32_e32 v20, 31, v19
	v_add_nc_u32_e32 v21, s13, v19
	s_cselect_b32 s15, -1, 0
	s_cmpk_eq_i32 s9, 0x84
	s_waitcnt vmcnt(0) lgkmcnt(0)
	buffer_store_dword v4, off, s[0:3], 0 offset:12
	buffer_store_dword v3, off, s[0:3], 0 offset:8
	buffer_store_dword v2, off, s[0:3], 0 offset:4
	buffer_store_dword v1, off, s[0:3], 0
	flat_load_dwordx4 v[1:4], v[7:8]
	v_add_co_u32 v15, vcc_lo, s6, v15
	v_add_co_ci_u32_e64 v16, null, s7, v16, vcc_lo
	v_lshlrev_b64 v[17:18], 4, v[19:20]
	v_ashrrev_i32_e32 v22, 31, v21
	s_waitcnt vmcnt(0) lgkmcnt(0)
	buffer_store_dword v4, off, s[0:3], 0 offset:28
	buffer_store_dword v3, off, s[0:3], 0 offset:24
	;; [unrolled: 1-line block ×4, first 2 shown]
	flat_load_dwordx4 v[1:4], v[9:10]
	v_add_co_u32 v17, vcc_lo, s6, v17
	v_add_co_ci_u32_e64 v18, null, s7, v18, vcc_lo
	v_lshlrev_b64 v[19:20], 4, v[21:22]
	v_add_nc_u32_e32 v21, s13, v21
	s_waitcnt vmcnt(0) lgkmcnt(0)
	buffer_store_dword v4, off, s[0:3], 0 offset:44
	buffer_store_dword v3, off, s[0:3], 0 offset:40
	;; [unrolled: 1-line block ×4, first 2 shown]
	flat_load_dwordx4 v[1:4], v[11:12]
	v_add_co_u32 v19, vcc_lo, s6, v19
	v_add_co_ci_u32_e64 v20, null, s7, v20, vcc_lo
	v_ashrrev_i32_e32 v22, 31, v21
	s_waitcnt vmcnt(0) lgkmcnt(0)
	buffer_store_dword v4, off, s[0:3], 0 offset:60
	buffer_store_dword v3, off, s[0:3], 0 offset:56
	;; [unrolled: 1-line block ×4, first 2 shown]
	flat_load_dwordx4 v[1:4], v[13:14]
	v_lshlrev_b64 v[21:22], 4, v[21:22]
	s_waitcnt vmcnt(0) lgkmcnt(0)
	buffer_store_dword v4, off, s[0:3], 0 offset:76
	buffer_store_dword v3, off, s[0:3], 0 offset:72
	;; [unrolled: 1-line block ×4, first 2 shown]
	flat_load_dwordx4 v[1:4], v[15:16]
	v_add_co_u32 v21, vcc_lo, s6, v21
	v_add_co_ci_u32_e64 v22, null, s7, v22, vcc_lo
	s_movk_i32 s6, 0x70
	s_waitcnt vmcnt(0) lgkmcnt(0)
	buffer_store_dword v4, off, s[0:3], 0 offset:92
	buffer_store_dword v3, off, s[0:3], 0 offset:88
	buffer_store_dword v2, off, s[0:3], 0 offset:84
	buffer_store_dword v1, off, s[0:3], 0 offset:80
	flat_load_dwordx4 v[1:4], v[17:18]
	s_waitcnt vmcnt(0) lgkmcnt(0)
	buffer_store_dword v4, off, s[0:3], 0 offset:108
	buffer_store_dword v3, off, s[0:3], 0 offset:104
	buffer_store_dword v2, off, s[0:3], 0 offset:100
	buffer_store_dword v1, off, s[0:3], 0 offset:96
	flat_load_dwordx4 v[1:4], v[19:20]
	;; [unrolled: 6-line block ×3, first 2 shown]
	s_waitcnt vmcnt(0) lgkmcnt(0)
	buffer_store_dword v4, off, s[0:3], 0 offset:140
	buffer_store_dword v3, off, s[0:3], 0 offset:136
	;; [unrolled: 1-line block ×4, first 2 shown]
	s_cbranch_scc1 .LBB72_7
; %bb.2:
	v_lshl_add_u32 v30, v0, 4, 0
                                        ; implicit-def: $vgpr25_vgpr26
                                        ; implicit-def: $vgpr3_vgpr4
	s_clause 0x3
	buffer_load_dword v23, v30, s[0:3], 0 offen
	buffer_load_dword v24, v30, s[0:3], 0 offen offset:4
	buffer_load_dword v27, v30, s[0:3], 0 offen offset:8
	;; [unrolled: 1-line block ×3, first 2 shown]
	s_waitcnt vmcnt(0)
	v_cmp_ngt_f64_e64 s7, |v[23:24]|, |v[27:28]|
	s_and_saveexec_b32 s9, s7
	s_xor_b32 s7, exec_lo, s9
	s_cbranch_execz .LBB72_4
; %bb.3:
	v_div_scale_f64 v[1:2], null, v[27:28], v[27:28], v[23:24]
	v_div_scale_f64 v[31:32], vcc_lo, v[23:24], v[27:28], v[23:24]
	v_rcp_f64_e32 v[3:4], v[1:2]
	v_fma_f64 v[25:26], -v[1:2], v[3:4], 1.0
	v_fma_f64 v[3:4], v[3:4], v[25:26], v[3:4]
	v_fma_f64 v[25:26], -v[1:2], v[3:4], 1.0
	v_fma_f64 v[3:4], v[3:4], v[25:26], v[3:4]
	v_mul_f64 v[25:26], v[31:32], v[3:4]
	v_fma_f64 v[1:2], -v[1:2], v[25:26], v[31:32]
	v_div_fmas_f64 v[1:2], v[1:2], v[3:4], v[25:26]
	v_div_fixup_f64 v[1:2], v[1:2], v[27:28], v[23:24]
	v_fma_f64 v[3:4], v[23:24], v[1:2], v[27:28]
	v_div_scale_f64 v[23:24], null, v[3:4], v[3:4], 1.0
	v_div_scale_f64 v[31:32], vcc_lo, 1.0, v[3:4], 1.0
	v_rcp_f64_e32 v[25:26], v[23:24]
	v_fma_f64 v[27:28], -v[23:24], v[25:26], 1.0
	v_fma_f64 v[25:26], v[25:26], v[27:28], v[25:26]
	v_fma_f64 v[27:28], -v[23:24], v[25:26], 1.0
	v_fma_f64 v[25:26], v[25:26], v[27:28], v[25:26]
	v_mul_f64 v[27:28], v[31:32], v[25:26]
	v_fma_f64 v[23:24], -v[23:24], v[27:28], v[31:32]
	v_div_fmas_f64 v[23:24], v[23:24], v[25:26], v[27:28]
                                        ; implicit-def: $vgpr27_vgpr28
	v_div_fixup_f64 v[3:4], v[23:24], v[3:4], 1.0
                                        ; implicit-def: $vgpr23_vgpr24
	v_mul_f64 v[25:26], v[1:2], v[3:4]
	v_xor_b32_e32 v4, 0x80000000, v4
	v_xor_b32_e32 v2, 0x80000000, v26
	v_mov_b32_e32 v1, v25
.LBB72_4:
	s_andn2_saveexec_b32 s7, s7
	s_cbranch_execz .LBB72_6
; %bb.5:
	v_div_scale_f64 v[1:2], null, v[23:24], v[23:24], v[27:28]
	v_div_scale_f64 v[31:32], vcc_lo, v[27:28], v[23:24], v[27:28]
	v_rcp_f64_e32 v[3:4], v[1:2]
	v_fma_f64 v[25:26], -v[1:2], v[3:4], 1.0
	v_fma_f64 v[3:4], v[3:4], v[25:26], v[3:4]
	v_fma_f64 v[25:26], -v[1:2], v[3:4], 1.0
	v_fma_f64 v[3:4], v[3:4], v[25:26], v[3:4]
	v_mul_f64 v[25:26], v[31:32], v[3:4]
	v_fma_f64 v[1:2], -v[1:2], v[25:26], v[31:32]
	v_div_fmas_f64 v[1:2], v[1:2], v[3:4], v[25:26]
	v_div_fixup_f64 v[1:2], v[1:2], v[23:24], v[27:28]
	v_fma_f64 v[3:4], v[27:28], v[1:2], v[23:24]
	v_div_scale_f64 v[23:24], null, v[3:4], v[3:4], 1.0
	v_rcp_f64_e32 v[25:26], v[23:24]
	v_fma_f64 v[27:28], -v[23:24], v[25:26], 1.0
	v_fma_f64 v[25:26], v[25:26], v[27:28], v[25:26]
	v_fma_f64 v[27:28], -v[23:24], v[25:26], 1.0
	v_fma_f64 v[25:26], v[25:26], v[27:28], v[25:26]
	v_div_scale_f64 v[27:28], vcc_lo, 1.0, v[3:4], 1.0
	v_mul_f64 v[31:32], v[27:28], v[25:26]
	v_fma_f64 v[23:24], -v[23:24], v[31:32], v[27:28]
	v_div_fmas_f64 v[23:24], v[23:24], v[25:26], v[31:32]
	v_div_fixup_f64 v[25:26], v[23:24], v[3:4], 1.0
	v_mul_f64 v[3:4], v[1:2], -v[25:26]
	v_xor_b32_e32 v2, 0x80000000, v26
	v_mov_b32_e32 v1, v25
.LBB72_6:
	s_or_b32 exec_lo, exec_lo, s7
	buffer_store_dword v4, v30, s[0:3], 0 offen offset:12
	v_xor_b32_e32 v4, 0x80000000, v4
	buffer_store_dword v26, v30, s[0:3], 0 offen offset:4
	buffer_store_dword v25, v30, s[0:3], 0 offen
	buffer_store_dword v3, v30, s[0:3], 0 offen offset:8
	s_branch .LBB72_8
.LBB72_7:
	v_mov_b32_e32 v1, 0
	v_mov_b32_e32 v3, 0
	;; [unrolled: 1-line block ×4, first 2 shown]
.LBB72_8:
	v_add_nc_u32_e32 v24, 0x90, v29
	v_mov_b32_e32 v23, v29
	s_mov_b32 s14, 16
	s_mov_b32 s13, 32
	;; [unrolled: 1-line block ×8, first 2 shown]
	s_cmpk_eq_i32 s8, 0x79
	ds_write_b128 v29, v[1:4]
	s_cbranch_scc1 .LBB72_68
; %bb.9:
	v_mov_b32_e32 v4, s7
	v_cmp_eq_u32_e64 s4, 8, v0
	s_clause 0x3
	buffer_load_dword v1, v4, s[0:3], 0 offen
	buffer_load_dword v2, v4, s[0:3], 0 offen offset:4
	buffer_load_dword v3, v4, s[0:3], 0 offen offset:8
	buffer_load_dword v4, v4, s[0:3], 0 offen offset:12
	s_waitcnt vmcnt(0)
	ds_write_b128 v24, v[1:4]
	s_waitcnt lgkmcnt(0)
	s_waitcnt_vscnt null, 0x0
	s_barrier
	buffer_gl0_inv
	s_and_saveexec_b32 s5, s4
	s_cbranch_execz .LBB72_13
; %bb.10:
	ds_read_b128 v[1:4], v24
	s_andn2_b32 vcc_lo, exec_lo, s15
	s_cbranch_vccnz .LBB72_12
; %bb.11:
	s_clause 0x3
	buffer_load_dword v25, v23, s[0:3], 0 offen offset:8
	buffer_load_dword v26, v23, s[0:3], 0 offen offset:12
	buffer_load_dword v27, v23, s[0:3], 0 offen
	buffer_load_dword v28, v23, s[0:3], 0 offen offset:4
	s_waitcnt vmcnt(2) lgkmcnt(0)
	v_mul_f64 v[30:31], v[3:4], v[25:26]
	v_mul_f64 v[25:26], v[1:2], v[25:26]
	s_waitcnt vmcnt(0)
	v_fma_f64 v[1:2], v[1:2], v[27:28], -v[30:31]
	v_fma_f64 v[3:4], v[3:4], v[27:28], v[25:26]
.LBB72_12:
	v_mov_b32_e32 v25, 0
	ds_read_b128 v[25:28], v25 offset:112
	s_waitcnt lgkmcnt(0)
	v_mul_f64 v[30:31], v[3:4], v[27:28]
	v_mul_f64 v[27:28], v[1:2], v[27:28]
	v_fma_f64 v[1:2], v[1:2], v[25:26], -v[30:31]
	v_fma_f64 v[3:4], v[3:4], v[25:26], v[27:28]
	buffer_store_dword v2, off, s[0:3], 0 offset:116
	buffer_store_dword v1, off, s[0:3], 0 offset:112
	;; [unrolled: 1-line block ×4, first 2 shown]
.LBB72_13:
	s_or_b32 exec_lo, exec_lo, s5
	v_mov_b32_e32 v4, s9
	v_cmp_lt_u32_e64 s5, 6, v0
	s_clause 0x3
	buffer_load_dword v1, v4, s[0:3], 0 offen
	buffer_load_dword v2, v4, s[0:3], 0 offen offset:4
	buffer_load_dword v3, v4, s[0:3], 0 offen offset:8
	;; [unrolled: 1-line block ×3, first 2 shown]
	s_waitcnt vmcnt(0)
	ds_write_b128 v24, v[1:4]
	s_waitcnt lgkmcnt(0)
	s_waitcnt_vscnt null, 0x0
	s_barrier
	buffer_gl0_inv
	s_and_saveexec_b32 s8, s5
	s_cbranch_execz .LBB72_19
; %bb.14:
	ds_read_b128 v[1:4], v24
	s_andn2_b32 vcc_lo, exec_lo, s15
	s_cbranch_vccnz .LBB72_16
; %bb.15:
	s_clause 0x3
	buffer_load_dword v25, v23, s[0:3], 0 offen offset:8
	buffer_load_dword v26, v23, s[0:3], 0 offen offset:12
	buffer_load_dword v27, v23, s[0:3], 0 offen
	buffer_load_dword v28, v23, s[0:3], 0 offen offset:4
	s_waitcnt vmcnt(2) lgkmcnt(0)
	v_mul_f64 v[30:31], v[3:4], v[25:26]
	v_mul_f64 v[25:26], v[1:2], v[25:26]
	s_waitcnt vmcnt(0)
	v_fma_f64 v[1:2], v[1:2], v[27:28], -v[30:31]
	v_fma_f64 v[3:4], v[3:4], v[27:28], v[25:26]
.LBB72_16:
	s_and_saveexec_b32 s16, s4
	s_cbranch_execz .LBB72_18
; %bb.17:
	s_clause 0x3
	buffer_load_dword v30, off, s[0:3], 0 offset:120
	buffer_load_dword v31, off, s[0:3], 0 offset:124
	;; [unrolled: 1-line block ×4, first 2 shown]
	v_mov_b32_e32 v25, 0
	ds_read_b128 v[25:28], v25 offset:256
	s_waitcnt vmcnt(2) lgkmcnt(0)
	v_mul_f64 v[34:35], v[25:26], v[30:31]
	v_mul_f64 v[30:31], v[27:28], v[30:31]
	s_waitcnt vmcnt(0)
	v_fma_f64 v[27:28], v[27:28], v[32:33], v[34:35]
	v_fma_f64 v[25:26], v[25:26], v[32:33], -v[30:31]
	v_add_f64 v[3:4], v[3:4], v[27:28]
	v_add_f64 v[1:2], v[1:2], v[25:26]
.LBB72_18:
	s_or_b32 exec_lo, exec_lo, s16
	v_mov_b32_e32 v25, 0
	ds_read_b128 v[25:28], v25 offset:96
	s_waitcnt lgkmcnt(0)
	v_mul_f64 v[30:31], v[3:4], v[27:28]
	v_mul_f64 v[27:28], v[1:2], v[27:28]
	v_fma_f64 v[1:2], v[1:2], v[25:26], -v[30:31]
	v_fma_f64 v[3:4], v[3:4], v[25:26], v[27:28]
	buffer_store_dword v2, off, s[0:3], 0 offset:100
	buffer_store_dword v1, off, s[0:3], 0 offset:96
	;; [unrolled: 1-line block ×4, first 2 shown]
.LBB72_19:
	s_or_b32 exec_lo, exec_lo, s8
	v_mov_b32_e32 v4, s10
	v_cmp_lt_u32_e64 s4, 5, v0
	s_clause 0x3
	buffer_load_dword v1, v4, s[0:3], 0 offen
	buffer_load_dword v2, v4, s[0:3], 0 offen offset:4
	buffer_load_dword v3, v4, s[0:3], 0 offen offset:8
	;; [unrolled: 1-line block ×3, first 2 shown]
	s_waitcnt vmcnt(0)
	ds_write_b128 v24, v[1:4]
	s_waitcnt lgkmcnt(0)
	s_waitcnt_vscnt null, 0x0
	s_barrier
	buffer_gl0_inv
	s_and_saveexec_b32 s8, s4
	s_cbranch_execz .LBB72_27
; %bb.20:
	ds_read_b128 v[1:4], v24
	s_andn2_b32 vcc_lo, exec_lo, s15
	s_cbranch_vccnz .LBB72_22
; %bb.21:
	s_clause 0x3
	buffer_load_dword v25, v23, s[0:3], 0 offen offset:8
	buffer_load_dword v26, v23, s[0:3], 0 offen offset:12
	buffer_load_dword v27, v23, s[0:3], 0 offen
	buffer_load_dword v28, v23, s[0:3], 0 offen offset:4
	s_waitcnt vmcnt(2) lgkmcnt(0)
	v_mul_f64 v[30:31], v[3:4], v[25:26]
	v_mul_f64 v[25:26], v[1:2], v[25:26]
	s_waitcnt vmcnt(0)
	v_fma_f64 v[1:2], v[1:2], v[27:28], -v[30:31]
	v_fma_f64 v[3:4], v[3:4], v[27:28], v[25:26]
.LBB72_22:
	s_and_saveexec_b32 s16, s5
	s_cbranch_execz .LBB72_26
; %bb.23:
	v_add_nc_u32_e32 v25, -6, v0
	s_movk_i32 s17, 0xf0
	s_mov_b32 s5, 0
	s_mov_b32 s18, s9
	.p2align	6
.LBB72_24:                              ; =>This Inner Loop Header: Depth=1
	v_mov_b32_e32 v28, s18
	v_add_nc_u32_e32 v25, -1, v25
	s_add_i32 s18, s18, 16
	s_clause 0x3
	buffer_load_dword v26, v28, s[0:3], 0 offen offset:8
	buffer_load_dword v27, v28, s[0:3], 0 offen offset:12
	buffer_load_dword v34, v28, s[0:3], 0 offen
	buffer_load_dword v35, v28, s[0:3], 0 offen offset:4
	v_mov_b32_e32 v28, s17
	v_cmp_eq_u32_e32 vcc_lo, 0, v25
	s_add_i32 s17, s17, 16
	ds_read_b128 v[30:33], v28
	s_or_b32 s5, vcc_lo, s5
	s_waitcnt vmcnt(2) lgkmcnt(0)
	v_mul_f64 v[36:37], v[32:33], v[26:27]
	v_mul_f64 v[26:27], v[30:31], v[26:27]
	s_waitcnt vmcnt(0)
	v_fma_f64 v[30:31], v[30:31], v[34:35], -v[36:37]
	v_fma_f64 v[26:27], v[32:33], v[34:35], v[26:27]
	v_add_f64 v[1:2], v[1:2], v[30:31]
	v_add_f64 v[3:4], v[3:4], v[26:27]
	s_andn2_b32 exec_lo, exec_lo, s5
	s_cbranch_execnz .LBB72_24
; %bb.25:
	s_or_b32 exec_lo, exec_lo, s5
.LBB72_26:
	s_or_b32 exec_lo, exec_lo, s16
	v_mov_b32_e32 v25, 0
	ds_read_b128 v[25:28], v25 offset:80
	s_waitcnt lgkmcnt(0)
	v_mul_f64 v[30:31], v[3:4], v[27:28]
	v_mul_f64 v[27:28], v[1:2], v[27:28]
	v_fma_f64 v[1:2], v[1:2], v[25:26], -v[30:31]
	v_fma_f64 v[3:4], v[3:4], v[25:26], v[27:28]
	buffer_store_dword v2, off, s[0:3], 0 offset:84
	buffer_store_dword v1, off, s[0:3], 0 offset:80
	;; [unrolled: 1-line block ×4, first 2 shown]
.LBB72_27:
	s_or_b32 exec_lo, exec_lo, s8
	v_mov_b32_e32 v4, s11
	v_cmp_lt_u32_e64 s5, 4, v0
	s_clause 0x3
	buffer_load_dword v1, v4, s[0:3], 0 offen
	buffer_load_dword v2, v4, s[0:3], 0 offen offset:4
	buffer_load_dword v3, v4, s[0:3], 0 offen offset:8
	buffer_load_dword v4, v4, s[0:3], 0 offen offset:12
	s_waitcnt vmcnt(0)
	ds_write_b128 v24, v[1:4]
	s_waitcnt lgkmcnt(0)
	s_waitcnt_vscnt null, 0x0
	s_barrier
	buffer_gl0_inv
	s_and_saveexec_b32 s8, s5
	s_cbranch_execz .LBB72_35
; %bb.28:
	ds_read_b128 v[1:4], v24
	s_andn2_b32 vcc_lo, exec_lo, s15
	s_cbranch_vccnz .LBB72_30
; %bb.29:
	s_clause 0x3
	buffer_load_dword v25, v23, s[0:3], 0 offen offset:8
	buffer_load_dword v26, v23, s[0:3], 0 offen offset:12
	buffer_load_dword v27, v23, s[0:3], 0 offen
	buffer_load_dword v28, v23, s[0:3], 0 offen offset:4
	s_waitcnt vmcnt(2) lgkmcnt(0)
	v_mul_f64 v[30:31], v[3:4], v[25:26]
	v_mul_f64 v[25:26], v[1:2], v[25:26]
	s_waitcnt vmcnt(0)
	v_fma_f64 v[1:2], v[1:2], v[27:28], -v[30:31]
	v_fma_f64 v[3:4], v[3:4], v[27:28], v[25:26]
.LBB72_30:
	s_and_saveexec_b32 s16, s4
	s_cbranch_execz .LBB72_34
; %bb.31:
	v_add_nc_u32_e32 v25, -5, v0
	s_movk_i32 s17, 0xe0
	s_mov_b32 s4, 0
	s_mov_b32 s18, s10
	.p2align	6
.LBB72_32:                              ; =>This Inner Loop Header: Depth=1
	v_mov_b32_e32 v28, s18
	v_add_nc_u32_e32 v25, -1, v25
	s_add_i32 s18, s18, 16
	s_clause 0x3
	buffer_load_dword v26, v28, s[0:3], 0 offen offset:8
	buffer_load_dword v27, v28, s[0:3], 0 offen offset:12
	buffer_load_dword v34, v28, s[0:3], 0 offen
	buffer_load_dword v35, v28, s[0:3], 0 offen offset:4
	v_mov_b32_e32 v28, s17
	v_cmp_eq_u32_e32 vcc_lo, 0, v25
	s_add_i32 s17, s17, 16
	ds_read_b128 v[30:33], v28
	s_or_b32 s4, vcc_lo, s4
	s_waitcnt vmcnt(2) lgkmcnt(0)
	v_mul_f64 v[36:37], v[32:33], v[26:27]
	v_mul_f64 v[26:27], v[30:31], v[26:27]
	s_waitcnt vmcnt(0)
	v_fma_f64 v[30:31], v[30:31], v[34:35], -v[36:37]
	v_fma_f64 v[26:27], v[32:33], v[34:35], v[26:27]
	v_add_f64 v[1:2], v[1:2], v[30:31]
	v_add_f64 v[3:4], v[3:4], v[26:27]
	s_andn2_b32 exec_lo, exec_lo, s4
	s_cbranch_execnz .LBB72_32
; %bb.33:
	s_or_b32 exec_lo, exec_lo, s4
.LBB72_34:
	s_or_b32 exec_lo, exec_lo, s16
	v_mov_b32_e32 v25, 0
	ds_read_b128 v[25:28], v25 offset:64
	s_waitcnt lgkmcnt(0)
	v_mul_f64 v[30:31], v[3:4], v[27:28]
	v_mul_f64 v[27:28], v[1:2], v[27:28]
	v_fma_f64 v[1:2], v[1:2], v[25:26], -v[30:31]
	v_fma_f64 v[3:4], v[3:4], v[25:26], v[27:28]
	buffer_store_dword v2, off, s[0:3], 0 offset:68
	buffer_store_dword v1, off, s[0:3], 0 offset:64
	;; [unrolled: 1-line block ×4, first 2 shown]
.LBB72_35:
	s_or_b32 exec_lo, exec_lo, s8
	v_mov_b32_e32 v4, s12
	v_cmp_lt_u32_e64 s4, 3, v0
	s_clause 0x3
	buffer_load_dword v1, v4, s[0:3], 0 offen
	buffer_load_dword v2, v4, s[0:3], 0 offen offset:4
	buffer_load_dword v3, v4, s[0:3], 0 offen offset:8
	;; [unrolled: 1-line block ×3, first 2 shown]
	s_waitcnt vmcnt(0)
	ds_write_b128 v24, v[1:4]
	s_waitcnt lgkmcnt(0)
	s_waitcnt_vscnt null, 0x0
	s_barrier
	buffer_gl0_inv
	s_and_saveexec_b32 s8, s4
	s_cbranch_execz .LBB72_43
; %bb.36:
	ds_read_b128 v[1:4], v24
	s_andn2_b32 vcc_lo, exec_lo, s15
	s_cbranch_vccnz .LBB72_38
; %bb.37:
	s_clause 0x3
	buffer_load_dword v25, v23, s[0:3], 0 offen offset:8
	buffer_load_dword v26, v23, s[0:3], 0 offen offset:12
	buffer_load_dword v27, v23, s[0:3], 0 offen
	buffer_load_dword v28, v23, s[0:3], 0 offen offset:4
	s_waitcnt vmcnt(2) lgkmcnt(0)
	v_mul_f64 v[30:31], v[3:4], v[25:26]
	v_mul_f64 v[25:26], v[1:2], v[25:26]
	s_waitcnt vmcnt(0)
	v_fma_f64 v[1:2], v[1:2], v[27:28], -v[30:31]
	v_fma_f64 v[3:4], v[3:4], v[27:28], v[25:26]
.LBB72_38:
	s_and_saveexec_b32 s16, s5
	s_cbranch_execz .LBB72_42
; %bb.39:
	v_add_nc_u32_e32 v25, -4, v0
	s_movk_i32 s17, 0xd0
	s_mov_b32 s5, 0
	s_mov_b32 s18, s11
	.p2align	6
.LBB72_40:                              ; =>This Inner Loop Header: Depth=1
	v_mov_b32_e32 v28, s18
	v_add_nc_u32_e32 v25, -1, v25
	s_add_i32 s18, s18, 16
	s_clause 0x3
	buffer_load_dword v26, v28, s[0:3], 0 offen offset:8
	buffer_load_dword v27, v28, s[0:3], 0 offen offset:12
	buffer_load_dword v34, v28, s[0:3], 0 offen
	buffer_load_dword v35, v28, s[0:3], 0 offen offset:4
	v_mov_b32_e32 v28, s17
	v_cmp_eq_u32_e32 vcc_lo, 0, v25
	s_add_i32 s17, s17, 16
	ds_read_b128 v[30:33], v28
	s_or_b32 s5, vcc_lo, s5
	s_waitcnt vmcnt(2) lgkmcnt(0)
	v_mul_f64 v[36:37], v[32:33], v[26:27]
	v_mul_f64 v[26:27], v[30:31], v[26:27]
	s_waitcnt vmcnt(0)
	v_fma_f64 v[30:31], v[30:31], v[34:35], -v[36:37]
	v_fma_f64 v[26:27], v[32:33], v[34:35], v[26:27]
	v_add_f64 v[1:2], v[1:2], v[30:31]
	v_add_f64 v[3:4], v[3:4], v[26:27]
	s_andn2_b32 exec_lo, exec_lo, s5
	s_cbranch_execnz .LBB72_40
; %bb.41:
	s_or_b32 exec_lo, exec_lo, s5
.LBB72_42:
	s_or_b32 exec_lo, exec_lo, s16
	v_mov_b32_e32 v25, 0
	ds_read_b128 v[25:28], v25 offset:48
	s_waitcnt lgkmcnt(0)
	v_mul_f64 v[30:31], v[3:4], v[27:28]
	v_mul_f64 v[27:28], v[1:2], v[27:28]
	v_fma_f64 v[1:2], v[1:2], v[25:26], -v[30:31]
	v_fma_f64 v[3:4], v[3:4], v[25:26], v[27:28]
	buffer_store_dword v2, off, s[0:3], 0 offset:52
	buffer_store_dword v1, off, s[0:3], 0 offset:48
	;; [unrolled: 1-line block ×4, first 2 shown]
.LBB72_43:
	s_or_b32 exec_lo, exec_lo, s8
	v_mov_b32_e32 v4, s13
	v_cmp_lt_u32_e64 s5, 2, v0
	s_clause 0x3
	buffer_load_dword v1, v4, s[0:3], 0 offen
	buffer_load_dword v2, v4, s[0:3], 0 offen offset:4
	buffer_load_dword v3, v4, s[0:3], 0 offen offset:8
	;; [unrolled: 1-line block ×3, first 2 shown]
	s_waitcnt vmcnt(0)
	ds_write_b128 v24, v[1:4]
	s_waitcnt lgkmcnt(0)
	s_waitcnt_vscnt null, 0x0
	s_barrier
	buffer_gl0_inv
	s_and_saveexec_b32 s8, s5
	s_cbranch_execz .LBB72_51
; %bb.44:
	ds_read_b128 v[1:4], v24
	s_andn2_b32 vcc_lo, exec_lo, s15
	s_cbranch_vccnz .LBB72_46
; %bb.45:
	s_clause 0x3
	buffer_load_dword v25, v23, s[0:3], 0 offen offset:8
	buffer_load_dword v26, v23, s[0:3], 0 offen offset:12
	buffer_load_dword v27, v23, s[0:3], 0 offen
	buffer_load_dword v28, v23, s[0:3], 0 offen offset:4
	s_waitcnt vmcnt(2) lgkmcnt(0)
	v_mul_f64 v[30:31], v[3:4], v[25:26]
	v_mul_f64 v[25:26], v[1:2], v[25:26]
	s_waitcnt vmcnt(0)
	v_fma_f64 v[1:2], v[1:2], v[27:28], -v[30:31]
	v_fma_f64 v[3:4], v[3:4], v[27:28], v[25:26]
.LBB72_46:
	s_and_saveexec_b32 s16, s4
	s_cbranch_execz .LBB72_50
; %bb.47:
	v_add_nc_u32_e32 v25, -3, v0
	s_movk_i32 s17, 0xc0
	s_mov_b32 s4, 0
	s_mov_b32 s18, s12
	.p2align	6
.LBB72_48:                              ; =>This Inner Loop Header: Depth=1
	v_mov_b32_e32 v28, s18
	v_add_nc_u32_e32 v25, -1, v25
	s_add_i32 s18, s18, 16
	s_clause 0x3
	buffer_load_dword v26, v28, s[0:3], 0 offen offset:8
	buffer_load_dword v27, v28, s[0:3], 0 offen offset:12
	buffer_load_dword v34, v28, s[0:3], 0 offen
	buffer_load_dword v35, v28, s[0:3], 0 offen offset:4
	v_mov_b32_e32 v28, s17
	v_cmp_eq_u32_e32 vcc_lo, 0, v25
	s_add_i32 s17, s17, 16
	ds_read_b128 v[30:33], v28
	s_or_b32 s4, vcc_lo, s4
	s_waitcnt vmcnt(2) lgkmcnt(0)
	v_mul_f64 v[36:37], v[32:33], v[26:27]
	v_mul_f64 v[26:27], v[30:31], v[26:27]
	s_waitcnt vmcnt(0)
	v_fma_f64 v[30:31], v[30:31], v[34:35], -v[36:37]
	v_fma_f64 v[26:27], v[32:33], v[34:35], v[26:27]
	v_add_f64 v[1:2], v[1:2], v[30:31]
	v_add_f64 v[3:4], v[3:4], v[26:27]
	s_andn2_b32 exec_lo, exec_lo, s4
	s_cbranch_execnz .LBB72_48
; %bb.49:
	s_or_b32 exec_lo, exec_lo, s4
.LBB72_50:
	s_or_b32 exec_lo, exec_lo, s16
	v_mov_b32_e32 v25, 0
	ds_read_b128 v[25:28], v25 offset:32
	s_waitcnt lgkmcnt(0)
	v_mul_f64 v[30:31], v[3:4], v[27:28]
	v_mul_f64 v[27:28], v[1:2], v[27:28]
	v_fma_f64 v[1:2], v[1:2], v[25:26], -v[30:31]
	v_fma_f64 v[3:4], v[3:4], v[25:26], v[27:28]
	buffer_store_dword v2, off, s[0:3], 0 offset:36
	buffer_store_dword v1, off, s[0:3], 0 offset:32
	buffer_store_dword v4, off, s[0:3], 0 offset:44
	buffer_store_dword v3, off, s[0:3], 0 offset:40
.LBB72_51:
	s_or_b32 exec_lo, exec_lo, s8
	v_mov_b32_e32 v4, s14
	v_cmp_lt_u32_e64 s4, 1, v0
	s_clause 0x3
	buffer_load_dword v1, v4, s[0:3], 0 offen
	buffer_load_dword v2, v4, s[0:3], 0 offen offset:4
	buffer_load_dword v3, v4, s[0:3], 0 offen offset:8
	;; [unrolled: 1-line block ×3, first 2 shown]
	s_waitcnt vmcnt(0)
	ds_write_b128 v24, v[1:4]
	s_waitcnt lgkmcnt(0)
	s_waitcnt_vscnt null, 0x0
	s_barrier
	buffer_gl0_inv
	s_and_saveexec_b32 s8, s4
	s_cbranch_execz .LBB72_59
; %bb.52:
	ds_read_b128 v[1:4], v24
	s_andn2_b32 vcc_lo, exec_lo, s15
	s_cbranch_vccnz .LBB72_54
; %bb.53:
	s_clause 0x3
	buffer_load_dword v25, v23, s[0:3], 0 offen offset:8
	buffer_load_dword v26, v23, s[0:3], 0 offen offset:12
	buffer_load_dword v27, v23, s[0:3], 0 offen
	buffer_load_dword v28, v23, s[0:3], 0 offen offset:4
	s_waitcnt vmcnt(2) lgkmcnt(0)
	v_mul_f64 v[30:31], v[3:4], v[25:26]
	v_mul_f64 v[25:26], v[1:2], v[25:26]
	s_waitcnt vmcnt(0)
	v_fma_f64 v[1:2], v[1:2], v[27:28], -v[30:31]
	v_fma_f64 v[3:4], v[3:4], v[27:28], v[25:26]
.LBB72_54:
	s_and_saveexec_b32 s16, s5
	s_cbranch_execz .LBB72_58
; %bb.55:
	v_add_nc_u32_e32 v25, -2, v0
	s_movk_i32 s17, 0xb0
	s_mov_b32 s5, 0
	s_mov_b32 s18, s13
	.p2align	6
.LBB72_56:                              ; =>This Inner Loop Header: Depth=1
	v_mov_b32_e32 v28, s18
	v_add_nc_u32_e32 v25, -1, v25
	s_add_i32 s18, s18, 16
	s_clause 0x3
	buffer_load_dword v26, v28, s[0:3], 0 offen offset:8
	buffer_load_dword v27, v28, s[0:3], 0 offen offset:12
	buffer_load_dword v34, v28, s[0:3], 0 offen
	buffer_load_dword v35, v28, s[0:3], 0 offen offset:4
	v_mov_b32_e32 v28, s17
	v_cmp_eq_u32_e32 vcc_lo, 0, v25
	s_add_i32 s17, s17, 16
	ds_read_b128 v[30:33], v28
	s_or_b32 s5, vcc_lo, s5
	s_waitcnt vmcnt(2) lgkmcnt(0)
	v_mul_f64 v[36:37], v[32:33], v[26:27]
	v_mul_f64 v[26:27], v[30:31], v[26:27]
	s_waitcnt vmcnt(0)
	v_fma_f64 v[30:31], v[30:31], v[34:35], -v[36:37]
	v_fma_f64 v[26:27], v[32:33], v[34:35], v[26:27]
	v_add_f64 v[1:2], v[1:2], v[30:31]
	v_add_f64 v[3:4], v[3:4], v[26:27]
	s_andn2_b32 exec_lo, exec_lo, s5
	s_cbranch_execnz .LBB72_56
; %bb.57:
	s_or_b32 exec_lo, exec_lo, s5
.LBB72_58:
	s_or_b32 exec_lo, exec_lo, s16
	v_mov_b32_e32 v25, 0
	ds_read_b128 v[25:28], v25 offset:16
	s_waitcnt lgkmcnt(0)
	v_mul_f64 v[30:31], v[3:4], v[27:28]
	v_mul_f64 v[27:28], v[1:2], v[27:28]
	v_fma_f64 v[1:2], v[1:2], v[25:26], -v[30:31]
	v_fma_f64 v[3:4], v[3:4], v[25:26], v[27:28]
	buffer_store_dword v2, off, s[0:3], 0 offset:20
	buffer_store_dword v1, off, s[0:3], 0 offset:16
	buffer_store_dword v4, off, s[0:3], 0 offset:28
	buffer_store_dword v3, off, s[0:3], 0 offset:24
.LBB72_59:
	s_or_b32 exec_lo, exec_lo, s8
	s_clause 0x3
	buffer_load_dword v1, off, s[0:3], 0
	buffer_load_dword v2, off, s[0:3], 0 offset:4
	buffer_load_dword v3, off, s[0:3], 0 offset:8
	;; [unrolled: 1-line block ×3, first 2 shown]
	s_mov_b32 s8, 0
	s_mov_b32 s5, 0
	s_mov_b32 s16, exec_lo
                                        ; implicit-def: $sgpr17
	s_waitcnt vmcnt(0)
	ds_write_b128 v24, v[1:4]
	s_waitcnt lgkmcnt(0)
	s_waitcnt_vscnt null, 0x0
	s_barrier
	buffer_gl0_inv
                                        ; implicit-def: $vgpr1_vgpr2
	v_cmpx_ne_u32_e32 0, v0
	s_cbranch_execz .LBB72_67
; %bb.60:
	ds_read_b128 v[1:4], v24
	s_andn2_b32 vcc_lo, exec_lo, s15
	s_cbranch_vccnz .LBB72_62
; %bb.61:
	s_clause 0x3
	buffer_load_dword v25, v23, s[0:3], 0 offen offset:8
	buffer_load_dword v26, v23, s[0:3], 0 offen offset:12
	buffer_load_dword v27, v23, s[0:3], 0 offen
	buffer_load_dword v28, v23, s[0:3], 0 offen offset:4
	s_waitcnt vmcnt(2) lgkmcnt(0)
	v_mul_f64 v[30:31], v[3:4], v[25:26]
	v_mul_f64 v[25:26], v[1:2], v[25:26]
	s_waitcnt vmcnt(0)
	v_fma_f64 v[1:2], v[1:2], v[27:28], -v[30:31]
	v_fma_f64 v[3:4], v[3:4], v[27:28], v[25:26]
.LBB72_62:
	s_and_saveexec_b32 s5, s4
	s_cbranch_execz .LBB72_66
; %bb.63:
	v_add_nc_u32_e32 v25, -1, v0
	s_movk_i32 s17, 0xa0
	s_mov_b32 s4, 0
	s_mov_b32 s18, s14
	.p2align	6
.LBB72_64:                              ; =>This Inner Loop Header: Depth=1
	v_mov_b32_e32 v28, s18
	v_add_nc_u32_e32 v25, -1, v25
	s_add_i32 s18, s18, 16
	s_clause 0x3
	buffer_load_dword v26, v28, s[0:3], 0 offen offset:8
	buffer_load_dword v27, v28, s[0:3], 0 offen offset:12
	buffer_load_dword v34, v28, s[0:3], 0 offen
	buffer_load_dword v35, v28, s[0:3], 0 offen offset:4
	v_mov_b32_e32 v28, s17
	v_cmp_eq_u32_e32 vcc_lo, 0, v25
	s_add_i32 s17, s17, 16
	ds_read_b128 v[30:33], v28
	s_or_b32 s4, vcc_lo, s4
	s_waitcnt vmcnt(2) lgkmcnt(0)
	v_mul_f64 v[36:37], v[32:33], v[26:27]
	v_mul_f64 v[26:27], v[30:31], v[26:27]
	s_waitcnt vmcnt(0)
	v_fma_f64 v[30:31], v[30:31], v[34:35], -v[36:37]
	v_fma_f64 v[26:27], v[32:33], v[34:35], v[26:27]
	v_add_f64 v[1:2], v[1:2], v[30:31]
	v_add_f64 v[3:4], v[3:4], v[26:27]
	s_andn2_b32 exec_lo, exec_lo, s4
	s_cbranch_execnz .LBB72_64
; %bb.65:
	s_or_b32 exec_lo, exec_lo, s4
.LBB72_66:
	s_or_b32 exec_lo, exec_lo, s5
	v_mov_b32_e32 v25, 0
	s_mov_b32 s5, exec_lo
	s_or_b32 s17, 0, 8
	ds_read_b128 v[25:28], v25
	s_waitcnt lgkmcnt(0)
	v_mul_f64 v[30:31], v[3:4], v[27:28]
	v_mul_f64 v[27:28], v[1:2], v[27:28]
	v_fma_f64 v[30:31], v[1:2], v[25:26], -v[30:31]
	v_fma_f64 v[1:2], v[3:4], v[25:26], v[27:28]
	buffer_store_dword v31, off, s[0:3], 0 offset:4
	buffer_store_dword v30, off, s[0:3], 0
.LBB72_67:
	s_or_b32 exec_lo, exec_lo, s16
	s_and_b32 vcc_lo, exec_lo, s8
	s_cbranch_vccnz .LBB72_69
	s_branch .LBB72_128
.LBB72_68:
	s_mov_b32 s5, 0
                                        ; implicit-def: $vgpr1_vgpr2
                                        ; implicit-def: $sgpr17
	s_cbranch_execz .LBB72_128
.LBB72_69:
	v_mov_b32_e32 v4, s14
	v_cmp_eq_u32_e64 s4, 0, v0
	v_cndmask_b32_e64 v25, 0, 1, s15
	s_clause 0x3
	buffer_load_dword v1, v4, s[0:3], 0 offen
	buffer_load_dword v2, v4, s[0:3], 0 offen offset:4
	buffer_load_dword v3, v4, s[0:3], 0 offen offset:8
	;; [unrolled: 1-line block ×3, first 2 shown]
	s_waitcnt vmcnt(0)
	ds_write_b128 v24, v[1:4]
	s_waitcnt lgkmcnt(0)
	s_waitcnt_vscnt null, 0x0
	s_barrier
	buffer_gl0_inv
	s_and_saveexec_b32 s8, s4
	s_cbranch_execz .LBB72_73
; %bb.70:
	ds_read_b128 v[1:4], v24
	s_andn2_b32 vcc_lo, exec_lo, s15
	s_cbranch_vccnz .LBB72_72
; %bb.71:
	s_clause 0x3
	buffer_load_dword v26, v23, s[0:3], 0 offen offset:8
	buffer_load_dword v27, v23, s[0:3], 0 offen offset:12
	buffer_load_dword v30, v23, s[0:3], 0 offen
	buffer_load_dword v31, v23, s[0:3], 0 offen offset:4
	s_waitcnt vmcnt(2) lgkmcnt(0)
	v_mul_f64 v[32:33], v[3:4], v[26:27]
	v_mul_f64 v[26:27], v[1:2], v[26:27]
	s_waitcnt vmcnt(0)
	v_fma_f64 v[1:2], v[1:2], v[30:31], -v[32:33]
	v_fma_f64 v[3:4], v[3:4], v[30:31], v[26:27]
.LBB72_72:
	v_mov_b32_e32 v26, 0
	ds_read_b128 v[30:33], v26 offset:16
	s_waitcnt lgkmcnt(0)
	v_mul_f64 v[26:27], v[3:4], v[32:33]
	v_mul_f64 v[32:33], v[1:2], v[32:33]
	v_fma_f64 v[1:2], v[1:2], v[30:31], -v[26:27]
	v_fma_f64 v[3:4], v[3:4], v[30:31], v[32:33]
	buffer_store_dword v2, off, s[0:3], 0 offset:20
	buffer_store_dword v1, off, s[0:3], 0 offset:16
	buffer_store_dword v4, off, s[0:3], 0 offset:28
	buffer_store_dword v3, off, s[0:3], 0 offset:24
.LBB72_73:
	s_or_b32 exec_lo, exec_lo, s8
	v_mov_b32_e32 v4, s13
	s_mov_b32 s8, exec_lo
	s_clause 0x3
	buffer_load_dword v1, v4, s[0:3], 0 offen
	buffer_load_dword v2, v4, s[0:3], 0 offen offset:4
	buffer_load_dword v3, v4, s[0:3], 0 offen offset:8
	;; [unrolled: 1-line block ×3, first 2 shown]
	s_waitcnt vmcnt(0)
	ds_write_b128 v24, v[1:4]
	s_waitcnt lgkmcnt(0)
	s_waitcnt_vscnt null, 0x0
	s_barrier
	buffer_gl0_inv
	v_cmpx_gt_u32_e32 2, v0
	s_cbranch_execz .LBB72_79
; %bb.74:
	ds_read_b128 v[1:4], v24
	v_cmp_ne_u32_e32 vcc_lo, 1, v25
	s_cbranch_vccnz .LBB72_76
; %bb.75:
	s_clause 0x3
	buffer_load_dword v26, v23, s[0:3], 0 offen offset:8
	buffer_load_dword v27, v23, s[0:3], 0 offen offset:12
	buffer_load_dword v30, v23, s[0:3], 0 offen
	buffer_load_dword v31, v23, s[0:3], 0 offen offset:4
	s_waitcnt vmcnt(2) lgkmcnt(0)
	v_mul_f64 v[32:33], v[3:4], v[26:27]
	v_mul_f64 v[26:27], v[1:2], v[26:27]
	s_waitcnt vmcnt(0)
	v_fma_f64 v[1:2], v[1:2], v[30:31], -v[32:33]
	v_fma_f64 v[3:4], v[3:4], v[30:31], v[26:27]
.LBB72_76:
	s_and_saveexec_b32 s15, s4
	s_cbranch_execz .LBB72_78
; %bb.77:
	s_clause 0x3
	buffer_load_dword v26, off, s[0:3], 0 offset:24
	buffer_load_dword v27, off, s[0:3], 0 offset:28
	buffer_load_dword v34, off, s[0:3], 0 offset:16
	buffer_load_dword v35, off, s[0:3], 0 offset:20
	v_mov_b32_e32 v28, 0
	ds_read_b128 v[30:33], v28 offset:160
	s_waitcnt vmcnt(2) lgkmcnt(0)
	v_mul_f64 v[36:37], v[32:33], v[26:27]
	v_mul_f64 v[26:27], v[30:31], v[26:27]
	s_waitcnt vmcnt(0)
	v_fma_f64 v[30:31], v[30:31], v[34:35], -v[36:37]
	v_fma_f64 v[26:27], v[32:33], v[34:35], v[26:27]
	v_add_f64 v[1:2], v[1:2], v[30:31]
	v_add_f64 v[3:4], v[3:4], v[26:27]
.LBB72_78:
	s_or_b32 exec_lo, exec_lo, s15
	v_mov_b32_e32 v26, 0
	ds_read_b128 v[30:33], v26 offset:32
	s_waitcnt lgkmcnt(0)
	v_mul_f64 v[26:27], v[3:4], v[32:33]
	v_mul_f64 v[32:33], v[1:2], v[32:33]
	v_fma_f64 v[1:2], v[1:2], v[30:31], -v[26:27]
	v_fma_f64 v[3:4], v[3:4], v[30:31], v[32:33]
	buffer_store_dword v2, off, s[0:3], 0 offset:36
	buffer_store_dword v1, off, s[0:3], 0 offset:32
	;; [unrolled: 1-line block ×4, first 2 shown]
.LBB72_79:
	s_or_b32 exec_lo, exec_lo, s8
	v_mov_b32_e32 v4, s12
	s_mov_b32 s8, exec_lo
	s_clause 0x3
	buffer_load_dword v1, v4, s[0:3], 0 offen
	buffer_load_dword v2, v4, s[0:3], 0 offen offset:4
	buffer_load_dword v3, v4, s[0:3], 0 offen offset:8
	;; [unrolled: 1-line block ×3, first 2 shown]
	s_waitcnt vmcnt(0)
	ds_write_b128 v24, v[1:4]
	s_waitcnt lgkmcnt(0)
	s_waitcnt_vscnt null, 0x0
	s_barrier
	buffer_gl0_inv
	v_cmpx_gt_u32_e32 3, v0
	s_cbranch_execz .LBB72_87
; %bb.80:
	ds_read_b128 v[1:4], v24
	v_cmp_ne_u32_e32 vcc_lo, 1, v25
	s_cbranch_vccnz .LBB72_82
; %bb.81:
	s_clause 0x3
	buffer_load_dword v26, v23, s[0:3], 0 offen offset:8
	buffer_load_dword v27, v23, s[0:3], 0 offen offset:12
	buffer_load_dword v30, v23, s[0:3], 0 offen
	buffer_load_dword v31, v23, s[0:3], 0 offen offset:4
	s_waitcnt vmcnt(2) lgkmcnt(0)
	v_mul_f64 v[32:33], v[3:4], v[26:27]
	v_mul_f64 v[26:27], v[1:2], v[26:27]
	s_waitcnt vmcnt(0)
	v_fma_f64 v[1:2], v[1:2], v[30:31], -v[32:33]
	v_fma_f64 v[3:4], v[3:4], v[30:31], v[26:27]
.LBB72_82:
	s_mov_b32 s15, exec_lo
	v_cmpx_ne_u32_e32 2, v0
	s_cbranch_execz .LBB72_86
; %bb.83:
	s_clause 0x3
	buffer_load_dword v26, v23, s[0:3], 0 offen offset:24
	buffer_load_dword v27, v23, s[0:3], 0 offen offset:28
	;; [unrolled: 1-line block ×4, first 2 shown]
	ds_read_b128 v[30:33], v24 offset:16
	s_waitcnt vmcnt(2) lgkmcnt(0)
	v_mul_f64 v[36:37], v[32:33], v[26:27]
	v_mul_f64 v[26:27], v[30:31], v[26:27]
	s_waitcnt vmcnt(0)
	v_fma_f64 v[30:31], v[30:31], v[34:35], -v[36:37]
	v_fma_f64 v[26:27], v[32:33], v[34:35], v[26:27]
	v_add_f64 v[1:2], v[1:2], v[30:31]
	v_add_f64 v[3:4], v[3:4], v[26:27]
	s_and_saveexec_b32 s16, s4
	s_cbranch_execz .LBB72_85
; %bb.84:
	s_clause 0x3
	buffer_load_dword v26, off, s[0:3], 0 offset:40
	buffer_load_dword v27, off, s[0:3], 0 offset:44
	;; [unrolled: 1-line block ×4, first 2 shown]
	v_mov_b32_e32 v28, 0
	ds_read_b128 v[30:33], v28 offset:176
	s_waitcnt vmcnt(2) lgkmcnt(0)
	v_mul_f64 v[36:37], v[30:31], v[26:27]
	v_mul_f64 v[26:27], v[32:33], v[26:27]
	s_waitcnt vmcnt(0)
	v_fma_f64 v[32:33], v[32:33], v[34:35], v[36:37]
	v_fma_f64 v[26:27], v[30:31], v[34:35], -v[26:27]
	v_add_f64 v[3:4], v[3:4], v[32:33]
	v_add_f64 v[1:2], v[1:2], v[26:27]
.LBB72_85:
	s_or_b32 exec_lo, exec_lo, s16
.LBB72_86:
	s_or_b32 exec_lo, exec_lo, s15
	v_mov_b32_e32 v26, 0
	ds_read_b128 v[30:33], v26 offset:48
	s_waitcnt lgkmcnt(0)
	v_mul_f64 v[26:27], v[3:4], v[32:33]
	v_mul_f64 v[32:33], v[1:2], v[32:33]
	v_fma_f64 v[1:2], v[1:2], v[30:31], -v[26:27]
	v_fma_f64 v[3:4], v[3:4], v[30:31], v[32:33]
	buffer_store_dword v2, off, s[0:3], 0 offset:52
	buffer_store_dword v1, off, s[0:3], 0 offset:48
	;; [unrolled: 1-line block ×4, first 2 shown]
.LBB72_87:
	s_or_b32 exec_lo, exec_lo, s8
	v_mov_b32_e32 v4, s11
	s_mov_b32 s4, exec_lo
	s_clause 0x3
	buffer_load_dword v1, v4, s[0:3], 0 offen
	buffer_load_dword v2, v4, s[0:3], 0 offen offset:4
	buffer_load_dword v3, v4, s[0:3], 0 offen offset:8
	;; [unrolled: 1-line block ×3, first 2 shown]
	s_waitcnt vmcnt(0)
	ds_write_b128 v24, v[1:4]
	s_waitcnt lgkmcnt(0)
	s_waitcnt_vscnt null, 0x0
	s_barrier
	buffer_gl0_inv
	v_cmpx_gt_u32_e32 4, v0
	s_cbranch_execz .LBB72_95
; %bb.88:
	ds_read_b128 v[1:4], v24
	v_cmp_ne_u32_e32 vcc_lo, 1, v25
	s_cbranch_vccnz .LBB72_90
; %bb.89:
	s_clause 0x3
	buffer_load_dword v26, v23, s[0:3], 0 offen offset:8
	buffer_load_dword v27, v23, s[0:3], 0 offen offset:12
	buffer_load_dword v30, v23, s[0:3], 0 offen
	buffer_load_dword v31, v23, s[0:3], 0 offen offset:4
	s_waitcnt vmcnt(2) lgkmcnt(0)
	v_mul_f64 v[32:33], v[3:4], v[26:27]
	v_mul_f64 v[26:27], v[1:2], v[26:27]
	s_waitcnt vmcnt(0)
	v_fma_f64 v[1:2], v[1:2], v[30:31], -v[32:33]
	v_fma_f64 v[3:4], v[3:4], v[30:31], v[26:27]
.LBB72_90:
	s_mov_b32 s8, exec_lo
	v_cmpx_ne_u32_e32 3, v0
	s_cbranch_execz .LBB72_94
; %bb.91:
	v_add_nc_u32_e32 v26, 0xa0, v29
	v_add3_u32 v27, 0, v29, 16
	v_mov_b32_e32 v28, v0
	s_mov_b32 s15, 0
	.p2align	6
.LBB72_92:                              ; =>This Inner Loop Header: Depth=1
	s_clause 0x3
	buffer_load_dword v34, v27, s[0:3], 0 offen offset:8
	buffer_load_dword v35, v27, s[0:3], 0 offen offset:12
	buffer_load_dword v36, v27, s[0:3], 0 offen
	buffer_load_dword v37, v27, s[0:3], 0 offen offset:4
	ds_read_b128 v[30:33], v26
	v_add_nc_u32_e32 v28, 1, v28
	v_add_nc_u32_e32 v26, 16, v26
	;; [unrolled: 1-line block ×3, first 2 shown]
	v_cmp_lt_u32_e32 vcc_lo, 2, v28
	s_or_b32 s15, vcc_lo, s15
	s_waitcnt vmcnt(2) lgkmcnt(0)
	v_mul_f64 v[38:39], v[32:33], v[34:35]
	v_mul_f64 v[34:35], v[30:31], v[34:35]
	s_waitcnt vmcnt(0)
	v_fma_f64 v[30:31], v[30:31], v[36:37], -v[38:39]
	v_fma_f64 v[32:33], v[32:33], v[36:37], v[34:35]
	v_add_f64 v[1:2], v[1:2], v[30:31]
	v_add_f64 v[3:4], v[3:4], v[32:33]
	s_andn2_b32 exec_lo, exec_lo, s15
	s_cbranch_execnz .LBB72_92
; %bb.93:
	s_or_b32 exec_lo, exec_lo, s15
.LBB72_94:
	s_or_b32 exec_lo, exec_lo, s8
	v_mov_b32_e32 v26, 0
	ds_read_b128 v[30:33], v26 offset:64
	s_waitcnt lgkmcnt(0)
	v_mul_f64 v[26:27], v[3:4], v[32:33]
	v_mul_f64 v[32:33], v[1:2], v[32:33]
	v_fma_f64 v[1:2], v[1:2], v[30:31], -v[26:27]
	v_fma_f64 v[3:4], v[3:4], v[30:31], v[32:33]
	buffer_store_dword v2, off, s[0:3], 0 offset:68
	buffer_store_dword v1, off, s[0:3], 0 offset:64
	;; [unrolled: 1-line block ×4, first 2 shown]
.LBB72_95:
	s_or_b32 exec_lo, exec_lo, s4
	v_mov_b32_e32 v4, s10
	s_mov_b32 s4, exec_lo
	s_clause 0x3
	buffer_load_dword v1, v4, s[0:3], 0 offen
	buffer_load_dword v2, v4, s[0:3], 0 offen offset:4
	buffer_load_dword v3, v4, s[0:3], 0 offen offset:8
	;; [unrolled: 1-line block ×3, first 2 shown]
	s_waitcnt vmcnt(0)
	ds_write_b128 v24, v[1:4]
	s_waitcnt lgkmcnt(0)
	s_waitcnt_vscnt null, 0x0
	s_barrier
	buffer_gl0_inv
	v_cmpx_gt_u32_e32 5, v0
	s_cbranch_execz .LBB72_103
; %bb.96:
	ds_read_b128 v[1:4], v24
	v_cmp_ne_u32_e32 vcc_lo, 1, v25
	s_cbranch_vccnz .LBB72_98
; %bb.97:
	s_clause 0x3
	buffer_load_dword v26, v23, s[0:3], 0 offen offset:8
	buffer_load_dword v27, v23, s[0:3], 0 offen offset:12
	buffer_load_dword v30, v23, s[0:3], 0 offen
	buffer_load_dword v31, v23, s[0:3], 0 offen offset:4
	s_waitcnt vmcnt(2) lgkmcnt(0)
	v_mul_f64 v[32:33], v[3:4], v[26:27]
	v_mul_f64 v[26:27], v[1:2], v[26:27]
	s_waitcnt vmcnt(0)
	v_fma_f64 v[1:2], v[1:2], v[30:31], -v[32:33]
	v_fma_f64 v[3:4], v[3:4], v[30:31], v[26:27]
.LBB72_98:
	s_mov_b32 s8, exec_lo
	v_cmpx_ne_u32_e32 4, v0
	s_cbranch_execz .LBB72_102
; %bb.99:
	v_add_nc_u32_e32 v26, 0xa0, v29
	v_add3_u32 v27, 0, v29, 16
	v_mov_b32_e32 v28, v0
	s_mov_b32 s15, 0
	.p2align	6
.LBB72_100:                             ; =>This Inner Loop Header: Depth=1
	s_clause 0x3
	buffer_load_dword v34, v27, s[0:3], 0 offen offset:8
	buffer_load_dword v35, v27, s[0:3], 0 offen offset:12
	buffer_load_dword v36, v27, s[0:3], 0 offen
	buffer_load_dword v37, v27, s[0:3], 0 offen offset:4
	ds_read_b128 v[30:33], v26
	v_add_nc_u32_e32 v28, 1, v28
	v_add_nc_u32_e32 v26, 16, v26
	;; [unrolled: 1-line block ×3, first 2 shown]
	v_cmp_lt_u32_e32 vcc_lo, 3, v28
	s_or_b32 s15, vcc_lo, s15
	s_waitcnt vmcnt(2) lgkmcnt(0)
	v_mul_f64 v[38:39], v[32:33], v[34:35]
	v_mul_f64 v[34:35], v[30:31], v[34:35]
	s_waitcnt vmcnt(0)
	v_fma_f64 v[30:31], v[30:31], v[36:37], -v[38:39]
	v_fma_f64 v[32:33], v[32:33], v[36:37], v[34:35]
	v_add_f64 v[1:2], v[1:2], v[30:31]
	v_add_f64 v[3:4], v[3:4], v[32:33]
	s_andn2_b32 exec_lo, exec_lo, s15
	s_cbranch_execnz .LBB72_100
; %bb.101:
	s_or_b32 exec_lo, exec_lo, s15
.LBB72_102:
	s_or_b32 exec_lo, exec_lo, s8
	v_mov_b32_e32 v26, 0
	ds_read_b128 v[30:33], v26 offset:80
	s_waitcnt lgkmcnt(0)
	v_mul_f64 v[26:27], v[3:4], v[32:33]
	v_mul_f64 v[32:33], v[1:2], v[32:33]
	v_fma_f64 v[1:2], v[1:2], v[30:31], -v[26:27]
	v_fma_f64 v[3:4], v[3:4], v[30:31], v[32:33]
	buffer_store_dword v2, off, s[0:3], 0 offset:84
	buffer_store_dword v1, off, s[0:3], 0 offset:80
	;; [unrolled: 1-line block ×4, first 2 shown]
.LBB72_103:
	s_or_b32 exec_lo, exec_lo, s4
	v_mov_b32_e32 v4, s9
	s_mov_b32 s4, exec_lo
	s_clause 0x3
	buffer_load_dword v1, v4, s[0:3], 0 offen
	buffer_load_dword v2, v4, s[0:3], 0 offen offset:4
	buffer_load_dword v3, v4, s[0:3], 0 offen offset:8
	;; [unrolled: 1-line block ×3, first 2 shown]
	s_waitcnt vmcnt(0)
	ds_write_b128 v24, v[1:4]
	s_waitcnt lgkmcnt(0)
	s_waitcnt_vscnt null, 0x0
	s_barrier
	buffer_gl0_inv
	v_cmpx_gt_u32_e32 6, v0
	s_cbranch_execz .LBB72_111
; %bb.104:
	ds_read_b128 v[1:4], v24
	v_cmp_ne_u32_e32 vcc_lo, 1, v25
	s_cbranch_vccnz .LBB72_106
; %bb.105:
	s_clause 0x3
	buffer_load_dword v26, v23, s[0:3], 0 offen offset:8
	buffer_load_dword v27, v23, s[0:3], 0 offen offset:12
	buffer_load_dword v30, v23, s[0:3], 0 offen
	buffer_load_dword v31, v23, s[0:3], 0 offen offset:4
	s_waitcnt vmcnt(2) lgkmcnt(0)
	v_mul_f64 v[32:33], v[3:4], v[26:27]
	v_mul_f64 v[26:27], v[1:2], v[26:27]
	s_waitcnt vmcnt(0)
	v_fma_f64 v[1:2], v[1:2], v[30:31], -v[32:33]
	v_fma_f64 v[3:4], v[3:4], v[30:31], v[26:27]
.LBB72_106:
	s_mov_b32 s8, exec_lo
	v_cmpx_ne_u32_e32 5, v0
	s_cbranch_execz .LBB72_110
; %bb.107:
	v_add_nc_u32_e32 v26, 0xa0, v29
	v_add3_u32 v27, 0, v29, 16
	v_mov_b32_e32 v28, v0
	s_mov_b32 s15, 0
	.p2align	6
.LBB72_108:                             ; =>This Inner Loop Header: Depth=1
	s_clause 0x3
	buffer_load_dword v34, v27, s[0:3], 0 offen offset:8
	buffer_load_dword v35, v27, s[0:3], 0 offen offset:12
	buffer_load_dword v36, v27, s[0:3], 0 offen
	buffer_load_dword v37, v27, s[0:3], 0 offen offset:4
	ds_read_b128 v[30:33], v26
	v_add_nc_u32_e32 v28, 1, v28
	v_add_nc_u32_e32 v26, 16, v26
	;; [unrolled: 1-line block ×3, first 2 shown]
	v_cmp_lt_u32_e32 vcc_lo, 4, v28
	s_or_b32 s15, vcc_lo, s15
	s_waitcnt vmcnt(2) lgkmcnt(0)
	v_mul_f64 v[38:39], v[32:33], v[34:35]
	v_mul_f64 v[34:35], v[30:31], v[34:35]
	s_waitcnt vmcnt(0)
	v_fma_f64 v[30:31], v[30:31], v[36:37], -v[38:39]
	v_fma_f64 v[32:33], v[32:33], v[36:37], v[34:35]
	v_add_f64 v[1:2], v[1:2], v[30:31]
	v_add_f64 v[3:4], v[3:4], v[32:33]
	s_andn2_b32 exec_lo, exec_lo, s15
	s_cbranch_execnz .LBB72_108
; %bb.109:
	s_or_b32 exec_lo, exec_lo, s15
.LBB72_110:
	s_or_b32 exec_lo, exec_lo, s8
	v_mov_b32_e32 v26, 0
	ds_read_b128 v[30:33], v26 offset:96
	s_waitcnt lgkmcnt(0)
	v_mul_f64 v[26:27], v[3:4], v[32:33]
	v_mul_f64 v[32:33], v[1:2], v[32:33]
	v_fma_f64 v[1:2], v[1:2], v[30:31], -v[26:27]
	v_fma_f64 v[3:4], v[3:4], v[30:31], v[32:33]
	buffer_store_dword v2, off, s[0:3], 0 offset:100
	buffer_store_dword v1, off, s[0:3], 0 offset:96
	;; [unrolled: 1-line block ×4, first 2 shown]
.LBB72_111:
	s_or_b32 exec_lo, exec_lo, s4
	v_mov_b32_e32 v4, s7
	v_cmp_gt_u32_e64 s4, 7, v0
	s_clause 0x3
	buffer_load_dword v1, v4, s[0:3], 0 offen
	buffer_load_dword v2, v4, s[0:3], 0 offen offset:4
	buffer_load_dword v3, v4, s[0:3], 0 offen offset:8
	;; [unrolled: 1-line block ×3, first 2 shown]
	s_waitcnt vmcnt(0)
	ds_write_b128 v24, v[1:4]
	s_waitcnt lgkmcnt(0)
	s_waitcnt_vscnt null, 0x0
	s_barrier
	buffer_gl0_inv
	s_and_saveexec_b32 s8, s4
	s_cbranch_execz .LBB72_119
; %bb.112:
	ds_read_b128 v[1:4], v24
	v_cmp_ne_u32_e32 vcc_lo, 1, v25
	s_cbranch_vccnz .LBB72_114
; %bb.113:
	s_clause 0x3
	buffer_load_dword v26, v23, s[0:3], 0 offen offset:8
	buffer_load_dword v27, v23, s[0:3], 0 offen offset:12
	buffer_load_dword v30, v23, s[0:3], 0 offen
	buffer_load_dword v31, v23, s[0:3], 0 offen offset:4
	s_waitcnt vmcnt(2) lgkmcnt(0)
	v_mul_f64 v[32:33], v[3:4], v[26:27]
	v_mul_f64 v[26:27], v[1:2], v[26:27]
	s_waitcnt vmcnt(0)
	v_fma_f64 v[1:2], v[1:2], v[30:31], -v[32:33]
	v_fma_f64 v[3:4], v[3:4], v[30:31], v[26:27]
.LBB72_114:
	s_mov_b32 s15, exec_lo
	v_cmpx_ne_u32_e32 6, v0
	s_cbranch_execz .LBB72_118
; %bb.115:
	v_add_nc_u32_e32 v26, 0xa0, v29
	v_add3_u32 v27, 0, v29, 16
	v_mov_b32_e32 v28, v0
	s_mov_b32 s16, 0
	.p2align	6
.LBB72_116:                             ; =>This Inner Loop Header: Depth=1
	s_clause 0x3
	buffer_load_dword v34, v27, s[0:3], 0 offen offset:8
	buffer_load_dword v35, v27, s[0:3], 0 offen offset:12
	buffer_load_dword v36, v27, s[0:3], 0 offen
	buffer_load_dword v37, v27, s[0:3], 0 offen offset:4
	ds_read_b128 v[30:33], v26
	v_add_nc_u32_e32 v28, 1, v28
	v_add_nc_u32_e32 v26, 16, v26
	;; [unrolled: 1-line block ×3, first 2 shown]
	v_cmp_lt_u32_e32 vcc_lo, 5, v28
	s_or_b32 s16, vcc_lo, s16
	s_waitcnt vmcnt(2) lgkmcnt(0)
	v_mul_f64 v[38:39], v[32:33], v[34:35]
	v_mul_f64 v[34:35], v[30:31], v[34:35]
	s_waitcnt vmcnt(0)
	v_fma_f64 v[30:31], v[30:31], v[36:37], -v[38:39]
	v_fma_f64 v[32:33], v[32:33], v[36:37], v[34:35]
	v_add_f64 v[1:2], v[1:2], v[30:31]
	v_add_f64 v[3:4], v[3:4], v[32:33]
	s_andn2_b32 exec_lo, exec_lo, s16
	s_cbranch_execnz .LBB72_116
; %bb.117:
	s_or_b32 exec_lo, exec_lo, s16
.LBB72_118:
	s_or_b32 exec_lo, exec_lo, s15
	v_mov_b32_e32 v26, 0
	ds_read_b128 v[30:33], v26 offset:112
	s_waitcnt lgkmcnt(0)
	v_mul_f64 v[26:27], v[3:4], v[32:33]
	v_mul_f64 v[32:33], v[1:2], v[32:33]
	v_fma_f64 v[1:2], v[1:2], v[30:31], -v[26:27]
	v_fma_f64 v[3:4], v[3:4], v[30:31], v[32:33]
	buffer_store_dword v2, off, s[0:3], 0 offset:116
	buffer_store_dword v1, off, s[0:3], 0 offset:112
	;; [unrolled: 1-line block ×4, first 2 shown]
.LBB72_119:
	s_or_b32 exec_lo, exec_lo, s8
	v_mov_b32_e32 v4, s6
	s_mov_b32 s8, exec_lo
                                        ; implicit-def: $sgpr17
	s_clause 0x3
	buffer_load_dword v1, v4, s[0:3], 0 offen
	buffer_load_dword v2, v4, s[0:3], 0 offen offset:4
	buffer_load_dword v3, v4, s[0:3], 0 offen offset:8
	;; [unrolled: 1-line block ×3, first 2 shown]
	s_waitcnt vmcnt(0)
	ds_write_b128 v24, v[1:4]
	s_waitcnt lgkmcnt(0)
	s_waitcnt_vscnt null, 0x0
	s_barrier
	buffer_gl0_inv
                                        ; implicit-def: $vgpr1_vgpr2
	v_cmpx_ne_u32_e32 8, v0
	s_cbranch_execz .LBB72_127
; %bb.120:
	ds_read_b128 v[1:4], v24
	v_cmp_ne_u32_e32 vcc_lo, 1, v25
	s_cbranch_vccnz .LBB72_122
; %bb.121:
	s_clause 0x3
	buffer_load_dword v24, v23, s[0:3], 0 offen offset:8
	buffer_load_dword v25, v23, s[0:3], 0 offen offset:12
	buffer_load_dword v26, v23, s[0:3], 0 offen
	buffer_load_dword v27, v23, s[0:3], 0 offen offset:4
	s_waitcnt vmcnt(2) lgkmcnt(0)
	v_mul_f64 v[30:31], v[3:4], v[24:25]
	v_mul_f64 v[23:24], v[1:2], v[24:25]
	s_waitcnt vmcnt(0)
	v_fma_f64 v[1:2], v[1:2], v[26:27], -v[30:31]
	v_fma_f64 v[3:4], v[3:4], v[26:27], v[23:24]
.LBB72_122:
	s_and_saveexec_b32 s15, s4
	s_cbranch_execz .LBB72_126
; %bb.123:
	v_add_nc_u32_e32 v23, 0xa0, v29
	v_add3_u32 v24, 0, v29, 16
	s_mov_b32 s4, 0
	.p2align	6
.LBB72_124:                             ; =>This Inner Loop Header: Depth=1
	s_clause 0x3
	buffer_load_dword v29, v24, s[0:3], 0 offen offset:8
	buffer_load_dword v30, v24, s[0:3], 0 offen offset:12
	buffer_load_dword v31, v24, s[0:3], 0 offen
	buffer_load_dword v32, v24, s[0:3], 0 offen offset:4
	ds_read_b128 v[25:28], v23
	v_add_nc_u32_e32 v0, 1, v0
	v_add_nc_u32_e32 v23, 16, v23
	;; [unrolled: 1-line block ×3, first 2 shown]
	v_cmp_lt_u32_e32 vcc_lo, 6, v0
	s_or_b32 s4, vcc_lo, s4
	s_waitcnt vmcnt(2) lgkmcnt(0)
	v_mul_f64 v[33:34], v[27:28], v[29:30]
	v_mul_f64 v[29:30], v[25:26], v[29:30]
	s_waitcnt vmcnt(0)
	v_fma_f64 v[25:26], v[25:26], v[31:32], -v[33:34]
	v_fma_f64 v[27:28], v[27:28], v[31:32], v[29:30]
	v_add_f64 v[1:2], v[1:2], v[25:26]
	v_add_f64 v[3:4], v[3:4], v[27:28]
	s_andn2_b32 exec_lo, exec_lo, s4
	s_cbranch_execnz .LBB72_124
; %bb.125:
	s_or_b32 exec_lo, exec_lo, s4
.LBB72_126:
	s_or_b32 exec_lo, exec_lo, s15
	v_mov_b32_e32 v0, 0
	s_movk_i32 s17, 0x88
	s_or_b32 s5, s5, exec_lo
	ds_read_b128 v[23:26], v0 offset:128
	s_waitcnt lgkmcnt(0)
	v_mul_f64 v[27:28], v[3:4], v[25:26]
	v_mul_f64 v[25:26], v[1:2], v[25:26]
	v_fma_f64 v[27:28], v[1:2], v[23:24], -v[27:28]
	v_fma_f64 v[1:2], v[3:4], v[23:24], v[25:26]
	buffer_store_dword v28, off, s[0:3], 0 offset:132
	buffer_store_dword v27, off, s[0:3], 0 offset:128
.LBB72_127:
	s_or_b32 exec_lo, exec_lo, s8
.LBB72_128:
	s_and_saveexec_b32 s4, s5
	s_cbranch_execz .LBB72_130
; %bb.129:
	v_mov_b32_e32 v0, s17
	buffer_store_dword v2, v0, s[0:3], 0 offen offset:4
	buffer_store_dword v1, v0, s[0:3], 0 offen
.LBB72_130:
	s_or_b32 exec_lo, exec_lo, s4
	s_clause 0x3
	buffer_load_dword v0, off, s[0:3], 0
	buffer_load_dword v1, off, s[0:3], 0 offset:4
	buffer_load_dword v2, off, s[0:3], 0 offset:8
	;; [unrolled: 1-line block ×3, first 2 shown]
	v_mov_b32_e32 v4, s14
	s_waitcnt vmcnt(0)
	flat_store_dwordx4 v[5:6], v[0:3]
	s_clause 0x3
	buffer_load_dword v0, v4, s[0:3], 0 offen
	buffer_load_dword v1, v4, s[0:3], 0 offen offset:4
	buffer_load_dword v2, v4, s[0:3], 0 offen offset:8
	buffer_load_dword v3, v4, s[0:3], 0 offen offset:12
	v_mov_b32_e32 v4, s13
	s_waitcnt vmcnt(0)
	flat_store_dwordx4 v[7:8], v[0:3]
	s_clause 0x3
	buffer_load_dword v0, v4, s[0:3], 0 offen
	buffer_load_dword v1, v4, s[0:3], 0 offen offset:4
	buffer_load_dword v2, v4, s[0:3], 0 offen offset:8
	buffer_load_dword v3, v4, s[0:3], 0 offen offset:12
	;; [unrolled: 8-line block ×8, first 2 shown]
	s_waitcnt vmcnt(0)
	flat_store_dwordx4 v[21:22], v[0:3]
.LBB72_131:
	s_endpgm
	.section	.rodata,"a",@progbits
	.p2align	6, 0x0
	.amdhsa_kernel _ZN9rocsolver6v33100L18trti2_kernel_smallILi9E19rocblas_complex_numIdEPKPS3_EEv13rocblas_fill_17rocblas_diagonal_T1_iil
		.amdhsa_group_segment_fixed_size 288
		.amdhsa_private_segment_fixed_size 160
		.amdhsa_kernarg_size 32
		.amdhsa_user_sgpr_count 6
		.amdhsa_user_sgpr_private_segment_buffer 1
		.amdhsa_user_sgpr_dispatch_ptr 0
		.amdhsa_user_sgpr_queue_ptr 0
		.amdhsa_user_sgpr_kernarg_segment_ptr 1
		.amdhsa_user_sgpr_dispatch_id 0
		.amdhsa_user_sgpr_flat_scratch_init 0
		.amdhsa_user_sgpr_private_segment_size 0
		.amdhsa_wavefront_size32 1
		.amdhsa_uses_dynamic_stack 0
		.amdhsa_system_sgpr_private_segment_wavefront_offset 1
		.amdhsa_system_sgpr_workgroup_id_x 1
		.amdhsa_system_sgpr_workgroup_id_y 0
		.amdhsa_system_sgpr_workgroup_id_z 0
		.amdhsa_system_sgpr_workgroup_info 0
		.amdhsa_system_vgpr_workitem_id 0
		.amdhsa_next_free_vgpr 40
		.amdhsa_next_free_sgpr 19
		.amdhsa_reserve_vcc 1
		.amdhsa_reserve_flat_scratch 0
		.amdhsa_float_round_mode_32 0
		.amdhsa_float_round_mode_16_64 0
		.amdhsa_float_denorm_mode_32 3
		.amdhsa_float_denorm_mode_16_64 3
		.amdhsa_dx10_clamp 1
		.amdhsa_ieee_mode 1
		.amdhsa_fp16_overflow 0
		.amdhsa_workgroup_processor_mode 1
		.amdhsa_memory_ordered 1
		.amdhsa_forward_progress 1
		.amdhsa_shared_vgpr_count 0
		.amdhsa_exception_fp_ieee_invalid_op 0
		.amdhsa_exception_fp_denorm_src 0
		.amdhsa_exception_fp_ieee_div_zero 0
		.amdhsa_exception_fp_ieee_overflow 0
		.amdhsa_exception_fp_ieee_underflow 0
		.amdhsa_exception_fp_ieee_inexact 0
		.amdhsa_exception_int_div_zero 0
	.end_amdhsa_kernel
	.section	.text._ZN9rocsolver6v33100L18trti2_kernel_smallILi9E19rocblas_complex_numIdEPKPS3_EEv13rocblas_fill_17rocblas_diagonal_T1_iil,"axG",@progbits,_ZN9rocsolver6v33100L18trti2_kernel_smallILi9E19rocblas_complex_numIdEPKPS3_EEv13rocblas_fill_17rocblas_diagonal_T1_iil,comdat
.Lfunc_end72:
	.size	_ZN9rocsolver6v33100L18trti2_kernel_smallILi9E19rocblas_complex_numIdEPKPS3_EEv13rocblas_fill_17rocblas_diagonal_T1_iil, .Lfunc_end72-_ZN9rocsolver6v33100L18trti2_kernel_smallILi9E19rocblas_complex_numIdEPKPS3_EEv13rocblas_fill_17rocblas_diagonal_T1_iil
                                        ; -- End function
	.set _ZN9rocsolver6v33100L18trti2_kernel_smallILi9E19rocblas_complex_numIdEPKPS3_EEv13rocblas_fill_17rocblas_diagonal_T1_iil.num_vgpr, 40
	.set _ZN9rocsolver6v33100L18trti2_kernel_smallILi9E19rocblas_complex_numIdEPKPS3_EEv13rocblas_fill_17rocblas_diagonal_T1_iil.num_agpr, 0
	.set _ZN9rocsolver6v33100L18trti2_kernel_smallILi9E19rocblas_complex_numIdEPKPS3_EEv13rocblas_fill_17rocblas_diagonal_T1_iil.numbered_sgpr, 19
	.set _ZN9rocsolver6v33100L18trti2_kernel_smallILi9E19rocblas_complex_numIdEPKPS3_EEv13rocblas_fill_17rocblas_diagonal_T1_iil.num_named_barrier, 0
	.set _ZN9rocsolver6v33100L18trti2_kernel_smallILi9E19rocblas_complex_numIdEPKPS3_EEv13rocblas_fill_17rocblas_diagonal_T1_iil.private_seg_size, 160
	.set _ZN9rocsolver6v33100L18trti2_kernel_smallILi9E19rocblas_complex_numIdEPKPS3_EEv13rocblas_fill_17rocblas_diagonal_T1_iil.uses_vcc, 1
	.set _ZN9rocsolver6v33100L18trti2_kernel_smallILi9E19rocblas_complex_numIdEPKPS3_EEv13rocblas_fill_17rocblas_diagonal_T1_iil.uses_flat_scratch, 0
	.set _ZN9rocsolver6v33100L18trti2_kernel_smallILi9E19rocblas_complex_numIdEPKPS3_EEv13rocblas_fill_17rocblas_diagonal_T1_iil.has_dyn_sized_stack, 0
	.set _ZN9rocsolver6v33100L18trti2_kernel_smallILi9E19rocblas_complex_numIdEPKPS3_EEv13rocblas_fill_17rocblas_diagonal_T1_iil.has_recursion, 0
	.set _ZN9rocsolver6v33100L18trti2_kernel_smallILi9E19rocblas_complex_numIdEPKPS3_EEv13rocblas_fill_17rocblas_diagonal_T1_iil.has_indirect_call, 0
	.section	.AMDGPU.csdata,"",@progbits
; Kernel info:
; codeLenInByte = 8648
; TotalNumSgprs: 21
; NumVgprs: 40
; ScratchSize: 160
; MemoryBound: 0
; FloatMode: 240
; IeeeMode: 1
; LDSByteSize: 288 bytes/workgroup (compile time only)
; SGPRBlocks: 0
; VGPRBlocks: 4
; NumSGPRsForWavesPerEU: 21
; NumVGPRsForWavesPerEU: 40
; Occupancy: 16
; WaveLimiterHint : 1
; COMPUTE_PGM_RSRC2:SCRATCH_EN: 1
; COMPUTE_PGM_RSRC2:USER_SGPR: 6
; COMPUTE_PGM_RSRC2:TRAP_HANDLER: 0
; COMPUTE_PGM_RSRC2:TGID_X_EN: 1
; COMPUTE_PGM_RSRC2:TGID_Y_EN: 0
; COMPUTE_PGM_RSRC2:TGID_Z_EN: 0
; COMPUTE_PGM_RSRC2:TIDIG_COMP_CNT: 0
	.section	.text._ZN9rocsolver6v33100L18trti2_kernel_smallILi10E19rocblas_complex_numIdEPKPS3_EEv13rocblas_fill_17rocblas_diagonal_T1_iil,"axG",@progbits,_ZN9rocsolver6v33100L18trti2_kernel_smallILi10E19rocblas_complex_numIdEPKPS3_EEv13rocblas_fill_17rocblas_diagonal_T1_iil,comdat
	.globl	_ZN9rocsolver6v33100L18trti2_kernel_smallILi10E19rocblas_complex_numIdEPKPS3_EEv13rocblas_fill_17rocblas_diagonal_T1_iil ; -- Begin function _ZN9rocsolver6v33100L18trti2_kernel_smallILi10E19rocblas_complex_numIdEPKPS3_EEv13rocblas_fill_17rocblas_diagonal_T1_iil
	.p2align	8
	.type	_ZN9rocsolver6v33100L18trti2_kernel_smallILi10E19rocblas_complex_numIdEPKPS3_EEv13rocblas_fill_17rocblas_diagonal_T1_iil,@function
_ZN9rocsolver6v33100L18trti2_kernel_smallILi10E19rocblas_complex_numIdEPKPS3_EEv13rocblas_fill_17rocblas_diagonal_T1_iil: ; @_ZN9rocsolver6v33100L18trti2_kernel_smallILi10E19rocblas_complex_numIdEPKPS3_EEv13rocblas_fill_17rocblas_diagonal_T1_iil
; %bb.0:
	s_add_u32 s0, s0, s7
	s_addc_u32 s1, s1, 0
	s_mov_b32 s7, exec_lo
	v_cmpx_gt_u32_e32 10, v0
	s_cbranch_execz .LBB73_147
; %bb.1:
	s_clause 0x1
	s_load_dwordx2 s[12:13], s[4:5], 0x10
	s_load_dwordx4 s[8:11], s[4:5], 0x0
	s_ashr_i32 s7, s6, 31
	v_lshlrev_b32_e32 v31, 4, v0
	s_lshl_b64 s[4:5], s[6:7], 3
	s_movk_i32 s18, 0x90
	s_waitcnt lgkmcnt(0)
	s_ashr_i32 s7, s12, 31
	s_add_u32 s4, s10, s4
	s_addc_u32 s5, s11, s5
	s_mov_b32 s6, s12
	s_load_dwordx2 s[4:5], s[4:5], 0x0
	s_lshl_b64 s[6:7], s[6:7], 4
	v_add3_u32 v11, s13, s13, v0
	v_ashrrev_i32_e32 v12, 31, v11
	v_add_nc_u32_e32 v13, s13, v11
	v_lshlrev_b64 v[9:10], 4, v[11:12]
	v_ashrrev_i32_e32 v14, 31, v13
	v_add_nc_u32_e32 v15, s13, v13
	v_lshlrev_b64 v[11:12], 4, v[13:14]
	v_ashrrev_i32_e32 v16, 31, v15
	s_waitcnt lgkmcnt(0)
	s_add_u32 s6, s4, s6
	s_addc_u32 s7, s5, s7
	v_add_co_u32 v5, s4, s6, v31
	v_add_co_ci_u32_e64 v6, null, s7, 0, s4
	s_mov_b32 s4, s13
	s_ashr_i32 s5, s13, 31
	v_lshlrev_b64 v[13:14], 4, v[15:16]
	flat_load_dwordx4 v[1:4], v[5:6]
	s_lshl_b64 s[4:5], s[4:5], 4
	v_add_nc_u32_e32 v17, s13, v15
	v_add_co_u32 v7, vcc_lo, v5, s4
	v_add_co_ci_u32_e64 v8, null, s5, v6, vcc_lo
	v_add_co_u32 v9, vcc_lo, s6, v9
	v_add_co_ci_u32_e64 v10, null, s7, v10, vcc_lo
	;; [unrolled: 2-line block ×4, first 2 shown]
	v_ashrrev_i32_e32 v18, 31, v17
	v_add_nc_u32_e32 v19, s13, v17
	s_cmpk_lg_i32 s9, 0x84
	s_movk_i32 s4, 0x50
	s_movk_i32 s5, 0x60
	v_lshlrev_b64 v[15:16], 4, v[17:18]
	v_ashrrev_i32_e32 v20, 31, v19
	v_add_nc_u32_e32 v21, s13, v19
	s_cselect_b32 s17, -1, 0
	s_cmpk_eq_i32 s9, 0x84
	s_waitcnt vmcnt(0) lgkmcnt(0)
	buffer_store_dword v4, off, s[0:3], 0 offset:12
	buffer_store_dword v3, off, s[0:3], 0 offset:8
	;; [unrolled: 1-line block ×3, first 2 shown]
	buffer_store_dword v1, off, s[0:3], 0
	flat_load_dwordx4 v[1:4], v[7:8]
	v_add_co_u32 v15, vcc_lo, s6, v15
	v_add_co_ci_u32_e64 v16, null, s7, v16, vcc_lo
	v_lshlrev_b64 v[17:18], 4, v[19:20]
	v_ashrrev_i32_e32 v22, 31, v21
	v_add_nc_u32_e32 v23, s13, v21
	s_waitcnt vmcnt(0) lgkmcnt(0)
	buffer_store_dword v4, off, s[0:3], 0 offset:28
	buffer_store_dword v3, off, s[0:3], 0 offset:24
	;; [unrolled: 1-line block ×4, first 2 shown]
	flat_load_dwordx4 v[1:4], v[9:10]
	v_add_co_u32 v17, vcc_lo, s6, v17
	v_add_co_ci_u32_e64 v18, null, s7, v18, vcc_lo
	v_lshlrev_b64 v[19:20], 4, v[21:22]
	v_ashrrev_i32_e32 v24, 31, v23
	s_waitcnt vmcnt(0) lgkmcnt(0)
	buffer_store_dword v4, off, s[0:3], 0 offset:44
	buffer_store_dword v3, off, s[0:3], 0 offset:40
	;; [unrolled: 1-line block ×4, first 2 shown]
	flat_load_dwordx4 v[1:4], v[11:12]
	v_add_co_u32 v19, vcc_lo, s6, v19
	v_add_co_ci_u32_e64 v20, null, s7, v20, vcc_lo
	v_lshlrev_b64 v[21:22], 4, v[23:24]
	v_add_nc_u32_e32 v23, s13, v23
	s_waitcnt vmcnt(0) lgkmcnt(0)
	buffer_store_dword v4, off, s[0:3], 0 offset:60
	buffer_store_dword v3, off, s[0:3], 0 offset:56
	;; [unrolled: 1-line block ×4, first 2 shown]
	flat_load_dwordx4 v[1:4], v[13:14]
	v_add_co_u32 v21, vcc_lo, s6, v21
	v_add_co_ci_u32_e64 v22, null, s7, v22, vcc_lo
	v_ashrrev_i32_e32 v24, 31, v23
	s_waitcnt vmcnt(0) lgkmcnt(0)
	buffer_store_dword v4, off, s[0:3], 0 offset:76
	buffer_store_dword v3, off, s[0:3], 0 offset:72
	;; [unrolled: 1-line block ×4, first 2 shown]
	flat_load_dwordx4 v[1:4], v[15:16]
	v_lshlrev_b64 v[23:24], 4, v[23:24]
	s_waitcnt vmcnt(0) lgkmcnt(0)
	buffer_store_dword v4, off, s[0:3], 0 offset:92
	buffer_store_dword v3, off, s[0:3], 0 offset:88
	;; [unrolled: 1-line block ×4, first 2 shown]
	flat_load_dwordx4 v[1:4], v[17:18]
	v_add_co_u32 v23, vcc_lo, s6, v23
	v_add_co_ci_u32_e64 v24, null, s7, v24, vcc_lo
	s_movk_i32 s6, 0x70
	s_movk_i32 s7, 0x80
	s_waitcnt vmcnt(0) lgkmcnt(0)
	buffer_store_dword v4, off, s[0:3], 0 offset:108
	buffer_store_dword v3, off, s[0:3], 0 offset:104
	buffer_store_dword v2, off, s[0:3], 0 offset:100
	buffer_store_dword v1, off, s[0:3], 0 offset:96
	flat_load_dwordx4 v[1:4], v[19:20]
	s_waitcnt vmcnt(0) lgkmcnt(0)
	buffer_store_dword v4, off, s[0:3], 0 offset:124
	buffer_store_dword v3, off, s[0:3], 0 offset:120
	buffer_store_dword v2, off, s[0:3], 0 offset:116
	buffer_store_dword v1, off, s[0:3], 0 offset:112
	flat_load_dwordx4 v[1:4], v[21:22]
	;; [unrolled: 6-line block ×3, first 2 shown]
	s_waitcnt vmcnt(0) lgkmcnt(0)
	buffer_store_dword v4, off, s[0:3], 0 offset:156
	buffer_store_dword v3, off, s[0:3], 0 offset:152
	;; [unrolled: 1-line block ×4, first 2 shown]
	s_cbranch_scc1 .LBB73_7
; %bb.2:
	v_lshl_add_u32 v32, v0, 4, 0
                                        ; implicit-def: $vgpr27_vgpr28
                                        ; implicit-def: $vgpr3_vgpr4
	s_clause 0x3
	buffer_load_dword v25, v32, s[0:3], 0 offen
	buffer_load_dword v26, v32, s[0:3], 0 offen offset:4
	buffer_load_dword v29, v32, s[0:3], 0 offen offset:8
	;; [unrolled: 1-line block ×3, first 2 shown]
	s_waitcnt vmcnt(0)
	v_cmp_ngt_f64_e64 s9, |v[25:26]|, |v[29:30]|
	s_and_saveexec_b32 s10, s9
	s_xor_b32 s9, exec_lo, s10
	s_cbranch_execz .LBB73_4
; %bb.3:
	v_div_scale_f64 v[1:2], null, v[29:30], v[29:30], v[25:26]
	v_div_scale_f64 v[33:34], vcc_lo, v[25:26], v[29:30], v[25:26]
	v_rcp_f64_e32 v[3:4], v[1:2]
	v_fma_f64 v[27:28], -v[1:2], v[3:4], 1.0
	v_fma_f64 v[3:4], v[3:4], v[27:28], v[3:4]
	v_fma_f64 v[27:28], -v[1:2], v[3:4], 1.0
	v_fma_f64 v[3:4], v[3:4], v[27:28], v[3:4]
	v_mul_f64 v[27:28], v[33:34], v[3:4]
	v_fma_f64 v[1:2], -v[1:2], v[27:28], v[33:34]
	v_div_fmas_f64 v[1:2], v[1:2], v[3:4], v[27:28]
	v_div_fixup_f64 v[1:2], v[1:2], v[29:30], v[25:26]
	v_fma_f64 v[3:4], v[25:26], v[1:2], v[29:30]
	v_div_scale_f64 v[25:26], null, v[3:4], v[3:4], 1.0
	v_div_scale_f64 v[33:34], vcc_lo, 1.0, v[3:4], 1.0
	v_rcp_f64_e32 v[27:28], v[25:26]
	v_fma_f64 v[29:30], -v[25:26], v[27:28], 1.0
	v_fma_f64 v[27:28], v[27:28], v[29:30], v[27:28]
	v_fma_f64 v[29:30], -v[25:26], v[27:28], 1.0
	v_fma_f64 v[27:28], v[27:28], v[29:30], v[27:28]
	v_mul_f64 v[29:30], v[33:34], v[27:28]
	v_fma_f64 v[25:26], -v[25:26], v[29:30], v[33:34]
	v_div_fmas_f64 v[25:26], v[25:26], v[27:28], v[29:30]
                                        ; implicit-def: $vgpr29_vgpr30
	v_div_fixup_f64 v[3:4], v[25:26], v[3:4], 1.0
                                        ; implicit-def: $vgpr25_vgpr26
	v_mul_f64 v[27:28], v[1:2], v[3:4]
	v_xor_b32_e32 v4, 0x80000000, v4
	v_xor_b32_e32 v2, 0x80000000, v28
	v_mov_b32_e32 v1, v27
.LBB73_4:
	s_andn2_saveexec_b32 s9, s9
	s_cbranch_execz .LBB73_6
; %bb.5:
	v_div_scale_f64 v[1:2], null, v[25:26], v[25:26], v[29:30]
	v_div_scale_f64 v[33:34], vcc_lo, v[29:30], v[25:26], v[29:30]
	v_rcp_f64_e32 v[3:4], v[1:2]
	v_fma_f64 v[27:28], -v[1:2], v[3:4], 1.0
	v_fma_f64 v[3:4], v[3:4], v[27:28], v[3:4]
	v_fma_f64 v[27:28], -v[1:2], v[3:4], 1.0
	v_fma_f64 v[3:4], v[3:4], v[27:28], v[3:4]
	v_mul_f64 v[27:28], v[33:34], v[3:4]
	v_fma_f64 v[1:2], -v[1:2], v[27:28], v[33:34]
	v_div_fmas_f64 v[1:2], v[1:2], v[3:4], v[27:28]
	v_div_fixup_f64 v[1:2], v[1:2], v[25:26], v[29:30]
	v_fma_f64 v[3:4], v[29:30], v[1:2], v[25:26]
	v_div_scale_f64 v[25:26], null, v[3:4], v[3:4], 1.0
	v_rcp_f64_e32 v[27:28], v[25:26]
	v_fma_f64 v[29:30], -v[25:26], v[27:28], 1.0
	v_fma_f64 v[27:28], v[27:28], v[29:30], v[27:28]
	v_fma_f64 v[29:30], -v[25:26], v[27:28], 1.0
	v_fma_f64 v[27:28], v[27:28], v[29:30], v[27:28]
	v_div_scale_f64 v[29:30], vcc_lo, 1.0, v[3:4], 1.0
	v_mul_f64 v[33:34], v[29:30], v[27:28]
	v_fma_f64 v[25:26], -v[25:26], v[33:34], v[29:30]
	v_div_fmas_f64 v[25:26], v[25:26], v[27:28], v[33:34]
	v_div_fixup_f64 v[27:28], v[25:26], v[3:4], 1.0
	v_mul_f64 v[3:4], v[1:2], -v[27:28]
	v_xor_b32_e32 v2, 0x80000000, v28
	v_mov_b32_e32 v1, v27
.LBB73_6:
	s_or_b32 exec_lo, exec_lo, s9
	buffer_store_dword v4, v32, s[0:3], 0 offen offset:12
	v_xor_b32_e32 v4, 0x80000000, v4
	buffer_store_dword v28, v32, s[0:3], 0 offen offset:4
	buffer_store_dword v27, v32, s[0:3], 0 offen
	buffer_store_dword v3, v32, s[0:3], 0 offen offset:8
	s_branch .LBB73_8
.LBB73_7:
	v_mov_b32_e32 v1, 0
	v_mov_b32_e32 v3, 0
	;; [unrolled: 1-line block ×4, first 2 shown]
.LBB73_8:
	v_add_nc_u32_e32 v26, 0xa0, v31
	v_mov_b32_e32 v25, v31
	s_mov_b32 s16, 16
	s_mov_b32 s15, 32
	;; [unrolled: 1-line block ×9, first 2 shown]
	s_cmpk_eq_i32 s8, 0x79
	ds_write_b128 v31, v[1:4]
	s_cbranch_scc1 .LBB73_76
; %bb.9:
	v_mov_b32_e32 v4, s9
	v_cmp_eq_u32_e64 s4, 9, v0
	s_clause 0x3
	buffer_load_dword v1, v4, s[0:3], 0 offen
	buffer_load_dword v2, v4, s[0:3], 0 offen offset:4
	buffer_load_dword v3, v4, s[0:3], 0 offen offset:8
	;; [unrolled: 1-line block ×3, first 2 shown]
	s_waitcnt vmcnt(0)
	ds_write_b128 v26, v[1:4]
	s_waitcnt lgkmcnt(0)
	s_waitcnt_vscnt null, 0x0
	s_barrier
	buffer_gl0_inv
	s_and_saveexec_b32 s5, s4
	s_cbranch_execz .LBB73_13
; %bb.10:
	ds_read_b128 v[1:4], v26
	s_andn2_b32 vcc_lo, exec_lo, s17
	s_cbranch_vccnz .LBB73_12
; %bb.11:
	s_clause 0x3
	buffer_load_dword v27, v25, s[0:3], 0 offen offset:8
	buffer_load_dword v28, v25, s[0:3], 0 offen offset:12
	buffer_load_dword v29, v25, s[0:3], 0 offen
	buffer_load_dword v30, v25, s[0:3], 0 offen offset:4
	s_waitcnt vmcnt(2) lgkmcnt(0)
	v_mul_f64 v[32:33], v[3:4], v[27:28]
	v_mul_f64 v[27:28], v[1:2], v[27:28]
	s_waitcnt vmcnt(0)
	v_fma_f64 v[1:2], v[1:2], v[29:30], -v[32:33]
	v_fma_f64 v[3:4], v[3:4], v[29:30], v[27:28]
.LBB73_12:
	v_mov_b32_e32 v27, 0
	ds_read_b128 v[27:30], v27 offset:128
	s_waitcnt lgkmcnt(0)
	v_mul_f64 v[32:33], v[3:4], v[29:30]
	v_mul_f64 v[29:30], v[1:2], v[29:30]
	v_fma_f64 v[1:2], v[1:2], v[27:28], -v[32:33]
	v_fma_f64 v[3:4], v[3:4], v[27:28], v[29:30]
	buffer_store_dword v2, off, s[0:3], 0 offset:132
	buffer_store_dword v1, off, s[0:3], 0 offset:128
	;; [unrolled: 1-line block ×4, first 2 shown]
.LBB73_13:
	s_or_b32 exec_lo, exec_lo, s5
	v_mov_b32_e32 v4, s10
	v_cmp_lt_u32_e64 s5, 7, v0
	s_clause 0x3
	buffer_load_dword v1, v4, s[0:3], 0 offen
	buffer_load_dword v2, v4, s[0:3], 0 offen offset:4
	buffer_load_dword v3, v4, s[0:3], 0 offen offset:8
	;; [unrolled: 1-line block ×3, first 2 shown]
	s_waitcnt vmcnt(0)
	ds_write_b128 v26, v[1:4]
	s_waitcnt lgkmcnt(0)
	s_waitcnt_vscnt null, 0x0
	s_barrier
	buffer_gl0_inv
	s_and_saveexec_b32 s6, s5
	s_cbranch_execz .LBB73_19
; %bb.14:
	ds_read_b128 v[1:4], v26
	s_andn2_b32 vcc_lo, exec_lo, s17
	s_cbranch_vccnz .LBB73_16
; %bb.15:
	s_clause 0x3
	buffer_load_dword v27, v25, s[0:3], 0 offen offset:8
	buffer_load_dword v28, v25, s[0:3], 0 offen offset:12
	buffer_load_dword v29, v25, s[0:3], 0 offen
	buffer_load_dword v30, v25, s[0:3], 0 offen offset:4
	s_waitcnt vmcnt(2) lgkmcnt(0)
	v_mul_f64 v[32:33], v[3:4], v[27:28]
	v_mul_f64 v[27:28], v[1:2], v[27:28]
	s_waitcnt vmcnt(0)
	v_fma_f64 v[1:2], v[1:2], v[29:30], -v[32:33]
	v_fma_f64 v[3:4], v[3:4], v[29:30], v[27:28]
.LBB73_16:
	s_and_saveexec_b32 s8, s4
	s_cbranch_execz .LBB73_18
; %bb.17:
	s_clause 0x3
	buffer_load_dword v32, off, s[0:3], 0 offset:136
	buffer_load_dword v33, off, s[0:3], 0 offset:140
	;; [unrolled: 1-line block ×4, first 2 shown]
	v_mov_b32_e32 v27, 0
	ds_read_b128 v[27:30], v27 offset:288
	s_waitcnt vmcnt(2) lgkmcnt(0)
	v_mul_f64 v[36:37], v[27:28], v[32:33]
	v_mul_f64 v[32:33], v[29:30], v[32:33]
	s_waitcnt vmcnt(0)
	v_fma_f64 v[29:30], v[29:30], v[34:35], v[36:37]
	v_fma_f64 v[27:28], v[27:28], v[34:35], -v[32:33]
	v_add_f64 v[3:4], v[3:4], v[29:30]
	v_add_f64 v[1:2], v[1:2], v[27:28]
.LBB73_18:
	s_or_b32 exec_lo, exec_lo, s8
	v_mov_b32_e32 v27, 0
	ds_read_b128 v[27:30], v27 offset:112
	s_waitcnt lgkmcnt(0)
	v_mul_f64 v[32:33], v[3:4], v[29:30]
	v_mul_f64 v[29:30], v[1:2], v[29:30]
	v_fma_f64 v[1:2], v[1:2], v[27:28], -v[32:33]
	v_fma_f64 v[3:4], v[3:4], v[27:28], v[29:30]
	buffer_store_dword v2, off, s[0:3], 0 offset:116
	buffer_store_dword v1, off, s[0:3], 0 offset:112
	;; [unrolled: 1-line block ×4, first 2 shown]
.LBB73_19:
	s_or_b32 exec_lo, exec_lo, s6
	v_mov_b32_e32 v4, s11
	v_cmp_lt_u32_e64 s4, 6, v0
	s_clause 0x3
	buffer_load_dword v1, v4, s[0:3], 0 offen
	buffer_load_dword v2, v4, s[0:3], 0 offen offset:4
	buffer_load_dword v3, v4, s[0:3], 0 offen offset:8
	;; [unrolled: 1-line block ×3, first 2 shown]
	s_waitcnt vmcnt(0)
	ds_write_b128 v26, v[1:4]
	s_waitcnt lgkmcnt(0)
	s_waitcnt_vscnt null, 0x0
	s_barrier
	buffer_gl0_inv
	s_and_saveexec_b32 s6, s4
	s_cbranch_execz .LBB73_27
; %bb.20:
	ds_read_b128 v[1:4], v26
	s_andn2_b32 vcc_lo, exec_lo, s17
	s_cbranch_vccnz .LBB73_22
; %bb.21:
	s_clause 0x3
	buffer_load_dword v27, v25, s[0:3], 0 offen offset:8
	buffer_load_dword v28, v25, s[0:3], 0 offen offset:12
	buffer_load_dword v29, v25, s[0:3], 0 offen
	buffer_load_dword v30, v25, s[0:3], 0 offen offset:4
	s_waitcnt vmcnt(2) lgkmcnt(0)
	v_mul_f64 v[32:33], v[3:4], v[27:28]
	v_mul_f64 v[27:28], v[1:2], v[27:28]
	s_waitcnt vmcnt(0)
	v_fma_f64 v[1:2], v[1:2], v[29:30], -v[32:33]
	v_fma_f64 v[3:4], v[3:4], v[29:30], v[27:28]
.LBB73_22:
	s_and_saveexec_b32 s8, s5
	s_cbranch_execz .LBB73_26
; %bb.23:
	v_add_nc_u32_e32 v27, -7, v0
	s_movk_i32 s18, 0x110
	s_mov_b32 s5, 0
	s_mov_b32 s19, s10
	.p2align	6
.LBB73_24:                              ; =>This Inner Loop Header: Depth=1
	v_mov_b32_e32 v30, s19
	v_add_nc_u32_e32 v27, -1, v27
	s_add_i32 s19, s19, 16
	s_clause 0x3
	buffer_load_dword v28, v30, s[0:3], 0 offen offset:8
	buffer_load_dword v29, v30, s[0:3], 0 offen offset:12
	buffer_load_dword v36, v30, s[0:3], 0 offen
	buffer_load_dword v37, v30, s[0:3], 0 offen offset:4
	v_mov_b32_e32 v30, s18
	v_cmp_eq_u32_e32 vcc_lo, 0, v27
	s_add_i32 s18, s18, 16
	ds_read_b128 v[32:35], v30
	s_or_b32 s5, vcc_lo, s5
	s_waitcnt vmcnt(2) lgkmcnt(0)
	v_mul_f64 v[38:39], v[34:35], v[28:29]
	v_mul_f64 v[28:29], v[32:33], v[28:29]
	s_waitcnt vmcnt(0)
	v_fma_f64 v[32:33], v[32:33], v[36:37], -v[38:39]
	v_fma_f64 v[28:29], v[34:35], v[36:37], v[28:29]
	v_add_f64 v[1:2], v[1:2], v[32:33]
	v_add_f64 v[3:4], v[3:4], v[28:29]
	s_andn2_b32 exec_lo, exec_lo, s5
	s_cbranch_execnz .LBB73_24
; %bb.25:
	s_or_b32 exec_lo, exec_lo, s5
.LBB73_26:
	s_or_b32 exec_lo, exec_lo, s8
	v_mov_b32_e32 v27, 0
	ds_read_b128 v[27:30], v27 offset:96
	s_waitcnt lgkmcnt(0)
	v_mul_f64 v[32:33], v[3:4], v[29:30]
	v_mul_f64 v[29:30], v[1:2], v[29:30]
	v_fma_f64 v[1:2], v[1:2], v[27:28], -v[32:33]
	v_fma_f64 v[3:4], v[3:4], v[27:28], v[29:30]
	buffer_store_dword v2, off, s[0:3], 0 offset:100
	buffer_store_dword v1, off, s[0:3], 0 offset:96
	;; [unrolled: 1-line block ×4, first 2 shown]
.LBB73_27:
	s_or_b32 exec_lo, exec_lo, s6
	v_mov_b32_e32 v4, s12
	v_cmp_lt_u32_e64 s5, 5, v0
	s_clause 0x3
	buffer_load_dword v1, v4, s[0:3], 0 offen
	buffer_load_dword v2, v4, s[0:3], 0 offen offset:4
	buffer_load_dword v3, v4, s[0:3], 0 offen offset:8
	;; [unrolled: 1-line block ×3, first 2 shown]
	s_waitcnt vmcnt(0)
	ds_write_b128 v26, v[1:4]
	s_waitcnt lgkmcnt(0)
	s_waitcnt_vscnt null, 0x0
	s_barrier
	buffer_gl0_inv
	s_and_saveexec_b32 s6, s5
	s_cbranch_execz .LBB73_35
; %bb.28:
	ds_read_b128 v[1:4], v26
	s_andn2_b32 vcc_lo, exec_lo, s17
	s_cbranch_vccnz .LBB73_30
; %bb.29:
	s_clause 0x3
	buffer_load_dword v27, v25, s[0:3], 0 offen offset:8
	buffer_load_dword v28, v25, s[0:3], 0 offen offset:12
	buffer_load_dword v29, v25, s[0:3], 0 offen
	buffer_load_dword v30, v25, s[0:3], 0 offen offset:4
	s_waitcnt vmcnt(2) lgkmcnt(0)
	v_mul_f64 v[32:33], v[3:4], v[27:28]
	v_mul_f64 v[27:28], v[1:2], v[27:28]
	s_waitcnt vmcnt(0)
	v_fma_f64 v[1:2], v[1:2], v[29:30], -v[32:33]
	v_fma_f64 v[3:4], v[3:4], v[29:30], v[27:28]
.LBB73_30:
	s_and_saveexec_b32 s8, s4
	s_cbranch_execz .LBB73_34
; %bb.31:
	v_add_nc_u32_e32 v27, -6, v0
	s_movk_i32 s18, 0x100
	s_mov_b32 s4, 0
	s_mov_b32 s19, s11
	.p2align	6
.LBB73_32:                              ; =>This Inner Loop Header: Depth=1
	v_mov_b32_e32 v30, s19
	v_add_nc_u32_e32 v27, -1, v27
	s_add_i32 s19, s19, 16
	s_clause 0x3
	buffer_load_dword v28, v30, s[0:3], 0 offen offset:8
	buffer_load_dword v29, v30, s[0:3], 0 offen offset:12
	buffer_load_dword v36, v30, s[0:3], 0 offen
	buffer_load_dword v37, v30, s[0:3], 0 offen offset:4
	v_mov_b32_e32 v30, s18
	v_cmp_eq_u32_e32 vcc_lo, 0, v27
	s_add_i32 s18, s18, 16
	ds_read_b128 v[32:35], v30
	s_or_b32 s4, vcc_lo, s4
	s_waitcnt vmcnt(2) lgkmcnt(0)
	v_mul_f64 v[38:39], v[34:35], v[28:29]
	v_mul_f64 v[28:29], v[32:33], v[28:29]
	s_waitcnt vmcnt(0)
	v_fma_f64 v[32:33], v[32:33], v[36:37], -v[38:39]
	v_fma_f64 v[28:29], v[34:35], v[36:37], v[28:29]
	v_add_f64 v[1:2], v[1:2], v[32:33]
	v_add_f64 v[3:4], v[3:4], v[28:29]
	s_andn2_b32 exec_lo, exec_lo, s4
	s_cbranch_execnz .LBB73_32
; %bb.33:
	s_or_b32 exec_lo, exec_lo, s4
.LBB73_34:
	s_or_b32 exec_lo, exec_lo, s8
	v_mov_b32_e32 v27, 0
	ds_read_b128 v[27:30], v27 offset:80
	s_waitcnt lgkmcnt(0)
	v_mul_f64 v[32:33], v[3:4], v[29:30]
	v_mul_f64 v[29:30], v[1:2], v[29:30]
	v_fma_f64 v[1:2], v[1:2], v[27:28], -v[32:33]
	v_fma_f64 v[3:4], v[3:4], v[27:28], v[29:30]
	buffer_store_dword v2, off, s[0:3], 0 offset:84
	buffer_store_dword v1, off, s[0:3], 0 offset:80
	;; [unrolled: 1-line block ×4, first 2 shown]
.LBB73_35:
	s_or_b32 exec_lo, exec_lo, s6
	v_mov_b32_e32 v4, s13
	v_cmp_lt_u32_e64 s4, 4, v0
	s_clause 0x3
	buffer_load_dword v1, v4, s[0:3], 0 offen
	buffer_load_dword v2, v4, s[0:3], 0 offen offset:4
	buffer_load_dword v3, v4, s[0:3], 0 offen offset:8
	;; [unrolled: 1-line block ×3, first 2 shown]
	s_waitcnt vmcnt(0)
	ds_write_b128 v26, v[1:4]
	s_waitcnt lgkmcnt(0)
	s_waitcnt_vscnt null, 0x0
	s_barrier
	buffer_gl0_inv
	s_and_saveexec_b32 s6, s4
	s_cbranch_execz .LBB73_43
; %bb.36:
	ds_read_b128 v[1:4], v26
	s_andn2_b32 vcc_lo, exec_lo, s17
	s_cbranch_vccnz .LBB73_38
; %bb.37:
	s_clause 0x3
	buffer_load_dword v27, v25, s[0:3], 0 offen offset:8
	buffer_load_dword v28, v25, s[0:3], 0 offen offset:12
	buffer_load_dword v29, v25, s[0:3], 0 offen
	buffer_load_dword v30, v25, s[0:3], 0 offen offset:4
	s_waitcnt vmcnt(2) lgkmcnt(0)
	v_mul_f64 v[32:33], v[3:4], v[27:28]
	v_mul_f64 v[27:28], v[1:2], v[27:28]
	s_waitcnt vmcnt(0)
	v_fma_f64 v[1:2], v[1:2], v[29:30], -v[32:33]
	v_fma_f64 v[3:4], v[3:4], v[29:30], v[27:28]
.LBB73_38:
	s_and_saveexec_b32 s8, s5
	s_cbranch_execz .LBB73_42
; %bb.39:
	v_add_nc_u32_e32 v27, -5, v0
	s_movk_i32 s18, 0xf0
	s_mov_b32 s5, 0
	s_mov_b32 s19, s12
	.p2align	6
.LBB73_40:                              ; =>This Inner Loop Header: Depth=1
	v_mov_b32_e32 v30, s19
	v_add_nc_u32_e32 v27, -1, v27
	s_add_i32 s19, s19, 16
	s_clause 0x3
	buffer_load_dword v28, v30, s[0:3], 0 offen offset:8
	buffer_load_dword v29, v30, s[0:3], 0 offen offset:12
	buffer_load_dword v36, v30, s[0:3], 0 offen
	buffer_load_dword v37, v30, s[0:3], 0 offen offset:4
	v_mov_b32_e32 v30, s18
	v_cmp_eq_u32_e32 vcc_lo, 0, v27
	s_add_i32 s18, s18, 16
	ds_read_b128 v[32:35], v30
	s_or_b32 s5, vcc_lo, s5
	s_waitcnt vmcnt(2) lgkmcnt(0)
	v_mul_f64 v[38:39], v[34:35], v[28:29]
	v_mul_f64 v[28:29], v[32:33], v[28:29]
	s_waitcnt vmcnt(0)
	v_fma_f64 v[32:33], v[32:33], v[36:37], -v[38:39]
	v_fma_f64 v[28:29], v[34:35], v[36:37], v[28:29]
	v_add_f64 v[1:2], v[1:2], v[32:33]
	v_add_f64 v[3:4], v[3:4], v[28:29]
	s_andn2_b32 exec_lo, exec_lo, s5
	s_cbranch_execnz .LBB73_40
; %bb.41:
	s_or_b32 exec_lo, exec_lo, s5
.LBB73_42:
	s_or_b32 exec_lo, exec_lo, s8
	v_mov_b32_e32 v27, 0
	ds_read_b128 v[27:30], v27 offset:64
	s_waitcnt lgkmcnt(0)
	v_mul_f64 v[32:33], v[3:4], v[29:30]
	v_mul_f64 v[29:30], v[1:2], v[29:30]
	v_fma_f64 v[1:2], v[1:2], v[27:28], -v[32:33]
	v_fma_f64 v[3:4], v[3:4], v[27:28], v[29:30]
	buffer_store_dword v2, off, s[0:3], 0 offset:68
	buffer_store_dword v1, off, s[0:3], 0 offset:64
	buffer_store_dword v4, off, s[0:3], 0 offset:76
	buffer_store_dword v3, off, s[0:3], 0 offset:72
.LBB73_43:
	s_or_b32 exec_lo, exec_lo, s6
	v_mov_b32_e32 v4, s14
	v_cmp_lt_u32_e64 s5, 3, v0
	s_clause 0x3
	buffer_load_dword v1, v4, s[0:3], 0 offen
	buffer_load_dword v2, v4, s[0:3], 0 offen offset:4
	buffer_load_dword v3, v4, s[0:3], 0 offen offset:8
	;; [unrolled: 1-line block ×3, first 2 shown]
	s_waitcnt vmcnt(0)
	ds_write_b128 v26, v[1:4]
	s_waitcnt lgkmcnt(0)
	s_waitcnt_vscnt null, 0x0
	s_barrier
	buffer_gl0_inv
	s_and_saveexec_b32 s6, s5
	s_cbranch_execz .LBB73_51
; %bb.44:
	ds_read_b128 v[1:4], v26
	s_andn2_b32 vcc_lo, exec_lo, s17
	s_cbranch_vccnz .LBB73_46
; %bb.45:
	s_clause 0x3
	buffer_load_dword v27, v25, s[0:3], 0 offen offset:8
	buffer_load_dword v28, v25, s[0:3], 0 offen offset:12
	buffer_load_dword v29, v25, s[0:3], 0 offen
	buffer_load_dword v30, v25, s[0:3], 0 offen offset:4
	s_waitcnt vmcnt(2) lgkmcnt(0)
	v_mul_f64 v[32:33], v[3:4], v[27:28]
	v_mul_f64 v[27:28], v[1:2], v[27:28]
	s_waitcnt vmcnt(0)
	v_fma_f64 v[1:2], v[1:2], v[29:30], -v[32:33]
	v_fma_f64 v[3:4], v[3:4], v[29:30], v[27:28]
.LBB73_46:
	s_and_saveexec_b32 s8, s4
	s_cbranch_execz .LBB73_50
; %bb.47:
	v_add_nc_u32_e32 v27, -4, v0
	s_movk_i32 s18, 0xe0
	s_mov_b32 s4, 0
	s_mov_b32 s19, s13
	.p2align	6
.LBB73_48:                              ; =>This Inner Loop Header: Depth=1
	v_mov_b32_e32 v30, s19
	v_add_nc_u32_e32 v27, -1, v27
	s_add_i32 s19, s19, 16
	s_clause 0x3
	buffer_load_dword v28, v30, s[0:3], 0 offen offset:8
	buffer_load_dword v29, v30, s[0:3], 0 offen offset:12
	buffer_load_dword v36, v30, s[0:3], 0 offen
	buffer_load_dword v37, v30, s[0:3], 0 offen offset:4
	v_mov_b32_e32 v30, s18
	v_cmp_eq_u32_e32 vcc_lo, 0, v27
	s_add_i32 s18, s18, 16
	ds_read_b128 v[32:35], v30
	s_or_b32 s4, vcc_lo, s4
	s_waitcnt vmcnt(2) lgkmcnt(0)
	v_mul_f64 v[38:39], v[34:35], v[28:29]
	v_mul_f64 v[28:29], v[32:33], v[28:29]
	s_waitcnt vmcnt(0)
	v_fma_f64 v[32:33], v[32:33], v[36:37], -v[38:39]
	v_fma_f64 v[28:29], v[34:35], v[36:37], v[28:29]
	v_add_f64 v[1:2], v[1:2], v[32:33]
	v_add_f64 v[3:4], v[3:4], v[28:29]
	s_andn2_b32 exec_lo, exec_lo, s4
	s_cbranch_execnz .LBB73_48
; %bb.49:
	s_or_b32 exec_lo, exec_lo, s4
.LBB73_50:
	s_or_b32 exec_lo, exec_lo, s8
	v_mov_b32_e32 v27, 0
	ds_read_b128 v[27:30], v27 offset:48
	s_waitcnt lgkmcnt(0)
	v_mul_f64 v[32:33], v[3:4], v[29:30]
	v_mul_f64 v[29:30], v[1:2], v[29:30]
	v_fma_f64 v[1:2], v[1:2], v[27:28], -v[32:33]
	v_fma_f64 v[3:4], v[3:4], v[27:28], v[29:30]
	buffer_store_dword v2, off, s[0:3], 0 offset:52
	buffer_store_dword v1, off, s[0:3], 0 offset:48
	;; [unrolled: 1-line block ×4, first 2 shown]
.LBB73_51:
	s_or_b32 exec_lo, exec_lo, s6
	v_mov_b32_e32 v4, s15
	v_cmp_lt_u32_e64 s6, 2, v0
	s_clause 0x3
	buffer_load_dword v1, v4, s[0:3], 0 offen
	buffer_load_dword v2, v4, s[0:3], 0 offen offset:4
	buffer_load_dword v3, v4, s[0:3], 0 offen offset:8
	buffer_load_dword v4, v4, s[0:3], 0 offen offset:12
	s_waitcnt vmcnt(0)
	ds_write_b128 v26, v[1:4]
	s_waitcnt lgkmcnt(0)
	s_waitcnt_vscnt null, 0x0
	s_barrier
	buffer_gl0_inv
	s_and_saveexec_b32 s4, s6
	s_cbranch_execz .LBB73_59
; %bb.52:
	ds_read_b128 v[1:4], v26
	s_andn2_b32 vcc_lo, exec_lo, s17
	s_cbranch_vccnz .LBB73_54
; %bb.53:
	s_clause 0x3
	buffer_load_dword v27, v25, s[0:3], 0 offen offset:8
	buffer_load_dword v28, v25, s[0:3], 0 offen offset:12
	buffer_load_dword v29, v25, s[0:3], 0 offen
	buffer_load_dword v30, v25, s[0:3], 0 offen offset:4
	s_waitcnt vmcnt(2) lgkmcnt(0)
	v_mul_f64 v[32:33], v[3:4], v[27:28]
	v_mul_f64 v[27:28], v[1:2], v[27:28]
	s_waitcnt vmcnt(0)
	v_fma_f64 v[1:2], v[1:2], v[29:30], -v[32:33]
	v_fma_f64 v[3:4], v[3:4], v[29:30], v[27:28]
.LBB73_54:
	s_and_saveexec_b32 s8, s5
	s_cbranch_execz .LBB73_58
; %bb.55:
	v_add_nc_u32_e32 v27, -3, v0
	s_movk_i32 s18, 0xd0
	s_mov_b32 s5, 0
	s_mov_b32 s19, s14
	.p2align	6
.LBB73_56:                              ; =>This Inner Loop Header: Depth=1
	v_mov_b32_e32 v30, s19
	v_add_nc_u32_e32 v27, -1, v27
	s_add_i32 s19, s19, 16
	s_clause 0x3
	buffer_load_dword v28, v30, s[0:3], 0 offen offset:8
	buffer_load_dword v29, v30, s[0:3], 0 offen offset:12
	buffer_load_dword v36, v30, s[0:3], 0 offen
	buffer_load_dword v37, v30, s[0:3], 0 offen offset:4
	v_mov_b32_e32 v30, s18
	v_cmp_eq_u32_e32 vcc_lo, 0, v27
	s_add_i32 s18, s18, 16
	ds_read_b128 v[32:35], v30
	s_or_b32 s5, vcc_lo, s5
	s_waitcnt vmcnt(2) lgkmcnt(0)
	v_mul_f64 v[38:39], v[34:35], v[28:29]
	v_mul_f64 v[28:29], v[32:33], v[28:29]
	s_waitcnt vmcnt(0)
	v_fma_f64 v[32:33], v[32:33], v[36:37], -v[38:39]
	v_fma_f64 v[28:29], v[34:35], v[36:37], v[28:29]
	v_add_f64 v[1:2], v[1:2], v[32:33]
	v_add_f64 v[3:4], v[3:4], v[28:29]
	s_andn2_b32 exec_lo, exec_lo, s5
	s_cbranch_execnz .LBB73_56
; %bb.57:
	s_or_b32 exec_lo, exec_lo, s5
.LBB73_58:
	s_or_b32 exec_lo, exec_lo, s8
	v_mov_b32_e32 v27, 0
	ds_read_b128 v[27:30], v27 offset:32
	s_waitcnt lgkmcnt(0)
	v_mul_f64 v[32:33], v[3:4], v[29:30]
	v_mul_f64 v[29:30], v[1:2], v[29:30]
	v_fma_f64 v[1:2], v[1:2], v[27:28], -v[32:33]
	v_fma_f64 v[3:4], v[3:4], v[27:28], v[29:30]
	buffer_store_dword v2, off, s[0:3], 0 offset:36
	buffer_store_dword v1, off, s[0:3], 0 offset:32
	;; [unrolled: 1-line block ×4, first 2 shown]
.LBB73_59:
	s_or_b32 exec_lo, exec_lo, s4
	v_mov_b32_e32 v4, s16
	v_cmp_lt_u32_e64 s4, 1, v0
	s_clause 0x3
	buffer_load_dword v1, v4, s[0:3], 0 offen
	buffer_load_dword v2, v4, s[0:3], 0 offen offset:4
	buffer_load_dword v3, v4, s[0:3], 0 offen offset:8
	;; [unrolled: 1-line block ×3, first 2 shown]
	s_waitcnt vmcnt(0)
	ds_write_b128 v26, v[1:4]
	s_waitcnt lgkmcnt(0)
	s_waitcnt_vscnt null, 0x0
	s_barrier
	buffer_gl0_inv
	s_and_saveexec_b32 s5, s4
	s_cbranch_execz .LBB73_67
; %bb.60:
	ds_read_b128 v[1:4], v26
	s_andn2_b32 vcc_lo, exec_lo, s17
	s_cbranch_vccnz .LBB73_62
; %bb.61:
	s_clause 0x3
	buffer_load_dword v27, v25, s[0:3], 0 offen offset:8
	buffer_load_dword v28, v25, s[0:3], 0 offen offset:12
	buffer_load_dword v29, v25, s[0:3], 0 offen
	buffer_load_dword v30, v25, s[0:3], 0 offen offset:4
	s_waitcnt vmcnt(2) lgkmcnt(0)
	v_mul_f64 v[32:33], v[3:4], v[27:28]
	v_mul_f64 v[27:28], v[1:2], v[27:28]
	s_waitcnt vmcnt(0)
	v_fma_f64 v[1:2], v[1:2], v[29:30], -v[32:33]
	v_fma_f64 v[3:4], v[3:4], v[29:30], v[27:28]
.LBB73_62:
	s_and_saveexec_b32 s8, s6
	s_cbranch_execz .LBB73_66
; %bb.63:
	v_add_nc_u32_e32 v27, -2, v0
	s_movk_i32 s18, 0xc0
	s_mov_b32 s6, 0
	s_mov_b32 s19, s15
	.p2align	6
.LBB73_64:                              ; =>This Inner Loop Header: Depth=1
	v_mov_b32_e32 v30, s19
	v_add_nc_u32_e32 v27, -1, v27
	s_add_i32 s19, s19, 16
	s_clause 0x3
	buffer_load_dword v28, v30, s[0:3], 0 offen offset:8
	buffer_load_dword v29, v30, s[0:3], 0 offen offset:12
	buffer_load_dword v36, v30, s[0:3], 0 offen
	buffer_load_dword v37, v30, s[0:3], 0 offen offset:4
	v_mov_b32_e32 v30, s18
	v_cmp_eq_u32_e32 vcc_lo, 0, v27
	s_add_i32 s18, s18, 16
	ds_read_b128 v[32:35], v30
	s_or_b32 s6, vcc_lo, s6
	s_waitcnt vmcnt(2) lgkmcnt(0)
	v_mul_f64 v[38:39], v[34:35], v[28:29]
	v_mul_f64 v[28:29], v[32:33], v[28:29]
	s_waitcnt vmcnt(0)
	v_fma_f64 v[32:33], v[32:33], v[36:37], -v[38:39]
	v_fma_f64 v[28:29], v[34:35], v[36:37], v[28:29]
	v_add_f64 v[1:2], v[1:2], v[32:33]
	v_add_f64 v[3:4], v[3:4], v[28:29]
	s_andn2_b32 exec_lo, exec_lo, s6
	s_cbranch_execnz .LBB73_64
; %bb.65:
	s_or_b32 exec_lo, exec_lo, s6
.LBB73_66:
	s_or_b32 exec_lo, exec_lo, s8
	v_mov_b32_e32 v27, 0
	ds_read_b128 v[27:30], v27 offset:16
	s_waitcnt lgkmcnt(0)
	v_mul_f64 v[32:33], v[3:4], v[29:30]
	v_mul_f64 v[29:30], v[1:2], v[29:30]
	v_fma_f64 v[1:2], v[1:2], v[27:28], -v[32:33]
	v_fma_f64 v[3:4], v[3:4], v[27:28], v[29:30]
	buffer_store_dword v2, off, s[0:3], 0 offset:20
	buffer_store_dword v1, off, s[0:3], 0 offset:16
	;; [unrolled: 1-line block ×4, first 2 shown]
.LBB73_67:
	s_or_b32 exec_lo, exec_lo, s5
	s_clause 0x3
	buffer_load_dword v1, off, s[0:3], 0
	buffer_load_dword v2, off, s[0:3], 0 offset:4
	buffer_load_dword v3, off, s[0:3], 0 offset:8
	;; [unrolled: 1-line block ×3, first 2 shown]
	s_mov_b32 s6, 0
	s_mov_b32 s5, 0
	s_mov_b32 s8, exec_lo
                                        ; implicit-def: $sgpr18
	s_waitcnt vmcnt(0)
	ds_write_b128 v26, v[1:4]
	s_waitcnt lgkmcnt(0)
	s_waitcnt_vscnt null, 0x0
	s_barrier
	buffer_gl0_inv
                                        ; implicit-def: $vgpr1_vgpr2
	v_cmpx_ne_u32_e32 0, v0
	s_cbranch_execz .LBB73_75
; %bb.68:
	ds_read_b128 v[1:4], v26
	s_andn2_b32 vcc_lo, exec_lo, s17
	s_cbranch_vccnz .LBB73_70
; %bb.69:
	s_clause 0x3
	buffer_load_dword v27, v25, s[0:3], 0 offen offset:8
	buffer_load_dword v28, v25, s[0:3], 0 offen offset:12
	buffer_load_dword v29, v25, s[0:3], 0 offen
	buffer_load_dword v30, v25, s[0:3], 0 offen offset:4
	s_waitcnt vmcnt(2) lgkmcnt(0)
	v_mul_f64 v[32:33], v[3:4], v[27:28]
	v_mul_f64 v[27:28], v[1:2], v[27:28]
	s_waitcnt vmcnt(0)
	v_fma_f64 v[1:2], v[1:2], v[29:30], -v[32:33]
	v_fma_f64 v[3:4], v[3:4], v[29:30], v[27:28]
.LBB73_70:
	s_and_saveexec_b32 s5, s4
	s_cbranch_execz .LBB73_74
; %bb.71:
	v_add_nc_u32_e32 v27, -1, v0
	s_movk_i32 s18, 0xb0
	s_mov_b32 s4, 0
	s_mov_b32 s19, s16
	.p2align	6
.LBB73_72:                              ; =>This Inner Loop Header: Depth=1
	v_mov_b32_e32 v30, s19
	v_add_nc_u32_e32 v27, -1, v27
	s_add_i32 s19, s19, 16
	s_clause 0x3
	buffer_load_dword v28, v30, s[0:3], 0 offen offset:8
	buffer_load_dword v29, v30, s[0:3], 0 offen offset:12
	buffer_load_dword v36, v30, s[0:3], 0 offen
	buffer_load_dword v37, v30, s[0:3], 0 offen offset:4
	v_mov_b32_e32 v30, s18
	v_cmp_eq_u32_e32 vcc_lo, 0, v27
	s_add_i32 s18, s18, 16
	ds_read_b128 v[32:35], v30
	s_or_b32 s4, vcc_lo, s4
	s_waitcnt vmcnt(2) lgkmcnt(0)
	v_mul_f64 v[38:39], v[34:35], v[28:29]
	v_mul_f64 v[28:29], v[32:33], v[28:29]
	s_waitcnt vmcnt(0)
	v_fma_f64 v[32:33], v[32:33], v[36:37], -v[38:39]
	v_fma_f64 v[28:29], v[34:35], v[36:37], v[28:29]
	v_add_f64 v[1:2], v[1:2], v[32:33]
	v_add_f64 v[3:4], v[3:4], v[28:29]
	s_andn2_b32 exec_lo, exec_lo, s4
	s_cbranch_execnz .LBB73_72
; %bb.73:
	s_or_b32 exec_lo, exec_lo, s4
.LBB73_74:
	s_or_b32 exec_lo, exec_lo, s5
	v_mov_b32_e32 v27, 0
	s_mov_b32 s5, exec_lo
	s_or_b32 s18, 0, 8
	ds_read_b128 v[27:30], v27
	s_waitcnt lgkmcnt(0)
	v_mul_f64 v[32:33], v[3:4], v[29:30]
	v_mul_f64 v[29:30], v[1:2], v[29:30]
	v_fma_f64 v[32:33], v[1:2], v[27:28], -v[32:33]
	v_fma_f64 v[1:2], v[3:4], v[27:28], v[29:30]
	buffer_store_dword v33, off, s[0:3], 0 offset:4
	buffer_store_dword v32, off, s[0:3], 0
.LBB73_75:
	s_or_b32 exec_lo, exec_lo, s8
	s_and_b32 vcc_lo, exec_lo, s6
	s_cbranch_vccnz .LBB73_77
	s_branch .LBB73_144
.LBB73_76:
	s_mov_b32 s5, 0
                                        ; implicit-def: $vgpr1_vgpr2
                                        ; implicit-def: $sgpr18
	s_cbranch_execz .LBB73_144
.LBB73_77:
	v_mov_b32_e32 v4, s16
	v_cmp_eq_u32_e64 s4, 0, v0
	v_cndmask_b32_e64 v27, 0, 1, s17
	s_clause 0x3
	buffer_load_dword v1, v4, s[0:3], 0 offen
	buffer_load_dword v2, v4, s[0:3], 0 offen offset:4
	buffer_load_dword v3, v4, s[0:3], 0 offen offset:8
	;; [unrolled: 1-line block ×3, first 2 shown]
	s_waitcnt vmcnt(0)
	ds_write_b128 v26, v[1:4]
	s_waitcnt lgkmcnt(0)
	s_waitcnt_vscnt null, 0x0
	s_barrier
	buffer_gl0_inv
	s_and_saveexec_b32 s6, s4
	s_cbranch_execz .LBB73_81
; %bb.78:
	ds_read_b128 v[1:4], v26
	s_andn2_b32 vcc_lo, exec_lo, s17
	s_cbranch_vccnz .LBB73_80
; %bb.79:
	s_clause 0x3
	buffer_load_dword v28, v25, s[0:3], 0 offen offset:8
	buffer_load_dword v29, v25, s[0:3], 0 offen offset:12
	buffer_load_dword v32, v25, s[0:3], 0 offen
	buffer_load_dword v33, v25, s[0:3], 0 offen offset:4
	s_waitcnt vmcnt(2) lgkmcnt(0)
	v_mul_f64 v[34:35], v[3:4], v[28:29]
	v_mul_f64 v[28:29], v[1:2], v[28:29]
	s_waitcnt vmcnt(0)
	v_fma_f64 v[1:2], v[1:2], v[32:33], -v[34:35]
	v_fma_f64 v[3:4], v[3:4], v[32:33], v[28:29]
.LBB73_80:
	v_mov_b32_e32 v28, 0
	ds_read_b128 v[32:35], v28 offset:16
	s_waitcnt lgkmcnt(0)
	v_mul_f64 v[28:29], v[3:4], v[34:35]
	v_mul_f64 v[34:35], v[1:2], v[34:35]
	v_fma_f64 v[1:2], v[1:2], v[32:33], -v[28:29]
	v_fma_f64 v[3:4], v[3:4], v[32:33], v[34:35]
	buffer_store_dword v2, off, s[0:3], 0 offset:20
	buffer_store_dword v1, off, s[0:3], 0 offset:16
	buffer_store_dword v4, off, s[0:3], 0 offset:28
	buffer_store_dword v3, off, s[0:3], 0 offset:24
.LBB73_81:
	s_or_b32 exec_lo, exec_lo, s6
	v_mov_b32_e32 v4, s15
	s_mov_b32 s6, exec_lo
	s_clause 0x3
	buffer_load_dword v1, v4, s[0:3], 0 offen
	buffer_load_dword v2, v4, s[0:3], 0 offen offset:4
	buffer_load_dword v3, v4, s[0:3], 0 offen offset:8
	;; [unrolled: 1-line block ×3, first 2 shown]
	s_waitcnt vmcnt(0)
	ds_write_b128 v26, v[1:4]
	s_waitcnt lgkmcnt(0)
	s_waitcnt_vscnt null, 0x0
	s_barrier
	buffer_gl0_inv
	v_cmpx_gt_u32_e32 2, v0
	s_cbranch_execz .LBB73_87
; %bb.82:
	ds_read_b128 v[1:4], v26
	v_cmp_ne_u32_e32 vcc_lo, 1, v27
	s_cbranch_vccnz .LBB73_84
; %bb.83:
	s_clause 0x3
	buffer_load_dword v28, v25, s[0:3], 0 offen offset:8
	buffer_load_dword v29, v25, s[0:3], 0 offen offset:12
	buffer_load_dword v32, v25, s[0:3], 0 offen
	buffer_load_dword v33, v25, s[0:3], 0 offen offset:4
	s_waitcnt vmcnt(2) lgkmcnt(0)
	v_mul_f64 v[34:35], v[3:4], v[28:29]
	v_mul_f64 v[28:29], v[1:2], v[28:29]
	s_waitcnt vmcnt(0)
	v_fma_f64 v[1:2], v[1:2], v[32:33], -v[34:35]
	v_fma_f64 v[3:4], v[3:4], v[32:33], v[28:29]
.LBB73_84:
	s_and_saveexec_b32 s8, s4
	s_cbranch_execz .LBB73_86
; %bb.85:
	s_clause 0x3
	buffer_load_dword v28, off, s[0:3], 0 offset:24
	buffer_load_dword v29, off, s[0:3], 0 offset:28
	;; [unrolled: 1-line block ×4, first 2 shown]
	v_mov_b32_e32 v30, 0
	ds_read_b128 v[32:35], v30 offset:176
	s_waitcnt vmcnt(2) lgkmcnt(0)
	v_mul_f64 v[38:39], v[34:35], v[28:29]
	v_mul_f64 v[28:29], v[32:33], v[28:29]
	s_waitcnt vmcnt(0)
	v_fma_f64 v[32:33], v[32:33], v[36:37], -v[38:39]
	v_fma_f64 v[28:29], v[34:35], v[36:37], v[28:29]
	v_add_f64 v[1:2], v[1:2], v[32:33]
	v_add_f64 v[3:4], v[3:4], v[28:29]
.LBB73_86:
	s_or_b32 exec_lo, exec_lo, s8
	v_mov_b32_e32 v28, 0
	ds_read_b128 v[32:35], v28 offset:32
	s_waitcnt lgkmcnt(0)
	v_mul_f64 v[28:29], v[3:4], v[34:35]
	v_mul_f64 v[34:35], v[1:2], v[34:35]
	v_fma_f64 v[1:2], v[1:2], v[32:33], -v[28:29]
	v_fma_f64 v[3:4], v[3:4], v[32:33], v[34:35]
	buffer_store_dword v2, off, s[0:3], 0 offset:36
	buffer_store_dword v1, off, s[0:3], 0 offset:32
	;; [unrolled: 1-line block ×4, first 2 shown]
.LBB73_87:
	s_or_b32 exec_lo, exec_lo, s6
	v_mov_b32_e32 v4, s14
	s_mov_b32 s6, exec_lo
	s_clause 0x3
	buffer_load_dword v1, v4, s[0:3], 0 offen
	buffer_load_dword v2, v4, s[0:3], 0 offen offset:4
	buffer_load_dword v3, v4, s[0:3], 0 offen offset:8
	;; [unrolled: 1-line block ×3, first 2 shown]
	s_waitcnt vmcnt(0)
	ds_write_b128 v26, v[1:4]
	s_waitcnt lgkmcnt(0)
	s_waitcnt_vscnt null, 0x0
	s_barrier
	buffer_gl0_inv
	v_cmpx_gt_u32_e32 3, v0
	s_cbranch_execz .LBB73_95
; %bb.88:
	ds_read_b128 v[1:4], v26
	v_cmp_ne_u32_e32 vcc_lo, 1, v27
	s_cbranch_vccnz .LBB73_90
; %bb.89:
	s_clause 0x3
	buffer_load_dword v28, v25, s[0:3], 0 offen offset:8
	buffer_load_dword v29, v25, s[0:3], 0 offen offset:12
	buffer_load_dword v32, v25, s[0:3], 0 offen
	buffer_load_dword v33, v25, s[0:3], 0 offen offset:4
	s_waitcnt vmcnt(2) lgkmcnt(0)
	v_mul_f64 v[34:35], v[3:4], v[28:29]
	v_mul_f64 v[28:29], v[1:2], v[28:29]
	s_waitcnt vmcnt(0)
	v_fma_f64 v[1:2], v[1:2], v[32:33], -v[34:35]
	v_fma_f64 v[3:4], v[3:4], v[32:33], v[28:29]
.LBB73_90:
	s_mov_b32 s8, exec_lo
	v_cmpx_ne_u32_e32 2, v0
	s_cbranch_execz .LBB73_94
; %bb.91:
	s_clause 0x3
	buffer_load_dword v28, v25, s[0:3], 0 offen offset:24
	buffer_load_dword v29, v25, s[0:3], 0 offen offset:28
	;; [unrolled: 1-line block ×4, first 2 shown]
	ds_read_b128 v[32:35], v26 offset:16
	s_waitcnt vmcnt(2) lgkmcnt(0)
	v_mul_f64 v[38:39], v[34:35], v[28:29]
	v_mul_f64 v[28:29], v[32:33], v[28:29]
	s_waitcnt vmcnt(0)
	v_fma_f64 v[32:33], v[32:33], v[36:37], -v[38:39]
	v_fma_f64 v[28:29], v[34:35], v[36:37], v[28:29]
	v_add_f64 v[1:2], v[1:2], v[32:33]
	v_add_f64 v[3:4], v[3:4], v[28:29]
	s_and_saveexec_b32 s17, s4
	s_cbranch_execz .LBB73_93
; %bb.92:
	s_clause 0x3
	buffer_load_dword v28, off, s[0:3], 0 offset:40
	buffer_load_dword v29, off, s[0:3], 0 offset:44
	;; [unrolled: 1-line block ×4, first 2 shown]
	v_mov_b32_e32 v30, 0
	ds_read_b128 v[32:35], v30 offset:192
	s_waitcnt vmcnt(2) lgkmcnt(0)
	v_mul_f64 v[38:39], v[32:33], v[28:29]
	v_mul_f64 v[28:29], v[34:35], v[28:29]
	s_waitcnt vmcnt(0)
	v_fma_f64 v[34:35], v[34:35], v[36:37], v[38:39]
	v_fma_f64 v[28:29], v[32:33], v[36:37], -v[28:29]
	v_add_f64 v[3:4], v[3:4], v[34:35]
	v_add_f64 v[1:2], v[1:2], v[28:29]
.LBB73_93:
	s_or_b32 exec_lo, exec_lo, s17
.LBB73_94:
	s_or_b32 exec_lo, exec_lo, s8
	v_mov_b32_e32 v28, 0
	ds_read_b128 v[32:35], v28 offset:48
	s_waitcnt lgkmcnt(0)
	v_mul_f64 v[28:29], v[3:4], v[34:35]
	v_mul_f64 v[34:35], v[1:2], v[34:35]
	v_fma_f64 v[1:2], v[1:2], v[32:33], -v[28:29]
	v_fma_f64 v[3:4], v[3:4], v[32:33], v[34:35]
	buffer_store_dword v2, off, s[0:3], 0 offset:52
	buffer_store_dword v1, off, s[0:3], 0 offset:48
	;; [unrolled: 1-line block ×4, first 2 shown]
.LBB73_95:
	s_or_b32 exec_lo, exec_lo, s6
	v_mov_b32_e32 v4, s13
	s_mov_b32 s4, exec_lo
	s_clause 0x3
	buffer_load_dword v1, v4, s[0:3], 0 offen
	buffer_load_dword v2, v4, s[0:3], 0 offen offset:4
	buffer_load_dword v3, v4, s[0:3], 0 offen offset:8
	;; [unrolled: 1-line block ×3, first 2 shown]
	s_waitcnt vmcnt(0)
	ds_write_b128 v26, v[1:4]
	s_waitcnt lgkmcnt(0)
	s_waitcnt_vscnt null, 0x0
	s_barrier
	buffer_gl0_inv
	v_cmpx_gt_u32_e32 4, v0
	s_cbranch_execz .LBB73_103
; %bb.96:
	ds_read_b128 v[1:4], v26
	v_cmp_ne_u32_e32 vcc_lo, 1, v27
	s_cbranch_vccnz .LBB73_98
; %bb.97:
	s_clause 0x3
	buffer_load_dword v28, v25, s[0:3], 0 offen offset:8
	buffer_load_dword v29, v25, s[0:3], 0 offen offset:12
	buffer_load_dword v32, v25, s[0:3], 0 offen
	buffer_load_dword v33, v25, s[0:3], 0 offen offset:4
	s_waitcnt vmcnt(2) lgkmcnt(0)
	v_mul_f64 v[34:35], v[3:4], v[28:29]
	v_mul_f64 v[28:29], v[1:2], v[28:29]
	s_waitcnt vmcnt(0)
	v_fma_f64 v[1:2], v[1:2], v[32:33], -v[34:35]
	v_fma_f64 v[3:4], v[3:4], v[32:33], v[28:29]
.LBB73_98:
	s_mov_b32 s6, exec_lo
	v_cmpx_ne_u32_e32 3, v0
	s_cbranch_execz .LBB73_102
; %bb.99:
	v_add_nc_u32_e32 v28, 0xb0, v31
	v_add3_u32 v29, 0, v31, 16
	v_mov_b32_e32 v30, v0
	s_mov_b32 s8, 0
	.p2align	6
.LBB73_100:                             ; =>This Inner Loop Header: Depth=1
	s_clause 0x3
	buffer_load_dword v36, v29, s[0:3], 0 offen offset:8
	buffer_load_dword v37, v29, s[0:3], 0 offen offset:12
	buffer_load_dword v38, v29, s[0:3], 0 offen
	buffer_load_dword v39, v29, s[0:3], 0 offen offset:4
	ds_read_b128 v[32:35], v28
	v_add_nc_u32_e32 v30, 1, v30
	v_add_nc_u32_e32 v28, 16, v28
	;; [unrolled: 1-line block ×3, first 2 shown]
	v_cmp_lt_u32_e32 vcc_lo, 2, v30
	s_or_b32 s8, vcc_lo, s8
	s_waitcnt vmcnt(2) lgkmcnt(0)
	v_mul_f64 v[40:41], v[34:35], v[36:37]
	v_mul_f64 v[36:37], v[32:33], v[36:37]
	s_waitcnt vmcnt(0)
	v_fma_f64 v[32:33], v[32:33], v[38:39], -v[40:41]
	v_fma_f64 v[34:35], v[34:35], v[38:39], v[36:37]
	v_add_f64 v[1:2], v[1:2], v[32:33]
	v_add_f64 v[3:4], v[3:4], v[34:35]
	s_andn2_b32 exec_lo, exec_lo, s8
	s_cbranch_execnz .LBB73_100
; %bb.101:
	s_or_b32 exec_lo, exec_lo, s8
.LBB73_102:
	s_or_b32 exec_lo, exec_lo, s6
	v_mov_b32_e32 v28, 0
	ds_read_b128 v[32:35], v28 offset:64
	s_waitcnt lgkmcnt(0)
	v_mul_f64 v[28:29], v[3:4], v[34:35]
	v_mul_f64 v[34:35], v[1:2], v[34:35]
	v_fma_f64 v[1:2], v[1:2], v[32:33], -v[28:29]
	v_fma_f64 v[3:4], v[3:4], v[32:33], v[34:35]
	buffer_store_dword v2, off, s[0:3], 0 offset:68
	buffer_store_dword v1, off, s[0:3], 0 offset:64
	;; [unrolled: 1-line block ×4, first 2 shown]
.LBB73_103:
	s_or_b32 exec_lo, exec_lo, s4
	v_mov_b32_e32 v4, s12
	s_mov_b32 s4, exec_lo
	s_clause 0x3
	buffer_load_dword v1, v4, s[0:3], 0 offen
	buffer_load_dword v2, v4, s[0:3], 0 offen offset:4
	buffer_load_dword v3, v4, s[0:3], 0 offen offset:8
	;; [unrolled: 1-line block ×3, first 2 shown]
	s_waitcnt vmcnt(0)
	ds_write_b128 v26, v[1:4]
	s_waitcnt lgkmcnt(0)
	s_waitcnt_vscnt null, 0x0
	s_barrier
	buffer_gl0_inv
	v_cmpx_gt_u32_e32 5, v0
	s_cbranch_execz .LBB73_111
; %bb.104:
	ds_read_b128 v[1:4], v26
	v_cmp_ne_u32_e32 vcc_lo, 1, v27
	s_cbranch_vccnz .LBB73_106
; %bb.105:
	s_clause 0x3
	buffer_load_dword v28, v25, s[0:3], 0 offen offset:8
	buffer_load_dword v29, v25, s[0:3], 0 offen offset:12
	buffer_load_dword v32, v25, s[0:3], 0 offen
	buffer_load_dword v33, v25, s[0:3], 0 offen offset:4
	s_waitcnt vmcnt(2) lgkmcnt(0)
	v_mul_f64 v[34:35], v[3:4], v[28:29]
	v_mul_f64 v[28:29], v[1:2], v[28:29]
	s_waitcnt vmcnt(0)
	v_fma_f64 v[1:2], v[1:2], v[32:33], -v[34:35]
	v_fma_f64 v[3:4], v[3:4], v[32:33], v[28:29]
.LBB73_106:
	s_mov_b32 s6, exec_lo
	v_cmpx_ne_u32_e32 4, v0
	s_cbranch_execz .LBB73_110
; %bb.107:
	v_add_nc_u32_e32 v28, 0xb0, v31
	v_add3_u32 v29, 0, v31, 16
	v_mov_b32_e32 v30, v0
	s_mov_b32 s8, 0
	.p2align	6
.LBB73_108:                             ; =>This Inner Loop Header: Depth=1
	s_clause 0x3
	buffer_load_dword v36, v29, s[0:3], 0 offen offset:8
	buffer_load_dword v37, v29, s[0:3], 0 offen offset:12
	buffer_load_dword v38, v29, s[0:3], 0 offen
	buffer_load_dword v39, v29, s[0:3], 0 offen offset:4
	ds_read_b128 v[32:35], v28
	v_add_nc_u32_e32 v30, 1, v30
	v_add_nc_u32_e32 v28, 16, v28
	;; [unrolled: 1-line block ×3, first 2 shown]
	v_cmp_lt_u32_e32 vcc_lo, 3, v30
	s_or_b32 s8, vcc_lo, s8
	s_waitcnt vmcnt(2) lgkmcnt(0)
	v_mul_f64 v[40:41], v[34:35], v[36:37]
	v_mul_f64 v[36:37], v[32:33], v[36:37]
	s_waitcnt vmcnt(0)
	v_fma_f64 v[32:33], v[32:33], v[38:39], -v[40:41]
	v_fma_f64 v[34:35], v[34:35], v[38:39], v[36:37]
	v_add_f64 v[1:2], v[1:2], v[32:33]
	v_add_f64 v[3:4], v[3:4], v[34:35]
	s_andn2_b32 exec_lo, exec_lo, s8
	s_cbranch_execnz .LBB73_108
; %bb.109:
	s_or_b32 exec_lo, exec_lo, s8
.LBB73_110:
	s_or_b32 exec_lo, exec_lo, s6
	v_mov_b32_e32 v28, 0
	ds_read_b128 v[32:35], v28 offset:80
	s_waitcnt lgkmcnt(0)
	v_mul_f64 v[28:29], v[3:4], v[34:35]
	v_mul_f64 v[34:35], v[1:2], v[34:35]
	v_fma_f64 v[1:2], v[1:2], v[32:33], -v[28:29]
	v_fma_f64 v[3:4], v[3:4], v[32:33], v[34:35]
	buffer_store_dword v2, off, s[0:3], 0 offset:84
	buffer_store_dword v1, off, s[0:3], 0 offset:80
	;; [unrolled: 1-line block ×4, first 2 shown]
.LBB73_111:
	s_or_b32 exec_lo, exec_lo, s4
	v_mov_b32_e32 v4, s11
	s_mov_b32 s4, exec_lo
	s_clause 0x3
	buffer_load_dword v1, v4, s[0:3], 0 offen
	buffer_load_dword v2, v4, s[0:3], 0 offen offset:4
	buffer_load_dword v3, v4, s[0:3], 0 offen offset:8
	;; [unrolled: 1-line block ×3, first 2 shown]
	s_waitcnt vmcnt(0)
	ds_write_b128 v26, v[1:4]
	s_waitcnt lgkmcnt(0)
	s_waitcnt_vscnt null, 0x0
	s_barrier
	buffer_gl0_inv
	v_cmpx_gt_u32_e32 6, v0
	s_cbranch_execz .LBB73_119
; %bb.112:
	ds_read_b128 v[1:4], v26
	v_cmp_ne_u32_e32 vcc_lo, 1, v27
	s_cbranch_vccnz .LBB73_114
; %bb.113:
	s_clause 0x3
	buffer_load_dword v28, v25, s[0:3], 0 offen offset:8
	buffer_load_dword v29, v25, s[0:3], 0 offen offset:12
	buffer_load_dword v32, v25, s[0:3], 0 offen
	buffer_load_dword v33, v25, s[0:3], 0 offen offset:4
	s_waitcnt vmcnt(2) lgkmcnt(0)
	v_mul_f64 v[34:35], v[3:4], v[28:29]
	v_mul_f64 v[28:29], v[1:2], v[28:29]
	s_waitcnt vmcnt(0)
	v_fma_f64 v[1:2], v[1:2], v[32:33], -v[34:35]
	v_fma_f64 v[3:4], v[3:4], v[32:33], v[28:29]
.LBB73_114:
	s_mov_b32 s6, exec_lo
	v_cmpx_ne_u32_e32 5, v0
	s_cbranch_execz .LBB73_118
; %bb.115:
	v_add_nc_u32_e32 v28, 0xb0, v31
	v_add3_u32 v29, 0, v31, 16
	v_mov_b32_e32 v30, v0
	s_mov_b32 s8, 0
	.p2align	6
.LBB73_116:                             ; =>This Inner Loop Header: Depth=1
	s_clause 0x3
	buffer_load_dword v36, v29, s[0:3], 0 offen offset:8
	buffer_load_dword v37, v29, s[0:3], 0 offen offset:12
	buffer_load_dword v38, v29, s[0:3], 0 offen
	buffer_load_dword v39, v29, s[0:3], 0 offen offset:4
	ds_read_b128 v[32:35], v28
	v_add_nc_u32_e32 v30, 1, v30
	v_add_nc_u32_e32 v28, 16, v28
	;; [unrolled: 1-line block ×3, first 2 shown]
	v_cmp_lt_u32_e32 vcc_lo, 4, v30
	s_or_b32 s8, vcc_lo, s8
	s_waitcnt vmcnt(2) lgkmcnt(0)
	v_mul_f64 v[40:41], v[34:35], v[36:37]
	v_mul_f64 v[36:37], v[32:33], v[36:37]
	s_waitcnt vmcnt(0)
	v_fma_f64 v[32:33], v[32:33], v[38:39], -v[40:41]
	v_fma_f64 v[34:35], v[34:35], v[38:39], v[36:37]
	v_add_f64 v[1:2], v[1:2], v[32:33]
	v_add_f64 v[3:4], v[3:4], v[34:35]
	s_andn2_b32 exec_lo, exec_lo, s8
	s_cbranch_execnz .LBB73_116
; %bb.117:
	s_or_b32 exec_lo, exec_lo, s8
.LBB73_118:
	s_or_b32 exec_lo, exec_lo, s6
	v_mov_b32_e32 v28, 0
	ds_read_b128 v[32:35], v28 offset:96
	s_waitcnt lgkmcnt(0)
	v_mul_f64 v[28:29], v[3:4], v[34:35]
	v_mul_f64 v[34:35], v[1:2], v[34:35]
	v_fma_f64 v[1:2], v[1:2], v[32:33], -v[28:29]
	v_fma_f64 v[3:4], v[3:4], v[32:33], v[34:35]
	buffer_store_dword v2, off, s[0:3], 0 offset:100
	buffer_store_dword v1, off, s[0:3], 0 offset:96
	;; [unrolled: 1-line block ×4, first 2 shown]
.LBB73_119:
	s_or_b32 exec_lo, exec_lo, s4
	v_mov_b32_e32 v4, s10
	s_mov_b32 s4, exec_lo
	s_clause 0x3
	buffer_load_dword v1, v4, s[0:3], 0 offen
	buffer_load_dword v2, v4, s[0:3], 0 offen offset:4
	buffer_load_dword v3, v4, s[0:3], 0 offen offset:8
	;; [unrolled: 1-line block ×3, first 2 shown]
	s_waitcnt vmcnt(0)
	ds_write_b128 v26, v[1:4]
	s_waitcnt lgkmcnt(0)
	s_waitcnt_vscnt null, 0x0
	s_barrier
	buffer_gl0_inv
	v_cmpx_gt_u32_e32 7, v0
	s_cbranch_execz .LBB73_127
; %bb.120:
	ds_read_b128 v[1:4], v26
	v_cmp_ne_u32_e32 vcc_lo, 1, v27
	s_cbranch_vccnz .LBB73_122
; %bb.121:
	s_clause 0x3
	buffer_load_dword v28, v25, s[0:3], 0 offen offset:8
	buffer_load_dword v29, v25, s[0:3], 0 offen offset:12
	buffer_load_dword v32, v25, s[0:3], 0 offen
	buffer_load_dword v33, v25, s[0:3], 0 offen offset:4
	s_waitcnt vmcnt(2) lgkmcnt(0)
	v_mul_f64 v[34:35], v[3:4], v[28:29]
	v_mul_f64 v[28:29], v[1:2], v[28:29]
	s_waitcnt vmcnt(0)
	v_fma_f64 v[1:2], v[1:2], v[32:33], -v[34:35]
	v_fma_f64 v[3:4], v[3:4], v[32:33], v[28:29]
.LBB73_122:
	s_mov_b32 s6, exec_lo
	v_cmpx_ne_u32_e32 6, v0
	s_cbranch_execz .LBB73_126
; %bb.123:
	v_add_nc_u32_e32 v28, 0xb0, v31
	v_add3_u32 v29, 0, v31, 16
	v_mov_b32_e32 v30, v0
	s_mov_b32 s8, 0
	.p2align	6
.LBB73_124:                             ; =>This Inner Loop Header: Depth=1
	s_clause 0x3
	buffer_load_dword v36, v29, s[0:3], 0 offen offset:8
	buffer_load_dword v37, v29, s[0:3], 0 offen offset:12
	buffer_load_dword v38, v29, s[0:3], 0 offen
	buffer_load_dword v39, v29, s[0:3], 0 offen offset:4
	ds_read_b128 v[32:35], v28
	v_add_nc_u32_e32 v30, 1, v30
	v_add_nc_u32_e32 v28, 16, v28
	v_add_nc_u32_e32 v29, 16, v29
	v_cmp_lt_u32_e32 vcc_lo, 5, v30
	s_or_b32 s8, vcc_lo, s8
	s_waitcnt vmcnt(2) lgkmcnt(0)
	v_mul_f64 v[40:41], v[34:35], v[36:37]
	v_mul_f64 v[36:37], v[32:33], v[36:37]
	s_waitcnt vmcnt(0)
	v_fma_f64 v[32:33], v[32:33], v[38:39], -v[40:41]
	v_fma_f64 v[34:35], v[34:35], v[38:39], v[36:37]
	v_add_f64 v[1:2], v[1:2], v[32:33]
	v_add_f64 v[3:4], v[3:4], v[34:35]
	s_andn2_b32 exec_lo, exec_lo, s8
	s_cbranch_execnz .LBB73_124
; %bb.125:
	s_or_b32 exec_lo, exec_lo, s8
.LBB73_126:
	s_or_b32 exec_lo, exec_lo, s6
	v_mov_b32_e32 v28, 0
	ds_read_b128 v[32:35], v28 offset:112
	s_waitcnt lgkmcnt(0)
	v_mul_f64 v[28:29], v[3:4], v[34:35]
	v_mul_f64 v[34:35], v[1:2], v[34:35]
	v_fma_f64 v[1:2], v[1:2], v[32:33], -v[28:29]
	v_fma_f64 v[3:4], v[3:4], v[32:33], v[34:35]
	buffer_store_dword v2, off, s[0:3], 0 offset:116
	buffer_store_dword v1, off, s[0:3], 0 offset:112
	;; [unrolled: 1-line block ×4, first 2 shown]
.LBB73_127:
	s_or_b32 exec_lo, exec_lo, s4
	v_mov_b32_e32 v4, s9
	v_cmp_gt_u32_e64 s4, 8, v0
	s_clause 0x3
	buffer_load_dword v1, v4, s[0:3], 0 offen
	buffer_load_dword v2, v4, s[0:3], 0 offen offset:4
	buffer_load_dword v3, v4, s[0:3], 0 offen offset:8
	;; [unrolled: 1-line block ×3, first 2 shown]
	s_waitcnt vmcnt(0)
	ds_write_b128 v26, v[1:4]
	s_waitcnt lgkmcnt(0)
	s_waitcnt_vscnt null, 0x0
	s_barrier
	buffer_gl0_inv
	s_and_saveexec_b32 s6, s4
	s_cbranch_execz .LBB73_135
; %bb.128:
	ds_read_b128 v[1:4], v26
	v_cmp_ne_u32_e32 vcc_lo, 1, v27
	s_cbranch_vccnz .LBB73_130
; %bb.129:
	s_clause 0x3
	buffer_load_dword v28, v25, s[0:3], 0 offen offset:8
	buffer_load_dword v29, v25, s[0:3], 0 offen offset:12
	buffer_load_dword v32, v25, s[0:3], 0 offen
	buffer_load_dword v33, v25, s[0:3], 0 offen offset:4
	s_waitcnt vmcnt(2) lgkmcnt(0)
	v_mul_f64 v[34:35], v[3:4], v[28:29]
	v_mul_f64 v[28:29], v[1:2], v[28:29]
	s_waitcnt vmcnt(0)
	v_fma_f64 v[1:2], v[1:2], v[32:33], -v[34:35]
	v_fma_f64 v[3:4], v[3:4], v[32:33], v[28:29]
.LBB73_130:
	s_mov_b32 s8, exec_lo
	v_cmpx_ne_u32_e32 7, v0
	s_cbranch_execz .LBB73_134
; %bb.131:
	v_add_nc_u32_e32 v28, 0xb0, v31
	v_add3_u32 v29, 0, v31, 16
	v_mov_b32_e32 v30, v0
	s_mov_b32 s17, 0
	.p2align	6
.LBB73_132:                             ; =>This Inner Loop Header: Depth=1
	s_clause 0x3
	buffer_load_dword v36, v29, s[0:3], 0 offen offset:8
	buffer_load_dword v37, v29, s[0:3], 0 offen offset:12
	buffer_load_dword v38, v29, s[0:3], 0 offen
	buffer_load_dword v39, v29, s[0:3], 0 offen offset:4
	ds_read_b128 v[32:35], v28
	v_add_nc_u32_e32 v30, 1, v30
	v_add_nc_u32_e32 v28, 16, v28
	;; [unrolled: 1-line block ×3, first 2 shown]
	v_cmp_lt_u32_e32 vcc_lo, 6, v30
	s_or_b32 s17, vcc_lo, s17
	s_waitcnt vmcnt(2) lgkmcnt(0)
	v_mul_f64 v[40:41], v[34:35], v[36:37]
	v_mul_f64 v[36:37], v[32:33], v[36:37]
	s_waitcnt vmcnt(0)
	v_fma_f64 v[32:33], v[32:33], v[38:39], -v[40:41]
	v_fma_f64 v[34:35], v[34:35], v[38:39], v[36:37]
	v_add_f64 v[1:2], v[1:2], v[32:33]
	v_add_f64 v[3:4], v[3:4], v[34:35]
	s_andn2_b32 exec_lo, exec_lo, s17
	s_cbranch_execnz .LBB73_132
; %bb.133:
	s_or_b32 exec_lo, exec_lo, s17
.LBB73_134:
	s_or_b32 exec_lo, exec_lo, s8
	v_mov_b32_e32 v28, 0
	ds_read_b128 v[32:35], v28 offset:128
	s_waitcnt lgkmcnt(0)
	v_mul_f64 v[28:29], v[3:4], v[34:35]
	v_mul_f64 v[34:35], v[1:2], v[34:35]
	v_fma_f64 v[1:2], v[1:2], v[32:33], -v[28:29]
	v_fma_f64 v[3:4], v[3:4], v[32:33], v[34:35]
	buffer_store_dword v2, off, s[0:3], 0 offset:132
	buffer_store_dword v1, off, s[0:3], 0 offset:128
	;; [unrolled: 1-line block ×4, first 2 shown]
.LBB73_135:
	s_or_b32 exec_lo, exec_lo, s6
	v_mov_b32_e32 v4, s7
	s_mov_b32 s6, exec_lo
                                        ; implicit-def: $sgpr18
	s_clause 0x3
	buffer_load_dword v1, v4, s[0:3], 0 offen
	buffer_load_dword v2, v4, s[0:3], 0 offen offset:4
	buffer_load_dword v3, v4, s[0:3], 0 offen offset:8
	;; [unrolled: 1-line block ×3, first 2 shown]
	s_waitcnt vmcnt(0)
	ds_write_b128 v26, v[1:4]
	s_waitcnt lgkmcnt(0)
	s_waitcnt_vscnt null, 0x0
	s_barrier
	buffer_gl0_inv
                                        ; implicit-def: $vgpr1_vgpr2
	v_cmpx_ne_u32_e32 9, v0
	s_cbranch_execz .LBB73_143
; %bb.136:
	ds_read_b128 v[1:4], v26
	v_cmp_ne_u32_e32 vcc_lo, 1, v27
	s_cbranch_vccnz .LBB73_138
; %bb.137:
	s_clause 0x3
	buffer_load_dword v26, v25, s[0:3], 0 offen offset:8
	buffer_load_dword v27, v25, s[0:3], 0 offen offset:12
	buffer_load_dword v28, v25, s[0:3], 0 offen
	buffer_load_dword v29, v25, s[0:3], 0 offen offset:4
	s_waitcnt vmcnt(2) lgkmcnt(0)
	v_mul_f64 v[32:33], v[3:4], v[26:27]
	v_mul_f64 v[25:26], v[1:2], v[26:27]
	s_waitcnt vmcnt(0)
	v_fma_f64 v[1:2], v[1:2], v[28:29], -v[32:33]
	v_fma_f64 v[3:4], v[3:4], v[28:29], v[25:26]
.LBB73_138:
	s_and_saveexec_b32 s8, s4
	s_cbranch_execz .LBB73_142
; %bb.139:
	v_add_nc_u32_e32 v25, 0xb0, v31
	v_add3_u32 v26, 0, v31, 16
	s_mov_b32 s4, 0
	.p2align	6
.LBB73_140:                             ; =>This Inner Loop Header: Depth=1
	s_clause 0x3
	buffer_load_dword v31, v26, s[0:3], 0 offen offset:8
	buffer_load_dword v32, v26, s[0:3], 0 offen offset:12
	buffer_load_dword v33, v26, s[0:3], 0 offen
	buffer_load_dword v34, v26, s[0:3], 0 offen offset:4
	ds_read_b128 v[27:30], v25
	v_add_nc_u32_e32 v0, 1, v0
	v_add_nc_u32_e32 v25, 16, v25
	;; [unrolled: 1-line block ×3, first 2 shown]
	v_cmp_lt_u32_e32 vcc_lo, 7, v0
	s_or_b32 s4, vcc_lo, s4
	s_waitcnt vmcnt(2) lgkmcnt(0)
	v_mul_f64 v[35:36], v[29:30], v[31:32]
	v_mul_f64 v[31:32], v[27:28], v[31:32]
	s_waitcnt vmcnt(0)
	v_fma_f64 v[27:28], v[27:28], v[33:34], -v[35:36]
	v_fma_f64 v[29:30], v[29:30], v[33:34], v[31:32]
	v_add_f64 v[1:2], v[1:2], v[27:28]
	v_add_f64 v[3:4], v[3:4], v[29:30]
	s_andn2_b32 exec_lo, exec_lo, s4
	s_cbranch_execnz .LBB73_140
; %bb.141:
	s_or_b32 exec_lo, exec_lo, s4
.LBB73_142:
	s_or_b32 exec_lo, exec_lo, s8
	v_mov_b32_e32 v0, 0
	s_movk_i32 s18, 0x98
	s_or_b32 s5, s5, exec_lo
	ds_read_b128 v[25:28], v0 offset:144
	s_waitcnt lgkmcnt(0)
	v_mul_f64 v[29:30], v[3:4], v[27:28]
	v_mul_f64 v[27:28], v[1:2], v[27:28]
	v_fma_f64 v[29:30], v[1:2], v[25:26], -v[29:30]
	v_fma_f64 v[1:2], v[3:4], v[25:26], v[27:28]
	buffer_store_dword v30, off, s[0:3], 0 offset:148
	buffer_store_dword v29, off, s[0:3], 0 offset:144
.LBB73_143:
	s_or_b32 exec_lo, exec_lo, s6
.LBB73_144:
	s_and_saveexec_b32 s4, s5
	s_cbranch_execz .LBB73_146
; %bb.145:
	v_mov_b32_e32 v0, s18
	buffer_store_dword v2, v0, s[0:3], 0 offen offset:4
	buffer_store_dword v1, v0, s[0:3], 0 offen
.LBB73_146:
	s_or_b32 exec_lo, exec_lo, s4
	s_clause 0x3
	buffer_load_dword v0, off, s[0:3], 0
	buffer_load_dword v1, off, s[0:3], 0 offset:4
	buffer_load_dword v2, off, s[0:3], 0 offset:8
	;; [unrolled: 1-line block ×3, first 2 shown]
	v_mov_b32_e32 v4, s16
	s_waitcnt vmcnt(0)
	flat_store_dwordx4 v[5:6], v[0:3]
	s_clause 0x3
	buffer_load_dword v0, v4, s[0:3], 0 offen
	buffer_load_dword v1, v4, s[0:3], 0 offen offset:4
	buffer_load_dword v2, v4, s[0:3], 0 offen offset:8
	buffer_load_dword v3, v4, s[0:3], 0 offen offset:12
	v_mov_b32_e32 v4, s15
	s_waitcnt vmcnt(0)
	flat_store_dwordx4 v[7:8], v[0:3]
	s_clause 0x3
	buffer_load_dword v0, v4, s[0:3], 0 offen
	buffer_load_dword v1, v4, s[0:3], 0 offen offset:4
	buffer_load_dword v2, v4, s[0:3], 0 offen offset:8
	buffer_load_dword v3, v4, s[0:3], 0 offen offset:12
	;; [unrolled: 8-line block ×9, first 2 shown]
	s_waitcnt vmcnt(0)
	flat_store_dwordx4 v[23:24], v[0:3]
.LBB73_147:
	s_endpgm
	.section	.rodata,"a",@progbits
	.p2align	6, 0x0
	.amdhsa_kernel _ZN9rocsolver6v33100L18trti2_kernel_smallILi10E19rocblas_complex_numIdEPKPS3_EEv13rocblas_fill_17rocblas_diagonal_T1_iil
		.amdhsa_group_segment_fixed_size 320
		.amdhsa_private_segment_fixed_size 176
		.amdhsa_kernarg_size 32
		.amdhsa_user_sgpr_count 6
		.amdhsa_user_sgpr_private_segment_buffer 1
		.amdhsa_user_sgpr_dispatch_ptr 0
		.amdhsa_user_sgpr_queue_ptr 0
		.amdhsa_user_sgpr_kernarg_segment_ptr 1
		.amdhsa_user_sgpr_dispatch_id 0
		.amdhsa_user_sgpr_flat_scratch_init 0
		.amdhsa_user_sgpr_private_segment_size 0
		.amdhsa_wavefront_size32 1
		.amdhsa_uses_dynamic_stack 0
		.amdhsa_system_sgpr_private_segment_wavefront_offset 1
		.amdhsa_system_sgpr_workgroup_id_x 1
		.amdhsa_system_sgpr_workgroup_id_y 0
		.amdhsa_system_sgpr_workgroup_id_z 0
		.amdhsa_system_sgpr_workgroup_info 0
		.amdhsa_system_vgpr_workitem_id 0
		.amdhsa_next_free_vgpr 42
		.amdhsa_next_free_sgpr 20
		.amdhsa_reserve_vcc 1
		.amdhsa_reserve_flat_scratch 0
		.amdhsa_float_round_mode_32 0
		.amdhsa_float_round_mode_16_64 0
		.amdhsa_float_denorm_mode_32 3
		.amdhsa_float_denorm_mode_16_64 3
		.amdhsa_dx10_clamp 1
		.amdhsa_ieee_mode 1
		.amdhsa_fp16_overflow 0
		.amdhsa_workgroup_processor_mode 1
		.amdhsa_memory_ordered 1
		.amdhsa_forward_progress 1
		.amdhsa_shared_vgpr_count 0
		.amdhsa_exception_fp_ieee_invalid_op 0
		.amdhsa_exception_fp_denorm_src 0
		.amdhsa_exception_fp_ieee_div_zero 0
		.amdhsa_exception_fp_ieee_overflow 0
		.amdhsa_exception_fp_ieee_underflow 0
		.amdhsa_exception_fp_ieee_inexact 0
		.amdhsa_exception_int_div_zero 0
	.end_amdhsa_kernel
	.section	.text._ZN9rocsolver6v33100L18trti2_kernel_smallILi10E19rocblas_complex_numIdEPKPS3_EEv13rocblas_fill_17rocblas_diagonal_T1_iil,"axG",@progbits,_ZN9rocsolver6v33100L18trti2_kernel_smallILi10E19rocblas_complex_numIdEPKPS3_EEv13rocblas_fill_17rocblas_diagonal_T1_iil,comdat
.Lfunc_end73:
	.size	_ZN9rocsolver6v33100L18trti2_kernel_smallILi10E19rocblas_complex_numIdEPKPS3_EEv13rocblas_fill_17rocblas_diagonal_T1_iil, .Lfunc_end73-_ZN9rocsolver6v33100L18trti2_kernel_smallILi10E19rocblas_complex_numIdEPKPS3_EEv13rocblas_fill_17rocblas_diagonal_T1_iil
                                        ; -- End function
	.set _ZN9rocsolver6v33100L18trti2_kernel_smallILi10E19rocblas_complex_numIdEPKPS3_EEv13rocblas_fill_17rocblas_diagonal_T1_iil.num_vgpr, 42
	.set _ZN9rocsolver6v33100L18trti2_kernel_smallILi10E19rocblas_complex_numIdEPKPS3_EEv13rocblas_fill_17rocblas_diagonal_T1_iil.num_agpr, 0
	.set _ZN9rocsolver6v33100L18trti2_kernel_smallILi10E19rocblas_complex_numIdEPKPS3_EEv13rocblas_fill_17rocblas_diagonal_T1_iil.numbered_sgpr, 20
	.set _ZN9rocsolver6v33100L18trti2_kernel_smallILi10E19rocblas_complex_numIdEPKPS3_EEv13rocblas_fill_17rocblas_diagonal_T1_iil.num_named_barrier, 0
	.set _ZN9rocsolver6v33100L18trti2_kernel_smallILi10E19rocblas_complex_numIdEPKPS3_EEv13rocblas_fill_17rocblas_diagonal_T1_iil.private_seg_size, 176
	.set _ZN9rocsolver6v33100L18trti2_kernel_smallILi10E19rocblas_complex_numIdEPKPS3_EEv13rocblas_fill_17rocblas_diagonal_T1_iil.uses_vcc, 1
	.set _ZN9rocsolver6v33100L18trti2_kernel_smallILi10E19rocblas_complex_numIdEPKPS3_EEv13rocblas_fill_17rocblas_diagonal_T1_iil.uses_flat_scratch, 0
	.set _ZN9rocsolver6v33100L18trti2_kernel_smallILi10E19rocblas_complex_numIdEPKPS3_EEv13rocblas_fill_17rocblas_diagonal_T1_iil.has_dyn_sized_stack, 0
	.set _ZN9rocsolver6v33100L18trti2_kernel_smallILi10E19rocblas_complex_numIdEPKPS3_EEv13rocblas_fill_17rocblas_diagonal_T1_iil.has_recursion, 0
	.set _ZN9rocsolver6v33100L18trti2_kernel_smallILi10E19rocblas_complex_numIdEPKPS3_EEv13rocblas_fill_17rocblas_diagonal_T1_iil.has_indirect_call, 0
	.section	.AMDGPU.csdata,"",@progbits
; Kernel info:
; codeLenInByte = 9660
; TotalNumSgprs: 22
; NumVgprs: 42
; ScratchSize: 176
; MemoryBound: 0
; FloatMode: 240
; IeeeMode: 1
; LDSByteSize: 320 bytes/workgroup (compile time only)
; SGPRBlocks: 0
; VGPRBlocks: 5
; NumSGPRsForWavesPerEU: 22
; NumVGPRsForWavesPerEU: 42
; Occupancy: 16
; WaveLimiterHint : 1
; COMPUTE_PGM_RSRC2:SCRATCH_EN: 1
; COMPUTE_PGM_RSRC2:USER_SGPR: 6
; COMPUTE_PGM_RSRC2:TRAP_HANDLER: 0
; COMPUTE_PGM_RSRC2:TGID_X_EN: 1
; COMPUTE_PGM_RSRC2:TGID_Y_EN: 0
; COMPUTE_PGM_RSRC2:TGID_Z_EN: 0
; COMPUTE_PGM_RSRC2:TIDIG_COMP_CNT: 0
	.section	.text._ZN9rocsolver6v33100L18trti2_kernel_smallILi11E19rocblas_complex_numIdEPKPS3_EEv13rocblas_fill_17rocblas_diagonal_T1_iil,"axG",@progbits,_ZN9rocsolver6v33100L18trti2_kernel_smallILi11E19rocblas_complex_numIdEPKPS3_EEv13rocblas_fill_17rocblas_diagonal_T1_iil,comdat
	.globl	_ZN9rocsolver6v33100L18trti2_kernel_smallILi11E19rocblas_complex_numIdEPKPS3_EEv13rocblas_fill_17rocblas_diagonal_T1_iil ; -- Begin function _ZN9rocsolver6v33100L18trti2_kernel_smallILi11E19rocblas_complex_numIdEPKPS3_EEv13rocblas_fill_17rocblas_diagonal_T1_iil
	.p2align	8
	.type	_ZN9rocsolver6v33100L18trti2_kernel_smallILi11E19rocblas_complex_numIdEPKPS3_EEv13rocblas_fill_17rocblas_diagonal_T1_iil,@function
_ZN9rocsolver6v33100L18trti2_kernel_smallILi11E19rocblas_complex_numIdEPKPS3_EEv13rocblas_fill_17rocblas_diagonal_T1_iil: ; @_ZN9rocsolver6v33100L18trti2_kernel_smallILi11E19rocblas_complex_numIdEPKPS3_EEv13rocblas_fill_17rocblas_diagonal_T1_iil
; %bb.0:
	s_add_u32 s0, s0, s7
	s_addc_u32 s1, s1, 0
	s_mov_b32 s7, exec_lo
	v_cmpx_gt_u32_e32 11, v0
	s_cbranch_execz .LBB74_163
; %bb.1:
	s_clause 0x1
	s_load_dwordx2 s[12:13], s[4:5], 0x10
	s_load_dwordx4 s[8:11], s[4:5], 0x0
	s_ashr_i32 s7, s6, 31
	v_lshlrev_b32_e32 v33, 4, v0
	s_lshl_b64 s[4:5], s[6:7], 3
	s_movk_i32 s18, 0x90
	s_movk_i32 s19, 0xa0
	s_waitcnt lgkmcnt(0)
	s_ashr_i32 s7, s12, 31
	s_add_u32 s4, s10, s4
	s_addc_u32 s5, s11, s5
	s_mov_b32 s6, s12
	s_load_dwordx2 s[4:5], s[4:5], 0x0
	s_lshl_b64 s[6:7], s[6:7], 4
	v_add3_u32 v11, s13, s13, v0
	v_ashrrev_i32_e32 v12, 31, v11
	v_add_nc_u32_e32 v13, s13, v11
	v_lshlrev_b64 v[9:10], 4, v[11:12]
	v_ashrrev_i32_e32 v14, 31, v13
	v_add_nc_u32_e32 v15, s13, v13
	v_lshlrev_b64 v[11:12], 4, v[13:14]
	v_ashrrev_i32_e32 v16, 31, v15
	s_waitcnt lgkmcnt(0)
	s_add_u32 s6, s4, s6
	s_addc_u32 s7, s5, s7
	v_add_co_u32 v5, s4, s6, v33
	v_add_co_ci_u32_e64 v6, null, s7, 0, s4
	s_mov_b32 s4, s13
	s_ashr_i32 s5, s13, 31
	v_lshlrev_b64 v[13:14], 4, v[15:16]
	flat_load_dwordx4 v[1:4], v[5:6]
	s_lshl_b64 s[4:5], s[4:5], 4
	v_add_nc_u32_e32 v17, s13, v15
	v_add_co_u32 v7, vcc_lo, v5, s4
	v_add_co_ci_u32_e64 v8, null, s5, v6, vcc_lo
	v_add_co_u32 v9, vcc_lo, s6, v9
	v_add_co_ci_u32_e64 v10, null, s7, v10, vcc_lo
	;; [unrolled: 2-line block ×4, first 2 shown]
	v_ashrrev_i32_e32 v18, 31, v17
	v_add_nc_u32_e32 v19, s13, v17
	s_cmpk_lg_i32 s9, 0x84
	s_movk_i32 s4, 0x50
	s_movk_i32 s5, 0x60
	v_lshlrev_b64 v[15:16], 4, v[17:18]
	v_ashrrev_i32_e32 v20, 31, v19
	v_add_nc_u32_e32 v21, s13, v19
	s_cselect_b32 s17, -1, 0
	s_cmpk_eq_i32 s9, 0x84
	s_waitcnt vmcnt(0) lgkmcnt(0)
	buffer_store_dword v4, off, s[0:3], 0 offset:12
	buffer_store_dword v3, off, s[0:3], 0 offset:8
	;; [unrolled: 1-line block ×3, first 2 shown]
	buffer_store_dword v1, off, s[0:3], 0
	flat_load_dwordx4 v[1:4], v[7:8]
	v_add_co_u32 v15, vcc_lo, s6, v15
	v_add_co_ci_u32_e64 v16, null, s7, v16, vcc_lo
	v_lshlrev_b64 v[17:18], 4, v[19:20]
	v_ashrrev_i32_e32 v22, 31, v21
	v_add_nc_u32_e32 v23, s13, v21
	s_waitcnt vmcnt(0) lgkmcnt(0)
	buffer_store_dword v4, off, s[0:3], 0 offset:28
	buffer_store_dword v3, off, s[0:3], 0 offset:24
	;; [unrolled: 1-line block ×4, first 2 shown]
	flat_load_dwordx4 v[1:4], v[9:10]
	v_add_co_u32 v17, vcc_lo, s6, v17
	v_add_co_ci_u32_e64 v18, null, s7, v18, vcc_lo
	v_lshlrev_b64 v[19:20], 4, v[21:22]
	v_ashrrev_i32_e32 v24, 31, v23
	v_add_nc_u32_e32 v25, s13, v23
	s_waitcnt vmcnt(0) lgkmcnt(0)
	buffer_store_dword v4, off, s[0:3], 0 offset:44
	buffer_store_dword v3, off, s[0:3], 0 offset:40
	;; [unrolled: 1-line block ×4, first 2 shown]
	flat_load_dwordx4 v[1:4], v[11:12]
	v_add_co_u32 v19, vcc_lo, s6, v19
	v_add_co_ci_u32_e64 v20, null, s7, v20, vcc_lo
	v_lshlrev_b64 v[21:22], 4, v[23:24]
	v_ashrrev_i32_e32 v26, 31, v25
	s_waitcnt vmcnt(0) lgkmcnt(0)
	buffer_store_dword v4, off, s[0:3], 0 offset:60
	buffer_store_dword v3, off, s[0:3], 0 offset:56
	;; [unrolled: 1-line block ×4, first 2 shown]
	flat_load_dwordx4 v[1:4], v[13:14]
	v_add_co_u32 v21, vcc_lo, s6, v21
	v_add_co_ci_u32_e64 v22, null, s7, v22, vcc_lo
	v_lshlrev_b64 v[23:24], 4, v[25:26]
	v_add_nc_u32_e32 v25, s13, v25
	s_waitcnt vmcnt(0) lgkmcnt(0)
	buffer_store_dword v4, off, s[0:3], 0 offset:76
	buffer_store_dword v3, off, s[0:3], 0 offset:72
	buffer_store_dword v2, off, s[0:3], 0 offset:68
	buffer_store_dword v1, off, s[0:3], 0 offset:64
	flat_load_dwordx4 v[1:4], v[15:16]
	v_add_co_u32 v23, vcc_lo, s6, v23
	v_add_co_ci_u32_e64 v24, null, s7, v24, vcc_lo
	v_ashrrev_i32_e32 v26, 31, v25
	s_waitcnt vmcnt(0) lgkmcnt(0)
	buffer_store_dword v4, off, s[0:3], 0 offset:92
	buffer_store_dword v3, off, s[0:3], 0 offset:88
	buffer_store_dword v2, off, s[0:3], 0 offset:84
	buffer_store_dword v1, off, s[0:3], 0 offset:80
	flat_load_dwordx4 v[1:4], v[17:18]
	v_lshlrev_b64 v[25:26], 4, v[25:26]
	s_waitcnt vmcnt(0) lgkmcnt(0)
	buffer_store_dword v4, off, s[0:3], 0 offset:108
	buffer_store_dword v3, off, s[0:3], 0 offset:104
	;; [unrolled: 1-line block ×4, first 2 shown]
	flat_load_dwordx4 v[1:4], v[19:20]
	v_add_co_u32 v25, vcc_lo, s6, v25
	v_add_co_ci_u32_e64 v26, null, s7, v26, vcc_lo
	s_movk_i32 s6, 0x70
	s_movk_i32 s7, 0x80
	s_waitcnt vmcnt(0) lgkmcnt(0)
	buffer_store_dword v4, off, s[0:3], 0 offset:124
	buffer_store_dword v3, off, s[0:3], 0 offset:120
	buffer_store_dword v2, off, s[0:3], 0 offset:116
	buffer_store_dword v1, off, s[0:3], 0 offset:112
	flat_load_dwordx4 v[1:4], v[21:22]
	s_waitcnt vmcnt(0) lgkmcnt(0)
	buffer_store_dword v4, off, s[0:3], 0 offset:140
	buffer_store_dword v3, off, s[0:3], 0 offset:136
	buffer_store_dword v2, off, s[0:3], 0 offset:132
	buffer_store_dword v1, off, s[0:3], 0 offset:128
	flat_load_dwordx4 v[1:4], v[23:24]
	;; [unrolled: 6-line block ×3, first 2 shown]
	s_waitcnt vmcnt(0) lgkmcnt(0)
	buffer_store_dword v4, off, s[0:3], 0 offset:172
	buffer_store_dword v3, off, s[0:3], 0 offset:168
	;; [unrolled: 1-line block ×4, first 2 shown]
	s_cbranch_scc1 .LBB74_7
; %bb.2:
	v_lshl_add_u32 v34, v0, 4, 0
                                        ; implicit-def: $vgpr29_vgpr30
                                        ; implicit-def: $vgpr3_vgpr4
	s_clause 0x3
	buffer_load_dword v27, v34, s[0:3], 0 offen
	buffer_load_dword v28, v34, s[0:3], 0 offen offset:4
	buffer_load_dword v31, v34, s[0:3], 0 offen offset:8
	buffer_load_dword v32, v34, s[0:3], 0 offen offset:12
	s_waitcnt vmcnt(0)
	v_cmp_ngt_f64_e64 s9, |v[27:28]|, |v[31:32]|
	s_and_saveexec_b32 s10, s9
	s_xor_b32 s9, exec_lo, s10
	s_cbranch_execz .LBB74_4
; %bb.3:
	v_div_scale_f64 v[1:2], null, v[31:32], v[31:32], v[27:28]
	v_div_scale_f64 v[35:36], vcc_lo, v[27:28], v[31:32], v[27:28]
	v_rcp_f64_e32 v[3:4], v[1:2]
	v_fma_f64 v[29:30], -v[1:2], v[3:4], 1.0
	v_fma_f64 v[3:4], v[3:4], v[29:30], v[3:4]
	v_fma_f64 v[29:30], -v[1:2], v[3:4], 1.0
	v_fma_f64 v[3:4], v[3:4], v[29:30], v[3:4]
	v_mul_f64 v[29:30], v[35:36], v[3:4]
	v_fma_f64 v[1:2], -v[1:2], v[29:30], v[35:36]
	v_div_fmas_f64 v[1:2], v[1:2], v[3:4], v[29:30]
	v_div_fixup_f64 v[1:2], v[1:2], v[31:32], v[27:28]
	v_fma_f64 v[3:4], v[27:28], v[1:2], v[31:32]
	v_div_scale_f64 v[27:28], null, v[3:4], v[3:4], 1.0
	v_div_scale_f64 v[35:36], vcc_lo, 1.0, v[3:4], 1.0
	v_rcp_f64_e32 v[29:30], v[27:28]
	v_fma_f64 v[31:32], -v[27:28], v[29:30], 1.0
	v_fma_f64 v[29:30], v[29:30], v[31:32], v[29:30]
	v_fma_f64 v[31:32], -v[27:28], v[29:30], 1.0
	v_fma_f64 v[29:30], v[29:30], v[31:32], v[29:30]
	v_mul_f64 v[31:32], v[35:36], v[29:30]
	v_fma_f64 v[27:28], -v[27:28], v[31:32], v[35:36]
	v_div_fmas_f64 v[27:28], v[27:28], v[29:30], v[31:32]
                                        ; implicit-def: $vgpr31_vgpr32
	v_div_fixup_f64 v[3:4], v[27:28], v[3:4], 1.0
                                        ; implicit-def: $vgpr27_vgpr28
	v_mul_f64 v[29:30], v[1:2], v[3:4]
	v_xor_b32_e32 v4, 0x80000000, v4
	v_xor_b32_e32 v2, 0x80000000, v30
	v_mov_b32_e32 v1, v29
.LBB74_4:
	s_andn2_saveexec_b32 s9, s9
	s_cbranch_execz .LBB74_6
; %bb.5:
	v_div_scale_f64 v[1:2], null, v[27:28], v[27:28], v[31:32]
	v_div_scale_f64 v[35:36], vcc_lo, v[31:32], v[27:28], v[31:32]
	v_rcp_f64_e32 v[3:4], v[1:2]
	v_fma_f64 v[29:30], -v[1:2], v[3:4], 1.0
	v_fma_f64 v[3:4], v[3:4], v[29:30], v[3:4]
	v_fma_f64 v[29:30], -v[1:2], v[3:4], 1.0
	v_fma_f64 v[3:4], v[3:4], v[29:30], v[3:4]
	v_mul_f64 v[29:30], v[35:36], v[3:4]
	v_fma_f64 v[1:2], -v[1:2], v[29:30], v[35:36]
	v_div_fmas_f64 v[1:2], v[1:2], v[3:4], v[29:30]
	v_div_fixup_f64 v[1:2], v[1:2], v[27:28], v[31:32]
	v_fma_f64 v[3:4], v[31:32], v[1:2], v[27:28]
	v_div_scale_f64 v[27:28], null, v[3:4], v[3:4], 1.0
	v_rcp_f64_e32 v[29:30], v[27:28]
	v_fma_f64 v[31:32], -v[27:28], v[29:30], 1.0
	v_fma_f64 v[29:30], v[29:30], v[31:32], v[29:30]
	v_fma_f64 v[31:32], -v[27:28], v[29:30], 1.0
	v_fma_f64 v[29:30], v[29:30], v[31:32], v[29:30]
	v_div_scale_f64 v[31:32], vcc_lo, 1.0, v[3:4], 1.0
	v_mul_f64 v[35:36], v[31:32], v[29:30]
	v_fma_f64 v[27:28], -v[27:28], v[35:36], v[31:32]
	v_div_fmas_f64 v[27:28], v[27:28], v[29:30], v[35:36]
	v_div_fixup_f64 v[29:30], v[27:28], v[3:4], 1.0
	v_mul_f64 v[3:4], v[1:2], -v[29:30]
	v_xor_b32_e32 v2, 0x80000000, v30
	v_mov_b32_e32 v1, v29
.LBB74_6:
	s_or_b32 exec_lo, exec_lo, s9
	buffer_store_dword v4, v34, s[0:3], 0 offen offset:12
	v_xor_b32_e32 v4, 0x80000000, v4
	buffer_store_dword v30, v34, s[0:3], 0 offen offset:4
	buffer_store_dword v29, v34, s[0:3], 0 offen
	buffer_store_dword v3, v34, s[0:3], 0 offen offset:8
	s_branch .LBB74_8
.LBB74_7:
	v_mov_b32_e32 v1, 0
	v_mov_b32_e32 v3, 0
	v_mov_b32_e32 v2, 0xbff00000
	v_mov_b32_e32 v4, 0
.LBB74_8:
	v_add_nc_u32_e32 v28, 0xb0, v33
	v_mov_b32_e32 v27, v33
	s_mov_b32 s16, 16
	s_mov_b32 s15, 32
	;; [unrolled: 1-line block ×10, first 2 shown]
	s_cmpk_eq_i32 s8, 0x79
	ds_write_b128 v33, v[1:4]
	s_cbranch_scc1 .LBB74_84
; %bb.9:
	v_mov_b32_e32 v4, s7
	v_cmp_eq_u32_e64 s4, 10, v0
	s_clause 0x3
	buffer_load_dword v1, v4, s[0:3], 0 offen
	buffer_load_dword v2, v4, s[0:3], 0 offen offset:4
	buffer_load_dword v3, v4, s[0:3], 0 offen offset:8
	buffer_load_dword v4, v4, s[0:3], 0 offen offset:12
	s_waitcnt vmcnt(0)
	ds_write_b128 v28, v[1:4]
	s_waitcnt lgkmcnt(0)
	s_waitcnt_vscnt null, 0x0
	s_barrier
	buffer_gl0_inv
	s_and_saveexec_b32 s5, s4
	s_cbranch_execz .LBB74_13
; %bb.10:
	ds_read_b128 v[1:4], v28
	s_andn2_b32 vcc_lo, exec_lo, s17
	s_cbranch_vccnz .LBB74_12
; %bb.11:
	s_clause 0x3
	buffer_load_dword v29, v27, s[0:3], 0 offen offset:8
	buffer_load_dword v30, v27, s[0:3], 0 offen offset:12
	buffer_load_dword v31, v27, s[0:3], 0 offen
	buffer_load_dword v32, v27, s[0:3], 0 offen offset:4
	s_waitcnt vmcnt(2) lgkmcnt(0)
	v_mul_f64 v[34:35], v[3:4], v[29:30]
	v_mul_f64 v[29:30], v[1:2], v[29:30]
	s_waitcnt vmcnt(0)
	v_fma_f64 v[1:2], v[1:2], v[31:32], -v[34:35]
	v_fma_f64 v[3:4], v[3:4], v[31:32], v[29:30]
.LBB74_12:
	v_mov_b32_e32 v29, 0
	ds_read_b128 v[29:32], v29 offset:144
	s_waitcnt lgkmcnt(0)
	v_mul_f64 v[34:35], v[3:4], v[31:32]
	v_mul_f64 v[31:32], v[1:2], v[31:32]
	v_fma_f64 v[1:2], v[1:2], v[29:30], -v[34:35]
	v_fma_f64 v[3:4], v[3:4], v[29:30], v[31:32]
	buffer_store_dword v2, off, s[0:3], 0 offset:148
	buffer_store_dword v1, off, s[0:3], 0 offset:144
	;; [unrolled: 1-line block ×4, first 2 shown]
.LBB74_13:
	s_or_b32 exec_lo, exec_lo, s5
	v_mov_b32_e32 v4, s9
	v_cmp_lt_u32_e64 s5, 8, v0
	s_clause 0x3
	buffer_load_dword v1, v4, s[0:3], 0 offen
	buffer_load_dword v2, v4, s[0:3], 0 offen offset:4
	buffer_load_dword v3, v4, s[0:3], 0 offen offset:8
	;; [unrolled: 1-line block ×3, first 2 shown]
	s_waitcnt vmcnt(0)
	ds_write_b128 v28, v[1:4]
	s_waitcnt lgkmcnt(0)
	s_waitcnt_vscnt null, 0x0
	s_barrier
	buffer_gl0_inv
	s_and_saveexec_b32 s8, s5
	s_cbranch_execz .LBB74_19
; %bb.14:
	ds_read_b128 v[1:4], v28
	s_andn2_b32 vcc_lo, exec_lo, s17
	s_cbranch_vccnz .LBB74_16
; %bb.15:
	s_clause 0x3
	buffer_load_dword v29, v27, s[0:3], 0 offen offset:8
	buffer_load_dword v30, v27, s[0:3], 0 offen offset:12
	buffer_load_dword v31, v27, s[0:3], 0 offen
	buffer_load_dword v32, v27, s[0:3], 0 offen offset:4
	s_waitcnt vmcnt(2) lgkmcnt(0)
	v_mul_f64 v[34:35], v[3:4], v[29:30]
	v_mul_f64 v[29:30], v[1:2], v[29:30]
	s_waitcnt vmcnt(0)
	v_fma_f64 v[1:2], v[1:2], v[31:32], -v[34:35]
	v_fma_f64 v[3:4], v[3:4], v[31:32], v[29:30]
.LBB74_16:
	s_and_saveexec_b32 s18, s4
	s_cbranch_execz .LBB74_18
; %bb.17:
	s_clause 0x3
	buffer_load_dword v34, off, s[0:3], 0 offset:152
	buffer_load_dword v35, off, s[0:3], 0 offset:156
	;; [unrolled: 1-line block ×4, first 2 shown]
	v_mov_b32_e32 v29, 0
	ds_read_b128 v[29:32], v29 offset:320
	s_waitcnt vmcnt(2) lgkmcnt(0)
	v_mul_f64 v[38:39], v[29:30], v[34:35]
	v_mul_f64 v[34:35], v[31:32], v[34:35]
	s_waitcnt vmcnt(0)
	v_fma_f64 v[31:32], v[31:32], v[36:37], v[38:39]
	v_fma_f64 v[29:30], v[29:30], v[36:37], -v[34:35]
	v_add_f64 v[3:4], v[3:4], v[31:32]
	v_add_f64 v[1:2], v[1:2], v[29:30]
.LBB74_18:
	s_or_b32 exec_lo, exec_lo, s18
	v_mov_b32_e32 v29, 0
	ds_read_b128 v[29:32], v29 offset:128
	s_waitcnt lgkmcnt(0)
	v_mul_f64 v[34:35], v[3:4], v[31:32]
	v_mul_f64 v[31:32], v[1:2], v[31:32]
	v_fma_f64 v[1:2], v[1:2], v[29:30], -v[34:35]
	v_fma_f64 v[3:4], v[3:4], v[29:30], v[31:32]
	buffer_store_dword v2, off, s[0:3], 0 offset:132
	buffer_store_dword v1, off, s[0:3], 0 offset:128
	;; [unrolled: 1-line block ×4, first 2 shown]
.LBB74_19:
	s_or_b32 exec_lo, exec_lo, s8
	v_mov_b32_e32 v4, s10
	v_cmp_lt_u32_e64 s4, 7, v0
	s_clause 0x3
	buffer_load_dword v1, v4, s[0:3], 0 offen
	buffer_load_dword v2, v4, s[0:3], 0 offen offset:4
	buffer_load_dword v3, v4, s[0:3], 0 offen offset:8
	;; [unrolled: 1-line block ×3, first 2 shown]
	s_waitcnt vmcnt(0)
	ds_write_b128 v28, v[1:4]
	s_waitcnt lgkmcnt(0)
	s_waitcnt_vscnt null, 0x0
	s_barrier
	buffer_gl0_inv
	s_and_saveexec_b32 s8, s4
	s_cbranch_execz .LBB74_27
; %bb.20:
	ds_read_b128 v[1:4], v28
	s_andn2_b32 vcc_lo, exec_lo, s17
	s_cbranch_vccnz .LBB74_22
; %bb.21:
	s_clause 0x3
	buffer_load_dword v29, v27, s[0:3], 0 offen offset:8
	buffer_load_dword v30, v27, s[0:3], 0 offen offset:12
	buffer_load_dword v31, v27, s[0:3], 0 offen
	buffer_load_dword v32, v27, s[0:3], 0 offen offset:4
	s_waitcnt vmcnt(2) lgkmcnt(0)
	v_mul_f64 v[34:35], v[3:4], v[29:30]
	v_mul_f64 v[29:30], v[1:2], v[29:30]
	s_waitcnt vmcnt(0)
	v_fma_f64 v[1:2], v[1:2], v[31:32], -v[34:35]
	v_fma_f64 v[3:4], v[3:4], v[31:32], v[29:30]
.LBB74_22:
	s_and_saveexec_b32 s18, s5
	s_cbranch_execz .LBB74_26
; %bb.23:
	v_add_nc_u32_e32 v29, -8, v0
	s_movk_i32 s19, 0x130
	s_mov_b32 s5, 0
	s_mov_b32 s20, s9
	.p2align	6
.LBB74_24:                              ; =>This Inner Loop Header: Depth=1
	v_mov_b32_e32 v32, s20
	v_add_nc_u32_e32 v29, -1, v29
	s_add_i32 s20, s20, 16
	s_clause 0x3
	buffer_load_dword v30, v32, s[0:3], 0 offen offset:8
	buffer_load_dword v31, v32, s[0:3], 0 offen offset:12
	buffer_load_dword v38, v32, s[0:3], 0 offen
	buffer_load_dword v39, v32, s[0:3], 0 offen offset:4
	v_mov_b32_e32 v32, s19
	v_cmp_eq_u32_e32 vcc_lo, 0, v29
	s_add_i32 s19, s19, 16
	ds_read_b128 v[34:37], v32
	s_or_b32 s5, vcc_lo, s5
	s_waitcnt vmcnt(2) lgkmcnt(0)
	v_mul_f64 v[40:41], v[36:37], v[30:31]
	v_mul_f64 v[30:31], v[34:35], v[30:31]
	s_waitcnt vmcnt(0)
	v_fma_f64 v[34:35], v[34:35], v[38:39], -v[40:41]
	v_fma_f64 v[30:31], v[36:37], v[38:39], v[30:31]
	v_add_f64 v[1:2], v[1:2], v[34:35]
	v_add_f64 v[3:4], v[3:4], v[30:31]
	s_andn2_b32 exec_lo, exec_lo, s5
	s_cbranch_execnz .LBB74_24
; %bb.25:
	s_or_b32 exec_lo, exec_lo, s5
.LBB74_26:
	s_or_b32 exec_lo, exec_lo, s18
	v_mov_b32_e32 v29, 0
	ds_read_b128 v[29:32], v29 offset:112
	s_waitcnt lgkmcnt(0)
	v_mul_f64 v[34:35], v[3:4], v[31:32]
	v_mul_f64 v[31:32], v[1:2], v[31:32]
	v_fma_f64 v[1:2], v[1:2], v[29:30], -v[34:35]
	v_fma_f64 v[3:4], v[3:4], v[29:30], v[31:32]
	buffer_store_dword v2, off, s[0:3], 0 offset:116
	buffer_store_dword v1, off, s[0:3], 0 offset:112
	;; [unrolled: 1-line block ×4, first 2 shown]
.LBB74_27:
	s_or_b32 exec_lo, exec_lo, s8
	v_mov_b32_e32 v4, s11
	v_cmp_lt_u32_e64 s5, 6, v0
	s_clause 0x3
	buffer_load_dword v1, v4, s[0:3], 0 offen
	buffer_load_dword v2, v4, s[0:3], 0 offen offset:4
	buffer_load_dword v3, v4, s[0:3], 0 offen offset:8
	;; [unrolled: 1-line block ×3, first 2 shown]
	s_waitcnt vmcnt(0)
	ds_write_b128 v28, v[1:4]
	s_waitcnt lgkmcnt(0)
	s_waitcnt_vscnt null, 0x0
	s_barrier
	buffer_gl0_inv
	s_and_saveexec_b32 s8, s5
	s_cbranch_execz .LBB74_35
; %bb.28:
	ds_read_b128 v[1:4], v28
	s_andn2_b32 vcc_lo, exec_lo, s17
	s_cbranch_vccnz .LBB74_30
; %bb.29:
	s_clause 0x3
	buffer_load_dword v29, v27, s[0:3], 0 offen offset:8
	buffer_load_dword v30, v27, s[0:3], 0 offen offset:12
	buffer_load_dword v31, v27, s[0:3], 0 offen
	buffer_load_dword v32, v27, s[0:3], 0 offen offset:4
	s_waitcnt vmcnt(2) lgkmcnt(0)
	v_mul_f64 v[34:35], v[3:4], v[29:30]
	v_mul_f64 v[29:30], v[1:2], v[29:30]
	s_waitcnt vmcnt(0)
	v_fma_f64 v[1:2], v[1:2], v[31:32], -v[34:35]
	v_fma_f64 v[3:4], v[3:4], v[31:32], v[29:30]
.LBB74_30:
	s_and_saveexec_b32 s18, s4
	s_cbranch_execz .LBB74_34
; %bb.31:
	v_add_nc_u32_e32 v29, -7, v0
	s_movk_i32 s19, 0x120
	s_mov_b32 s4, 0
	s_mov_b32 s20, s10
	.p2align	6
.LBB74_32:                              ; =>This Inner Loop Header: Depth=1
	v_mov_b32_e32 v32, s20
	v_add_nc_u32_e32 v29, -1, v29
	s_add_i32 s20, s20, 16
	s_clause 0x3
	buffer_load_dword v30, v32, s[0:3], 0 offen offset:8
	buffer_load_dword v31, v32, s[0:3], 0 offen offset:12
	buffer_load_dword v38, v32, s[0:3], 0 offen
	buffer_load_dword v39, v32, s[0:3], 0 offen offset:4
	v_mov_b32_e32 v32, s19
	v_cmp_eq_u32_e32 vcc_lo, 0, v29
	s_add_i32 s19, s19, 16
	ds_read_b128 v[34:37], v32
	s_or_b32 s4, vcc_lo, s4
	s_waitcnt vmcnt(2) lgkmcnt(0)
	v_mul_f64 v[40:41], v[36:37], v[30:31]
	v_mul_f64 v[30:31], v[34:35], v[30:31]
	s_waitcnt vmcnt(0)
	v_fma_f64 v[34:35], v[34:35], v[38:39], -v[40:41]
	v_fma_f64 v[30:31], v[36:37], v[38:39], v[30:31]
	v_add_f64 v[1:2], v[1:2], v[34:35]
	v_add_f64 v[3:4], v[3:4], v[30:31]
	s_andn2_b32 exec_lo, exec_lo, s4
	s_cbranch_execnz .LBB74_32
; %bb.33:
	s_or_b32 exec_lo, exec_lo, s4
.LBB74_34:
	s_or_b32 exec_lo, exec_lo, s18
	v_mov_b32_e32 v29, 0
	ds_read_b128 v[29:32], v29 offset:96
	s_waitcnt lgkmcnt(0)
	v_mul_f64 v[34:35], v[3:4], v[31:32]
	v_mul_f64 v[31:32], v[1:2], v[31:32]
	v_fma_f64 v[1:2], v[1:2], v[29:30], -v[34:35]
	v_fma_f64 v[3:4], v[3:4], v[29:30], v[31:32]
	buffer_store_dword v2, off, s[0:3], 0 offset:100
	buffer_store_dword v1, off, s[0:3], 0 offset:96
	;; [unrolled: 1-line block ×4, first 2 shown]
.LBB74_35:
	s_or_b32 exec_lo, exec_lo, s8
	v_mov_b32_e32 v4, s12
	v_cmp_lt_u32_e64 s4, 5, v0
	s_clause 0x3
	buffer_load_dword v1, v4, s[0:3], 0 offen
	buffer_load_dword v2, v4, s[0:3], 0 offen offset:4
	buffer_load_dword v3, v4, s[0:3], 0 offen offset:8
	;; [unrolled: 1-line block ×3, first 2 shown]
	s_waitcnt vmcnt(0)
	ds_write_b128 v28, v[1:4]
	s_waitcnt lgkmcnt(0)
	s_waitcnt_vscnt null, 0x0
	s_barrier
	buffer_gl0_inv
	s_and_saveexec_b32 s8, s4
	s_cbranch_execz .LBB74_43
; %bb.36:
	ds_read_b128 v[1:4], v28
	s_andn2_b32 vcc_lo, exec_lo, s17
	s_cbranch_vccnz .LBB74_38
; %bb.37:
	s_clause 0x3
	buffer_load_dword v29, v27, s[0:3], 0 offen offset:8
	buffer_load_dword v30, v27, s[0:3], 0 offen offset:12
	buffer_load_dword v31, v27, s[0:3], 0 offen
	buffer_load_dword v32, v27, s[0:3], 0 offen offset:4
	s_waitcnt vmcnt(2) lgkmcnt(0)
	v_mul_f64 v[34:35], v[3:4], v[29:30]
	v_mul_f64 v[29:30], v[1:2], v[29:30]
	s_waitcnt vmcnt(0)
	v_fma_f64 v[1:2], v[1:2], v[31:32], -v[34:35]
	v_fma_f64 v[3:4], v[3:4], v[31:32], v[29:30]
.LBB74_38:
	s_and_saveexec_b32 s18, s5
	s_cbranch_execz .LBB74_42
; %bb.39:
	v_add_nc_u32_e32 v29, -6, v0
	s_movk_i32 s19, 0x110
	s_mov_b32 s5, 0
	s_mov_b32 s20, s11
	.p2align	6
.LBB74_40:                              ; =>This Inner Loop Header: Depth=1
	v_mov_b32_e32 v32, s20
	v_add_nc_u32_e32 v29, -1, v29
	s_add_i32 s20, s20, 16
	s_clause 0x3
	buffer_load_dword v30, v32, s[0:3], 0 offen offset:8
	buffer_load_dword v31, v32, s[0:3], 0 offen offset:12
	buffer_load_dword v38, v32, s[0:3], 0 offen
	buffer_load_dword v39, v32, s[0:3], 0 offen offset:4
	v_mov_b32_e32 v32, s19
	v_cmp_eq_u32_e32 vcc_lo, 0, v29
	s_add_i32 s19, s19, 16
	ds_read_b128 v[34:37], v32
	s_or_b32 s5, vcc_lo, s5
	s_waitcnt vmcnt(2) lgkmcnt(0)
	v_mul_f64 v[40:41], v[36:37], v[30:31]
	v_mul_f64 v[30:31], v[34:35], v[30:31]
	s_waitcnt vmcnt(0)
	v_fma_f64 v[34:35], v[34:35], v[38:39], -v[40:41]
	v_fma_f64 v[30:31], v[36:37], v[38:39], v[30:31]
	v_add_f64 v[1:2], v[1:2], v[34:35]
	v_add_f64 v[3:4], v[3:4], v[30:31]
	s_andn2_b32 exec_lo, exec_lo, s5
	s_cbranch_execnz .LBB74_40
; %bb.41:
	s_or_b32 exec_lo, exec_lo, s5
.LBB74_42:
	s_or_b32 exec_lo, exec_lo, s18
	v_mov_b32_e32 v29, 0
	ds_read_b128 v[29:32], v29 offset:80
	s_waitcnt lgkmcnt(0)
	v_mul_f64 v[34:35], v[3:4], v[31:32]
	v_mul_f64 v[31:32], v[1:2], v[31:32]
	v_fma_f64 v[1:2], v[1:2], v[29:30], -v[34:35]
	v_fma_f64 v[3:4], v[3:4], v[29:30], v[31:32]
	buffer_store_dword v2, off, s[0:3], 0 offset:84
	buffer_store_dword v1, off, s[0:3], 0 offset:80
	;; [unrolled: 1-line block ×4, first 2 shown]
.LBB74_43:
	s_or_b32 exec_lo, exec_lo, s8
	v_mov_b32_e32 v4, s13
	v_cmp_lt_u32_e64 s5, 4, v0
	s_clause 0x3
	buffer_load_dword v1, v4, s[0:3], 0 offen
	buffer_load_dword v2, v4, s[0:3], 0 offen offset:4
	buffer_load_dword v3, v4, s[0:3], 0 offen offset:8
	;; [unrolled: 1-line block ×3, first 2 shown]
	s_waitcnt vmcnt(0)
	ds_write_b128 v28, v[1:4]
	s_waitcnt lgkmcnt(0)
	s_waitcnt_vscnt null, 0x0
	s_barrier
	buffer_gl0_inv
	s_and_saveexec_b32 s8, s5
	s_cbranch_execz .LBB74_51
; %bb.44:
	ds_read_b128 v[1:4], v28
	s_andn2_b32 vcc_lo, exec_lo, s17
	s_cbranch_vccnz .LBB74_46
; %bb.45:
	s_clause 0x3
	buffer_load_dword v29, v27, s[0:3], 0 offen offset:8
	buffer_load_dword v30, v27, s[0:3], 0 offen offset:12
	buffer_load_dword v31, v27, s[0:3], 0 offen
	buffer_load_dword v32, v27, s[0:3], 0 offen offset:4
	s_waitcnt vmcnt(2) lgkmcnt(0)
	v_mul_f64 v[34:35], v[3:4], v[29:30]
	v_mul_f64 v[29:30], v[1:2], v[29:30]
	s_waitcnt vmcnt(0)
	v_fma_f64 v[1:2], v[1:2], v[31:32], -v[34:35]
	v_fma_f64 v[3:4], v[3:4], v[31:32], v[29:30]
.LBB74_46:
	s_and_saveexec_b32 s18, s4
	s_cbranch_execz .LBB74_50
; %bb.47:
	v_add_nc_u32_e32 v29, -5, v0
	s_movk_i32 s19, 0x100
	s_mov_b32 s4, 0
	s_mov_b32 s20, s12
	.p2align	6
.LBB74_48:                              ; =>This Inner Loop Header: Depth=1
	v_mov_b32_e32 v32, s20
	v_add_nc_u32_e32 v29, -1, v29
	s_add_i32 s20, s20, 16
	s_clause 0x3
	buffer_load_dword v30, v32, s[0:3], 0 offen offset:8
	buffer_load_dword v31, v32, s[0:3], 0 offen offset:12
	buffer_load_dword v38, v32, s[0:3], 0 offen
	buffer_load_dword v39, v32, s[0:3], 0 offen offset:4
	v_mov_b32_e32 v32, s19
	v_cmp_eq_u32_e32 vcc_lo, 0, v29
	s_add_i32 s19, s19, 16
	ds_read_b128 v[34:37], v32
	s_or_b32 s4, vcc_lo, s4
	s_waitcnt vmcnt(2) lgkmcnt(0)
	v_mul_f64 v[40:41], v[36:37], v[30:31]
	v_mul_f64 v[30:31], v[34:35], v[30:31]
	s_waitcnt vmcnt(0)
	v_fma_f64 v[34:35], v[34:35], v[38:39], -v[40:41]
	v_fma_f64 v[30:31], v[36:37], v[38:39], v[30:31]
	v_add_f64 v[1:2], v[1:2], v[34:35]
	v_add_f64 v[3:4], v[3:4], v[30:31]
	s_andn2_b32 exec_lo, exec_lo, s4
	s_cbranch_execnz .LBB74_48
; %bb.49:
	s_or_b32 exec_lo, exec_lo, s4
.LBB74_50:
	s_or_b32 exec_lo, exec_lo, s18
	v_mov_b32_e32 v29, 0
	ds_read_b128 v[29:32], v29 offset:64
	s_waitcnt lgkmcnt(0)
	v_mul_f64 v[34:35], v[3:4], v[31:32]
	v_mul_f64 v[31:32], v[1:2], v[31:32]
	v_fma_f64 v[1:2], v[1:2], v[29:30], -v[34:35]
	v_fma_f64 v[3:4], v[3:4], v[29:30], v[31:32]
	buffer_store_dword v2, off, s[0:3], 0 offset:68
	buffer_store_dword v1, off, s[0:3], 0 offset:64
	;; [unrolled: 1-line block ×4, first 2 shown]
.LBB74_51:
	s_or_b32 exec_lo, exec_lo, s8
	v_mov_b32_e32 v4, s14
	v_cmp_lt_u32_e64 s4, 3, v0
	s_clause 0x3
	buffer_load_dword v1, v4, s[0:3], 0 offen
	buffer_load_dword v2, v4, s[0:3], 0 offen offset:4
	buffer_load_dword v3, v4, s[0:3], 0 offen offset:8
	;; [unrolled: 1-line block ×3, first 2 shown]
	s_waitcnt vmcnt(0)
	ds_write_b128 v28, v[1:4]
	s_waitcnt lgkmcnt(0)
	s_waitcnt_vscnt null, 0x0
	s_barrier
	buffer_gl0_inv
	s_and_saveexec_b32 s8, s4
	s_cbranch_execz .LBB74_59
; %bb.52:
	ds_read_b128 v[1:4], v28
	s_andn2_b32 vcc_lo, exec_lo, s17
	s_cbranch_vccnz .LBB74_54
; %bb.53:
	s_clause 0x3
	buffer_load_dword v29, v27, s[0:3], 0 offen offset:8
	buffer_load_dword v30, v27, s[0:3], 0 offen offset:12
	buffer_load_dword v31, v27, s[0:3], 0 offen
	buffer_load_dword v32, v27, s[0:3], 0 offen offset:4
	s_waitcnt vmcnt(2) lgkmcnt(0)
	v_mul_f64 v[34:35], v[3:4], v[29:30]
	v_mul_f64 v[29:30], v[1:2], v[29:30]
	s_waitcnt vmcnt(0)
	v_fma_f64 v[1:2], v[1:2], v[31:32], -v[34:35]
	v_fma_f64 v[3:4], v[3:4], v[31:32], v[29:30]
.LBB74_54:
	s_and_saveexec_b32 s18, s5
	s_cbranch_execz .LBB74_58
; %bb.55:
	v_add_nc_u32_e32 v29, -4, v0
	s_movk_i32 s19, 0xf0
	s_mov_b32 s5, 0
	s_mov_b32 s20, s13
	.p2align	6
.LBB74_56:                              ; =>This Inner Loop Header: Depth=1
	v_mov_b32_e32 v32, s20
	v_add_nc_u32_e32 v29, -1, v29
	s_add_i32 s20, s20, 16
	s_clause 0x3
	buffer_load_dword v30, v32, s[0:3], 0 offen offset:8
	buffer_load_dword v31, v32, s[0:3], 0 offen offset:12
	buffer_load_dword v38, v32, s[0:3], 0 offen
	buffer_load_dword v39, v32, s[0:3], 0 offen offset:4
	v_mov_b32_e32 v32, s19
	v_cmp_eq_u32_e32 vcc_lo, 0, v29
	s_add_i32 s19, s19, 16
	ds_read_b128 v[34:37], v32
	s_or_b32 s5, vcc_lo, s5
	s_waitcnt vmcnt(2) lgkmcnt(0)
	v_mul_f64 v[40:41], v[36:37], v[30:31]
	v_mul_f64 v[30:31], v[34:35], v[30:31]
	s_waitcnt vmcnt(0)
	v_fma_f64 v[34:35], v[34:35], v[38:39], -v[40:41]
	v_fma_f64 v[30:31], v[36:37], v[38:39], v[30:31]
	v_add_f64 v[1:2], v[1:2], v[34:35]
	v_add_f64 v[3:4], v[3:4], v[30:31]
	s_andn2_b32 exec_lo, exec_lo, s5
	s_cbranch_execnz .LBB74_56
; %bb.57:
	s_or_b32 exec_lo, exec_lo, s5
.LBB74_58:
	s_or_b32 exec_lo, exec_lo, s18
	v_mov_b32_e32 v29, 0
	ds_read_b128 v[29:32], v29 offset:48
	s_waitcnt lgkmcnt(0)
	v_mul_f64 v[34:35], v[3:4], v[31:32]
	v_mul_f64 v[31:32], v[1:2], v[31:32]
	v_fma_f64 v[1:2], v[1:2], v[29:30], -v[34:35]
	v_fma_f64 v[3:4], v[3:4], v[29:30], v[31:32]
	buffer_store_dword v2, off, s[0:3], 0 offset:52
	buffer_store_dword v1, off, s[0:3], 0 offset:48
	;; [unrolled: 1-line block ×4, first 2 shown]
.LBB74_59:
	s_or_b32 exec_lo, exec_lo, s8
	v_mov_b32_e32 v4, s15
	v_cmp_lt_u32_e64 s5, 2, v0
	s_clause 0x3
	buffer_load_dword v1, v4, s[0:3], 0 offen
	buffer_load_dword v2, v4, s[0:3], 0 offen offset:4
	buffer_load_dword v3, v4, s[0:3], 0 offen offset:8
	;; [unrolled: 1-line block ×3, first 2 shown]
	s_waitcnt vmcnt(0)
	ds_write_b128 v28, v[1:4]
	s_waitcnt lgkmcnt(0)
	s_waitcnt_vscnt null, 0x0
	s_barrier
	buffer_gl0_inv
	s_and_saveexec_b32 s8, s5
	s_cbranch_execz .LBB74_67
; %bb.60:
	ds_read_b128 v[1:4], v28
	s_andn2_b32 vcc_lo, exec_lo, s17
	s_cbranch_vccnz .LBB74_62
; %bb.61:
	s_clause 0x3
	buffer_load_dword v29, v27, s[0:3], 0 offen offset:8
	buffer_load_dword v30, v27, s[0:3], 0 offen offset:12
	buffer_load_dword v31, v27, s[0:3], 0 offen
	buffer_load_dword v32, v27, s[0:3], 0 offen offset:4
	s_waitcnt vmcnt(2) lgkmcnt(0)
	v_mul_f64 v[34:35], v[3:4], v[29:30]
	v_mul_f64 v[29:30], v[1:2], v[29:30]
	s_waitcnt vmcnt(0)
	v_fma_f64 v[1:2], v[1:2], v[31:32], -v[34:35]
	v_fma_f64 v[3:4], v[3:4], v[31:32], v[29:30]
.LBB74_62:
	s_and_saveexec_b32 s18, s4
	s_cbranch_execz .LBB74_66
; %bb.63:
	v_add_nc_u32_e32 v29, -3, v0
	s_movk_i32 s19, 0xe0
	s_mov_b32 s4, 0
	s_mov_b32 s20, s14
	.p2align	6
.LBB74_64:                              ; =>This Inner Loop Header: Depth=1
	v_mov_b32_e32 v32, s20
	v_add_nc_u32_e32 v29, -1, v29
	s_add_i32 s20, s20, 16
	s_clause 0x3
	buffer_load_dword v30, v32, s[0:3], 0 offen offset:8
	buffer_load_dword v31, v32, s[0:3], 0 offen offset:12
	buffer_load_dword v38, v32, s[0:3], 0 offen
	buffer_load_dword v39, v32, s[0:3], 0 offen offset:4
	v_mov_b32_e32 v32, s19
	v_cmp_eq_u32_e32 vcc_lo, 0, v29
	s_add_i32 s19, s19, 16
	ds_read_b128 v[34:37], v32
	s_or_b32 s4, vcc_lo, s4
	s_waitcnt vmcnt(2) lgkmcnt(0)
	v_mul_f64 v[40:41], v[36:37], v[30:31]
	v_mul_f64 v[30:31], v[34:35], v[30:31]
	s_waitcnt vmcnt(0)
	v_fma_f64 v[34:35], v[34:35], v[38:39], -v[40:41]
	v_fma_f64 v[30:31], v[36:37], v[38:39], v[30:31]
	v_add_f64 v[1:2], v[1:2], v[34:35]
	v_add_f64 v[3:4], v[3:4], v[30:31]
	s_andn2_b32 exec_lo, exec_lo, s4
	s_cbranch_execnz .LBB74_64
; %bb.65:
	s_or_b32 exec_lo, exec_lo, s4
.LBB74_66:
	s_or_b32 exec_lo, exec_lo, s18
	v_mov_b32_e32 v29, 0
	ds_read_b128 v[29:32], v29 offset:32
	s_waitcnt lgkmcnt(0)
	v_mul_f64 v[34:35], v[3:4], v[31:32]
	v_mul_f64 v[31:32], v[1:2], v[31:32]
	v_fma_f64 v[1:2], v[1:2], v[29:30], -v[34:35]
	v_fma_f64 v[3:4], v[3:4], v[29:30], v[31:32]
	buffer_store_dword v2, off, s[0:3], 0 offset:36
	buffer_store_dword v1, off, s[0:3], 0 offset:32
	;; [unrolled: 1-line block ×4, first 2 shown]
.LBB74_67:
	s_or_b32 exec_lo, exec_lo, s8
	v_mov_b32_e32 v4, s16
	v_cmp_lt_u32_e64 s4, 1, v0
	s_clause 0x3
	buffer_load_dword v1, v4, s[0:3], 0 offen
	buffer_load_dword v2, v4, s[0:3], 0 offen offset:4
	buffer_load_dword v3, v4, s[0:3], 0 offen offset:8
	;; [unrolled: 1-line block ×3, first 2 shown]
	s_waitcnt vmcnt(0)
	ds_write_b128 v28, v[1:4]
	s_waitcnt lgkmcnt(0)
	s_waitcnt_vscnt null, 0x0
	s_barrier
	buffer_gl0_inv
	s_and_saveexec_b32 s8, s4
	s_cbranch_execz .LBB74_75
; %bb.68:
	ds_read_b128 v[1:4], v28
	s_andn2_b32 vcc_lo, exec_lo, s17
	s_cbranch_vccnz .LBB74_70
; %bb.69:
	s_clause 0x3
	buffer_load_dword v29, v27, s[0:3], 0 offen offset:8
	buffer_load_dword v30, v27, s[0:3], 0 offen offset:12
	buffer_load_dword v31, v27, s[0:3], 0 offen
	buffer_load_dword v32, v27, s[0:3], 0 offen offset:4
	s_waitcnt vmcnt(2) lgkmcnt(0)
	v_mul_f64 v[34:35], v[3:4], v[29:30]
	v_mul_f64 v[29:30], v[1:2], v[29:30]
	s_waitcnt vmcnt(0)
	v_fma_f64 v[1:2], v[1:2], v[31:32], -v[34:35]
	v_fma_f64 v[3:4], v[3:4], v[31:32], v[29:30]
.LBB74_70:
	s_and_saveexec_b32 s18, s5
	s_cbranch_execz .LBB74_74
; %bb.71:
	v_add_nc_u32_e32 v29, -2, v0
	s_movk_i32 s19, 0xd0
	s_mov_b32 s5, 0
	s_mov_b32 s20, s15
	.p2align	6
.LBB74_72:                              ; =>This Inner Loop Header: Depth=1
	v_mov_b32_e32 v32, s20
	v_add_nc_u32_e32 v29, -1, v29
	s_add_i32 s20, s20, 16
	s_clause 0x3
	buffer_load_dword v30, v32, s[0:3], 0 offen offset:8
	buffer_load_dword v31, v32, s[0:3], 0 offen offset:12
	buffer_load_dword v38, v32, s[0:3], 0 offen
	buffer_load_dword v39, v32, s[0:3], 0 offen offset:4
	v_mov_b32_e32 v32, s19
	v_cmp_eq_u32_e32 vcc_lo, 0, v29
	s_add_i32 s19, s19, 16
	ds_read_b128 v[34:37], v32
	s_or_b32 s5, vcc_lo, s5
	s_waitcnt vmcnt(2) lgkmcnt(0)
	v_mul_f64 v[40:41], v[36:37], v[30:31]
	v_mul_f64 v[30:31], v[34:35], v[30:31]
	s_waitcnt vmcnt(0)
	v_fma_f64 v[34:35], v[34:35], v[38:39], -v[40:41]
	v_fma_f64 v[30:31], v[36:37], v[38:39], v[30:31]
	v_add_f64 v[1:2], v[1:2], v[34:35]
	v_add_f64 v[3:4], v[3:4], v[30:31]
	s_andn2_b32 exec_lo, exec_lo, s5
	s_cbranch_execnz .LBB74_72
; %bb.73:
	s_or_b32 exec_lo, exec_lo, s5
.LBB74_74:
	s_or_b32 exec_lo, exec_lo, s18
	v_mov_b32_e32 v29, 0
	ds_read_b128 v[29:32], v29 offset:16
	s_waitcnt lgkmcnt(0)
	v_mul_f64 v[34:35], v[3:4], v[31:32]
	v_mul_f64 v[31:32], v[1:2], v[31:32]
	v_fma_f64 v[1:2], v[1:2], v[29:30], -v[34:35]
	v_fma_f64 v[3:4], v[3:4], v[29:30], v[31:32]
	buffer_store_dword v2, off, s[0:3], 0 offset:20
	buffer_store_dword v1, off, s[0:3], 0 offset:16
	;; [unrolled: 1-line block ×4, first 2 shown]
.LBB74_75:
	s_or_b32 exec_lo, exec_lo, s8
	s_clause 0x3
	buffer_load_dword v1, off, s[0:3], 0
	buffer_load_dword v2, off, s[0:3], 0 offset:4
	buffer_load_dword v3, off, s[0:3], 0 offset:8
	;; [unrolled: 1-line block ×3, first 2 shown]
	s_mov_b32 s8, 0
	s_mov_b32 s5, 0
	s_mov_b32 s18, exec_lo
                                        ; implicit-def: $sgpr19
	s_waitcnt vmcnt(0)
	ds_write_b128 v28, v[1:4]
	s_waitcnt lgkmcnt(0)
	s_waitcnt_vscnt null, 0x0
	s_barrier
	buffer_gl0_inv
                                        ; implicit-def: $vgpr1_vgpr2
	v_cmpx_ne_u32_e32 0, v0
	s_cbranch_execz .LBB74_83
; %bb.76:
	ds_read_b128 v[1:4], v28
	s_andn2_b32 vcc_lo, exec_lo, s17
	s_cbranch_vccnz .LBB74_78
; %bb.77:
	s_clause 0x3
	buffer_load_dword v29, v27, s[0:3], 0 offen offset:8
	buffer_load_dword v30, v27, s[0:3], 0 offen offset:12
	buffer_load_dword v31, v27, s[0:3], 0 offen
	buffer_load_dword v32, v27, s[0:3], 0 offen offset:4
	s_waitcnt vmcnt(2) lgkmcnt(0)
	v_mul_f64 v[34:35], v[3:4], v[29:30]
	v_mul_f64 v[29:30], v[1:2], v[29:30]
	s_waitcnt vmcnt(0)
	v_fma_f64 v[1:2], v[1:2], v[31:32], -v[34:35]
	v_fma_f64 v[3:4], v[3:4], v[31:32], v[29:30]
.LBB74_78:
	s_and_saveexec_b32 s5, s4
	s_cbranch_execz .LBB74_82
; %bb.79:
	v_add_nc_u32_e32 v29, -1, v0
	s_movk_i32 s19, 0xc0
	s_mov_b32 s4, 0
	s_mov_b32 s20, s16
	.p2align	6
.LBB74_80:                              ; =>This Inner Loop Header: Depth=1
	v_mov_b32_e32 v32, s20
	v_add_nc_u32_e32 v29, -1, v29
	s_add_i32 s20, s20, 16
	s_clause 0x3
	buffer_load_dword v30, v32, s[0:3], 0 offen offset:8
	buffer_load_dword v31, v32, s[0:3], 0 offen offset:12
	buffer_load_dword v38, v32, s[0:3], 0 offen
	buffer_load_dword v39, v32, s[0:3], 0 offen offset:4
	v_mov_b32_e32 v32, s19
	v_cmp_eq_u32_e32 vcc_lo, 0, v29
	s_add_i32 s19, s19, 16
	ds_read_b128 v[34:37], v32
	s_or_b32 s4, vcc_lo, s4
	s_waitcnt vmcnt(2) lgkmcnt(0)
	v_mul_f64 v[40:41], v[36:37], v[30:31]
	v_mul_f64 v[30:31], v[34:35], v[30:31]
	s_waitcnt vmcnt(0)
	v_fma_f64 v[34:35], v[34:35], v[38:39], -v[40:41]
	v_fma_f64 v[30:31], v[36:37], v[38:39], v[30:31]
	v_add_f64 v[1:2], v[1:2], v[34:35]
	v_add_f64 v[3:4], v[3:4], v[30:31]
	s_andn2_b32 exec_lo, exec_lo, s4
	s_cbranch_execnz .LBB74_80
; %bb.81:
	s_or_b32 exec_lo, exec_lo, s4
.LBB74_82:
	s_or_b32 exec_lo, exec_lo, s5
	v_mov_b32_e32 v29, 0
	s_mov_b32 s5, exec_lo
	s_or_b32 s19, 0, 8
	ds_read_b128 v[29:32], v29
	s_waitcnt lgkmcnt(0)
	v_mul_f64 v[34:35], v[3:4], v[31:32]
	v_mul_f64 v[31:32], v[1:2], v[31:32]
	v_fma_f64 v[34:35], v[1:2], v[29:30], -v[34:35]
	v_fma_f64 v[1:2], v[3:4], v[29:30], v[31:32]
	buffer_store_dword v35, off, s[0:3], 0 offset:4
	buffer_store_dword v34, off, s[0:3], 0
.LBB74_83:
	s_or_b32 exec_lo, exec_lo, s18
	s_and_b32 vcc_lo, exec_lo, s8
	s_cbranch_vccnz .LBB74_85
	s_branch .LBB74_160
.LBB74_84:
	s_mov_b32 s5, 0
                                        ; implicit-def: $vgpr1_vgpr2
                                        ; implicit-def: $sgpr19
	s_cbranch_execz .LBB74_160
.LBB74_85:
	v_mov_b32_e32 v4, s16
	v_cmp_eq_u32_e64 s4, 0, v0
	v_cndmask_b32_e64 v29, 0, 1, s17
	s_clause 0x3
	buffer_load_dword v1, v4, s[0:3], 0 offen
	buffer_load_dword v2, v4, s[0:3], 0 offen offset:4
	buffer_load_dword v3, v4, s[0:3], 0 offen offset:8
	;; [unrolled: 1-line block ×3, first 2 shown]
	s_waitcnt vmcnt(0)
	ds_write_b128 v28, v[1:4]
	s_waitcnt lgkmcnt(0)
	s_waitcnt_vscnt null, 0x0
	s_barrier
	buffer_gl0_inv
	s_and_saveexec_b32 s8, s4
	s_cbranch_execz .LBB74_89
; %bb.86:
	ds_read_b128 v[1:4], v28
	s_andn2_b32 vcc_lo, exec_lo, s17
	s_cbranch_vccnz .LBB74_88
; %bb.87:
	s_clause 0x3
	buffer_load_dword v30, v27, s[0:3], 0 offen offset:8
	buffer_load_dword v31, v27, s[0:3], 0 offen offset:12
	buffer_load_dword v34, v27, s[0:3], 0 offen
	buffer_load_dword v35, v27, s[0:3], 0 offen offset:4
	s_waitcnt vmcnt(2) lgkmcnt(0)
	v_mul_f64 v[36:37], v[3:4], v[30:31]
	v_mul_f64 v[30:31], v[1:2], v[30:31]
	s_waitcnt vmcnt(0)
	v_fma_f64 v[1:2], v[1:2], v[34:35], -v[36:37]
	v_fma_f64 v[3:4], v[3:4], v[34:35], v[30:31]
.LBB74_88:
	v_mov_b32_e32 v30, 0
	ds_read_b128 v[34:37], v30 offset:16
	s_waitcnt lgkmcnt(0)
	v_mul_f64 v[30:31], v[3:4], v[36:37]
	v_mul_f64 v[36:37], v[1:2], v[36:37]
	v_fma_f64 v[1:2], v[1:2], v[34:35], -v[30:31]
	v_fma_f64 v[3:4], v[3:4], v[34:35], v[36:37]
	buffer_store_dword v2, off, s[0:3], 0 offset:20
	buffer_store_dword v1, off, s[0:3], 0 offset:16
	;; [unrolled: 1-line block ×4, first 2 shown]
.LBB74_89:
	s_or_b32 exec_lo, exec_lo, s8
	v_mov_b32_e32 v4, s15
	s_mov_b32 s8, exec_lo
	s_clause 0x3
	buffer_load_dword v1, v4, s[0:3], 0 offen
	buffer_load_dword v2, v4, s[0:3], 0 offen offset:4
	buffer_load_dword v3, v4, s[0:3], 0 offen offset:8
	;; [unrolled: 1-line block ×3, first 2 shown]
	s_waitcnt vmcnt(0)
	ds_write_b128 v28, v[1:4]
	s_waitcnt lgkmcnt(0)
	s_waitcnt_vscnt null, 0x0
	s_barrier
	buffer_gl0_inv
	v_cmpx_gt_u32_e32 2, v0
	s_cbranch_execz .LBB74_95
; %bb.90:
	ds_read_b128 v[1:4], v28
	v_cmp_ne_u32_e32 vcc_lo, 1, v29
	s_cbranch_vccnz .LBB74_92
; %bb.91:
	s_clause 0x3
	buffer_load_dword v30, v27, s[0:3], 0 offen offset:8
	buffer_load_dword v31, v27, s[0:3], 0 offen offset:12
	buffer_load_dword v34, v27, s[0:3], 0 offen
	buffer_load_dword v35, v27, s[0:3], 0 offen offset:4
	s_waitcnt vmcnt(2) lgkmcnt(0)
	v_mul_f64 v[36:37], v[3:4], v[30:31]
	v_mul_f64 v[30:31], v[1:2], v[30:31]
	s_waitcnt vmcnt(0)
	v_fma_f64 v[1:2], v[1:2], v[34:35], -v[36:37]
	v_fma_f64 v[3:4], v[3:4], v[34:35], v[30:31]
.LBB74_92:
	s_and_saveexec_b32 s17, s4
	s_cbranch_execz .LBB74_94
; %bb.93:
	s_clause 0x3
	buffer_load_dword v30, off, s[0:3], 0 offset:24
	buffer_load_dword v31, off, s[0:3], 0 offset:28
	;; [unrolled: 1-line block ×4, first 2 shown]
	v_mov_b32_e32 v32, 0
	ds_read_b128 v[34:37], v32 offset:192
	s_waitcnt vmcnt(2) lgkmcnt(0)
	v_mul_f64 v[40:41], v[36:37], v[30:31]
	v_mul_f64 v[30:31], v[34:35], v[30:31]
	s_waitcnt vmcnt(0)
	v_fma_f64 v[34:35], v[34:35], v[38:39], -v[40:41]
	v_fma_f64 v[30:31], v[36:37], v[38:39], v[30:31]
	v_add_f64 v[1:2], v[1:2], v[34:35]
	v_add_f64 v[3:4], v[3:4], v[30:31]
.LBB74_94:
	s_or_b32 exec_lo, exec_lo, s17
	v_mov_b32_e32 v30, 0
	ds_read_b128 v[34:37], v30 offset:32
	s_waitcnt lgkmcnt(0)
	v_mul_f64 v[30:31], v[3:4], v[36:37]
	v_mul_f64 v[36:37], v[1:2], v[36:37]
	v_fma_f64 v[1:2], v[1:2], v[34:35], -v[30:31]
	v_fma_f64 v[3:4], v[3:4], v[34:35], v[36:37]
	buffer_store_dword v2, off, s[0:3], 0 offset:36
	buffer_store_dword v1, off, s[0:3], 0 offset:32
	;; [unrolled: 1-line block ×4, first 2 shown]
.LBB74_95:
	s_or_b32 exec_lo, exec_lo, s8
	v_mov_b32_e32 v4, s14
	s_mov_b32 s8, exec_lo
	s_clause 0x3
	buffer_load_dword v1, v4, s[0:3], 0 offen
	buffer_load_dword v2, v4, s[0:3], 0 offen offset:4
	buffer_load_dword v3, v4, s[0:3], 0 offen offset:8
	;; [unrolled: 1-line block ×3, first 2 shown]
	s_waitcnt vmcnt(0)
	ds_write_b128 v28, v[1:4]
	s_waitcnt lgkmcnt(0)
	s_waitcnt_vscnt null, 0x0
	s_barrier
	buffer_gl0_inv
	v_cmpx_gt_u32_e32 3, v0
	s_cbranch_execz .LBB74_103
; %bb.96:
	ds_read_b128 v[1:4], v28
	v_cmp_ne_u32_e32 vcc_lo, 1, v29
	s_cbranch_vccnz .LBB74_98
; %bb.97:
	s_clause 0x3
	buffer_load_dword v30, v27, s[0:3], 0 offen offset:8
	buffer_load_dword v31, v27, s[0:3], 0 offen offset:12
	buffer_load_dword v34, v27, s[0:3], 0 offen
	buffer_load_dword v35, v27, s[0:3], 0 offen offset:4
	s_waitcnt vmcnt(2) lgkmcnt(0)
	v_mul_f64 v[36:37], v[3:4], v[30:31]
	v_mul_f64 v[30:31], v[1:2], v[30:31]
	s_waitcnt vmcnt(0)
	v_fma_f64 v[1:2], v[1:2], v[34:35], -v[36:37]
	v_fma_f64 v[3:4], v[3:4], v[34:35], v[30:31]
.LBB74_98:
	s_mov_b32 s17, exec_lo
	v_cmpx_ne_u32_e32 2, v0
	s_cbranch_execz .LBB74_102
; %bb.99:
	s_clause 0x3
	buffer_load_dword v30, v27, s[0:3], 0 offen offset:24
	buffer_load_dword v31, v27, s[0:3], 0 offen offset:28
	;; [unrolled: 1-line block ×4, first 2 shown]
	ds_read_b128 v[34:37], v28 offset:16
	s_waitcnt vmcnt(2) lgkmcnt(0)
	v_mul_f64 v[40:41], v[36:37], v[30:31]
	v_mul_f64 v[30:31], v[34:35], v[30:31]
	s_waitcnt vmcnt(0)
	v_fma_f64 v[34:35], v[34:35], v[38:39], -v[40:41]
	v_fma_f64 v[30:31], v[36:37], v[38:39], v[30:31]
	v_add_f64 v[1:2], v[1:2], v[34:35]
	v_add_f64 v[3:4], v[3:4], v[30:31]
	s_and_saveexec_b32 s18, s4
	s_cbranch_execz .LBB74_101
; %bb.100:
	s_clause 0x3
	buffer_load_dword v30, off, s[0:3], 0 offset:40
	buffer_load_dword v31, off, s[0:3], 0 offset:44
	;; [unrolled: 1-line block ×4, first 2 shown]
	v_mov_b32_e32 v32, 0
	ds_read_b128 v[34:37], v32 offset:208
	s_waitcnt vmcnt(2) lgkmcnt(0)
	v_mul_f64 v[40:41], v[34:35], v[30:31]
	v_mul_f64 v[30:31], v[36:37], v[30:31]
	s_waitcnt vmcnt(0)
	v_fma_f64 v[36:37], v[36:37], v[38:39], v[40:41]
	v_fma_f64 v[30:31], v[34:35], v[38:39], -v[30:31]
	v_add_f64 v[3:4], v[3:4], v[36:37]
	v_add_f64 v[1:2], v[1:2], v[30:31]
.LBB74_101:
	s_or_b32 exec_lo, exec_lo, s18
.LBB74_102:
	s_or_b32 exec_lo, exec_lo, s17
	v_mov_b32_e32 v30, 0
	ds_read_b128 v[34:37], v30 offset:48
	s_waitcnt lgkmcnt(0)
	v_mul_f64 v[30:31], v[3:4], v[36:37]
	v_mul_f64 v[36:37], v[1:2], v[36:37]
	v_fma_f64 v[1:2], v[1:2], v[34:35], -v[30:31]
	v_fma_f64 v[3:4], v[3:4], v[34:35], v[36:37]
	buffer_store_dword v2, off, s[0:3], 0 offset:52
	buffer_store_dword v1, off, s[0:3], 0 offset:48
	;; [unrolled: 1-line block ×4, first 2 shown]
.LBB74_103:
	s_or_b32 exec_lo, exec_lo, s8
	v_mov_b32_e32 v4, s13
	s_mov_b32 s4, exec_lo
	s_clause 0x3
	buffer_load_dword v1, v4, s[0:3], 0 offen
	buffer_load_dword v2, v4, s[0:3], 0 offen offset:4
	buffer_load_dword v3, v4, s[0:3], 0 offen offset:8
	;; [unrolled: 1-line block ×3, first 2 shown]
	s_waitcnt vmcnt(0)
	ds_write_b128 v28, v[1:4]
	s_waitcnt lgkmcnt(0)
	s_waitcnt_vscnt null, 0x0
	s_barrier
	buffer_gl0_inv
	v_cmpx_gt_u32_e32 4, v0
	s_cbranch_execz .LBB74_111
; %bb.104:
	ds_read_b128 v[1:4], v28
	v_cmp_ne_u32_e32 vcc_lo, 1, v29
	s_cbranch_vccnz .LBB74_106
; %bb.105:
	s_clause 0x3
	buffer_load_dword v30, v27, s[0:3], 0 offen offset:8
	buffer_load_dword v31, v27, s[0:3], 0 offen offset:12
	buffer_load_dword v34, v27, s[0:3], 0 offen
	buffer_load_dword v35, v27, s[0:3], 0 offen offset:4
	s_waitcnt vmcnt(2) lgkmcnt(0)
	v_mul_f64 v[36:37], v[3:4], v[30:31]
	v_mul_f64 v[30:31], v[1:2], v[30:31]
	s_waitcnt vmcnt(0)
	v_fma_f64 v[1:2], v[1:2], v[34:35], -v[36:37]
	v_fma_f64 v[3:4], v[3:4], v[34:35], v[30:31]
.LBB74_106:
	s_mov_b32 s8, exec_lo
	v_cmpx_ne_u32_e32 3, v0
	s_cbranch_execz .LBB74_110
; %bb.107:
	v_add_nc_u32_e32 v30, 0xc0, v33
	v_add3_u32 v31, 0, v33, 16
	v_mov_b32_e32 v32, v0
	s_mov_b32 s17, 0
	.p2align	6
.LBB74_108:                             ; =>This Inner Loop Header: Depth=1
	s_clause 0x3
	buffer_load_dword v38, v31, s[0:3], 0 offen offset:8
	buffer_load_dword v39, v31, s[0:3], 0 offen offset:12
	buffer_load_dword v40, v31, s[0:3], 0 offen
	buffer_load_dword v41, v31, s[0:3], 0 offen offset:4
	ds_read_b128 v[34:37], v30
	v_add_nc_u32_e32 v32, 1, v32
	v_add_nc_u32_e32 v30, 16, v30
	;; [unrolled: 1-line block ×3, first 2 shown]
	v_cmp_lt_u32_e32 vcc_lo, 2, v32
	s_or_b32 s17, vcc_lo, s17
	s_waitcnt vmcnt(2) lgkmcnt(0)
	v_mul_f64 v[42:43], v[36:37], v[38:39]
	v_mul_f64 v[38:39], v[34:35], v[38:39]
	s_waitcnt vmcnt(0)
	v_fma_f64 v[34:35], v[34:35], v[40:41], -v[42:43]
	v_fma_f64 v[36:37], v[36:37], v[40:41], v[38:39]
	v_add_f64 v[1:2], v[1:2], v[34:35]
	v_add_f64 v[3:4], v[3:4], v[36:37]
	s_andn2_b32 exec_lo, exec_lo, s17
	s_cbranch_execnz .LBB74_108
; %bb.109:
	s_or_b32 exec_lo, exec_lo, s17
.LBB74_110:
	s_or_b32 exec_lo, exec_lo, s8
	v_mov_b32_e32 v30, 0
	ds_read_b128 v[34:37], v30 offset:64
	s_waitcnt lgkmcnt(0)
	v_mul_f64 v[30:31], v[3:4], v[36:37]
	v_mul_f64 v[36:37], v[1:2], v[36:37]
	v_fma_f64 v[1:2], v[1:2], v[34:35], -v[30:31]
	v_fma_f64 v[3:4], v[3:4], v[34:35], v[36:37]
	buffer_store_dword v2, off, s[0:3], 0 offset:68
	buffer_store_dword v1, off, s[0:3], 0 offset:64
	;; [unrolled: 1-line block ×4, first 2 shown]
.LBB74_111:
	s_or_b32 exec_lo, exec_lo, s4
	v_mov_b32_e32 v4, s12
	s_mov_b32 s4, exec_lo
	s_clause 0x3
	buffer_load_dword v1, v4, s[0:3], 0 offen
	buffer_load_dword v2, v4, s[0:3], 0 offen offset:4
	buffer_load_dword v3, v4, s[0:3], 0 offen offset:8
	;; [unrolled: 1-line block ×3, first 2 shown]
	s_waitcnt vmcnt(0)
	ds_write_b128 v28, v[1:4]
	s_waitcnt lgkmcnt(0)
	s_waitcnt_vscnt null, 0x0
	s_barrier
	buffer_gl0_inv
	v_cmpx_gt_u32_e32 5, v0
	s_cbranch_execz .LBB74_119
; %bb.112:
	ds_read_b128 v[1:4], v28
	v_cmp_ne_u32_e32 vcc_lo, 1, v29
	s_cbranch_vccnz .LBB74_114
; %bb.113:
	s_clause 0x3
	buffer_load_dword v30, v27, s[0:3], 0 offen offset:8
	buffer_load_dword v31, v27, s[0:3], 0 offen offset:12
	buffer_load_dword v34, v27, s[0:3], 0 offen
	buffer_load_dword v35, v27, s[0:3], 0 offen offset:4
	s_waitcnt vmcnt(2) lgkmcnt(0)
	v_mul_f64 v[36:37], v[3:4], v[30:31]
	v_mul_f64 v[30:31], v[1:2], v[30:31]
	s_waitcnt vmcnt(0)
	v_fma_f64 v[1:2], v[1:2], v[34:35], -v[36:37]
	v_fma_f64 v[3:4], v[3:4], v[34:35], v[30:31]
.LBB74_114:
	s_mov_b32 s8, exec_lo
	v_cmpx_ne_u32_e32 4, v0
	s_cbranch_execz .LBB74_118
; %bb.115:
	v_add_nc_u32_e32 v30, 0xc0, v33
	v_add3_u32 v31, 0, v33, 16
	v_mov_b32_e32 v32, v0
	s_mov_b32 s17, 0
	.p2align	6
.LBB74_116:                             ; =>This Inner Loop Header: Depth=1
	s_clause 0x3
	buffer_load_dword v38, v31, s[0:3], 0 offen offset:8
	buffer_load_dword v39, v31, s[0:3], 0 offen offset:12
	buffer_load_dword v40, v31, s[0:3], 0 offen
	buffer_load_dword v41, v31, s[0:3], 0 offen offset:4
	ds_read_b128 v[34:37], v30
	v_add_nc_u32_e32 v32, 1, v32
	v_add_nc_u32_e32 v30, 16, v30
	;; [unrolled: 1-line block ×3, first 2 shown]
	v_cmp_lt_u32_e32 vcc_lo, 3, v32
	s_or_b32 s17, vcc_lo, s17
	s_waitcnt vmcnt(2) lgkmcnt(0)
	v_mul_f64 v[42:43], v[36:37], v[38:39]
	v_mul_f64 v[38:39], v[34:35], v[38:39]
	s_waitcnt vmcnt(0)
	v_fma_f64 v[34:35], v[34:35], v[40:41], -v[42:43]
	v_fma_f64 v[36:37], v[36:37], v[40:41], v[38:39]
	v_add_f64 v[1:2], v[1:2], v[34:35]
	v_add_f64 v[3:4], v[3:4], v[36:37]
	s_andn2_b32 exec_lo, exec_lo, s17
	s_cbranch_execnz .LBB74_116
; %bb.117:
	s_or_b32 exec_lo, exec_lo, s17
.LBB74_118:
	s_or_b32 exec_lo, exec_lo, s8
	v_mov_b32_e32 v30, 0
	ds_read_b128 v[34:37], v30 offset:80
	s_waitcnt lgkmcnt(0)
	v_mul_f64 v[30:31], v[3:4], v[36:37]
	v_mul_f64 v[36:37], v[1:2], v[36:37]
	v_fma_f64 v[1:2], v[1:2], v[34:35], -v[30:31]
	v_fma_f64 v[3:4], v[3:4], v[34:35], v[36:37]
	buffer_store_dword v2, off, s[0:3], 0 offset:84
	buffer_store_dword v1, off, s[0:3], 0 offset:80
	;; [unrolled: 1-line block ×4, first 2 shown]
.LBB74_119:
	s_or_b32 exec_lo, exec_lo, s4
	v_mov_b32_e32 v4, s11
	s_mov_b32 s4, exec_lo
	s_clause 0x3
	buffer_load_dword v1, v4, s[0:3], 0 offen
	buffer_load_dword v2, v4, s[0:3], 0 offen offset:4
	buffer_load_dword v3, v4, s[0:3], 0 offen offset:8
	;; [unrolled: 1-line block ×3, first 2 shown]
	s_waitcnt vmcnt(0)
	ds_write_b128 v28, v[1:4]
	s_waitcnt lgkmcnt(0)
	s_waitcnt_vscnt null, 0x0
	s_barrier
	buffer_gl0_inv
	v_cmpx_gt_u32_e32 6, v0
	s_cbranch_execz .LBB74_127
; %bb.120:
	ds_read_b128 v[1:4], v28
	v_cmp_ne_u32_e32 vcc_lo, 1, v29
	s_cbranch_vccnz .LBB74_122
; %bb.121:
	s_clause 0x3
	buffer_load_dword v30, v27, s[0:3], 0 offen offset:8
	buffer_load_dword v31, v27, s[0:3], 0 offen offset:12
	buffer_load_dword v34, v27, s[0:3], 0 offen
	buffer_load_dword v35, v27, s[0:3], 0 offen offset:4
	s_waitcnt vmcnt(2) lgkmcnt(0)
	v_mul_f64 v[36:37], v[3:4], v[30:31]
	v_mul_f64 v[30:31], v[1:2], v[30:31]
	s_waitcnt vmcnt(0)
	v_fma_f64 v[1:2], v[1:2], v[34:35], -v[36:37]
	v_fma_f64 v[3:4], v[3:4], v[34:35], v[30:31]
.LBB74_122:
	s_mov_b32 s8, exec_lo
	v_cmpx_ne_u32_e32 5, v0
	s_cbranch_execz .LBB74_126
; %bb.123:
	v_add_nc_u32_e32 v30, 0xc0, v33
	v_add3_u32 v31, 0, v33, 16
	v_mov_b32_e32 v32, v0
	s_mov_b32 s17, 0
	.p2align	6
.LBB74_124:                             ; =>This Inner Loop Header: Depth=1
	s_clause 0x3
	buffer_load_dword v38, v31, s[0:3], 0 offen offset:8
	buffer_load_dword v39, v31, s[0:3], 0 offen offset:12
	buffer_load_dword v40, v31, s[0:3], 0 offen
	buffer_load_dword v41, v31, s[0:3], 0 offen offset:4
	ds_read_b128 v[34:37], v30
	v_add_nc_u32_e32 v32, 1, v32
	v_add_nc_u32_e32 v30, 16, v30
	;; [unrolled: 1-line block ×3, first 2 shown]
	v_cmp_lt_u32_e32 vcc_lo, 4, v32
	s_or_b32 s17, vcc_lo, s17
	s_waitcnt vmcnt(2) lgkmcnt(0)
	v_mul_f64 v[42:43], v[36:37], v[38:39]
	v_mul_f64 v[38:39], v[34:35], v[38:39]
	s_waitcnt vmcnt(0)
	v_fma_f64 v[34:35], v[34:35], v[40:41], -v[42:43]
	v_fma_f64 v[36:37], v[36:37], v[40:41], v[38:39]
	v_add_f64 v[1:2], v[1:2], v[34:35]
	v_add_f64 v[3:4], v[3:4], v[36:37]
	s_andn2_b32 exec_lo, exec_lo, s17
	s_cbranch_execnz .LBB74_124
; %bb.125:
	s_or_b32 exec_lo, exec_lo, s17
.LBB74_126:
	s_or_b32 exec_lo, exec_lo, s8
	v_mov_b32_e32 v30, 0
	ds_read_b128 v[34:37], v30 offset:96
	s_waitcnt lgkmcnt(0)
	v_mul_f64 v[30:31], v[3:4], v[36:37]
	v_mul_f64 v[36:37], v[1:2], v[36:37]
	v_fma_f64 v[1:2], v[1:2], v[34:35], -v[30:31]
	v_fma_f64 v[3:4], v[3:4], v[34:35], v[36:37]
	buffer_store_dword v2, off, s[0:3], 0 offset:100
	buffer_store_dword v1, off, s[0:3], 0 offset:96
	;; [unrolled: 1-line block ×4, first 2 shown]
.LBB74_127:
	s_or_b32 exec_lo, exec_lo, s4
	v_mov_b32_e32 v4, s10
	s_mov_b32 s4, exec_lo
	s_clause 0x3
	buffer_load_dword v1, v4, s[0:3], 0 offen
	buffer_load_dword v2, v4, s[0:3], 0 offen offset:4
	buffer_load_dword v3, v4, s[0:3], 0 offen offset:8
	;; [unrolled: 1-line block ×3, first 2 shown]
	s_waitcnt vmcnt(0)
	ds_write_b128 v28, v[1:4]
	s_waitcnt lgkmcnt(0)
	s_waitcnt_vscnt null, 0x0
	s_barrier
	buffer_gl0_inv
	v_cmpx_gt_u32_e32 7, v0
	s_cbranch_execz .LBB74_135
; %bb.128:
	ds_read_b128 v[1:4], v28
	v_cmp_ne_u32_e32 vcc_lo, 1, v29
	s_cbranch_vccnz .LBB74_130
; %bb.129:
	s_clause 0x3
	buffer_load_dword v30, v27, s[0:3], 0 offen offset:8
	buffer_load_dword v31, v27, s[0:3], 0 offen offset:12
	buffer_load_dword v34, v27, s[0:3], 0 offen
	buffer_load_dword v35, v27, s[0:3], 0 offen offset:4
	s_waitcnt vmcnt(2) lgkmcnt(0)
	v_mul_f64 v[36:37], v[3:4], v[30:31]
	v_mul_f64 v[30:31], v[1:2], v[30:31]
	s_waitcnt vmcnt(0)
	v_fma_f64 v[1:2], v[1:2], v[34:35], -v[36:37]
	v_fma_f64 v[3:4], v[3:4], v[34:35], v[30:31]
.LBB74_130:
	s_mov_b32 s8, exec_lo
	v_cmpx_ne_u32_e32 6, v0
	s_cbranch_execz .LBB74_134
; %bb.131:
	v_add_nc_u32_e32 v30, 0xc0, v33
	v_add3_u32 v31, 0, v33, 16
	v_mov_b32_e32 v32, v0
	s_mov_b32 s17, 0
	.p2align	6
.LBB74_132:                             ; =>This Inner Loop Header: Depth=1
	s_clause 0x3
	buffer_load_dword v38, v31, s[0:3], 0 offen offset:8
	buffer_load_dword v39, v31, s[0:3], 0 offen offset:12
	buffer_load_dword v40, v31, s[0:3], 0 offen
	buffer_load_dword v41, v31, s[0:3], 0 offen offset:4
	ds_read_b128 v[34:37], v30
	v_add_nc_u32_e32 v32, 1, v32
	v_add_nc_u32_e32 v30, 16, v30
	;; [unrolled: 1-line block ×3, first 2 shown]
	v_cmp_lt_u32_e32 vcc_lo, 5, v32
	s_or_b32 s17, vcc_lo, s17
	s_waitcnt vmcnt(2) lgkmcnt(0)
	v_mul_f64 v[42:43], v[36:37], v[38:39]
	v_mul_f64 v[38:39], v[34:35], v[38:39]
	s_waitcnt vmcnt(0)
	v_fma_f64 v[34:35], v[34:35], v[40:41], -v[42:43]
	v_fma_f64 v[36:37], v[36:37], v[40:41], v[38:39]
	v_add_f64 v[1:2], v[1:2], v[34:35]
	v_add_f64 v[3:4], v[3:4], v[36:37]
	s_andn2_b32 exec_lo, exec_lo, s17
	s_cbranch_execnz .LBB74_132
; %bb.133:
	s_or_b32 exec_lo, exec_lo, s17
.LBB74_134:
	s_or_b32 exec_lo, exec_lo, s8
	v_mov_b32_e32 v30, 0
	ds_read_b128 v[34:37], v30 offset:112
	s_waitcnt lgkmcnt(0)
	v_mul_f64 v[30:31], v[3:4], v[36:37]
	v_mul_f64 v[36:37], v[1:2], v[36:37]
	v_fma_f64 v[1:2], v[1:2], v[34:35], -v[30:31]
	v_fma_f64 v[3:4], v[3:4], v[34:35], v[36:37]
	buffer_store_dword v2, off, s[0:3], 0 offset:116
	buffer_store_dword v1, off, s[0:3], 0 offset:112
	;; [unrolled: 1-line block ×4, first 2 shown]
.LBB74_135:
	s_or_b32 exec_lo, exec_lo, s4
	v_mov_b32_e32 v4, s9
	s_mov_b32 s4, exec_lo
	s_clause 0x3
	buffer_load_dword v1, v4, s[0:3], 0 offen
	buffer_load_dword v2, v4, s[0:3], 0 offen offset:4
	buffer_load_dword v3, v4, s[0:3], 0 offen offset:8
	;; [unrolled: 1-line block ×3, first 2 shown]
	s_waitcnt vmcnt(0)
	ds_write_b128 v28, v[1:4]
	s_waitcnt lgkmcnt(0)
	s_waitcnt_vscnt null, 0x0
	s_barrier
	buffer_gl0_inv
	v_cmpx_gt_u32_e32 8, v0
	s_cbranch_execz .LBB74_143
; %bb.136:
	ds_read_b128 v[1:4], v28
	v_cmp_ne_u32_e32 vcc_lo, 1, v29
	s_cbranch_vccnz .LBB74_138
; %bb.137:
	s_clause 0x3
	buffer_load_dword v30, v27, s[0:3], 0 offen offset:8
	buffer_load_dword v31, v27, s[0:3], 0 offen offset:12
	buffer_load_dword v34, v27, s[0:3], 0 offen
	buffer_load_dword v35, v27, s[0:3], 0 offen offset:4
	s_waitcnt vmcnt(2) lgkmcnt(0)
	v_mul_f64 v[36:37], v[3:4], v[30:31]
	v_mul_f64 v[30:31], v[1:2], v[30:31]
	s_waitcnt vmcnt(0)
	v_fma_f64 v[1:2], v[1:2], v[34:35], -v[36:37]
	v_fma_f64 v[3:4], v[3:4], v[34:35], v[30:31]
.LBB74_138:
	s_mov_b32 s8, exec_lo
	v_cmpx_ne_u32_e32 7, v0
	s_cbranch_execz .LBB74_142
; %bb.139:
	v_add_nc_u32_e32 v30, 0xc0, v33
	v_add3_u32 v31, 0, v33, 16
	v_mov_b32_e32 v32, v0
	s_mov_b32 s17, 0
	.p2align	6
.LBB74_140:                             ; =>This Inner Loop Header: Depth=1
	s_clause 0x3
	buffer_load_dword v38, v31, s[0:3], 0 offen offset:8
	buffer_load_dword v39, v31, s[0:3], 0 offen offset:12
	buffer_load_dword v40, v31, s[0:3], 0 offen
	buffer_load_dword v41, v31, s[0:3], 0 offen offset:4
	ds_read_b128 v[34:37], v30
	v_add_nc_u32_e32 v32, 1, v32
	v_add_nc_u32_e32 v30, 16, v30
	v_add_nc_u32_e32 v31, 16, v31
	v_cmp_lt_u32_e32 vcc_lo, 6, v32
	s_or_b32 s17, vcc_lo, s17
	s_waitcnt vmcnt(2) lgkmcnt(0)
	v_mul_f64 v[42:43], v[36:37], v[38:39]
	v_mul_f64 v[38:39], v[34:35], v[38:39]
	s_waitcnt vmcnt(0)
	v_fma_f64 v[34:35], v[34:35], v[40:41], -v[42:43]
	v_fma_f64 v[36:37], v[36:37], v[40:41], v[38:39]
	v_add_f64 v[1:2], v[1:2], v[34:35]
	v_add_f64 v[3:4], v[3:4], v[36:37]
	s_andn2_b32 exec_lo, exec_lo, s17
	s_cbranch_execnz .LBB74_140
; %bb.141:
	s_or_b32 exec_lo, exec_lo, s17
.LBB74_142:
	s_or_b32 exec_lo, exec_lo, s8
	v_mov_b32_e32 v30, 0
	ds_read_b128 v[34:37], v30 offset:128
	s_waitcnt lgkmcnt(0)
	v_mul_f64 v[30:31], v[3:4], v[36:37]
	v_mul_f64 v[36:37], v[1:2], v[36:37]
	v_fma_f64 v[1:2], v[1:2], v[34:35], -v[30:31]
	v_fma_f64 v[3:4], v[3:4], v[34:35], v[36:37]
	buffer_store_dword v2, off, s[0:3], 0 offset:132
	buffer_store_dword v1, off, s[0:3], 0 offset:128
	;; [unrolled: 1-line block ×4, first 2 shown]
.LBB74_143:
	s_or_b32 exec_lo, exec_lo, s4
	v_mov_b32_e32 v4, s7
	v_cmp_gt_u32_e64 s4, 9, v0
	s_clause 0x3
	buffer_load_dword v1, v4, s[0:3], 0 offen
	buffer_load_dword v2, v4, s[0:3], 0 offen offset:4
	buffer_load_dword v3, v4, s[0:3], 0 offen offset:8
	;; [unrolled: 1-line block ×3, first 2 shown]
	s_waitcnt vmcnt(0)
	ds_write_b128 v28, v[1:4]
	s_waitcnt lgkmcnt(0)
	s_waitcnt_vscnt null, 0x0
	s_barrier
	buffer_gl0_inv
	s_and_saveexec_b32 s8, s4
	s_cbranch_execz .LBB74_151
; %bb.144:
	ds_read_b128 v[1:4], v28
	v_cmp_ne_u32_e32 vcc_lo, 1, v29
	s_cbranch_vccnz .LBB74_146
; %bb.145:
	s_clause 0x3
	buffer_load_dword v30, v27, s[0:3], 0 offen offset:8
	buffer_load_dword v31, v27, s[0:3], 0 offen offset:12
	buffer_load_dword v34, v27, s[0:3], 0 offen
	buffer_load_dword v35, v27, s[0:3], 0 offen offset:4
	s_waitcnt vmcnt(2) lgkmcnt(0)
	v_mul_f64 v[36:37], v[3:4], v[30:31]
	v_mul_f64 v[30:31], v[1:2], v[30:31]
	s_waitcnt vmcnt(0)
	v_fma_f64 v[1:2], v[1:2], v[34:35], -v[36:37]
	v_fma_f64 v[3:4], v[3:4], v[34:35], v[30:31]
.LBB74_146:
	s_mov_b32 s17, exec_lo
	v_cmpx_ne_u32_e32 8, v0
	s_cbranch_execz .LBB74_150
; %bb.147:
	v_add_nc_u32_e32 v30, 0xc0, v33
	v_add3_u32 v31, 0, v33, 16
	v_mov_b32_e32 v32, v0
	s_mov_b32 s18, 0
	.p2align	6
.LBB74_148:                             ; =>This Inner Loop Header: Depth=1
	s_clause 0x3
	buffer_load_dword v38, v31, s[0:3], 0 offen offset:8
	buffer_load_dword v39, v31, s[0:3], 0 offen offset:12
	buffer_load_dword v40, v31, s[0:3], 0 offen
	buffer_load_dword v41, v31, s[0:3], 0 offen offset:4
	ds_read_b128 v[34:37], v30
	v_add_nc_u32_e32 v32, 1, v32
	v_add_nc_u32_e32 v30, 16, v30
	;; [unrolled: 1-line block ×3, first 2 shown]
	v_cmp_lt_u32_e32 vcc_lo, 7, v32
	s_or_b32 s18, vcc_lo, s18
	s_waitcnt vmcnt(2) lgkmcnt(0)
	v_mul_f64 v[42:43], v[36:37], v[38:39]
	v_mul_f64 v[38:39], v[34:35], v[38:39]
	s_waitcnt vmcnt(0)
	v_fma_f64 v[34:35], v[34:35], v[40:41], -v[42:43]
	v_fma_f64 v[36:37], v[36:37], v[40:41], v[38:39]
	v_add_f64 v[1:2], v[1:2], v[34:35]
	v_add_f64 v[3:4], v[3:4], v[36:37]
	s_andn2_b32 exec_lo, exec_lo, s18
	s_cbranch_execnz .LBB74_148
; %bb.149:
	s_or_b32 exec_lo, exec_lo, s18
.LBB74_150:
	s_or_b32 exec_lo, exec_lo, s17
	v_mov_b32_e32 v30, 0
	ds_read_b128 v[34:37], v30 offset:144
	s_waitcnt lgkmcnt(0)
	v_mul_f64 v[30:31], v[3:4], v[36:37]
	v_mul_f64 v[36:37], v[1:2], v[36:37]
	v_fma_f64 v[1:2], v[1:2], v[34:35], -v[30:31]
	v_fma_f64 v[3:4], v[3:4], v[34:35], v[36:37]
	buffer_store_dword v2, off, s[0:3], 0 offset:148
	buffer_store_dword v1, off, s[0:3], 0 offset:144
	;; [unrolled: 1-line block ×4, first 2 shown]
.LBB74_151:
	s_or_b32 exec_lo, exec_lo, s8
	v_mov_b32_e32 v4, s6
	s_mov_b32 s8, exec_lo
                                        ; implicit-def: $sgpr19
	s_clause 0x3
	buffer_load_dword v1, v4, s[0:3], 0 offen
	buffer_load_dword v2, v4, s[0:3], 0 offen offset:4
	buffer_load_dword v3, v4, s[0:3], 0 offen offset:8
	;; [unrolled: 1-line block ×3, first 2 shown]
	s_waitcnt vmcnt(0)
	ds_write_b128 v28, v[1:4]
	s_waitcnt lgkmcnt(0)
	s_waitcnt_vscnt null, 0x0
	s_barrier
	buffer_gl0_inv
                                        ; implicit-def: $vgpr1_vgpr2
	v_cmpx_ne_u32_e32 10, v0
	s_cbranch_execz .LBB74_159
; %bb.152:
	ds_read_b128 v[1:4], v28
	v_cmp_ne_u32_e32 vcc_lo, 1, v29
	s_cbranch_vccnz .LBB74_154
; %bb.153:
	s_clause 0x3
	buffer_load_dword v28, v27, s[0:3], 0 offen offset:8
	buffer_load_dword v29, v27, s[0:3], 0 offen offset:12
	buffer_load_dword v30, v27, s[0:3], 0 offen
	buffer_load_dword v31, v27, s[0:3], 0 offen offset:4
	s_waitcnt vmcnt(2) lgkmcnt(0)
	v_mul_f64 v[34:35], v[3:4], v[28:29]
	v_mul_f64 v[27:28], v[1:2], v[28:29]
	s_waitcnt vmcnt(0)
	v_fma_f64 v[1:2], v[1:2], v[30:31], -v[34:35]
	v_fma_f64 v[3:4], v[3:4], v[30:31], v[27:28]
.LBB74_154:
	s_and_saveexec_b32 s17, s4
	s_cbranch_execz .LBB74_158
; %bb.155:
	v_add_nc_u32_e32 v27, 0xc0, v33
	v_add3_u32 v28, 0, v33, 16
	s_mov_b32 s4, 0
	.p2align	6
.LBB74_156:                             ; =>This Inner Loop Header: Depth=1
	s_clause 0x3
	buffer_load_dword v33, v28, s[0:3], 0 offen offset:8
	buffer_load_dword v34, v28, s[0:3], 0 offen offset:12
	buffer_load_dword v35, v28, s[0:3], 0 offen
	buffer_load_dword v36, v28, s[0:3], 0 offen offset:4
	ds_read_b128 v[29:32], v27
	v_add_nc_u32_e32 v0, 1, v0
	v_add_nc_u32_e32 v27, 16, v27
	;; [unrolled: 1-line block ×3, first 2 shown]
	v_cmp_lt_u32_e32 vcc_lo, 8, v0
	s_or_b32 s4, vcc_lo, s4
	s_waitcnt vmcnt(2) lgkmcnt(0)
	v_mul_f64 v[37:38], v[31:32], v[33:34]
	v_mul_f64 v[33:34], v[29:30], v[33:34]
	s_waitcnt vmcnt(0)
	v_fma_f64 v[29:30], v[29:30], v[35:36], -v[37:38]
	v_fma_f64 v[31:32], v[31:32], v[35:36], v[33:34]
	v_add_f64 v[1:2], v[1:2], v[29:30]
	v_add_f64 v[3:4], v[3:4], v[31:32]
	s_andn2_b32 exec_lo, exec_lo, s4
	s_cbranch_execnz .LBB74_156
; %bb.157:
	s_or_b32 exec_lo, exec_lo, s4
.LBB74_158:
	s_or_b32 exec_lo, exec_lo, s17
	v_mov_b32_e32 v0, 0
	s_movk_i32 s19, 0xa8
	s_or_b32 s5, s5, exec_lo
	ds_read_b128 v[27:30], v0 offset:160
	s_waitcnt lgkmcnt(0)
	v_mul_f64 v[31:32], v[3:4], v[29:30]
	v_mul_f64 v[29:30], v[1:2], v[29:30]
	v_fma_f64 v[31:32], v[1:2], v[27:28], -v[31:32]
	v_fma_f64 v[1:2], v[3:4], v[27:28], v[29:30]
	buffer_store_dword v32, off, s[0:3], 0 offset:164
	buffer_store_dword v31, off, s[0:3], 0 offset:160
.LBB74_159:
	s_or_b32 exec_lo, exec_lo, s8
.LBB74_160:
	s_and_saveexec_b32 s4, s5
	s_cbranch_execz .LBB74_162
; %bb.161:
	v_mov_b32_e32 v0, s19
	buffer_store_dword v2, v0, s[0:3], 0 offen offset:4
	buffer_store_dword v1, v0, s[0:3], 0 offen
.LBB74_162:
	s_or_b32 exec_lo, exec_lo, s4
	s_clause 0x3
	buffer_load_dword v0, off, s[0:3], 0
	buffer_load_dword v1, off, s[0:3], 0 offset:4
	buffer_load_dword v2, off, s[0:3], 0 offset:8
	;; [unrolled: 1-line block ×3, first 2 shown]
	v_mov_b32_e32 v4, s16
	s_waitcnt vmcnt(0)
	flat_store_dwordx4 v[5:6], v[0:3]
	s_clause 0x3
	buffer_load_dword v0, v4, s[0:3], 0 offen
	buffer_load_dword v1, v4, s[0:3], 0 offen offset:4
	buffer_load_dword v2, v4, s[0:3], 0 offen offset:8
	buffer_load_dword v3, v4, s[0:3], 0 offen offset:12
	v_mov_b32_e32 v4, s15
	s_waitcnt vmcnt(0)
	flat_store_dwordx4 v[7:8], v[0:3]
	s_clause 0x3
	buffer_load_dword v0, v4, s[0:3], 0 offen
	buffer_load_dword v1, v4, s[0:3], 0 offen offset:4
	buffer_load_dword v2, v4, s[0:3], 0 offen offset:8
	buffer_load_dword v3, v4, s[0:3], 0 offen offset:12
	;; [unrolled: 8-line block ×10, first 2 shown]
	s_waitcnt vmcnt(0)
	flat_store_dwordx4 v[25:26], v[0:3]
.LBB74_163:
	s_endpgm
	.section	.rodata,"a",@progbits
	.p2align	6, 0x0
	.amdhsa_kernel _ZN9rocsolver6v33100L18trti2_kernel_smallILi11E19rocblas_complex_numIdEPKPS3_EEv13rocblas_fill_17rocblas_diagonal_T1_iil
		.amdhsa_group_segment_fixed_size 352
		.amdhsa_private_segment_fixed_size 192
		.amdhsa_kernarg_size 32
		.amdhsa_user_sgpr_count 6
		.amdhsa_user_sgpr_private_segment_buffer 1
		.amdhsa_user_sgpr_dispatch_ptr 0
		.amdhsa_user_sgpr_queue_ptr 0
		.amdhsa_user_sgpr_kernarg_segment_ptr 1
		.amdhsa_user_sgpr_dispatch_id 0
		.amdhsa_user_sgpr_flat_scratch_init 0
		.amdhsa_user_sgpr_private_segment_size 0
		.amdhsa_wavefront_size32 1
		.amdhsa_uses_dynamic_stack 0
		.amdhsa_system_sgpr_private_segment_wavefront_offset 1
		.amdhsa_system_sgpr_workgroup_id_x 1
		.amdhsa_system_sgpr_workgroup_id_y 0
		.amdhsa_system_sgpr_workgroup_id_z 0
		.amdhsa_system_sgpr_workgroup_info 0
		.amdhsa_system_vgpr_workitem_id 0
		.amdhsa_next_free_vgpr 44
		.amdhsa_next_free_sgpr 21
		.amdhsa_reserve_vcc 1
		.amdhsa_reserve_flat_scratch 0
		.amdhsa_float_round_mode_32 0
		.amdhsa_float_round_mode_16_64 0
		.amdhsa_float_denorm_mode_32 3
		.amdhsa_float_denorm_mode_16_64 3
		.amdhsa_dx10_clamp 1
		.amdhsa_ieee_mode 1
		.amdhsa_fp16_overflow 0
		.amdhsa_workgroup_processor_mode 1
		.amdhsa_memory_ordered 1
		.amdhsa_forward_progress 1
		.amdhsa_shared_vgpr_count 0
		.amdhsa_exception_fp_ieee_invalid_op 0
		.amdhsa_exception_fp_denorm_src 0
		.amdhsa_exception_fp_ieee_div_zero 0
		.amdhsa_exception_fp_ieee_overflow 0
		.amdhsa_exception_fp_ieee_underflow 0
		.amdhsa_exception_fp_ieee_inexact 0
		.amdhsa_exception_int_div_zero 0
	.end_amdhsa_kernel
	.section	.text._ZN9rocsolver6v33100L18trti2_kernel_smallILi11E19rocblas_complex_numIdEPKPS3_EEv13rocblas_fill_17rocblas_diagonal_T1_iil,"axG",@progbits,_ZN9rocsolver6v33100L18trti2_kernel_smallILi11E19rocblas_complex_numIdEPKPS3_EEv13rocblas_fill_17rocblas_diagonal_T1_iil,comdat
.Lfunc_end74:
	.size	_ZN9rocsolver6v33100L18trti2_kernel_smallILi11E19rocblas_complex_numIdEPKPS3_EEv13rocblas_fill_17rocblas_diagonal_T1_iil, .Lfunc_end74-_ZN9rocsolver6v33100L18trti2_kernel_smallILi11E19rocblas_complex_numIdEPKPS3_EEv13rocblas_fill_17rocblas_diagonal_T1_iil
                                        ; -- End function
	.set _ZN9rocsolver6v33100L18trti2_kernel_smallILi11E19rocblas_complex_numIdEPKPS3_EEv13rocblas_fill_17rocblas_diagonal_T1_iil.num_vgpr, 44
	.set _ZN9rocsolver6v33100L18trti2_kernel_smallILi11E19rocblas_complex_numIdEPKPS3_EEv13rocblas_fill_17rocblas_diagonal_T1_iil.num_agpr, 0
	.set _ZN9rocsolver6v33100L18trti2_kernel_smallILi11E19rocblas_complex_numIdEPKPS3_EEv13rocblas_fill_17rocblas_diagonal_T1_iil.numbered_sgpr, 21
	.set _ZN9rocsolver6v33100L18trti2_kernel_smallILi11E19rocblas_complex_numIdEPKPS3_EEv13rocblas_fill_17rocblas_diagonal_T1_iil.num_named_barrier, 0
	.set _ZN9rocsolver6v33100L18trti2_kernel_smallILi11E19rocblas_complex_numIdEPKPS3_EEv13rocblas_fill_17rocblas_diagonal_T1_iil.private_seg_size, 192
	.set _ZN9rocsolver6v33100L18trti2_kernel_smallILi11E19rocblas_complex_numIdEPKPS3_EEv13rocblas_fill_17rocblas_diagonal_T1_iil.uses_vcc, 1
	.set _ZN9rocsolver6v33100L18trti2_kernel_smallILi11E19rocblas_complex_numIdEPKPS3_EEv13rocblas_fill_17rocblas_diagonal_T1_iil.uses_flat_scratch, 0
	.set _ZN9rocsolver6v33100L18trti2_kernel_smallILi11E19rocblas_complex_numIdEPKPS3_EEv13rocblas_fill_17rocblas_diagonal_T1_iil.has_dyn_sized_stack, 0
	.set _ZN9rocsolver6v33100L18trti2_kernel_smallILi11E19rocblas_complex_numIdEPKPS3_EEv13rocblas_fill_17rocblas_diagonal_T1_iil.has_recursion, 0
	.set _ZN9rocsolver6v33100L18trti2_kernel_smallILi11E19rocblas_complex_numIdEPKPS3_EEv13rocblas_fill_17rocblas_diagonal_T1_iil.has_indirect_call, 0
	.section	.AMDGPU.csdata,"",@progbits
; Kernel info:
; codeLenInByte = 10672
; TotalNumSgprs: 23
; NumVgprs: 44
; ScratchSize: 192
; MemoryBound: 0
; FloatMode: 240
; IeeeMode: 1
; LDSByteSize: 352 bytes/workgroup (compile time only)
; SGPRBlocks: 0
; VGPRBlocks: 5
; NumSGPRsForWavesPerEU: 23
; NumVGPRsForWavesPerEU: 44
; Occupancy: 16
; WaveLimiterHint : 1
; COMPUTE_PGM_RSRC2:SCRATCH_EN: 1
; COMPUTE_PGM_RSRC2:USER_SGPR: 6
; COMPUTE_PGM_RSRC2:TRAP_HANDLER: 0
; COMPUTE_PGM_RSRC2:TGID_X_EN: 1
; COMPUTE_PGM_RSRC2:TGID_Y_EN: 0
; COMPUTE_PGM_RSRC2:TGID_Z_EN: 0
; COMPUTE_PGM_RSRC2:TIDIG_COMP_CNT: 0
	.section	.text._ZN9rocsolver6v33100L18trti2_kernel_smallILi12E19rocblas_complex_numIdEPKPS3_EEv13rocblas_fill_17rocblas_diagonal_T1_iil,"axG",@progbits,_ZN9rocsolver6v33100L18trti2_kernel_smallILi12E19rocblas_complex_numIdEPKPS3_EEv13rocblas_fill_17rocblas_diagonal_T1_iil,comdat
	.globl	_ZN9rocsolver6v33100L18trti2_kernel_smallILi12E19rocblas_complex_numIdEPKPS3_EEv13rocblas_fill_17rocblas_diagonal_T1_iil ; -- Begin function _ZN9rocsolver6v33100L18trti2_kernel_smallILi12E19rocblas_complex_numIdEPKPS3_EEv13rocblas_fill_17rocblas_diagonal_T1_iil
	.p2align	8
	.type	_ZN9rocsolver6v33100L18trti2_kernel_smallILi12E19rocblas_complex_numIdEPKPS3_EEv13rocblas_fill_17rocblas_diagonal_T1_iil,@function
_ZN9rocsolver6v33100L18trti2_kernel_smallILi12E19rocblas_complex_numIdEPKPS3_EEv13rocblas_fill_17rocblas_diagonal_T1_iil: ; @_ZN9rocsolver6v33100L18trti2_kernel_smallILi12E19rocblas_complex_numIdEPKPS3_EEv13rocblas_fill_17rocblas_diagonal_T1_iil
; %bb.0:
	s_add_u32 s0, s0, s7
	s_addc_u32 s1, s1, 0
	s_mov_b32 s7, exec_lo
	v_cmpx_gt_u32_e32 12, v0
	s_cbranch_execz .LBB75_179
; %bb.1:
	s_clause 0x1
	s_load_dwordx2 s[12:13], s[4:5], 0x10
	s_load_dwordx4 s[8:11], s[4:5], 0x0
	s_ashr_i32 s7, s6, 31
	v_lshlrev_b32_e32 v35, 4, v0
	s_lshl_b64 s[4:5], s[6:7], 3
	s_movk_i32 s20, 0xa0
	s_movk_i32 s21, 0xb0
	s_waitcnt lgkmcnt(0)
	s_ashr_i32 s7, s12, 31
	s_add_u32 s4, s10, s4
	s_addc_u32 s5, s11, s5
	s_mov_b32 s6, s12
	s_load_dwordx2 s[4:5], s[4:5], 0x0
	s_lshl_b64 s[6:7], s[6:7], 4
	v_add3_u32 v11, s13, s13, v0
	s_movk_i32 s10, 0x90
	v_ashrrev_i32_e32 v12, 31, v11
	v_add_nc_u32_e32 v13, s13, v11
	v_lshlrev_b64 v[9:10], 4, v[11:12]
	v_ashrrev_i32_e32 v14, 31, v13
	v_add_nc_u32_e32 v15, s13, v13
	v_lshlrev_b64 v[11:12], 4, v[13:14]
	v_ashrrev_i32_e32 v16, 31, v15
	s_waitcnt lgkmcnt(0)
	s_add_u32 s6, s4, s6
	s_addc_u32 s7, s5, s7
	v_add_co_u32 v5, s4, s6, v35
	v_add_co_ci_u32_e64 v6, null, s7, 0, s4
	s_mov_b32 s4, s13
	s_ashr_i32 s5, s13, 31
	v_lshlrev_b64 v[13:14], 4, v[15:16]
	flat_load_dwordx4 v[1:4], v[5:6]
	s_lshl_b64 s[4:5], s[4:5], 4
	v_add_nc_u32_e32 v17, s13, v15
	v_add_co_u32 v7, vcc_lo, v5, s4
	v_add_co_ci_u32_e64 v8, null, s5, v6, vcc_lo
	v_add_co_u32 v9, vcc_lo, s6, v9
	v_add_co_ci_u32_e64 v10, null, s7, v10, vcc_lo
	;; [unrolled: 2-line block ×4, first 2 shown]
	v_ashrrev_i32_e32 v18, 31, v17
	v_add_nc_u32_e32 v19, s13, v17
	s_cmpk_lg_i32 s9, 0x84
	s_movk_i32 s4, 0x50
	s_movk_i32 s5, 0x60
	v_lshlrev_b64 v[15:16], 4, v[17:18]
	v_ashrrev_i32_e32 v20, 31, v19
	v_add_nc_u32_e32 v21, s13, v19
	s_cselect_b32 s19, -1, 0
	s_cmpk_eq_i32 s9, 0x84
	s_waitcnt vmcnt(0) lgkmcnt(0)
	buffer_store_dword v4, off, s[0:3], 0 offset:12
	buffer_store_dword v3, off, s[0:3], 0 offset:8
	buffer_store_dword v2, off, s[0:3], 0 offset:4
	buffer_store_dword v1, off, s[0:3], 0
	flat_load_dwordx4 v[1:4], v[7:8]
	v_add_co_u32 v15, vcc_lo, s6, v15
	v_add_co_ci_u32_e64 v16, null, s7, v16, vcc_lo
	v_lshlrev_b64 v[17:18], 4, v[19:20]
	v_ashrrev_i32_e32 v22, 31, v21
	v_add_nc_u32_e32 v23, s13, v21
	s_waitcnt vmcnt(0) lgkmcnt(0)
	buffer_store_dword v4, off, s[0:3], 0 offset:28
	buffer_store_dword v3, off, s[0:3], 0 offset:24
	buffer_store_dword v2, off, s[0:3], 0 offset:20
	buffer_store_dword v1, off, s[0:3], 0 offset:16
	flat_load_dwordx4 v[1:4], v[9:10]
	v_add_co_u32 v17, vcc_lo, s6, v17
	v_add_co_ci_u32_e64 v18, null, s7, v18, vcc_lo
	v_lshlrev_b64 v[19:20], 4, v[21:22]
	v_ashrrev_i32_e32 v24, 31, v23
	v_add_nc_u32_e32 v25, s13, v23
	s_waitcnt vmcnt(0) lgkmcnt(0)
	buffer_store_dword v4, off, s[0:3], 0 offset:44
	buffer_store_dword v3, off, s[0:3], 0 offset:40
	buffer_store_dword v2, off, s[0:3], 0 offset:36
	buffer_store_dword v1, off, s[0:3], 0 offset:32
	;; [unrolled: 11-line block ×3, first 2 shown]
	flat_load_dwordx4 v[1:4], v[13:14]
	v_add_co_u32 v21, vcc_lo, s6, v21
	v_add_co_ci_u32_e64 v22, null, s7, v22, vcc_lo
	v_lshlrev_b64 v[23:24], 4, v[25:26]
	v_ashrrev_i32_e32 v28, 31, v27
	s_waitcnt vmcnt(0) lgkmcnt(0)
	buffer_store_dword v4, off, s[0:3], 0 offset:76
	buffer_store_dword v3, off, s[0:3], 0 offset:72
	;; [unrolled: 1-line block ×4, first 2 shown]
	flat_load_dwordx4 v[1:4], v[15:16]
	v_add_co_u32 v23, vcc_lo, s6, v23
	v_add_co_ci_u32_e64 v24, null, s7, v24, vcc_lo
	v_lshlrev_b64 v[25:26], 4, v[27:28]
	v_add_nc_u32_e32 v27, s13, v27
	s_waitcnt vmcnt(0) lgkmcnt(0)
	buffer_store_dword v4, off, s[0:3], 0 offset:92
	buffer_store_dword v3, off, s[0:3], 0 offset:88
	;; [unrolled: 1-line block ×4, first 2 shown]
	flat_load_dwordx4 v[1:4], v[17:18]
	v_add_co_u32 v25, vcc_lo, s6, v25
	v_add_co_ci_u32_e64 v26, null, s7, v26, vcc_lo
	v_ashrrev_i32_e32 v28, 31, v27
	s_waitcnt vmcnt(0) lgkmcnt(0)
	buffer_store_dword v4, off, s[0:3], 0 offset:108
	buffer_store_dword v3, off, s[0:3], 0 offset:104
	;; [unrolled: 1-line block ×4, first 2 shown]
	flat_load_dwordx4 v[1:4], v[19:20]
	v_lshlrev_b64 v[27:28], 4, v[27:28]
	s_waitcnt vmcnt(0) lgkmcnt(0)
	buffer_store_dword v4, off, s[0:3], 0 offset:124
	buffer_store_dword v3, off, s[0:3], 0 offset:120
	;; [unrolled: 1-line block ×4, first 2 shown]
	flat_load_dwordx4 v[1:4], v[21:22]
	v_add_co_u32 v27, vcc_lo, s6, v27
	v_add_co_ci_u32_e64 v28, null, s7, v28, vcc_lo
	s_movk_i32 s6, 0x70
	s_movk_i32 s7, 0x80
	s_waitcnt vmcnt(0) lgkmcnt(0)
	buffer_store_dword v4, off, s[0:3], 0 offset:140
	buffer_store_dword v3, off, s[0:3], 0 offset:136
	buffer_store_dword v2, off, s[0:3], 0 offset:132
	buffer_store_dword v1, off, s[0:3], 0 offset:128
	flat_load_dwordx4 v[1:4], v[23:24]
	s_waitcnt vmcnt(0) lgkmcnt(0)
	buffer_store_dword v4, off, s[0:3], 0 offset:156
	buffer_store_dword v3, off, s[0:3], 0 offset:152
	buffer_store_dword v2, off, s[0:3], 0 offset:148
	buffer_store_dword v1, off, s[0:3], 0 offset:144
	flat_load_dwordx4 v[1:4], v[25:26]
	;; [unrolled: 6-line block ×3, first 2 shown]
	s_waitcnt vmcnt(0) lgkmcnt(0)
	buffer_store_dword v4, off, s[0:3], 0 offset:188
	buffer_store_dword v3, off, s[0:3], 0 offset:184
	;; [unrolled: 1-line block ×4, first 2 shown]
	s_cbranch_scc1 .LBB75_7
; %bb.2:
	v_lshl_add_u32 v36, v0, 4, 0
                                        ; implicit-def: $vgpr31_vgpr32
                                        ; implicit-def: $vgpr3_vgpr4
	s_clause 0x3
	buffer_load_dword v29, v36, s[0:3], 0 offen
	buffer_load_dword v30, v36, s[0:3], 0 offen offset:4
	buffer_load_dword v33, v36, s[0:3], 0 offen offset:8
	;; [unrolled: 1-line block ×3, first 2 shown]
	s_waitcnt vmcnt(0)
	v_cmp_ngt_f64_e64 s9, |v[29:30]|, |v[33:34]|
	s_and_saveexec_b32 s11, s9
	s_xor_b32 s9, exec_lo, s11
	s_cbranch_execz .LBB75_4
; %bb.3:
	v_div_scale_f64 v[1:2], null, v[33:34], v[33:34], v[29:30]
	v_div_scale_f64 v[37:38], vcc_lo, v[29:30], v[33:34], v[29:30]
	v_rcp_f64_e32 v[3:4], v[1:2]
	v_fma_f64 v[31:32], -v[1:2], v[3:4], 1.0
	v_fma_f64 v[3:4], v[3:4], v[31:32], v[3:4]
	v_fma_f64 v[31:32], -v[1:2], v[3:4], 1.0
	v_fma_f64 v[3:4], v[3:4], v[31:32], v[3:4]
	v_mul_f64 v[31:32], v[37:38], v[3:4]
	v_fma_f64 v[1:2], -v[1:2], v[31:32], v[37:38]
	v_div_fmas_f64 v[1:2], v[1:2], v[3:4], v[31:32]
	v_div_fixup_f64 v[1:2], v[1:2], v[33:34], v[29:30]
	v_fma_f64 v[3:4], v[29:30], v[1:2], v[33:34]
	v_div_scale_f64 v[29:30], null, v[3:4], v[3:4], 1.0
	v_div_scale_f64 v[37:38], vcc_lo, 1.0, v[3:4], 1.0
	v_rcp_f64_e32 v[31:32], v[29:30]
	v_fma_f64 v[33:34], -v[29:30], v[31:32], 1.0
	v_fma_f64 v[31:32], v[31:32], v[33:34], v[31:32]
	v_fma_f64 v[33:34], -v[29:30], v[31:32], 1.0
	v_fma_f64 v[31:32], v[31:32], v[33:34], v[31:32]
	v_mul_f64 v[33:34], v[37:38], v[31:32]
	v_fma_f64 v[29:30], -v[29:30], v[33:34], v[37:38]
	v_div_fmas_f64 v[29:30], v[29:30], v[31:32], v[33:34]
                                        ; implicit-def: $vgpr33_vgpr34
	v_div_fixup_f64 v[3:4], v[29:30], v[3:4], 1.0
                                        ; implicit-def: $vgpr29_vgpr30
	v_mul_f64 v[31:32], v[1:2], v[3:4]
	v_xor_b32_e32 v4, 0x80000000, v4
	v_xor_b32_e32 v2, 0x80000000, v32
	v_mov_b32_e32 v1, v31
.LBB75_4:
	s_andn2_saveexec_b32 s9, s9
	s_cbranch_execz .LBB75_6
; %bb.5:
	v_div_scale_f64 v[1:2], null, v[29:30], v[29:30], v[33:34]
	v_div_scale_f64 v[37:38], vcc_lo, v[33:34], v[29:30], v[33:34]
	v_rcp_f64_e32 v[3:4], v[1:2]
	v_fma_f64 v[31:32], -v[1:2], v[3:4], 1.0
	v_fma_f64 v[3:4], v[3:4], v[31:32], v[3:4]
	v_fma_f64 v[31:32], -v[1:2], v[3:4], 1.0
	v_fma_f64 v[3:4], v[3:4], v[31:32], v[3:4]
	v_mul_f64 v[31:32], v[37:38], v[3:4]
	v_fma_f64 v[1:2], -v[1:2], v[31:32], v[37:38]
	v_div_fmas_f64 v[1:2], v[1:2], v[3:4], v[31:32]
	v_div_fixup_f64 v[1:2], v[1:2], v[29:30], v[33:34]
	v_fma_f64 v[3:4], v[33:34], v[1:2], v[29:30]
	v_div_scale_f64 v[29:30], null, v[3:4], v[3:4], 1.0
	v_rcp_f64_e32 v[31:32], v[29:30]
	v_fma_f64 v[33:34], -v[29:30], v[31:32], 1.0
	v_fma_f64 v[31:32], v[31:32], v[33:34], v[31:32]
	v_fma_f64 v[33:34], -v[29:30], v[31:32], 1.0
	v_fma_f64 v[31:32], v[31:32], v[33:34], v[31:32]
	v_div_scale_f64 v[33:34], vcc_lo, 1.0, v[3:4], 1.0
	v_mul_f64 v[37:38], v[33:34], v[31:32]
	v_fma_f64 v[29:30], -v[29:30], v[37:38], v[33:34]
	v_div_fmas_f64 v[29:30], v[29:30], v[31:32], v[37:38]
	v_div_fixup_f64 v[31:32], v[29:30], v[3:4], 1.0
	v_mul_f64 v[3:4], v[1:2], -v[31:32]
	v_xor_b32_e32 v2, 0x80000000, v32
	v_mov_b32_e32 v1, v31
.LBB75_6:
	s_or_b32 exec_lo, exec_lo, s9
	buffer_store_dword v4, v36, s[0:3], 0 offen offset:12
	v_xor_b32_e32 v4, 0x80000000, v4
	buffer_store_dword v32, v36, s[0:3], 0 offen offset:4
	buffer_store_dword v31, v36, s[0:3], 0 offen
	buffer_store_dword v3, v36, s[0:3], 0 offen offset:8
	s_branch .LBB75_8
.LBB75_7:
	v_mov_b32_e32 v1, 0
	v_mov_b32_e32 v3, 0
	;; [unrolled: 1-line block ×4, first 2 shown]
.LBB75_8:
	v_add_nc_u32_e32 v30, 0xc0, v35
	v_mov_b32_e32 v29, v35
	s_mov_b32 s18, 16
	s_mov_b32 s17, 32
	;; [unrolled: 1-line block ×10, first 2 shown]
	s_cmpk_eq_i32 s8, 0x79
	ds_write_b128 v35, v[1:4]
	s_cbranch_scc1 .LBB75_92
; %bb.9:
	v_mov_b32_e32 v4, s9
	v_cmp_eq_u32_e64 s4, 11, v0
	s_clause 0x3
	buffer_load_dword v1, v4, s[0:3], 0 offen
	buffer_load_dword v2, v4, s[0:3], 0 offen offset:4
	buffer_load_dword v3, v4, s[0:3], 0 offen offset:8
	;; [unrolled: 1-line block ×3, first 2 shown]
	s_waitcnt vmcnt(0)
	ds_write_b128 v30, v[1:4]
	s_waitcnt lgkmcnt(0)
	s_waitcnt_vscnt null, 0x0
	s_barrier
	buffer_gl0_inv
	s_and_saveexec_b32 s5, s4
	s_cbranch_execz .LBB75_13
; %bb.10:
	ds_read_b128 v[1:4], v30
	s_andn2_b32 vcc_lo, exec_lo, s19
	s_cbranch_vccnz .LBB75_12
; %bb.11:
	s_clause 0x3
	buffer_load_dword v31, v29, s[0:3], 0 offen offset:8
	buffer_load_dword v32, v29, s[0:3], 0 offen offset:12
	buffer_load_dword v33, v29, s[0:3], 0 offen
	buffer_load_dword v34, v29, s[0:3], 0 offen offset:4
	s_waitcnt vmcnt(2) lgkmcnt(0)
	v_mul_f64 v[36:37], v[3:4], v[31:32]
	v_mul_f64 v[31:32], v[1:2], v[31:32]
	s_waitcnt vmcnt(0)
	v_fma_f64 v[1:2], v[1:2], v[33:34], -v[36:37]
	v_fma_f64 v[3:4], v[3:4], v[33:34], v[31:32]
.LBB75_12:
	v_mov_b32_e32 v31, 0
	ds_read_b128 v[31:34], v31 offset:160
	s_waitcnt lgkmcnt(0)
	v_mul_f64 v[36:37], v[3:4], v[33:34]
	v_mul_f64 v[33:34], v[1:2], v[33:34]
	v_fma_f64 v[1:2], v[1:2], v[31:32], -v[36:37]
	v_fma_f64 v[3:4], v[3:4], v[31:32], v[33:34]
	buffer_store_dword v2, off, s[0:3], 0 offset:164
	buffer_store_dword v1, off, s[0:3], 0 offset:160
	;; [unrolled: 1-line block ×4, first 2 shown]
.LBB75_13:
	s_or_b32 exec_lo, exec_lo, s5
	v_mov_b32_e32 v4, s10
	v_cmp_lt_u32_e64 s5, 9, v0
	s_clause 0x3
	buffer_load_dword v1, v4, s[0:3], 0 offen
	buffer_load_dword v2, v4, s[0:3], 0 offen offset:4
	buffer_load_dword v3, v4, s[0:3], 0 offen offset:8
	;; [unrolled: 1-line block ×3, first 2 shown]
	s_waitcnt vmcnt(0)
	ds_write_b128 v30, v[1:4]
	s_waitcnt lgkmcnt(0)
	s_waitcnt_vscnt null, 0x0
	s_barrier
	buffer_gl0_inv
	s_and_saveexec_b32 s6, s5
	s_cbranch_execz .LBB75_19
; %bb.14:
	ds_read_b128 v[1:4], v30
	s_andn2_b32 vcc_lo, exec_lo, s19
	s_cbranch_vccnz .LBB75_16
; %bb.15:
	s_clause 0x3
	buffer_load_dword v31, v29, s[0:3], 0 offen offset:8
	buffer_load_dword v32, v29, s[0:3], 0 offen offset:12
	buffer_load_dword v33, v29, s[0:3], 0 offen
	buffer_load_dword v34, v29, s[0:3], 0 offen offset:4
	s_waitcnt vmcnt(2) lgkmcnt(0)
	v_mul_f64 v[36:37], v[3:4], v[31:32]
	v_mul_f64 v[31:32], v[1:2], v[31:32]
	s_waitcnt vmcnt(0)
	v_fma_f64 v[1:2], v[1:2], v[33:34], -v[36:37]
	v_fma_f64 v[3:4], v[3:4], v[33:34], v[31:32]
.LBB75_16:
	s_and_saveexec_b32 s8, s4
	s_cbranch_execz .LBB75_18
; %bb.17:
	s_clause 0x3
	buffer_load_dword v36, off, s[0:3], 0 offset:168
	buffer_load_dword v37, off, s[0:3], 0 offset:172
	;; [unrolled: 1-line block ×4, first 2 shown]
	v_mov_b32_e32 v31, 0
	ds_read_b128 v[31:34], v31 offset:352
	s_waitcnt vmcnt(2) lgkmcnt(0)
	v_mul_f64 v[40:41], v[31:32], v[36:37]
	v_mul_f64 v[36:37], v[33:34], v[36:37]
	s_waitcnt vmcnt(0)
	v_fma_f64 v[33:34], v[33:34], v[38:39], v[40:41]
	v_fma_f64 v[31:32], v[31:32], v[38:39], -v[36:37]
	v_add_f64 v[3:4], v[3:4], v[33:34]
	v_add_f64 v[1:2], v[1:2], v[31:32]
.LBB75_18:
	s_or_b32 exec_lo, exec_lo, s8
	v_mov_b32_e32 v31, 0
	ds_read_b128 v[31:34], v31 offset:144
	s_waitcnt lgkmcnt(0)
	v_mul_f64 v[36:37], v[3:4], v[33:34]
	v_mul_f64 v[33:34], v[1:2], v[33:34]
	v_fma_f64 v[1:2], v[1:2], v[31:32], -v[36:37]
	v_fma_f64 v[3:4], v[3:4], v[31:32], v[33:34]
	buffer_store_dword v2, off, s[0:3], 0 offset:148
	buffer_store_dword v1, off, s[0:3], 0 offset:144
	buffer_store_dword v4, off, s[0:3], 0 offset:156
	buffer_store_dword v3, off, s[0:3], 0 offset:152
.LBB75_19:
	s_or_b32 exec_lo, exec_lo, s6
	v_mov_b32_e32 v4, s11
	v_cmp_lt_u32_e64 s4, 8, v0
	s_clause 0x3
	buffer_load_dword v1, v4, s[0:3], 0 offen
	buffer_load_dword v2, v4, s[0:3], 0 offen offset:4
	buffer_load_dword v3, v4, s[0:3], 0 offen offset:8
	;; [unrolled: 1-line block ×3, first 2 shown]
	s_waitcnt vmcnt(0)
	ds_write_b128 v30, v[1:4]
	s_waitcnt lgkmcnt(0)
	s_waitcnt_vscnt null, 0x0
	s_barrier
	buffer_gl0_inv
	s_and_saveexec_b32 s6, s4
	s_cbranch_execz .LBB75_27
; %bb.20:
	ds_read_b128 v[1:4], v30
	s_andn2_b32 vcc_lo, exec_lo, s19
	s_cbranch_vccnz .LBB75_22
; %bb.21:
	s_clause 0x3
	buffer_load_dword v31, v29, s[0:3], 0 offen offset:8
	buffer_load_dword v32, v29, s[0:3], 0 offen offset:12
	buffer_load_dword v33, v29, s[0:3], 0 offen
	buffer_load_dword v34, v29, s[0:3], 0 offen offset:4
	s_waitcnt vmcnt(2) lgkmcnt(0)
	v_mul_f64 v[36:37], v[3:4], v[31:32]
	v_mul_f64 v[31:32], v[1:2], v[31:32]
	s_waitcnt vmcnt(0)
	v_fma_f64 v[1:2], v[1:2], v[33:34], -v[36:37]
	v_fma_f64 v[3:4], v[3:4], v[33:34], v[31:32]
.LBB75_22:
	s_and_saveexec_b32 s8, s5
	s_cbranch_execz .LBB75_26
; %bb.23:
	v_add_nc_u32_e32 v31, -9, v0
	s_movk_i32 s20, 0x150
	s_mov_b32 s5, 0
	s_mov_b32 s21, s10
	.p2align	6
.LBB75_24:                              ; =>This Inner Loop Header: Depth=1
	v_mov_b32_e32 v34, s21
	v_add_nc_u32_e32 v31, -1, v31
	s_add_i32 s21, s21, 16
	s_clause 0x3
	buffer_load_dword v32, v34, s[0:3], 0 offen offset:8
	buffer_load_dword v33, v34, s[0:3], 0 offen offset:12
	buffer_load_dword v40, v34, s[0:3], 0 offen
	buffer_load_dword v41, v34, s[0:3], 0 offen offset:4
	v_mov_b32_e32 v34, s20
	v_cmp_eq_u32_e32 vcc_lo, 0, v31
	s_add_i32 s20, s20, 16
	ds_read_b128 v[36:39], v34
	s_or_b32 s5, vcc_lo, s5
	s_waitcnt vmcnt(2) lgkmcnt(0)
	v_mul_f64 v[42:43], v[38:39], v[32:33]
	v_mul_f64 v[32:33], v[36:37], v[32:33]
	s_waitcnt vmcnt(0)
	v_fma_f64 v[36:37], v[36:37], v[40:41], -v[42:43]
	v_fma_f64 v[32:33], v[38:39], v[40:41], v[32:33]
	v_add_f64 v[1:2], v[1:2], v[36:37]
	v_add_f64 v[3:4], v[3:4], v[32:33]
	s_andn2_b32 exec_lo, exec_lo, s5
	s_cbranch_execnz .LBB75_24
; %bb.25:
	s_or_b32 exec_lo, exec_lo, s5
.LBB75_26:
	s_or_b32 exec_lo, exec_lo, s8
	v_mov_b32_e32 v31, 0
	ds_read_b128 v[31:34], v31 offset:128
	s_waitcnt lgkmcnt(0)
	v_mul_f64 v[36:37], v[3:4], v[33:34]
	v_mul_f64 v[33:34], v[1:2], v[33:34]
	v_fma_f64 v[1:2], v[1:2], v[31:32], -v[36:37]
	v_fma_f64 v[3:4], v[3:4], v[31:32], v[33:34]
	buffer_store_dword v2, off, s[0:3], 0 offset:132
	buffer_store_dword v1, off, s[0:3], 0 offset:128
	;; [unrolled: 1-line block ×4, first 2 shown]
.LBB75_27:
	s_or_b32 exec_lo, exec_lo, s6
	v_mov_b32_e32 v4, s12
	v_cmp_lt_u32_e64 s5, 7, v0
	s_clause 0x3
	buffer_load_dword v1, v4, s[0:3], 0 offen
	buffer_load_dword v2, v4, s[0:3], 0 offen offset:4
	buffer_load_dword v3, v4, s[0:3], 0 offen offset:8
	;; [unrolled: 1-line block ×3, first 2 shown]
	s_waitcnt vmcnt(0)
	ds_write_b128 v30, v[1:4]
	s_waitcnt lgkmcnt(0)
	s_waitcnt_vscnt null, 0x0
	s_barrier
	buffer_gl0_inv
	s_and_saveexec_b32 s6, s5
	s_cbranch_execz .LBB75_35
; %bb.28:
	ds_read_b128 v[1:4], v30
	s_andn2_b32 vcc_lo, exec_lo, s19
	s_cbranch_vccnz .LBB75_30
; %bb.29:
	s_clause 0x3
	buffer_load_dword v31, v29, s[0:3], 0 offen offset:8
	buffer_load_dword v32, v29, s[0:3], 0 offen offset:12
	buffer_load_dword v33, v29, s[0:3], 0 offen
	buffer_load_dword v34, v29, s[0:3], 0 offen offset:4
	s_waitcnt vmcnt(2) lgkmcnt(0)
	v_mul_f64 v[36:37], v[3:4], v[31:32]
	v_mul_f64 v[31:32], v[1:2], v[31:32]
	s_waitcnt vmcnt(0)
	v_fma_f64 v[1:2], v[1:2], v[33:34], -v[36:37]
	v_fma_f64 v[3:4], v[3:4], v[33:34], v[31:32]
.LBB75_30:
	s_and_saveexec_b32 s8, s4
	s_cbranch_execz .LBB75_34
; %bb.31:
	v_add_nc_u32_e32 v31, -8, v0
	s_movk_i32 s20, 0x140
	s_mov_b32 s4, 0
	s_mov_b32 s21, s11
	.p2align	6
.LBB75_32:                              ; =>This Inner Loop Header: Depth=1
	v_mov_b32_e32 v34, s21
	v_add_nc_u32_e32 v31, -1, v31
	s_add_i32 s21, s21, 16
	s_clause 0x3
	buffer_load_dword v32, v34, s[0:3], 0 offen offset:8
	buffer_load_dword v33, v34, s[0:3], 0 offen offset:12
	buffer_load_dword v40, v34, s[0:3], 0 offen
	buffer_load_dword v41, v34, s[0:3], 0 offen offset:4
	v_mov_b32_e32 v34, s20
	v_cmp_eq_u32_e32 vcc_lo, 0, v31
	s_add_i32 s20, s20, 16
	ds_read_b128 v[36:39], v34
	s_or_b32 s4, vcc_lo, s4
	s_waitcnt vmcnt(2) lgkmcnt(0)
	v_mul_f64 v[42:43], v[38:39], v[32:33]
	v_mul_f64 v[32:33], v[36:37], v[32:33]
	s_waitcnt vmcnt(0)
	v_fma_f64 v[36:37], v[36:37], v[40:41], -v[42:43]
	v_fma_f64 v[32:33], v[38:39], v[40:41], v[32:33]
	v_add_f64 v[1:2], v[1:2], v[36:37]
	v_add_f64 v[3:4], v[3:4], v[32:33]
	s_andn2_b32 exec_lo, exec_lo, s4
	s_cbranch_execnz .LBB75_32
; %bb.33:
	s_or_b32 exec_lo, exec_lo, s4
.LBB75_34:
	s_or_b32 exec_lo, exec_lo, s8
	v_mov_b32_e32 v31, 0
	ds_read_b128 v[31:34], v31 offset:112
	s_waitcnt lgkmcnt(0)
	v_mul_f64 v[36:37], v[3:4], v[33:34]
	v_mul_f64 v[33:34], v[1:2], v[33:34]
	v_fma_f64 v[1:2], v[1:2], v[31:32], -v[36:37]
	v_fma_f64 v[3:4], v[3:4], v[31:32], v[33:34]
	buffer_store_dword v2, off, s[0:3], 0 offset:116
	buffer_store_dword v1, off, s[0:3], 0 offset:112
	;; [unrolled: 1-line block ×4, first 2 shown]
.LBB75_35:
	s_or_b32 exec_lo, exec_lo, s6
	v_mov_b32_e32 v4, s13
	v_cmp_lt_u32_e64 s4, 6, v0
	s_clause 0x3
	buffer_load_dword v1, v4, s[0:3], 0 offen
	buffer_load_dword v2, v4, s[0:3], 0 offen offset:4
	buffer_load_dword v3, v4, s[0:3], 0 offen offset:8
	;; [unrolled: 1-line block ×3, first 2 shown]
	s_waitcnt vmcnt(0)
	ds_write_b128 v30, v[1:4]
	s_waitcnt lgkmcnt(0)
	s_waitcnt_vscnt null, 0x0
	s_barrier
	buffer_gl0_inv
	s_and_saveexec_b32 s6, s4
	s_cbranch_execz .LBB75_43
; %bb.36:
	ds_read_b128 v[1:4], v30
	s_andn2_b32 vcc_lo, exec_lo, s19
	s_cbranch_vccnz .LBB75_38
; %bb.37:
	s_clause 0x3
	buffer_load_dword v31, v29, s[0:3], 0 offen offset:8
	buffer_load_dword v32, v29, s[0:3], 0 offen offset:12
	buffer_load_dword v33, v29, s[0:3], 0 offen
	buffer_load_dword v34, v29, s[0:3], 0 offen offset:4
	s_waitcnt vmcnt(2) lgkmcnt(0)
	v_mul_f64 v[36:37], v[3:4], v[31:32]
	v_mul_f64 v[31:32], v[1:2], v[31:32]
	s_waitcnt vmcnt(0)
	v_fma_f64 v[1:2], v[1:2], v[33:34], -v[36:37]
	v_fma_f64 v[3:4], v[3:4], v[33:34], v[31:32]
.LBB75_38:
	s_and_saveexec_b32 s8, s5
	s_cbranch_execz .LBB75_42
; %bb.39:
	v_add_nc_u32_e32 v31, -7, v0
	s_movk_i32 s20, 0x130
	s_mov_b32 s5, 0
	s_mov_b32 s21, s12
	.p2align	6
.LBB75_40:                              ; =>This Inner Loop Header: Depth=1
	v_mov_b32_e32 v34, s21
	v_add_nc_u32_e32 v31, -1, v31
	s_add_i32 s21, s21, 16
	s_clause 0x3
	buffer_load_dword v32, v34, s[0:3], 0 offen offset:8
	buffer_load_dword v33, v34, s[0:3], 0 offen offset:12
	buffer_load_dword v40, v34, s[0:3], 0 offen
	buffer_load_dword v41, v34, s[0:3], 0 offen offset:4
	v_mov_b32_e32 v34, s20
	v_cmp_eq_u32_e32 vcc_lo, 0, v31
	s_add_i32 s20, s20, 16
	ds_read_b128 v[36:39], v34
	s_or_b32 s5, vcc_lo, s5
	s_waitcnt vmcnt(2) lgkmcnt(0)
	v_mul_f64 v[42:43], v[38:39], v[32:33]
	v_mul_f64 v[32:33], v[36:37], v[32:33]
	s_waitcnt vmcnt(0)
	v_fma_f64 v[36:37], v[36:37], v[40:41], -v[42:43]
	v_fma_f64 v[32:33], v[38:39], v[40:41], v[32:33]
	v_add_f64 v[1:2], v[1:2], v[36:37]
	v_add_f64 v[3:4], v[3:4], v[32:33]
	s_andn2_b32 exec_lo, exec_lo, s5
	s_cbranch_execnz .LBB75_40
; %bb.41:
	s_or_b32 exec_lo, exec_lo, s5
.LBB75_42:
	s_or_b32 exec_lo, exec_lo, s8
	v_mov_b32_e32 v31, 0
	ds_read_b128 v[31:34], v31 offset:96
	s_waitcnt lgkmcnt(0)
	v_mul_f64 v[36:37], v[3:4], v[33:34]
	v_mul_f64 v[33:34], v[1:2], v[33:34]
	v_fma_f64 v[1:2], v[1:2], v[31:32], -v[36:37]
	v_fma_f64 v[3:4], v[3:4], v[31:32], v[33:34]
	buffer_store_dword v2, off, s[0:3], 0 offset:100
	buffer_store_dword v1, off, s[0:3], 0 offset:96
	;; [unrolled: 1-line block ×4, first 2 shown]
.LBB75_43:
	s_or_b32 exec_lo, exec_lo, s6
	v_mov_b32_e32 v4, s14
	v_cmp_lt_u32_e64 s5, 5, v0
	s_clause 0x3
	buffer_load_dword v1, v4, s[0:3], 0 offen
	buffer_load_dword v2, v4, s[0:3], 0 offen offset:4
	buffer_load_dword v3, v4, s[0:3], 0 offen offset:8
	;; [unrolled: 1-line block ×3, first 2 shown]
	s_waitcnt vmcnt(0)
	ds_write_b128 v30, v[1:4]
	s_waitcnt lgkmcnt(0)
	s_waitcnt_vscnt null, 0x0
	s_barrier
	buffer_gl0_inv
	s_and_saveexec_b32 s6, s5
	s_cbranch_execz .LBB75_51
; %bb.44:
	ds_read_b128 v[1:4], v30
	s_andn2_b32 vcc_lo, exec_lo, s19
	s_cbranch_vccnz .LBB75_46
; %bb.45:
	s_clause 0x3
	buffer_load_dword v31, v29, s[0:3], 0 offen offset:8
	buffer_load_dword v32, v29, s[0:3], 0 offen offset:12
	buffer_load_dword v33, v29, s[0:3], 0 offen
	buffer_load_dword v34, v29, s[0:3], 0 offen offset:4
	s_waitcnt vmcnt(2) lgkmcnt(0)
	v_mul_f64 v[36:37], v[3:4], v[31:32]
	v_mul_f64 v[31:32], v[1:2], v[31:32]
	s_waitcnt vmcnt(0)
	v_fma_f64 v[1:2], v[1:2], v[33:34], -v[36:37]
	v_fma_f64 v[3:4], v[3:4], v[33:34], v[31:32]
.LBB75_46:
	s_and_saveexec_b32 s8, s4
	s_cbranch_execz .LBB75_50
; %bb.47:
	v_add_nc_u32_e32 v31, -6, v0
	s_movk_i32 s20, 0x120
	s_mov_b32 s4, 0
	s_mov_b32 s21, s13
	.p2align	6
.LBB75_48:                              ; =>This Inner Loop Header: Depth=1
	v_mov_b32_e32 v34, s21
	v_add_nc_u32_e32 v31, -1, v31
	s_add_i32 s21, s21, 16
	s_clause 0x3
	buffer_load_dword v32, v34, s[0:3], 0 offen offset:8
	buffer_load_dword v33, v34, s[0:3], 0 offen offset:12
	buffer_load_dword v40, v34, s[0:3], 0 offen
	buffer_load_dword v41, v34, s[0:3], 0 offen offset:4
	v_mov_b32_e32 v34, s20
	v_cmp_eq_u32_e32 vcc_lo, 0, v31
	s_add_i32 s20, s20, 16
	ds_read_b128 v[36:39], v34
	s_or_b32 s4, vcc_lo, s4
	s_waitcnt vmcnt(2) lgkmcnt(0)
	v_mul_f64 v[42:43], v[38:39], v[32:33]
	v_mul_f64 v[32:33], v[36:37], v[32:33]
	s_waitcnt vmcnt(0)
	v_fma_f64 v[36:37], v[36:37], v[40:41], -v[42:43]
	v_fma_f64 v[32:33], v[38:39], v[40:41], v[32:33]
	v_add_f64 v[1:2], v[1:2], v[36:37]
	v_add_f64 v[3:4], v[3:4], v[32:33]
	s_andn2_b32 exec_lo, exec_lo, s4
	s_cbranch_execnz .LBB75_48
; %bb.49:
	s_or_b32 exec_lo, exec_lo, s4
.LBB75_50:
	s_or_b32 exec_lo, exec_lo, s8
	v_mov_b32_e32 v31, 0
	ds_read_b128 v[31:34], v31 offset:80
	s_waitcnt lgkmcnt(0)
	v_mul_f64 v[36:37], v[3:4], v[33:34]
	v_mul_f64 v[33:34], v[1:2], v[33:34]
	v_fma_f64 v[1:2], v[1:2], v[31:32], -v[36:37]
	v_fma_f64 v[3:4], v[3:4], v[31:32], v[33:34]
	buffer_store_dword v2, off, s[0:3], 0 offset:84
	buffer_store_dword v1, off, s[0:3], 0 offset:80
	;; [unrolled: 1-line block ×4, first 2 shown]
.LBB75_51:
	s_or_b32 exec_lo, exec_lo, s6
	v_mov_b32_e32 v4, s15
	v_cmp_lt_u32_e64 s4, 4, v0
	s_clause 0x3
	buffer_load_dword v1, v4, s[0:3], 0 offen
	buffer_load_dword v2, v4, s[0:3], 0 offen offset:4
	buffer_load_dword v3, v4, s[0:3], 0 offen offset:8
	;; [unrolled: 1-line block ×3, first 2 shown]
	s_waitcnt vmcnt(0)
	ds_write_b128 v30, v[1:4]
	s_waitcnt lgkmcnt(0)
	s_waitcnt_vscnt null, 0x0
	s_barrier
	buffer_gl0_inv
	s_and_saveexec_b32 s6, s4
	s_cbranch_execz .LBB75_59
; %bb.52:
	ds_read_b128 v[1:4], v30
	s_andn2_b32 vcc_lo, exec_lo, s19
	s_cbranch_vccnz .LBB75_54
; %bb.53:
	s_clause 0x3
	buffer_load_dword v31, v29, s[0:3], 0 offen offset:8
	buffer_load_dword v32, v29, s[0:3], 0 offen offset:12
	buffer_load_dword v33, v29, s[0:3], 0 offen
	buffer_load_dword v34, v29, s[0:3], 0 offen offset:4
	s_waitcnt vmcnt(2) lgkmcnt(0)
	v_mul_f64 v[36:37], v[3:4], v[31:32]
	v_mul_f64 v[31:32], v[1:2], v[31:32]
	s_waitcnt vmcnt(0)
	v_fma_f64 v[1:2], v[1:2], v[33:34], -v[36:37]
	v_fma_f64 v[3:4], v[3:4], v[33:34], v[31:32]
.LBB75_54:
	s_and_saveexec_b32 s8, s5
	s_cbranch_execz .LBB75_58
; %bb.55:
	v_add_nc_u32_e32 v31, -5, v0
	s_movk_i32 s20, 0x110
	s_mov_b32 s5, 0
	s_mov_b32 s21, s14
	.p2align	6
.LBB75_56:                              ; =>This Inner Loop Header: Depth=1
	v_mov_b32_e32 v34, s21
	v_add_nc_u32_e32 v31, -1, v31
	s_add_i32 s21, s21, 16
	s_clause 0x3
	buffer_load_dword v32, v34, s[0:3], 0 offen offset:8
	buffer_load_dword v33, v34, s[0:3], 0 offen offset:12
	buffer_load_dword v40, v34, s[0:3], 0 offen
	buffer_load_dword v41, v34, s[0:3], 0 offen offset:4
	v_mov_b32_e32 v34, s20
	v_cmp_eq_u32_e32 vcc_lo, 0, v31
	s_add_i32 s20, s20, 16
	ds_read_b128 v[36:39], v34
	s_or_b32 s5, vcc_lo, s5
	s_waitcnt vmcnt(2) lgkmcnt(0)
	v_mul_f64 v[42:43], v[38:39], v[32:33]
	v_mul_f64 v[32:33], v[36:37], v[32:33]
	s_waitcnt vmcnt(0)
	v_fma_f64 v[36:37], v[36:37], v[40:41], -v[42:43]
	v_fma_f64 v[32:33], v[38:39], v[40:41], v[32:33]
	v_add_f64 v[1:2], v[1:2], v[36:37]
	v_add_f64 v[3:4], v[3:4], v[32:33]
	s_andn2_b32 exec_lo, exec_lo, s5
	s_cbranch_execnz .LBB75_56
; %bb.57:
	s_or_b32 exec_lo, exec_lo, s5
.LBB75_58:
	s_or_b32 exec_lo, exec_lo, s8
	v_mov_b32_e32 v31, 0
	ds_read_b128 v[31:34], v31 offset:64
	s_waitcnt lgkmcnt(0)
	v_mul_f64 v[36:37], v[3:4], v[33:34]
	v_mul_f64 v[33:34], v[1:2], v[33:34]
	v_fma_f64 v[1:2], v[1:2], v[31:32], -v[36:37]
	v_fma_f64 v[3:4], v[3:4], v[31:32], v[33:34]
	buffer_store_dword v2, off, s[0:3], 0 offset:68
	buffer_store_dword v1, off, s[0:3], 0 offset:64
	;; [unrolled: 1-line block ×4, first 2 shown]
.LBB75_59:
	s_or_b32 exec_lo, exec_lo, s6
	v_mov_b32_e32 v4, s16
	v_cmp_lt_u32_e64 s5, 3, v0
	s_clause 0x3
	buffer_load_dword v1, v4, s[0:3], 0 offen
	buffer_load_dword v2, v4, s[0:3], 0 offen offset:4
	buffer_load_dword v3, v4, s[0:3], 0 offen offset:8
	;; [unrolled: 1-line block ×3, first 2 shown]
	s_waitcnt vmcnt(0)
	ds_write_b128 v30, v[1:4]
	s_waitcnt lgkmcnt(0)
	s_waitcnt_vscnt null, 0x0
	s_barrier
	buffer_gl0_inv
	s_and_saveexec_b32 s6, s5
	s_cbranch_execz .LBB75_67
; %bb.60:
	ds_read_b128 v[1:4], v30
	s_andn2_b32 vcc_lo, exec_lo, s19
	s_cbranch_vccnz .LBB75_62
; %bb.61:
	s_clause 0x3
	buffer_load_dword v31, v29, s[0:3], 0 offen offset:8
	buffer_load_dword v32, v29, s[0:3], 0 offen offset:12
	buffer_load_dword v33, v29, s[0:3], 0 offen
	buffer_load_dword v34, v29, s[0:3], 0 offen offset:4
	s_waitcnt vmcnt(2) lgkmcnt(0)
	v_mul_f64 v[36:37], v[3:4], v[31:32]
	v_mul_f64 v[31:32], v[1:2], v[31:32]
	s_waitcnt vmcnt(0)
	v_fma_f64 v[1:2], v[1:2], v[33:34], -v[36:37]
	v_fma_f64 v[3:4], v[3:4], v[33:34], v[31:32]
.LBB75_62:
	s_and_saveexec_b32 s8, s4
	s_cbranch_execz .LBB75_66
; %bb.63:
	v_add_nc_u32_e32 v31, -4, v0
	s_movk_i32 s20, 0x100
	s_mov_b32 s4, 0
	s_mov_b32 s21, s15
	.p2align	6
.LBB75_64:                              ; =>This Inner Loop Header: Depth=1
	v_mov_b32_e32 v34, s21
	v_add_nc_u32_e32 v31, -1, v31
	s_add_i32 s21, s21, 16
	s_clause 0x3
	buffer_load_dword v32, v34, s[0:3], 0 offen offset:8
	buffer_load_dword v33, v34, s[0:3], 0 offen offset:12
	buffer_load_dword v40, v34, s[0:3], 0 offen
	buffer_load_dword v41, v34, s[0:3], 0 offen offset:4
	v_mov_b32_e32 v34, s20
	v_cmp_eq_u32_e32 vcc_lo, 0, v31
	s_add_i32 s20, s20, 16
	ds_read_b128 v[36:39], v34
	s_or_b32 s4, vcc_lo, s4
	s_waitcnt vmcnt(2) lgkmcnt(0)
	v_mul_f64 v[42:43], v[38:39], v[32:33]
	v_mul_f64 v[32:33], v[36:37], v[32:33]
	s_waitcnt vmcnt(0)
	v_fma_f64 v[36:37], v[36:37], v[40:41], -v[42:43]
	v_fma_f64 v[32:33], v[38:39], v[40:41], v[32:33]
	v_add_f64 v[1:2], v[1:2], v[36:37]
	v_add_f64 v[3:4], v[3:4], v[32:33]
	s_andn2_b32 exec_lo, exec_lo, s4
	s_cbranch_execnz .LBB75_64
; %bb.65:
	s_or_b32 exec_lo, exec_lo, s4
.LBB75_66:
	s_or_b32 exec_lo, exec_lo, s8
	v_mov_b32_e32 v31, 0
	ds_read_b128 v[31:34], v31 offset:48
	s_waitcnt lgkmcnt(0)
	v_mul_f64 v[36:37], v[3:4], v[33:34]
	v_mul_f64 v[33:34], v[1:2], v[33:34]
	v_fma_f64 v[1:2], v[1:2], v[31:32], -v[36:37]
	v_fma_f64 v[3:4], v[3:4], v[31:32], v[33:34]
	buffer_store_dword v2, off, s[0:3], 0 offset:52
	buffer_store_dword v1, off, s[0:3], 0 offset:48
	;; [unrolled: 1-line block ×4, first 2 shown]
.LBB75_67:
	s_or_b32 exec_lo, exec_lo, s6
	v_mov_b32_e32 v4, s17
	v_cmp_lt_u32_e64 s6, 2, v0
	s_clause 0x3
	buffer_load_dword v1, v4, s[0:3], 0 offen
	buffer_load_dword v2, v4, s[0:3], 0 offen offset:4
	buffer_load_dword v3, v4, s[0:3], 0 offen offset:8
	;; [unrolled: 1-line block ×3, first 2 shown]
	s_waitcnt vmcnt(0)
	ds_write_b128 v30, v[1:4]
	s_waitcnt lgkmcnt(0)
	s_waitcnt_vscnt null, 0x0
	s_barrier
	buffer_gl0_inv
	s_and_saveexec_b32 s4, s6
	s_cbranch_execz .LBB75_75
; %bb.68:
	ds_read_b128 v[1:4], v30
	s_andn2_b32 vcc_lo, exec_lo, s19
	s_cbranch_vccnz .LBB75_70
; %bb.69:
	s_clause 0x3
	buffer_load_dword v31, v29, s[0:3], 0 offen offset:8
	buffer_load_dword v32, v29, s[0:3], 0 offen offset:12
	buffer_load_dword v33, v29, s[0:3], 0 offen
	buffer_load_dword v34, v29, s[0:3], 0 offen offset:4
	s_waitcnt vmcnt(2) lgkmcnt(0)
	v_mul_f64 v[36:37], v[3:4], v[31:32]
	v_mul_f64 v[31:32], v[1:2], v[31:32]
	s_waitcnt vmcnt(0)
	v_fma_f64 v[1:2], v[1:2], v[33:34], -v[36:37]
	v_fma_f64 v[3:4], v[3:4], v[33:34], v[31:32]
.LBB75_70:
	s_and_saveexec_b32 s8, s5
	s_cbranch_execz .LBB75_74
; %bb.71:
	v_add_nc_u32_e32 v31, -3, v0
	s_movk_i32 s20, 0xf0
	s_mov_b32 s5, 0
	s_mov_b32 s21, s16
	.p2align	6
.LBB75_72:                              ; =>This Inner Loop Header: Depth=1
	v_mov_b32_e32 v34, s21
	v_add_nc_u32_e32 v31, -1, v31
	s_add_i32 s21, s21, 16
	s_clause 0x3
	buffer_load_dword v32, v34, s[0:3], 0 offen offset:8
	buffer_load_dword v33, v34, s[0:3], 0 offen offset:12
	buffer_load_dword v40, v34, s[0:3], 0 offen
	buffer_load_dword v41, v34, s[0:3], 0 offen offset:4
	v_mov_b32_e32 v34, s20
	v_cmp_eq_u32_e32 vcc_lo, 0, v31
	s_add_i32 s20, s20, 16
	ds_read_b128 v[36:39], v34
	s_or_b32 s5, vcc_lo, s5
	s_waitcnt vmcnt(2) lgkmcnt(0)
	v_mul_f64 v[42:43], v[38:39], v[32:33]
	v_mul_f64 v[32:33], v[36:37], v[32:33]
	s_waitcnt vmcnt(0)
	v_fma_f64 v[36:37], v[36:37], v[40:41], -v[42:43]
	v_fma_f64 v[32:33], v[38:39], v[40:41], v[32:33]
	v_add_f64 v[1:2], v[1:2], v[36:37]
	v_add_f64 v[3:4], v[3:4], v[32:33]
	s_andn2_b32 exec_lo, exec_lo, s5
	s_cbranch_execnz .LBB75_72
; %bb.73:
	s_or_b32 exec_lo, exec_lo, s5
.LBB75_74:
	s_or_b32 exec_lo, exec_lo, s8
	v_mov_b32_e32 v31, 0
	ds_read_b128 v[31:34], v31 offset:32
	s_waitcnt lgkmcnt(0)
	v_mul_f64 v[36:37], v[3:4], v[33:34]
	v_mul_f64 v[33:34], v[1:2], v[33:34]
	v_fma_f64 v[1:2], v[1:2], v[31:32], -v[36:37]
	v_fma_f64 v[3:4], v[3:4], v[31:32], v[33:34]
	buffer_store_dword v2, off, s[0:3], 0 offset:36
	buffer_store_dword v1, off, s[0:3], 0 offset:32
	;; [unrolled: 1-line block ×4, first 2 shown]
.LBB75_75:
	s_or_b32 exec_lo, exec_lo, s4
	v_mov_b32_e32 v4, s18
	v_cmp_lt_u32_e64 s4, 1, v0
	s_clause 0x3
	buffer_load_dword v1, v4, s[0:3], 0 offen
	buffer_load_dword v2, v4, s[0:3], 0 offen offset:4
	buffer_load_dword v3, v4, s[0:3], 0 offen offset:8
	;; [unrolled: 1-line block ×3, first 2 shown]
	s_waitcnt vmcnt(0)
	ds_write_b128 v30, v[1:4]
	s_waitcnt lgkmcnt(0)
	s_waitcnt_vscnt null, 0x0
	s_barrier
	buffer_gl0_inv
	s_and_saveexec_b32 s5, s4
	s_cbranch_execz .LBB75_83
; %bb.76:
	ds_read_b128 v[1:4], v30
	s_andn2_b32 vcc_lo, exec_lo, s19
	s_cbranch_vccnz .LBB75_78
; %bb.77:
	s_clause 0x3
	buffer_load_dword v31, v29, s[0:3], 0 offen offset:8
	buffer_load_dword v32, v29, s[0:3], 0 offen offset:12
	buffer_load_dword v33, v29, s[0:3], 0 offen
	buffer_load_dword v34, v29, s[0:3], 0 offen offset:4
	s_waitcnt vmcnt(2) lgkmcnt(0)
	v_mul_f64 v[36:37], v[3:4], v[31:32]
	v_mul_f64 v[31:32], v[1:2], v[31:32]
	s_waitcnt vmcnt(0)
	v_fma_f64 v[1:2], v[1:2], v[33:34], -v[36:37]
	v_fma_f64 v[3:4], v[3:4], v[33:34], v[31:32]
.LBB75_78:
	s_and_saveexec_b32 s8, s6
	s_cbranch_execz .LBB75_82
; %bb.79:
	v_add_nc_u32_e32 v31, -2, v0
	s_movk_i32 s20, 0xe0
	s_mov_b32 s6, 0
	s_mov_b32 s21, s17
	.p2align	6
.LBB75_80:                              ; =>This Inner Loop Header: Depth=1
	v_mov_b32_e32 v34, s21
	v_add_nc_u32_e32 v31, -1, v31
	s_add_i32 s21, s21, 16
	s_clause 0x3
	buffer_load_dword v32, v34, s[0:3], 0 offen offset:8
	buffer_load_dword v33, v34, s[0:3], 0 offen offset:12
	buffer_load_dword v40, v34, s[0:3], 0 offen
	buffer_load_dword v41, v34, s[0:3], 0 offen offset:4
	v_mov_b32_e32 v34, s20
	v_cmp_eq_u32_e32 vcc_lo, 0, v31
	s_add_i32 s20, s20, 16
	ds_read_b128 v[36:39], v34
	s_or_b32 s6, vcc_lo, s6
	s_waitcnt vmcnt(2) lgkmcnt(0)
	v_mul_f64 v[42:43], v[38:39], v[32:33]
	v_mul_f64 v[32:33], v[36:37], v[32:33]
	s_waitcnt vmcnt(0)
	v_fma_f64 v[36:37], v[36:37], v[40:41], -v[42:43]
	v_fma_f64 v[32:33], v[38:39], v[40:41], v[32:33]
	v_add_f64 v[1:2], v[1:2], v[36:37]
	v_add_f64 v[3:4], v[3:4], v[32:33]
	s_andn2_b32 exec_lo, exec_lo, s6
	s_cbranch_execnz .LBB75_80
; %bb.81:
	s_or_b32 exec_lo, exec_lo, s6
.LBB75_82:
	s_or_b32 exec_lo, exec_lo, s8
	v_mov_b32_e32 v31, 0
	ds_read_b128 v[31:34], v31 offset:16
	s_waitcnt lgkmcnt(0)
	v_mul_f64 v[36:37], v[3:4], v[33:34]
	v_mul_f64 v[33:34], v[1:2], v[33:34]
	v_fma_f64 v[1:2], v[1:2], v[31:32], -v[36:37]
	v_fma_f64 v[3:4], v[3:4], v[31:32], v[33:34]
	buffer_store_dword v2, off, s[0:3], 0 offset:20
	buffer_store_dword v1, off, s[0:3], 0 offset:16
	;; [unrolled: 1-line block ×4, first 2 shown]
.LBB75_83:
	s_or_b32 exec_lo, exec_lo, s5
	s_clause 0x3
	buffer_load_dword v1, off, s[0:3], 0
	buffer_load_dword v2, off, s[0:3], 0 offset:4
	buffer_load_dword v3, off, s[0:3], 0 offset:8
	;; [unrolled: 1-line block ×3, first 2 shown]
	s_mov_b32 s6, 0
	s_mov_b32 s5, 0
	s_mov_b32 s8, exec_lo
                                        ; implicit-def: $sgpr20
	s_waitcnt vmcnt(0)
	ds_write_b128 v30, v[1:4]
	s_waitcnt lgkmcnt(0)
	s_waitcnt_vscnt null, 0x0
	s_barrier
	buffer_gl0_inv
                                        ; implicit-def: $vgpr1_vgpr2
	v_cmpx_ne_u32_e32 0, v0
	s_cbranch_execz .LBB75_91
; %bb.84:
	ds_read_b128 v[1:4], v30
	s_andn2_b32 vcc_lo, exec_lo, s19
	s_cbranch_vccnz .LBB75_86
; %bb.85:
	s_clause 0x3
	buffer_load_dword v31, v29, s[0:3], 0 offen offset:8
	buffer_load_dword v32, v29, s[0:3], 0 offen offset:12
	buffer_load_dword v33, v29, s[0:3], 0 offen
	buffer_load_dword v34, v29, s[0:3], 0 offen offset:4
	s_waitcnt vmcnt(2) lgkmcnt(0)
	v_mul_f64 v[36:37], v[3:4], v[31:32]
	v_mul_f64 v[31:32], v[1:2], v[31:32]
	s_waitcnt vmcnt(0)
	v_fma_f64 v[1:2], v[1:2], v[33:34], -v[36:37]
	v_fma_f64 v[3:4], v[3:4], v[33:34], v[31:32]
.LBB75_86:
	s_and_saveexec_b32 s5, s4
	s_cbranch_execz .LBB75_90
; %bb.87:
	v_add_nc_u32_e32 v31, -1, v0
	s_movk_i32 s20, 0xd0
	s_mov_b32 s4, 0
	s_mov_b32 s21, s18
	.p2align	6
.LBB75_88:                              ; =>This Inner Loop Header: Depth=1
	v_mov_b32_e32 v34, s21
	v_add_nc_u32_e32 v31, -1, v31
	s_add_i32 s21, s21, 16
	s_clause 0x3
	buffer_load_dword v32, v34, s[0:3], 0 offen offset:8
	buffer_load_dword v33, v34, s[0:3], 0 offen offset:12
	buffer_load_dword v40, v34, s[0:3], 0 offen
	buffer_load_dword v41, v34, s[0:3], 0 offen offset:4
	v_mov_b32_e32 v34, s20
	v_cmp_eq_u32_e32 vcc_lo, 0, v31
	s_add_i32 s20, s20, 16
	ds_read_b128 v[36:39], v34
	s_or_b32 s4, vcc_lo, s4
	s_waitcnt vmcnt(2) lgkmcnt(0)
	v_mul_f64 v[42:43], v[38:39], v[32:33]
	v_mul_f64 v[32:33], v[36:37], v[32:33]
	s_waitcnt vmcnt(0)
	v_fma_f64 v[36:37], v[36:37], v[40:41], -v[42:43]
	v_fma_f64 v[32:33], v[38:39], v[40:41], v[32:33]
	v_add_f64 v[1:2], v[1:2], v[36:37]
	v_add_f64 v[3:4], v[3:4], v[32:33]
	s_andn2_b32 exec_lo, exec_lo, s4
	s_cbranch_execnz .LBB75_88
; %bb.89:
	s_or_b32 exec_lo, exec_lo, s4
.LBB75_90:
	s_or_b32 exec_lo, exec_lo, s5
	v_mov_b32_e32 v31, 0
	s_mov_b32 s5, exec_lo
	s_or_b32 s20, 0, 8
	ds_read_b128 v[31:34], v31
	s_waitcnt lgkmcnt(0)
	v_mul_f64 v[36:37], v[3:4], v[33:34]
	v_mul_f64 v[33:34], v[1:2], v[33:34]
	v_fma_f64 v[36:37], v[1:2], v[31:32], -v[36:37]
	v_fma_f64 v[1:2], v[3:4], v[31:32], v[33:34]
	buffer_store_dword v37, off, s[0:3], 0 offset:4
	buffer_store_dword v36, off, s[0:3], 0
.LBB75_91:
	s_or_b32 exec_lo, exec_lo, s8
	s_and_b32 vcc_lo, exec_lo, s6
	s_cbranch_vccnz .LBB75_93
	s_branch .LBB75_176
.LBB75_92:
	s_mov_b32 s5, 0
                                        ; implicit-def: $vgpr1_vgpr2
                                        ; implicit-def: $sgpr20
	s_cbranch_execz .LBB75_176
.LBB75_93:
	v_mov_b32_e32 v4, s18
	v_cmp_eq_u32_e64 s4, 0, v0
	v_cndmask_b32_e64 v31, 0, 1, s19
	s_clause 0x3
	buffer_load_dword v1, v4, s[0:3], 0 offen
	buffer_load_dword v2, v4, s[0:3], 0 offen offset:4
	buffer_load_dword v3, v4, s[0:3], 0 offen offset:8
	;; [unrolled: 1-line block ×3, first 2 shown]
	s_waitcnt vmcnt(0)
	ds_write_b128 v30, v[1:4]
	s_waitcnt lgkmcnt(0)
	s_waitcnt_vscnt null, 0x0
	s_barrier
	buffer_gl0_inv
	s_and_saveexec_b32 s6, s4
	s_cbranch_execz .LBB75_97
; %bb.94:
	ds_read_b128 v[1:4], v30
	s_andn2_b32 vcc_lo, exec_lo, s19
	s_cbranch_vccnz .LBB75_96
; %bb.95:
	s_clause 0x3
	buffer_load_dword v32, v29, s[0:3], 0 offen offset:8
	buffer_load_dword v33, v29, s[0:3], 0 offen offset:12
	buffer_load_dword v36, v29, s[0:3], 0 offen
	buffer_load_dword v37, v29, s[0:3], 0 offen offset:4
	s_waitcnt vmcnt(2) lgkmcnt(0)
	v_mul_f64 v[38:39], v[3:4], v[32:33]
	v_mul_f64 v[32:33], v[1:2], v[32:33]
	s_waitcnt vmcnt(0)
	v_fma_f64 v[1:2], v[1:2], v[36:37], -v[38:39]
	v_fma_f64 v[3:4], v[3:4], v[36:37], v[32:33]
.LBB75_96:
	v_mov_b32_e32 v32, 0
	ds_read_b128 v[36:39], v32 offset:16
	s_waitcnt lgkmcnt(0)
	v_mul_f64 v[32:33], v[3:4], v[38:39]
	v_mul_f64 v[38:39], v[1:2], v[38:39]
	v_fma_f64 v[1:2], v[1:2], v[36:37], -v[32:33]
	v_fma_f64 v[3:4], v[3:4], v[36:37], v[38:39]
	buffer_store_dword v2, off, s[0:3], 0 offset:20
	buffer_store_dword v1, off, s[0:3], 0 offset:16
	buffer_store_dword v4, off, s[0:3], 0 offset:28
	buffer_store_dword v3, off, s[0:3], 0 offset:24
.LBB75_97:
	s_or_b32 exec_lo, exec_lo, s6
	v_mov_b32_e32 v4, s17
	s_mov_b32 s6, exec_lo
	s_clause 0x3
	buffer_load_dword v1, v4, s[0:3], 0 offen
	buffer_load_dword v2, v4, s[0:3], 0 offen offset:4
	buffer_load_dword v3, v4, s[0:3], 0 offen offset:8
	;; [unrolled: 1-line block ×3, first 2 shown]
	s_waitcnt vmcnt(0)
	ds_write_b128 v30, v[1:4]
	s_waitcnt lgkmcnt(0)
	s_waitcnt_vscnt null, 0x0
	s_barrier
	buffer_gl0_inv
	v_cmpx_gt_u32_e32 2, v0
	s_cbranch_execz .LBB75_103
; %bb.98:
	ds_read_b128 v[1:4], v30
	v_cmp_ne_u32_e32 vcc_lo, 1, v31
	s_cbranch_vccnz .LBB75_100
; %bb.99:
	s_clause 0x3
	buffer_load_dword v32, v29, s[0:3], 0 offen offset:8
	buffer_load_dword v33, v29, s[0:3], 0 offen offset:12
	buffer_load_dword v36, v29, s[0:3], 0 offen
	buffer_load_dword v37, v29, s[0:3], 0 offen offset:4
	s_waitcnt vmcnt(2) lgkmcnt(0)
	v_mul_f64 v[38:39], v[3:4], v[32:33]
	v_mul_f64 v[32:33], v[1:2], v[32:33]
	s_waitcnt vmcnt(0)
	v_fma_f64 v[1:2], v[1:2], v[36:37], -v[38:39]
	v_fma_f64 v[3:4], v[3:4], v[36:37], v[32:33]
.LBB75_100:
	s_and_saveexec_b32 s8, s4
	s_cbranch_execz .LBB75_102
; %bb.101:
	s_clause 0x3
	buffer_load_dword v32, off, s[0:3], 0 offset:24
	buffer_load_dword v33, off, s[0:3], 0 offset:28
	;; [unrolled: 1-line block ×4, first 2 shown]
	v_mov_b32_e32 v34, 0
	ds_read_b128 v[36:39], v34 offset:208
	s_waitcnt vmcnt(2) lgkmcnt(0)
	v_mul_f64 v[42:43], v[38:39], v[32:33]
	v_mul_f64 v[32:33], v[36:37], v[32:33]
	s_waitcnt vmcnt(0)
	v_fma_f64 v[36:37], v[36:37], v[40:41], -v[42:43]
	v_fma_f64 v[32:33], v[38:39], v[40:41], v[32:33]
	v_add_f64 v[1:2], v[1:2], v[36:37]
	v_add_f64 v[3:4], v[3:4], v[32:33]
.LBB75_102:
	s_or_b32 exec_lo, exec_lo, s8
	v_mov_b32_e32 v32, 0
	ds_read_b128 v[36:39], v32 offset:32
	s_waitcnt lgkmcnt(0)
	v_mul_f64 v[32:33], v[3:4], v[38:39]
	v_mul_f64 v[38:39], v[1:2], v[38:39]
	v_fma_f64 v[1:2], v[1:2], v[36:37], -v[32:33]
	v_fma_f64 v[3:4], v[3:4], v[36:37], v[38:39]
	buffer_store_dword v2, off, s[0:3], 0 offset:36
	buffer_store_dword v1, off, s[0:3], 0 offset:32
	;; [unrolled: 1-line block ×4, first 2 shown]
.LBB75_103:
	s_or_b32 exec_lo, exec_lo, s6
	v_mov_b32_e32 v4, s16
	s_mov_b32 s6, exec_lo
	s_clause 0x3
	buffer_load_dword v1, v4, s[0:3], 0 offen
	buffer_load_dword v2, v4, s[0:3], 0 offen offset:4
	buffer_load_dword v3, v4, s[0:3], 0 offen offset:8
	;; [unrolled: 1-line block ×3, first 2 shown]
	s_waitcnt vmcnt(0)
	ds_write_b128 v30, v[1:4]
	s_waitcnt lgkmcnt(0)
	s_waitcnt_vscnt null, 0x0
	s_barrier
	buffer_gl0_inv
	v_cmpx_gt_u32_e32 3, v0
	s_cbranch_execz .LBB75_111
; %bb.104:
	ds_read_b128 v[1:4], v30
	v_cmp_ne_u32_e32 vcc_lo, 1, v31
	s_cbranch_vccnz .LBB75_106
; %bb.105:
	s_clause 0x3
	buffer_load_dword v32, v29, s[0:3], 0 offen offset:8
	buffer_load_dword v33, v29, s[0:3], 0 offen offset:12
	buffer_load_dword v36, v29, s[0:3], 0 offen
	buffer_load_dword v37, v29, s[0:3], 0 offen offset:4
	s_waitcnt vmcnt(2) lgkmcnt(0)
	v_mul_f64 v[38:39], v[3:4], v[32:33]
	v_mul_f64 v[32:33], v[1:2], v[32:33]
	s_waitcnt vmcnt(0)
	v_fma_f64 v[1:2], v[1:2], v[36:37], -v[38:39]
	v_fma_f64 v[3:4], v[3:4], v[36:37], v[32:33]
.LBB75_106:
	s_mov_b32 s8, exec_lo
	v_cmpx_ne_u32_e32 2, v0
	s_cbranch_execz .LBB75_110
; %bb.107:
	s_clause 0x3
	buffer_load_dword v32, v29, s[0:3], 0 offen offset:24
	buffer_load_dword v33, v29, s[0:3], 0 offen offset:28
	;; [unrolled: 1-line block ×4, first 2 shown]
	ds_read_b128 v[36:39], v30 offset:16
	s_waitcnt vmcnt(2) lgkmcnt(0)
	v_mul_f64 v[42:43], v[38:39], v[32:33]
	v_mul_f64 v[32:33], v[36:37], v[32:33]
	s_waitcnt vmcnt(0)
	v_fma_f64 v[36:37], v[36:37], v[40:41], -v[42:43]
	v_fma_f64 v[32:33], v[38:39], v[40:41], v[32:33]
	v_add_f64 v[1:2], v[1:2], v[36:37]
	v_add_f64 v[3:4], v[3:4], v[32:33]
	s_and_saveexec_b32 s19, s4
	s_cbranch_execz .LBB75_109
; %bb.108:
	s_clause 0x3
	buffer_load_dword v32, off, s[0:3], 0 offset:40
	buffer_load_dword v33, off, s[0:3], 0 offset:44
	buffer_load_dword v40, off, s[0:3], 0 offset:32
	buffer_load_dword v41, off, s[0:3], 0 offset:36
	v_mov_b32_e32 v34, 0
	ds_read_b128 v[36:39], v34 offset:224
	s_waitcnt vmcnt(2) lgkmcnt(0)
	v_mul_f64 v[42:43], v[36:37], v[32:33]
	v_mul_f64 v[32:33], v[38:39], v[32:33]
	s_waitcnt vmcnt(0)
	v_fma_f64 v[38:39], v[38:39], v[40:41], v[42:43]
	v_fma_f64 v[32:33], v[36:37], v[40:41], -v[32:33]
	v_add_f64 v[3:4], v[3:4], v[38:39]
	v_add_f64 v[1:2], v[1:2], v[32:33]
.LBB75_109:
	s_or_b32 exec_lo, exec_lo, s19
.LBB75_110:
	s_or_b32 exec_lo, exec_lo, s8
	v_mov_b32_e32 v32, 0
	ds_read_b128 v[36:39], v32 offset:48
	s_waitcnt lgkmcnt(0)
	v_mul_f64 v[32:33], v[3:4], v[38:39]
	v_mul_f64 v[38:39], v[1:2], v[38:39]
	v_fma_f64 v[1:2], v[1:2], v[36:37], -v[32:33]
	v_fma_f64 v[3:4], v[3:4], v[36:37], v[38:39]
	buffer_store_dword v2, off, s[0:3], 0 offset:52
	buffer_store_dword v1, off, s[0:3], 0 offset:48
	;; [unrolled: 1-line block ×4, first 2 shown]
.LBB75_111:
	s_or_b32 exec_lo, exec_lo, s6
	v_mov_b32_e32 v4, s15
	s_mov_b32 s4, exec_lo
	s_clause 0x3
	buffer_load_dword v1, v4, s[0:3], 0 offen
	buffer_load_dword v2, v4, s[0:3], 0 offen offset:4
	buffer_load_dword v3, v4, s[0:3], 0 offen offset:8
	;; [unrolled: 1-line block ×3, first 2 shown]
	s_waitcnt vmcnt(0)
	ds_write_b128 v30, v[1:4]
	s_waitcnt lgkmcnt(0)
	s_waitcnt_vscnt null, 0x0
	s_barrier
	buffer_gl0_inv
	v_cmpx_gt_u32_e32 4, v0
	s_cbranch_execz .LBB75_119
; %bb.112:
	ds_read_b128 v[1:4], v30
	v_cmp_ne_u32_e32 vcc_lo, 1, v31
	s_cbranch_vccnz .LBB75_114
; %bb.113:
	s_clause 0x3
	buffer_load_dword v32, v29, s[0:3], 0 offen offset:8
	buffer_load_dword v33, v29, s[0:3], 0 offen offset:12
	buffer_load_dword v36, v29, s[0:3], 0 offen
	buffer_load_dword v37, v29, s[0:3], 0 offen offset:4
	s_waitcnt vmcnt(2) lgkmcnt(0)
	v_mul_f64 v[38:39], v[3:4], v[32:33]
	v_mul_f64 v[32:33], v[1:2], v[32:33]
	s_waitcnt vmcnt(0)
	v_fma_f64 v[1:2], v[1:2], v[36:37], -v[38:39]
	v_fma_f64 v[3:4], v[3:4], v[36:37], v[32:33]
.LBB75_114:
	s_mov_b32 s6, exec_lo
	v_cmpx_ne_u32_e32 3, v0
	s_cbranch_execz .LBB75_118
; %bb.115:
	v_add_nc_u32_e32 v32, 0xd0, v35
	v_add3_u32 v33, 0, v35, 16
	v_mov_b32_e32 v34, v0
	s_mov_b32 s8, 0
	.p2align	6
.LBB75_116:                             ; =>This Inner Loop Header: Depth=1
	s_clause 0x3
	buffer_load_dword v40, v33, s[0:3], 0 offen offset:8
	buffer_load_dword v41, v33, s[0:3], 0 offen offset:12
	buffer_load_dword v42, v33, s[0:3], 0 offen
	buffer_load_dword v43, v33, s[0:3], 0 offen offset:4
	ds_read_b128 v[36:39], v32
	v_add_nc_u32_e32 v34, 1, v34
	v_add_nc_u32_e32 v32, 16, v32
	v_add_nc_u32_e32 v33, 16, v33
	v_cmp_lt_u32_e32 vcc_lo, 2, v34
	s_or_b32 s8, vcc_lo, s8
	s_waitcnt vmcnt(2) lgkmcnt(0)
	v_mul_f64 v[44:45], v[38:39], v[40:41]
	v_mul_f64 v[40:41], v[36:37], v[40:41]
	s_waitcnt vmcnt(0)
	v_fma_f64 v[36:37], v[36:37], v[42:43], -v[44:45]
	v_fma_f64 v[38:39], v[38:39], v[42:43], v[40:41]
	v_add_f64 v[1:2], v[1:2], v[36:37]
	v_add_f64 v[3:4], v[3:4], v[38:39]
	s_andn2_b32 exec_lo, exec_lo, s8
	s_cbranch_execnz .LBB75_116
; %bb.117:
	s_or_b32 exec_lo, exec_lo, s8
.LBB75_118:
	s_or_b32 exec_lo, exec_lo, s6
	v_mov_b32_e32 v32, 0
	ds_read_b128 v[36:39], v32 offset:64
	s_waitcnt lgkmcnt(0)
	v_mul_f64 v[32:33], v[3:4], v[38:39]
	v_mul_f64 v[38:39], v[1:2], v[38:39]
	v_fma_f64 v[1:2], v[1:2], v[36:37], -v[32:33]
	v_fma_f64 v[3:4], v[3:4], v[36:37], v[38:39]
	buffer_store_dword v2, off, s[0:3], 0 offset:68
	buffer_store_dword v1, off, s[0:3], 0 offset:64
	;; [unrolled: 1-line block ×4, first 2 shown]
.LBB75_119:
	s_or_b32 exec_lo, exec_lo, s4
	v_mov_b32_e32 v4, s14
	s_mov_b32 s4, exec_lo
	s_clause 0x3
	buffer_load_dword v1, v4, s[0:3], 0 offen
	buffer_load_dword v2, v4, s[0:3], 0 offen offset:4
	buffer_load_dword v3, v4, s[0:3], 0 offen offset:8
	;; [unrolled: 1-line block ×3, first 2 shown]
	s_waitcnt vmcnt(0)
	ds_write_b128 v30, v[1:4]
	s_waitcnt lgkmcnt(0)
	s_waitcnt_vscnt null, 0x0
	s_barrier
	buffer_gl0_inv
	v_cmpx_gt_u32_e32 5, v0
	s_cbranch_execz .LBB75_127
; %bb.120:
	ds_read_b128 v[1:4], v30
	v_cmp_ne_u32_e32 vcc_lo, 1, v31
	s_cbranch_vccnz .LBB75_122
; %bb.121:
	s_clause 0x3
	buffer_load_dword v32, v29, s[0:3], 0 offen offset:8
	buffer_load_dword v33, v29, s[0:3], 0 offen offset:12
	buffer_load_dword v36, v29, s[0:3], 0 offen
	buffer_load_dword v37, v29, s[0:3], 0 offen offset:4
	s_waitcnt vmcnt(2) lgkmcnt(0)
	v_mul_f64 v[38:39], v[3:4], v[32:33]
	v_mul_f64 v[32:33], v[1:2], v[32:33]
	s_waitcnt vmcnt(0)
	v_fma_f64 v[1:2], v[1:2], v[36:37], -v[38:39]
	v_fma_f64 v[3:4], v[3:4], v[36:37], v[32:33]
.LBB75_122:
	s_mov_b32 s6, exec_lo
	v_cmpx_ne_u32_e32 4, v0
	s_cbranch_execz .LBB75_126
; %bb.123:
	v_add_nc_u32_e32 v32, 0xd0, v35
	v_add3_u32 v33, 0, v35, 16
	v_mov_b32_e32 v34, v0
	s_mov_b32 s8, 0
	.p2align	6
.LBB75_124:                             ; =>This Inner Loop Header: Depth=1
	s_clause 0x3
	buffer_load_dword v40, v33, s[0:3], 0 offen offset:8
	buffer_load_dword v41, v33, s[0:3], 0 offen offset:12
	buffer_load_dword v42, v33, s[0:3], 0 offen
	buffer_load_dword v43, v33, s[0:3], 0 offen offset:4
	ds_read_b128 v[36:39], v32
	v_add_nc_u32_e32 v34, 1, v34
	v_add_nc_u32_e32 v32, 16, v32
	;; [unrolled: 1-line block ×3, first 2 shown]
	v_cmp_lt_u32_e32 vcc_lo, 3, v34
	s_or_b32 s8, vcc_lo, s8
	s_waitcnt vmcnt(2) lgkmcnt(0)
	v_mul_f64 v[44:45], v[38:39], v[40:41]
	v_mul_f64 v[40:41], v[36:37], v[40:41]
	s_waitcnt vmcnt(0)
	v_fma_f64 v[36:37], v[36:37], v[42:43], -v[44:45]
	v_fma_f64 v[38:39], v[38:39], v[42:43], v[40:41]
	v_add_f64 v[1:2], v[1:2], v[36:37]
	v_add_f64 v[3:4], v[3:4], v[38:39]
	s_andn2_b32 exec_lo, exec_lo, s8
	s_cbranch_execnz .LBB75_124
; %bb.125:
	s_or_b32 exec_lo, exec_lo, s8
.LBB75_126:
	s_or_b32 exec_lo, exec_lo, s6
	v_mov_b32_e32 v32, 0
	ds_read_b128 v[36:39], v32 offset:80
	s_waitcnt lgkmcnt(0)
	v_mul_f64 v[32:33], v[3:4], v[38:39]
	v_mul_f64 v[38:39], v[1:2], v[38:39]
	v_fma_f64 v[1:2], v[1:2], v[36:37], -v[32:33]
	v_fma_f64 v[3:4], v[3:4], v[36:37], v[38:39]
	buffer_store_dword v2, off, s[0:3], 0 offset:84
	buffer_store_dword v1, off, s[0:3], 0 offset:80
	;; [unrolled: 1-line block ×4, first 2 shown]
.LBB75_127:
	s_or_b32 exec_lo, exec_lo, s4
	v_mov_b32_e32 v4, s13
	s_mov_b32 s4, exec_lo
	s_clause 0x3
	buffer_load_dword v1, v4, s[0:3], 0 offen
	buffer_load_dword v2, v4, s[0:3], 0 offen offset:4
	buffer_load_dword v3, v4, s[0:3], 0 offen offset:8
	;; [unrolled: 1-line block ×3, first 2 shown]
	s_waitcnt vmcnt(0)
	ds_write_b128 v30, v[1:4]
	s_waitcnt lgkmcnt(0)
	s_waitcnt_vscnt null, 0x0
	s_barrier
	buffer_gl0_inv
	v_cmpx_gt_u32_e32 6, v0
	s_cbranch_execz .LBB75_135
; %bb.128:
	ds_read_b128 v[1:4], v30
	v_cmp_ne_u32_e32 vcc_lo, 1, v31
	s_cbranch_vccnz .LBB75_130
; %bb.129:
	s_clause 0x3
	buffer_load_dword v32, v29, s[0:3], 0 offen offset:8
	buffer_load_dword v33, v29, s[0:3], 0 offen offset:12
	buffer_load_dword v36, v29, s[0:3], 0 offen
	buffer_load_dword v37, v29, s[0:3], 0 offen offset:4
	s_waitcnt vmcnt(2) lgkmcnt(0)
	v_mul_f64 v[38:39], v[3:4], v[32:33]
	v_mul_f64 v[32:33], v[1:2], v[32:33]
	s_waitcnt vmcnt(0)
	v_fma_f64 v[1:2], v[1:2], v[36:37], -v[38:39]
	v_fma_f64 v[3:4], v[3:4], v[36:37], v[32:33]
.LBB75_130:
	s_mov_b32 s6, exec_lo
	v_cmpx_ne_u32_e32 5, v0
	s_cbranch_execz .LBB75_134
; %bb.131:
	v_add_nc_u32_e32 v32, 0xd0, v35
	v_add3_u32 v33, 0, v35, 16
	v_mov_b32_e32 v34, v0
	s_mov_b32 s8, 0
	.p2align	6
.LBB75_132:                             ; =>This Inner Loop Header: Depth=1
	s_clause 0x3
	buffer_load_dword v40, v33, s[0:3], 0 offen offset:8
	buffer_load_dword v41, v33, s[0:3], 0 offen offset:12
	buffer_load_dword v42, v33, s[0:3], 0 offen
	buffer_load_dword v43, v33, s[0:3], 0 offen offset:4
	ds_read_b128 v[36:39], v32
	v_add_nc_u32_e32 v34, 1, v34
	v_add_nc_u32_e32 v32, 16, v32
	;; [unrolled: 1-line block ×3, first 2 shown]
	v_cmp_lt_u32_e32 vcc_lo, 4, v34
	s_or_b32 s8, vcc_lo, s8
	s_waitcnt vmcnt(2) lgkmcnt(0)
	v_mul_f64 v[44:45], v[38:39], v[40:41]
	v_mul_f64 v[40:41], v[36:37], v[40:41]
	s_waitcnt vmcnt(0)
	v_fma_f64 v[36:37], v[36:37], v[42:43], -v[44:45]
	v_fma_f64 v[38:39], v[38:39], v[42:43], v[40:41]
	v_add_f64 v[1:2], v[1:2], v[36:37]
	v_add_f64 v[3:4], v[3:4], v[38:39]
	s_andn2_b32 exec_lo, exec_lo, s8
	s_cbranch_execnz .LBB75_132
; %bb.133:
	s_or_b32 exec_lo, exec_lo, s8
.LBB75_134:
	s_or_b32 exec_lo, exec_lo, s6
	v_mov_b32_e32 v32, 0
	ds_read_b128 v[36:39], v32 offset:96
	s_waitcnt lgkmcnt(0)
	v_mul_f64 v[32:33], v[3:4], v[38:39]
	v_mul_f64 v[38:39], v[1:2], v[38:39]
	v_fma_f64 v[1:2], v[1:2], v[36:37], -v[32:33]
	v_fma_f64 v[3:4], v[3:4], v[36:37], v[38:39]
	buffer_store_dword v2, off, s[0:3], 0 offset:100
	buffer_store_dword v1, off, s[0:3], 0 offset:96
	;; [unrolled: 1-line block ×4, first 2 shown]
.LBB75_135:
	s_or_b32 exec_lo, exec_lo, s4
	v_mov_b32_e32 v4, s12
	s_mov_b32 s4, exec_lo
	s_clause 0x3
	buffer_load_dword v1, v4, s[0:3], 0 offen
	buffer_load_dword v2, v4, s[0:3], 0 offen offset:4
	buffer_load_dword v3, v4, s[0:3], 0 offen offset:8
	;; [unrolled: 1-line block ×3, first 2 shown]
	s_waitcnt vmcnt(0)
	ds_write_b128 v30, v[1:4]
	s_waitcnt lgkmcnt(0)
	s_waitcnt_vscnt null, 0x0
	s_barrier
	buffer_gl0_inv
	v_cmpx_gt_u32_e32 7, v0
	s_cbranch_execz .LBB75_143
; %bb.136:
	ds_read_b128 v[1:4], v30
	v_cmp_ne_u32_e32 vcc_lo, 1, v31
	s_cbranch_vccnz .LBB75_138
; %bb.137:
	s_clause 0x3
	buffer_load_dword v32, v29, s[0:3], 0 offen offset:8
	buffer_load_dword v33, v29, s[0:3], 0 offen offset:12
	buffer_load_dword v36, v29, s[0:3], 0 offen
	buffer_load_dword v37, v29, s[0:3], 0 offen offset:4
	s_waitcnt vmcnt(2) lgkmcnt(0)
	v_mul_f64 v[38:39], v[3:4], v[32:33]
	v_mul_f64 v[32:33], v[1:2], v[32:33]
	s_waitcnt vmcnt(0)
	v_fma_f64 v[1:2], v[1:2], v[36:37], -v[38:39]
	v_fma_f64 v[3:4], v[3:4], v[36:37], v[32:33]
.LBB75_138:
	s_mov_b32 s6, exec_lo
	v_cmpx_ne_u32_e32 6, v0
	s_cbranch_execz .LBB75_142
; %bb.139:
	v_add_nc_u32_e32 v32, 0xd0, v35
	v_add3_u32 v33, 0, v35, 16
	v_mov_b32_e32 v34, v0
	s_mov_b32 s8, 0
	.p2align	6
.LBB75_140:                             ; =>This Inner Loop Header: Depth=1
	s_clause 0x3
	buffer_load_dword v40, v33, s[0:3], 0 offen offset:8
	buffer_load_dword v41, v33, s[0:3], 0 offen offset:12
	buffer_load_dword v42, v33, s[0:3], 0 offen
	buffer_load_dword v43, v33, s[0:3], 0 offen offset:4
	ds_read_b128 v[36:39], v32
	v_add_nc_u32_e32 v34, 1, v34
	v_add_nc_u32_e32 v32, 16, v32
	;; [unrolled: 1-line block ×3, first 2 shown]
	v_cmp_lt_u32_e32 vcc_lo, 5, v34
	s_or_b32 s8, vcc_lo, s8
	s_waitcnt vmcnt(2) lgkmcnt(0)
	v_mul_f64 v[44:45], v[38:39], v[40:41]
	v_mul_f64 v[40:41], v[36:37], v[40:41]
	s_waitcnt vmcnt(0)
	v_fma_f64 v[36:37], v[36:37], v[42:43], -v[44:45]
	v_fma_f64 v[38:39], v[38:39], v[42:43], v[40:41]
	v_add_f64 v[1:2], v[1:2], v[36:37]
	v_add_f64 v[3:4], v[3:4], v[38:39]
	s_andn2_b32 exec_lo, exec_lo, s8
	s_cbranch_execnz .LBB75_140
; %bb.141:
	s_or_b32 exec_lo, exec_lo, s8
.LBB75_142:
	s_or_b32 exec_lo, exec_lo, s6
	v_mov_b32_e32 v32, 0
	ds_read_b128 v[36:39], v32 offset:112
	s_waitcnt lgkmcnt(0)
	v_mul_f64 v[32:33], v[3:4], v[38:39]
	v_mul_f64 v[38:39], v[1:2], v[38:39]
	v_fma_f64 v[1:2], v[1:2], v[36:37], -v[32:33]
	v_fma_f64 v[3:4], v[3:4], v[36:37], v[38:39]
	buffer_store_dword v2, off, s[0:3], 0 offset:116
	buffer_store_dword v1, off, s[0:3], 0 offset:112
	;; [unrolled: 1-line block ×4, first 2 shown]
.LBB75_143:
	s_or_b32 exec_lo, exec_lo, s4
	v_mov_b32_e32 v4, s11
	s_mov_b32 s4, exec_lo
	s_clause 0x3
	buffer_load_dword v1, v4, s[0:3], 0 offen
	buffer_load_dword v2, v4, s[0:3], 0 offen offset:4
	buffer_load_dword v3, v4, s[0:3], 0 offen offset:8
	;; [unrolled: 1-line block ×3, first 2 shown]
	s_waitcnt vmcnt(0)
	ds_write_b128 v30, v[1:4]
	s_waitcnt lgkmcnt(0)
	s_waitcnt_vscnt null, 0x0
	s_barrier
	buffer_gl0_inv
	v_cmpx_gt_u32_e32 8, v0
	s_cbranch_execz .LBB75_151
; %bb.144:
	ds_read_b128 v[1:4], v30
	v_cmp_ne_u32_e32 vcc_lo, 1, v31
	s_cbranch_vccnz .LBB75_146
; %bb.145:
	s_clause 0x3
	buffer_load_dword v32, v29, s[0:3], 0 offen offset:8
	buffer_load_dword v33, v29, s[0:3], 0 offen offset:12
	buffer_load_dword v36, v29, s[0:3], 0 offen
	buffer_load_dword v37, v29, s[0:3], 0 offen offset:4
	s_waitcnt vmcnt(2) lgkmcnt(0)
	v_mul_f64 v[38:39], v[3:4], v[32:33]
	v_mul_f64 v[32:33], v[1:2], v[32:33]
	s_waitcnt vmcnt(0)
	v_fma_f64 v[1:2], v[1:2], v[36:37], -v[38:39]
	v_fma_f64 v[3:4], v[3:4], v[36:37], v[32:33]
.LBB75_146:
	s_mov_b32 s6, exec_lo
	v_cmpx_ne_u32_e32 7, v0
	s_cbranch_execz .LBB75_150
; %bb.147:
	v_add_nc_u32_e32 v32, 0xd0, v35
	v_add3_u32 v33, 0, v35, 16
	v_mov_b32_e32 v34, v0
	s_mov_b32 s8, 0
	.p2align	6
.LBB75_148:                             ; =>This Inner Loop Header: Depth=1
	s_clause 0x3
	buffer_load_dword v40, v33, s[0:3], 0 offen offset:8
	buffer_load_dword v41, v33, s[0:3], 0 offen offset:12
	buffer_load_dword v42, v33, s[0:3], 0 offen
	buffer_load_dword v43, v33, s[0:3], 0 offen offset:4
	ds_read_b128 v[36:39], v32
	v_add_nc_u32_e32 v34, 1, v34
	v_add_nc_u32_e32 v32, 16, v32
	v_add_nc_u32_e32 v33, 16, v33
	v_cmp_lt_u32_e32 vcc_lo, 6, v34
	s_or_b32 s8, vcc_lo, s8
	s_waitcnt vmcnt(2) lgkmcnt(0)
	v_mul_f64 v[44:45], v[38:39], v[40:41]
	v_mul_f64 v[40:41], v[36:37], v[40:41]
	s_waitcnt vmcnt(0)
	v_fma_f64 v[36:37], v[36:37], v[42:43], -v[44:45]
	v_fma_f64 v[38:39], v[38:39], v[42:43], v[40:41]
	v_add_f64 v[1:2], v[1:2], v[36:37]
	v_add_f64 v[3:4], v[3:4], v[38:39]
	s_andn2_b32 exec_lo, exec_lo, s8
	s_cbranch_execnz .LBB75_148
; %bb.149:
	s_or_b32 exec_lo, exec_lo, s8
.LBB75_150:
	s_or_b32 exec_lo, exec_lo, s6
	v_mov_b32_e32 v32, 0
	ds_read_b128 v[36:39], v32 offset:128
	s_waitcnt lgkmcnt(0)
	v_mul_f64 v[32:33], v[3:4], v[38:39]
	v_mul_f64 v[38:39], v[1:2], v[38:39]
	v_fma_f64 v[1:2], v[1:2], v[36:37], -v[32:33]
	v_fma_f64 v[3:4], v[3:4], v[36:37], v[38:39]
	buffer_store_dword v2, off, s[0:3], 0 offset:132
	buffer_store_dword v1, off, s[0:3], 0 offset:128
	;; [unrolled: 1-line block ×4, first 2 shown]
.LBB75_151:
	s_or_b32 exec_lo, exec_lo, s4
	v_mov_b32_e32 v4, s10
	s_mov_b32 s4, exec_lo
	s_clause 0x3
	buffer_load_dword v1, v4, s[0:3], 0 offen
	buffer_load_dword v2, v4, s[0:3], 0 offen offset:4
	buffer_load_dword v3, v4, s[0:3], 0 offen offset:8
	;; [unrolled: 1-line block ×3, first 2 shown]
	s_waitcnt vmcnt(0)
	ds_write_b128 v30, v[1:4]
	s_waitcnt lgkmcnt(0)
	s_waitcnt_vscnt null, 0x0
	s_barrier
	buffer_gl0_inv
	v_cmpx_gt_u32_e32 9, v0
	s_cbranch_execz .LBB75_159
; %bb.152:
	ds_read_b128 v[1:4], v30
	v_cmp_ne_u32_e32 vcc_lo, 1, v31
	s_cbranch_vccnz .LBB75_154
; %bb.153:
	s_clause 0x3
	buffer_load_dword v32, v29, s[0:3], 0 offen offset:8
	buffer_load_dword v33, v29, s[0:3], 0 offen offset:12
	buffer_load_dword v36, v29, s[0:3], 0 offen
	buffer_load_dword v37, v29, s[0:3], 0 offen offset:4
	s_waitcnt vmcnt(2) lgkmcnt(0)
	v_mul_f64 v[38:39], v[3:4], v[32:33]
	v_mul_f64 v[32:33], v[1:2], v[32:33]
	s_waitcnt vmcnt(0)
	v_fma_f64 v[1:2], v[1:2], v[36:37], -v[38:39]
	v_fma_f64 v[3:4], v[3:4], v[36:37], v[32:33]
.LBB75_154:
	s_mov_b32 s6, exec_lo
	v_cmpx_ne_u32_e32 8, v0
	s_cbranch_execz .LBB75_158
; %bb.155:
	v_add_nc_u32_e32 v32, 0xd0, v35
	v_add3_u32 v33, 0, v35, 16
	v_mov_b32_e32 v34, v0
	s_mov_b32 s8, 0
	.p2align	6
.LBB75_156:                             ; =>This Inner Loop Header: Depth=1
	s_clause 0x3
	buffer_load_dword v40, v33, s[0:3], 0 offen offset:8
	buffer_load_dword v41, v33, s[0:3], 0 offen offset:12
	buffer_load_dword v42, v33, s[0:3], 0 offen
	buffer_load_dword v43, v33, s[0:3], 0 offen offset:4
	ds_read_b128 v[36:39], v32
	v_add_nc_u32_e32 v34, 1, v34
	v_add_nc_u32_e32 v32, 16, v32
	;; [unrolled: 1-line block ×3, first 2 shown]
	v_cmp_lt_u32_e32 vcc_lo, 7, v34
	s_or_b32 s8, vcc_lo, s8
	s_waitcnt vmcnt(2) lgkmcnt(0)
	v_mul_f64 v[44:45], v[38:39], v[40:41]
	v_mul_f64 v[40:41], v[36:37], v[40:41]
	s_waitcnt vmcnt(0)
	v_fma_f64 v[36:37], v[36:37], v[42:43], -v[44:45]
	v_fma_f64 v[38:39], v[38:39], v[42:43], v[40:41]
	v_add_f64 v[1:2], v[1:2], v[36:37]
	v_add_f64 v[3:4], v[3:4], v[38:39]
	s_andn2_b32 exec_lo, exec_lo, s8
	s_cbranch_execnz .LBB75_156
; %bb.157:
	s_or_b32 exec_lo, exec_lo, s8
.LBB75_158:
	s_or_b32 exec_lo, exec_lo, s6
	v_mov_b32_e32 v32, 0
	ds_read_b128 v[36:39], v32 offset:144
	s_waitcnt lgkmcnt(0)
	v_mul_f64 v[32:33], v[3:4], v[38:39]
	v_mul_f64 v[38:39], v[1:2], v[38:39]
	v_fma_f64 v[1:2], v[1:2], v[36:37], -v[32:33]
	v_fma_f64 v[3:4], v[3:4], v[36:37], v[38:39]
	buffer_store_dword v2, off, s[0:3], 0 offset:148
	buffer_store_dword v1, off, s[0:3], 0 offset:144
	;; [unrolled: 1-line block ×4, first 2 shown]
.LBB75_159:
	s_or_b32 exec_lo, exec_lo, s4
	v_mov_b32_e32 v4, s9
	v_cmp_gt_u32_e64 s4, 10, v0
	s_clause 0x3
	buffer_load_dword v1, v4, s[0:3], 0 offen
	buffer_load_dword v2, v4, s[0:3], 0 offen offset:4
	buffer_load_dword v3, v4, s[0:3], 0 offen offset:8
	;; [unrolled: 1-line block ×3, first 2 shown]
	s_waitcnt vmcnt(0)
	ds_write_b128 v30, v[1:4]
	s_waitcnt lgkmcnt(0)
	s_waitcnt_vscnt null, 0x0
	s_barrier
	buffer_gl0_inv
	s_and_saveexec_b32 s6, s4
	s_cbranch_execz .LBB75_167
; %bb.160:
	ds_read_b128 v[1:4], v30
	v_cmp_ne_u32_e32 vcc_lo, 1, v31
	s_cbranch_vccnz .LBB75_162
; %bb.161:
	s_clause 0x3
	buffer_load_dword v32, v29, s[0:3], 0 offen offset:8
	buffer_load_dword v33, v29, s[0:3], 0 offen offset:12
	buffer_load_dword v36, v29, s[0:3], 0 offen
	buffer_load_dword v37, v29, s[0:3], 0 offen offset:4
	s_waitcnt vmcnt(2) lgkmcnt(0)
	v_mul_f64 v[38:39], v[3:4], v[32:33]
	v_mul_f64 v[32:33], v[1:2], v[32:33]
	s_waitcnt vmcnt(0)
	v_fma_f64 v[1:2], v[1:2], v[36:37], -v[38:39]
	v_fma_f64 v[3:4], v[3:4], v[36:37], v[32:33]
.LBB75_162:
	s_mov_b32 s8, exec_lo
	v_cmpx_ne_u32_e32 9, v0
	s_cbranch_execz .LBB75_166
; %bb.163:
	v_add_nc_u32_e32 v32, 0xd0, v35
	v_add3_u32 v33, 0, v35, 16
	v_mov_b32_e32 v34, v0
	s_mov_b32 s19, 0
	.p2align	6
.LBB75_164:                             ; =>This Inner Loop Header: Depth=1
	s_clause 0x3
	buffer_load_dword v40, v33, s[0:3], 0 offen offset:8
	buffer_load_dword v41, v33, s[0:3], 0 offen offset:12
	buffer_load_dword v42, v33, s[0:3], 0 offen
	buffer_load_dword v43, v33, s[0:3], 0 offen offset:4
	ds_read_b128 v[36:39], v32
	v_add_nc_u32_e32 v34, 1, v34
	v_add_nc_u32_e32 v32, 16, v32
	;; [unrolled: 1-line block ×3, first 2 shown]
	v_cmp_lt_u32_e32 vcc_lo, 8, v34
	s_or_b32 s19, vcc_lo, s19
	s_waitcnt vmcnt(2) lgkmcnt(0)
	v_mul_f64 v[44:45], v[38:39], v[40:41]
	v_mul_f64 v[40:41], v[36:37], v[40:41]
	s_waitcnt vmcnt(0)
	v_fma_f64 v[36:37], v[36:37], v[42:43], -v[44:45]
	v_fma_f64 v[38:39], v[38:39], v[42:43], v[40:41]
	v_add_f64 v[1:2], v[1:2], v[36:37]
	v_add_f64 v[3:4], v[3:4], v[38:39]
	s_andn2_b32 exec_lo, exec_lo, s19
	s_cbranch_execnz .LBB75_164
; %bb.165:
	s_or_b32 exec_lo, exec_lo, s19
.LBB75_166:
	s_or_b32 exec_lo, exec_lo, s8
	v_mov_b32_e32 v32, 0
	ds_read_b128 v[36:39], v32 offset:160
	s_waitcnt lgkmcnt(0)
	v_mul_f64 v[32:33], v[3:4], v[38:39]
	v_mul_f64 v[38:39], v[1:2], v[38:39]
	v_fma_f64 v[1:2], v[1:2], v[36:37], -v[32:33]
	v_fma_f64 v[3:4], v[3:4], v[36:37], v[38:39]
	buffer_store_dword v2, off, s[0:3], 0 offset:164
	buffer_store_dword v1, off, s[0:3], 0 offset:160
	;; [unrolled: 1-line block ×4, first 2 shown]
.LBB75_167:
	s_or_b32 exec_lo, exec_lo, s6
	v_mov_b32_e32 v4, s7
	s_mov_b32 s6, exec_lo
                                        ; implicit-def: $sgpr20
	s_clause 0x3
	buffer_load_dword v1, v4, s[0:3], 0 offen
	buffer_load_dword v2, v4, s[0:3], 0 offen offset:4
	buffer_load_dword v3, v4, s[0:3], 0 offen offset:8
	;; [unrolled: 1-line block ×3, first 2 shown]
	s_waitcnt vmcnt(0)
	ds_write_b128 v30, v[1:4]
	s_waitcnt lgkmcnt(0)
	s_waitcnt_vscnt null, 0x0
	s_barrier
	buffer_gl0_inv
                                        ; implicit-def: $vgpr1_vgpr2
	v_cmpx_ne_u32_e32 11, v0
	s_cbranch_execz .LBB75_175
; %bb.168:
	ds_read_b128 v[1:4], v30
	v_cmp_ne_u32_e32 vcc_lo, 1, v31
	s_cbranch_vccnz .LBB75_170
; %bb.169:
	s_clause 0x3
	buffer_load_dword v30, v29, s[0:3], 0 offen offset:8
	buffer_load_dword v31, v29, s[0:3], 0 offen offset:12
	buffer_load_dword v32, v29, s[0:3], 0 offen
	buffer_load_dword v33, v29, s[0:3], 0 offen offset:4
	s_waitcnt vmcnt(2) lgkmcnt(0)
	v_mul_f64 v[36:37], v[3:4], v[30:31]
	v_mul_f64 v[29:30], v[1:2], v[30:31]
	s_waitcnt vmcnt(0)
	v_fma_f64 v[1:2], v[1:2], v[32:33], -v[36:37]
	v_fma_f64 v[3:4], v[3:4], v[32:33], v[29:30]
.LBB75_170:
	s_and_saveexec_b32 s8, s4
	s_cbranch_execz .LBB75_174
; %bb.171:
	v_add_nc_u32_e32 v29, 0xd0, v35
	v_add3_u32 v30, 0, v35, 16
	s_mov_b32 s4, 0
	.p2align	6
.LBB75_172:                             ; =>This Inner Loop Header: Depth=1
	s_clause 0x3
	buffer_load_dword v35, v30, s[0:3], 0 offen offset:8
	buffer_load_dword v36, v30, s[0:3], 0 offen offset:12
	buffer_load_dword v37, v30, s[0:3], 0 offen
	buffer_load_dword v38, v30, s[0:3], 0 offen offset:4
	ds_read_b128 v[31:34], v29
	v_add_nc_u32_e32 v0, 1, v0
	v_add_nc_u32_e32 v29, 16, v29
	;; [unrolled: 1-line block ×3, first 2 shown]
	v_cmp_lt_u32_e32 vcc_lo, 9, v0
	s_or_b32 s4, vcc_lo, s4
	s_waitcnt vmcnt(2) lgkmcnt(0)
	v_mul_f64 v[39:40], v[33:34], v[35:36]
	v_mul_f64 v[35:36], v[31:32], v[35:36]
	s_waitcnt vmcnt(0)
	v_fma_f64 v[31:32], v[31:32], v[37:38], -v[39:40]
	v_fma_f64 v[33:34], v[33:34], v[37:38], v[35:36]
	v_add_f64 v[1:2], v[1:2], v[31:32]
	v_add_f64 v[3:4], v[3:4], v[33:34]
	s_andn2_b32 exec_lo, exec_lo, s4
	s_cbranch_execnz .LBB75_172
; %bb.173:
	s_or_b32 exec_lo, exec_lo, s4
.LBB75_174:
	s_or_b32 exec_lo, exec_lo, s8
	v_mov_b32_e32 v0, 0
	s_movk_i32 s20, 0xb8
	s_or_b32 s5, s5, exec_lo
	ds_read_b128 v[29:32], v0 offset:176
	s_waitcnt lgkmcnt(0)
	v_mul_f64 v[33:34], v[3:4], v[31:32]
	v_mul_f64 v[31:32], v[1:2], v[31:32]
	v_fma_f64 v[33:34], v[1:2], v[29:30], -v[33:34]
	v_fma_f64 v[1:2], v[3:4], v[29:30], v[31:32]
	buffer_store_dword v34, off, s[0:3], 0 offset:180
	buffer_store_dword v33, off, s[0:3], 0 offset:176
.LBB75_175:
	s_or_b32 exec_lo, exec_lo, s6
.LBB75_176:
	s_and_saveexec_b32 s4, s5
	s_cbranch_execz .LBB75_178
; %bb.177:
	v_mov_b32_e32 v0, s20
	buffer_store_dword v2, v0, s[0:3], 0 offen offset:4
	buffer_store_dword v1, v0, s[0:3], 0 offen
.LBB75_178:
	s_or_b32 exec_lo, exec_lo, s4
	s_clause 0x3
	buffer_load_dword v0, off, s[0:3], 0
	buffer_load_dword v1, off, s[0:3], 0 offset:4
	buffer_load_dword v2, off, s[0:3], 0 offset:8
	;; [unrolled: 1-line block ×3, first 2 shown]
	v_mov_b32_e32 v4, s18
	s_waitcnt vmcnt(0)
	flat_store_dwordx4 v[5:6], v[0:3]
	s_clause 0x3
	buffer_load_dword v0, v4, s[0:3], 0 offen
	buffer_load_dword v1, v4, s[0:3], 0 offen offset:4
	buffer_load_dword v2, v4, s[0:3], 0 offen offset:8
	buffer_load_dword v3, v4, s[0:3], 0 offen offset:12
	v_mov_b32_e32 v4, s17
	s_waitcnt vmcnt(0)
	flat_store_dwordx4 v[7:8], v[0:3]
	s_clause 0x3
	buffer_load_dword v0, v4, s[0:3], 0 offen
	buffer_load_dword v1, v4, s[0:3], 0 offen offset:4
	buffer_load_dword v2, v4, s[0:3], 0 offen offset:8
	buffer_load_dword v3, v4, s[0:3], 0 offen offset:12
	;; [unrolled: 8-line block ×11, first 2 shown]
	s_waitcnt vmcnt(0)
	flat_store_dwordx4 v[27:28], v[0:3]
.LBB75_179:
	s_endpgm
	.section	.rodata,"a",@progbits
	.p2align	6, 0x0
	.amdhsa_kernel _ZN9rocsolver6v33100L18trti2_kernel_smallILi12E19rocblas_complex_numIdEPKPS3_EEv13rocblas_fill_17rocblas_diagonal_T1_iil
		.amdhsa_group_segment_fixed_size 384
		.amdhsa_private_segment_fixed_size 208
		.amdhsa_kernarg_size 32
		.amdhsa_user_sgpr_count 6
		.amdhsa_user_sgpr_private_segment_buffer 1
		.amdhsa_user_sgpr_dispatch_ptr 0
		.amdhsa_user_sgpr_queue_ptr 0
		.amdhsa_user_sgpr_kernarg_segment_ptr 1
		.amdhsa_user_sgpr_dispatch_id 0
		.amdhsa_user_sgpr_flat_scratch_init 0
		.amdhsa_user_sgpr_private_segment_size 0
		.amdhsa_wavefront_size32 1
		.amdhsa_uses_dynamic_stack 0
		.amdhsa_system_sgpr_private_segment_wavefront_offset 1
		.amdhsa_system_sgpr_workgroup_id_x 1
		.amdhsa_system_sgpr_workgroup_id_y 0
		.amdhsa_system_sgpr_workgroup_id_z 0
		.amdhsa_system_sgpr_workgroup_info 0
		.amdhsa_system_vgpr_workitem_id 0
		.amdhsa_next_free_vgpr 46
		.amdhsa_next_free_sgpr 22
		.amdhsa_reserve_vcc 1
		.amdhsa_reserve_flat_scratch 0
		.amdhsa_float_round_mode_32 0
		.amdhsa_float_round_mode_16_64 0
		.amdhsa_float_denorm_mode_32 3
		.amdhsa_float_denorm_mode_16_64 3
		.amdhsa_dx10_clamp 1
		.amdhsa_ieee_mode 1
		.amdhsa_fp16_overflow 0
		.amdhsa_workgroup_processor_mode 1
		.amdhsa_memory_ordered 1
		.amdhsa_forward_progress 1
		.amdhsa_shared_vgpr_count 0
		.amdhsa_exception_fp_ieee_invalid_op 0
		.amdhsa_exception_fp_denorm_src 0
		.amdhsa_exception_fp_ieee_div_zero 0
		.amdhsa_exception_fp_ieee_overflow 0
		.amdhsa_exception_fp_ieee_underflow 0
		.amdhsa_exception_fp_ieee_inexact 0
		.amdhsa_exception_int_div_zero 0
	.end_amdhsa_kernel
	.section	.text._ZN9rocsolver6v33100L18trti2_kernel_smallILi12E19rocblas_complex_numIdEPKPS3_EEv13rocblas_fill_17rocblas_diagonal_T1_iil,"axG",@progbits,_ZN9rocsolver6v33100L18trti2_kernel_smallILi12E19rocblas_complex_numIdEPKPS3_EEv13rocblas_fill_17rocblas_diagonal_T1_iil,comdat
.Lfunc_end75:
	.size	_ZN9rocsolver6v33100L18trti2_kernel_smallILi12E19rocblas_complex_numIdEPKPS3_EEv13rocblas_fill_17rocblas_diagonal_T1_iil, .Lfunc_end75-_ZN9rocsolver6v33100L18trti2_kernel_smallILi12E19rocblas_complex_numIdEPKPS3_EEv13rocblas_fill_17rocblas_diagonal_T1_iil
                                        ; -- End function
	.set _ZN9rocsolver6v33100L18trti2_kernel_smallILi12E19rocblas_complex_numIdEPKPS3_EEv13rocblas_fill_17rocblas_diagonal_T1_iil.num_vgpr, 46
	.set _ZN9rocsolver6v33100L18trti2_kernel_smallILi12E19rocblas_complex_numIdEPKPS3_EEv13rocblas_fill_17rocblas_diagonal_T1_iil.num_agpr, 0
	.set _ZN9rocsolver6v33100L18trti2_kernel_smallILi12E19rocblas_complex_numIdEPKPS3_EEv13rocblas_fill_17rocblas_diagonal_T1_iil.numbered_sgpr, 22
	.set _ZN9rocsolver6v33100L18trti2_kernel_smallILi12E19rocblas_complex_numIdEPKPS3_EEv13rocblas_fill_17rocblas_diagonal_T1_iil.num_named_barrier, 0
	.set _ZN9rocsolver6v33100L18trti2_kernel_smallILi12E19rocblas_complex_numIdEPKPS3_EEv13rocblas_fill_17rocblas_diagonal_T1_iil.private_seg_size, 208
	.set _ZN9rocsolver6v33100L18trti2_kernel_smallILi12E19rocblas_complex_numIdEPKPS3_EEv13rocblas_fill_17rocblas_diagonal_T1_iil.uses_vcc, 1
	.set _ZN9rocsolver6v33100L18trti2_kernel_smallILi12E19rocblas_complex_numIdEPKPS3_EEv13rocblas_fill_17rocblas_diagonal_T1_iil.uses_flat_scratch, 0
	.set _ZN9rocsolver6v33100L18trti2_kernel_smallILi12E19rocblas_complex_numIdEPKPS3_EEv13rocblas_fill_17rocblas_diagonal_T1_iil.has_dyn_sized_stack, 0
	.set _ZN9rocsolver6v33100L18trti2_kernel_smallILi12E19rocblas_complex_numIdEPKPS3_EEv13rocblas_fill_17rocblas_diagonal_T1_iil.has_recursion, 0
	.set _ZN9rocsolver6v33100L18trti2_kernel_smallILi12E19rocblas_complex_numIdEPKPS3_EEv13rocblas_fill_17rocblas_diagonal_T1_iil.has_indirect_call, 0
	.section	.AMDGPU.csdata,"",@progbits
; Kernel info:
; codeLenInByte = 11684
; TotalNumSgprs: 24
; NumVgprs: 46
; ScratchSize: 208
; MemoryBound: 0
; FloatMode: 240
; IeeeMode: 1
; LDSByteSize: 384 bytes/workgroup (compile time only)
; SGPRBlocks: 0
; VGPRBlocks: 5
; NumSGPRsForWavesPerEU: 24
; NumVGPRsForWavesPerEU: 46
; Occupancy: 16
; WaveLimiterHint : 1
; COMPUTE_PGM_RSRC2:SCRATCH_EN: 1
; COMPUTE_PGM_RSRC2:USER_SGPR: 6
; COMPUTE_PGM_RSRC2:TRAP_HANDLER: 0
; COMPUTE_PGM_RSRC2:TGID_X_EN: 1
; COMPUTE_PGM_RSRC2:TGID_Y_EN: 0
; COMPUTE_PGM_RSRC2:TGID_Z_EN: 0
; COMPUTE_PGM_RSRC2:TIDIG_COMP_CNT: 0
	.section	.text._ZN9rocsolver6v33100L18trti2_kernel_smallILi13E19rocblas_complex_numIdEPKPS3_EEv13rocblas_fill_17rocblas_diagonal_T1_iil,"axG",@progbits,_ZN9rocsolver6v33100L18trti2_kernel_smallILi13E19rocblas_complex_numIdEPKPS3_EEv13rocblas_fill_17rocblas_diagonal_T1_iil,comdat
	.globl	_ZN9rocsolver6v33100L18trti2_kernel_smallILi13E19rocblas_complex_numIdEPKPS3_EEv13rocblas_fill_17rocblas_diagonal_T1_iil ; -- Begin function _ZN9rocsolver6v33100L18trti2_kernel_smallILi13E19rocblas_complex_numIdEPKPS3_EEv13rocblas_fill_17rocblas_diagonal_T1_iil
	.p2align	8
	.type	_ZN9rocsolver6v33100L18trti2_kernel_smallILi13E19rocblas_complex_numIdEPKPS3_EEv13rocblas_fill_17rocblas_diagonal_T1_iil,@function
_ZN9rocsolver6v33100L18trti2_kernel_smallILi13E19rocblas_complex_numIdEPKPS3_EEv13rocblas_fill_17rocblas_diagonal_T1_iil: ; @_ZN9rocsolver6v33100L18trti2_kernel_smallILi13E19rocblas_complex_numIdEPKPS3_EEv13rocblas_fill_17rocblas_diagonal_T1_iil
; %bb.0:
	s_add_u32 s0, s0, s7
	s_addc_u32 s1, s1, 0
	s_mov_b32 s7, exec_lo
	v_cmpx_gt_u32_e32 13, v0
	s_cbranch_execz .LBB76_195
; %bb.1:
	s_clause 0x1
	s_load_dwordx2 s[12:13], s[4:5], 0x10
	s_load_dwordx4 s[8:11], s[4:5], 0x0
	s_ashr_i32 s7, s6, 31
	v_lshlrev_b32_e32 v37, 4, v0
	s_lshl_b64 s[4:5], s[6:7], 3
	s_movk_i32 s20, 0xa0
	s_movk_i32 s21, 0xb0
	;; [unrolled: 1-line block ×3, first 2 shown]
	s_waitcnt lgkmcnt(0)
	s_ashr_i32 s7, s12, 31
	s_add_u32 s4, s10, s4
	s_addc_u32 s5, s11, s5
	s_mov_b32 s6, s12
	s_load_dwordx2 s[4:5], s[4:5], 0x0
	s_lshl_b64 s[6:7], s[6:7], 4
	v_add3_u32 v11, s13, s13, v0
	s_movk_i32 s10, 0x90
	v_ashrrev_i32_e32 v12, 31, v11
	v_add_nc_u32_e32 v13, s13, v11
	v_lshlrev_b64 v[9:10], 4, v[11:12]
	v_ashrrev_i32_e32 v14, 31, v13
	v_add_nc_u32_e32 v15, s13, v13
	v_lshlrev_b64 v[11:12], 4, v[13:14]
	v_ashrrev_i32_e32 v16, 31, v15
	s_waitcnt lgkmcnt(0)
	s_add_u32 s4, s4, s6
	s_addc_u32 s5, s5, s7
	v_add_co_u32 v5, s6, s4, v37
	v_add_co_ci_u32_e64 v6, null, s5, 0, s6
	s_mov_b32 s6, s13
	s_ashr_i32 s7, s13, 31
	v_lshlrev_b64 v[13:14], 4, v[15:16]
	flat_load_dwordx4 v[1:4], v[5:6]
	s_lshl_b64 s[6:7], s[6:7], 4
	v_add_nc_u32_e32 v17, s13, v15
	v_add_co_u32 v7, vcc_lo, v5, s6
	v_add_co_ci_u32_e64 v8, null, s7, v6, vcc_lo
	v_add_co_u32 v9, vcc_lo, s4, v9
	v_add_co_ci_u32_e64 v10, null, s5, v10, vcc_lo
	;; [unrolled: 2-line block ×4, first 2 shown]
	v_ashrrev_i32_e32 v18, 31, v17
	v_add_nc_u32_e32 v19, s13, v17
	s_cmpk_lg_i32 s9, 0x84
	s_movk_i32 s6, 0x70
	s_movk_i32 s7, 0x80
	v_lshlrev_b64 v[15:16], 4, v[17:18]
	v_ashrrev_i32_e32 v20, 31, v19
	v_add_nc_u32_e32 v21, s13, v19
	s_cselect_b32 s19, -1, 0
	s_cmpk_eq_i32 s9, 0x84
	s_waitcnt vmcnt(0) lgkmcnt(0)
	buffer_store_dword v4, off, s[0:3], 0 offset:12
	buffer_store_dword v3, off, s[0:3], 0 offset:8
	;; [unrolled: 1-line block ×3, first 2 shown]
	buffer_store_dword v1, off, s[0:3], 0
	flat_load_dwordx4 v[1:4], v[7:8]
	v_add_co_u32 v15, vcc_lo, s4, v15
	v_add_co_ci_u32_e64 v16, null, s5, v16, vcc_lo
	v_lshlrev_b64 v[17:18], 4, v[19:20]
	v_ashrrev_i32_e32 v22, 31, v21
	v_add_nc_u32_e32 v23, s13, v21
	s_waitcnt vmcnt(0) lgkmcnt(0)
	buffer_store_dword v4, off, s[0:3], 0 offset:28
	buffer_store_dword v3, off, s[0:3], 0 offset:24
	buffer_store_dword v2, off, s[0:3], 0 offset:20
	buffer_store_dword v1, off, s[0:3], 0 offset:16
	flat_load_dwordx4 v[1:4], v[9:10]
	v_add_co_u32 v17, vcc_lo, s4, v17
	v_add_co_ci_u32_e64 v18, null, s5, v18, vcc_lo
	v_lshlrev_b64 v[19:20], 4, v[21:22]
	v_ashrrev_i32_e32 v24, 31, v23
	v_add_nc_u32_e32 v25, s13, v23
	s_waitcnt vmcnt(0) lgkmcnt(0)
	buffer_store_dword v4, off, s[0:3], 0 offset:44
	buffer_store_dword v3, off, s[0:3], 0 offset:40
	buffer_store_dword v2, off, s[0:3], 0 offset:36
	buffer_store_dword v1, off, s[0:3], 0 offset:32
	;; [unrolled: 11-line block ×4, first 2 shown]
	flat_load_dwordx4 v[1:4], v[15:16]
	v_add_co_u32 v23, vcc_lo, s4, v23
	v_add_co_ci_u32_e64 v24, null, s5, v24, vcc_lo
	v_lshlrev_b64 v[25:26], 4, v[27:28]
	v_ashrrev_i32_e32 v30, 31, v29
	s_waitcnt vmcnt(0) lgkmcnt(0)
	buffer_store_dword v4, off, s[0:3], 0 offset:92
	buffer_store_dword v3, off, s[0:3], 0 offset:88
	;; [unrolled: 1-line block ×4, first 2 shown]
	flat_load_dwordx4 v[1:4], v[17:18]
	v_add_co_u32 v25, vcc_lo, s4, v25
	v_add_co_ci_u32_e64 v26, null, s5, v26, vcc_lo
	v_lshlrev_b64 v[27:28], 4, v[29:30]
	v_add_nc_u32_e32 v29, s13, v29
	s_waitcnt vmcnt(0) lgkmcnt(0)
	buffer_store_dword v4, off, s[0:3], 0 offset:108
	buffer_store_dword v3, off, s[0:3], 0 offset:104
	;; [unrolled: 1-line block ×4, first 2 shown]
	flat_load_dwordx4 v[1:4], v[19:20]
	v_add_co_u32 v27, vcc_lo, s4, v27
	v_add_co_ci_u32_e64 v28, null, s5, v28, vcc_lo
	v_ashrrev_i32_e32 v30, 31, v29
	s_waitcnt vmcnt(0) lgkmcnt(0)
	buffer_store_dword v4, off, s[0:3], 0 offset:124
	buffer_store_dword v3, off, s[0:3], 0 offset:120
	;; [unrolled: 1-line block ×4, first 2 shown]
	flat_load_dwordx4 v[1:4], v[21:22]
	v_lshlrev_b64 v[29:30], 4, v[29:30]
	s_waitcnt vmcnt(0) lgkmcnt(0)
	buffer_store_dword v4, off, s[0:3], 0 offset:140
	buffer_store_dword v3, off, s[0:3], 0 offset:136
	;; [unrolled: 1-line block ×4, first 2 shown]
	flat_load_dwordx4 v[1:4], v[23:24]
	v_add_co_u32 v29, vcc_lo, s4, v29
	v_add_co_ci_u32_e64 v30, null, s5, v30, vcc_lo
	s_movk_i32 s4, 0x50
	s_movk_i32 s5, 0x60
	s_waitcnt vmcnt(0) lgkmcnt(0)
	buffer_store_dword v4, off, s[0:3], 0 offset:156
	buffer_store_dword v3, off, s[0:3], 0 offset:152
	buffer_store_dword v2, off, s[0:3], 0 offset:148
	buffer_store_dword v1, off, s[0:3], 0 offset:144
	flat_load_dwordx4 v[1:4], v[25:26]
	s_waitcnt vmcnt(0) lgkmcnt(0)
	buffer_store_dword v4, off, s[0:3], 0 offset:172
	buffer_store_dword v3, off, s[0:3], 0 offset:168
	buffer_store_dword v2, off, s[0:3], 0 offset:164
	buffer_store_dword v1, off, s[0:3], 0 offset:160
	flat_load_dwordx4 v[1:4], v[27:28]
	;; [unrolled: 6-line block ×3, first 2 shown]
	s_waitcnt vmcnt(0) lgkmcnt(0)
	buffer_store_dword v4, off, s[0:3], 0 offset:204
	buffer_store_dword v3, off, s[0:3], 0 offset:200
	;; [unrolled: 1-line block ×4, first 2 shown]
	s_cbranch_scc1 .LBB76_7
; %bb.2:
	v_lshl_add_u32 v38, v0, 4, 0
                                        ; implicit-def: $vgpr33_vgpr34
                                        ; implicit-def: $vgpr3_vgpr4
	s_clause 0x3
	buffer_load_dword v31, v38, s[0:3], 0 offen
	buffer_load_dword v32, v38, s[0:3], 0 offen offset:4
	buffer_load_dword v35, v38, s[0:3], 0 offen offset:8
	;; [unrolled: 1-line block ×3, first 2 shown]
	s_waitcnt vmcnt(0)
	v_cmp_ngt_f64_e64 s9, |v[31:32]|, |v[35:36]|
	s_and_saveexec_b32 s11, s9
	s_xor_b32 s9, exec_lo, s11
	s_cbranch_execz .LBB76_4
; %bb.3:
	v_div_scale_f64 v[1:2], null, v[35:36], v[35:36], v[31:32]
	v_div_scale_f64 v[39:40], vcc_lo, v[31:32], v[35:36], v[31:32]
	v_rcp_f64_e32 v[3:4], v[1:2]
	v_fma_f64 v[33:34], -v[1:2], v[3:4], 1.0
	v_fma_f64 v[3:4], v[3:4], v[33:34], v[3:4]
	v_fma_f64 v[33:34], -v[1:2], v[3:4], 1.0
	v_fma_f64 v[3:4], v[3:4], v[33:34], v[3:4]
	v_mul_f64 v[33:34], v[39:40], v[3:4]
	v_fma_f64 v[1:2], -v[1:2], v[33:34], v[39:40]
	v_div_fmas_f64 v[1:2], v[1:2], v[3:4], v[33:34]
	v_div_fixup_f64 v[1:2], v[1:2], v[35:36], v[31:32]
	v_fma_f64 v[3:4], v[31:32], v[1:2], v[35:36]
	v_div_scale_f64 v[31:32], null, v[3:4], v[3:4], 1.0
	v_div_scale_f64 v[39:40], vcc_lo, 1.0, v[3:4], 1.0
	v_rcp_f64_e32 v[33:34], v[31:32]
	v_fma_f64 v[35:36], -v[31:32], v[33:34], 1.0
	v_fma_f64 v[33:34], v[33:34], v[35:36], v[33:34]
	v_fma_f64 v[35:36], -v[31:32], v[33:34], 1.0
	v_fma_f64 v[33:34], v[33:34], v[35:36], v[33:34]
	v_mul_f64 v[35:36], v[39:40], v[33:34]
	v_fma_f64 v[31:32], -v[31:32], v[35:36], v[39:40]
	v_div_fmas_f64 v[31:32], v[31:32], v[33:34], v[35:36]
                                        ; implicit-def: $vgpr35_vgpr36
	v_div_fixup_f64 v[3:4], v[31:32], v[3:4], 1.0
                                        ; implicit-def: $vgpr31_vgpr32
	v_mul_f64 v[33:34], v[1:2], v[3:4]
	v_xor_b32_e32 v4, 0x80000000, v4
	v_xor_b32_e32 v2, 0x80000000, v34
	v_mov_b32_e32 v1, v33
.LBB76_4:
	s_andn2_saveexec_b32 s9, s9
	s_cbranch_execz .LBB76_6
; %bb.5:
	v_div_scale_f64 v[1:2], null, v[31:32], v[31:32], v[35:36]
	v_div_scale_f64 v[39:40], vcc_lo, v[35:36], v[31:32], v[35:36]
	v_rcp_f64_e32 v[3:4], v[1:2]
	v_fma_f64 v[33:34], -v[1:2], v[3:4], 1.0
	v_fma_f64 v[3:4], v[3:4], v[33:34], v[3:4]
	v_fma_f64 v[33:34], -v[1:2], v[3:4], 1.0
	v_fma_f64 v[3:4], v[3:4], v[33:34], v[3:4]
	v_mul_f64 v[33:34], v[39:40], v[3:4]
	v_fma_f64 v[1:2], -v[1:2], v[33:34], v[39:40]
	v_div_fmas_f64 v[1:2], v[1:2], v[3:4], v[33:34]
	v_div_fixup_f64 v[1:2], v[1:2], v[31:32], v[35:36]
	v_fma_f64 v[3:4], v[35:36], v[1:2], v[31:32]
	v_div_scale_f64 v[31:32], null, v[3:4], v[3:4], 1.0
	v_rcp_f64_e32 v[33:34], v[31:32]
	v_fma_f64 v[35:36], -v[31:32], v[33:34], 1.0
	v_fma_f64 v[33:34], v[33:34], v[35:36], v[33:34]
	v_fma_f64 v[35:36], -v[31:32], v[33:34], 1.0
	v_fma_f64 v[33:34], v[33:34], v[35:36], v[33:34]
	v_div_scale_f64 v[35:36], vcc_lo, 1.0, v[3:4], 1.0
	v_mul_f64 v[39:40], v[35:36], v[33:34]
	v_fma_f64 v[31:32], -v[31:32], v[39:40], v[35:36]
	v_div_fmas_f64 v[31:32], v[31:32], v[33:34], v[39:40]
	v_div_fixup_f64 v[33:34], v[31:32], v[3:4], 1.0
	v_mul_f64 v[3:4], v[1:2], -v[33:34]
	v_xor_b32_e32 v2, 0x80000000, v34
	v_mov_b32_e32 v1, v33
.LBB76_6:
	s_or_b32 exec_lo, exec_lo, s9
	buffer_store_dword v4, v38, s[0:3], 0 offen offset:12
	v_xor_b32_e32 v4, 0x80000000, v4
	buffer_store_dword v34, v38, s[0:3], 0 offen offset:4
	buffer_store_dword v33, v38, s[0:3], 0 offen
	buffer_store_dword v3, v38, s[0:3], 0 offen offset:8
	s_branch .LBB76_8
.LBB76_7:
	v_mov_b32_e32 v1, 0
	v_mov_b32_e32 v3, 0
	;; [unrolled: 1-line block ×4, first 2 shown]
.LBB76_8:
	v_add_nc_u32_e32 v32, 0xd0, v37
	v_mov_b32_e32 v31, v37
	s_mov_b32 s18, 16
	s_mov_b32 s17, 32
	;; [unrolled: 1-line block ×11, first 2 shown]
	s_cmpk_eq_i32 s8, 0x79
	ds_write_b128 v37, v[1:4]
	s_cbranch_scc1 .LBB76_100
; %bb.9:
	v_mov_b32_e32 v4, s7
	v_cmp_eq_u32_e64 s4, 12, v0
	s_clause 0x3
	buffer_load_dword v1, v4, s[0:3], 0 offen
	buffer_load_dword v2, v4, s[0:3], 0 offen offset:4
	buffer_load_dword v3, v4, s[0:3], 0 offen offset:8
	;; [unrolled: 1-line block ×3, first 2 shown]
	s_waitcnt vmcnt(0)
	ds_write_b128 v32, v[1:4]
	s_waitcnt lgkmcnt(0)
	s_waitcnt_vscnt null, 0x0
	s_barrier
	buffer_gl0_inv
	s_and_saveexec_b32 s5, s4
	s_cbranch_execz .LBB76_13
; %bb.10:
	ds_read_b128 v[1:4], v32
	s_andn2_b32 vcc_lo, exec_lo, s19
	s_cbranch_vccnz .LBB76_12
; %bb.11:
	s_clause 0x3
	buffer_load_dword v33, v31, s[0:3], 0 offen offset:8
	buffer_load_dword v34, v31, s[0:3], 0 offen offset:12
	buffer_load_dword v35, v31, s[0:3], 0 offen
	buffer_load_dword v36, v31, s[0:3], 0 offen offset:4
	s_waitcnt vmcnt(2) lgkmcnt(0)
	v_mul_f64 v[38:39], v[3:4], v[33:34]
	v_mul_f64 v[33:34], v[1:2], v[33:34]
	s_waitcnt vmcnt(0)
	v_fma_f64 v[1:2], v[1:2], v[35:36], -v[38:39]
	v_fma_f64 v[3:4], v[3:4], v[35:36], v[33:34]
.LBB76_12:
	v_mov_b32_e32 v33, 0
	ds_read_b128 v[33:36], v33 offset:176
	s_waitcnt lgkmcnt(0)
	v_mul_f64 v[38:39], v[3:4], v[35:36]
	v_mul_f64 v[35:36], v[1:2], v[35:36]
	v_fma_f64 v[1:2], v[1:2], v[33:34], -v[38:39]
	v_fma_f64 v[3:4], v[3:4], v[33:34], v[35:36]
	buffer_store_dword v2, off, s[0:3], 0 offset:180
	buffer_store_dword v1, off, s[0:3], 0 offset:176
	;; [unrolled: 1-line block ×4, first 2 shown]
.LBB76_13:
	s_or_b32 exec_lo, exec_lo, s5
	v_mov_b32_e32 v4, s9
	v_cmp_lt_u32_e64 s5, 10, v0
	s_clause 0x3
	buffer_load_dword v1, v4, s[0:3], 0 offen
	buffer_load_dword v2, v4, s[0:3], 0 offen offset:4
	buffer_load_dword v3, v4, s[0:3], 0 offen offset:8
	;; [unrolled: 1-line block ×3, first 2 shown]
	s_waitcnt vmcnt(0)
	ds_write_b128 v32, v[1:4]
	s_waitcnt lgkmcnt(0)
	s_waitcnt_vscnt null, 0x0
	s_barrier
	buffer_gl0_inv
	s_and_saveexec_b32 s8, s5
	s_cbranch_execz .LBB76_19
; %bb.14:
	ds_read_b128 v[1:4], v32
	s_andn2_b32 vcc_lo, exec_lo, s19
	s_cbranch_vccnz .LBB76_16
; %bb.15:
	s_clause 0x3
	buffer_load_dword v33, v31, s[0:3], 0 offen offset:8
	buffer_load_dword v34, v31, s[0:3], 0 offen offset:12
	buffer_load_dword v35, v31, s[0:3], 0 offen
	buffer_load_dword v36, v31, s[0:3], 0 offen offset:4
	s_waitcnt vmcnt(2) lgkmcnt(0)
	v_mul_f64 v[38:39], v[3:4], v[33:34]
	v_mul_f64 v[33:34], v[1:2], v[33:34]
	s_waitcnt vmcnt(0)
	v_fma_f64 v[1:2], v[1:2], v[35:36], -v[38:39]
	v_fma_f64 v[3:4], v[3:4], v[35:36], v[33:34]
.LBB76_16:
	s_and_saveexec_b32 s20, s4
	s_cbranch_execz .LBB76_18
; %bb.17:
	s_clause 0x3
	buffer_load_dword v38, off, s[0:3], 0 offset:184
	buffer_load_dword v39, off, s[0:3], 0 offset:188
	;; [unrolled: 1-line block ×4, first 2 shown]
	v_mov_b32_e32 v33, 0
	ds_read_b128 v[33:36], v33 offset:384
	s_waitcnt vmcnt(2) lgkmcnt(0)
	v_mul_f64 v[42:43], v[33:34], v[38:39]
	v_mul_f64 v[38:39], v[35:36], v[38:39]
	s_waitcnt vmcnt(0)
	v_fma_f64 v[35:36], v[35:36], v[40:41], v[42:43]
	v_fma_f64 v[33:34], v[33:34], v[40:41], -v[38:39]
	v_add_f64 v[3:4], v[3:4], v[35:36]
	v_add_f64 v[1:2], v[1:2], v[33:34]
.LBB76_18:
	s_or_b32 exec_lo, exec_lo, s20
	v_mov_b32_e32 v33, 0
	ds_read_b128 v[33:36], v33 offset:160
	s_waitcnt lgkmcnt(0)
	v_mul_f64 v[38:39], v[3:4], v[35:36]
	v_mul_f64 v[35:36], v[1:2], v[35:36]
	v_fma_f64 v[1:2], v[1:2], v[33:34], -v[38:39]
	v_fma_f64 v[3:4], v[3:4], v[33:34], v[35:36]
	buffer_store_dword v2, off, s[0:3], 0 offset:164
	buffer_store_dword v1, off, s[0:3], 0 offset:160
	;; [unrolled: 1-line block ×4, first 2 shown]
.LBB76_19:
	s_or_b32 exec_lo, exec_lo, s8
	v_mov_b32_e32 v4, s10
	v_cmp_lt_u32_e64 s4, 9, v0
	s_clause 0x3
	buffer_load_dword v1, v4, s[0:3], 0 offen
	buffer_load_dword v2, v4, s[0:3], 0 offen offset:4
	buffer_load_dword v3, v4, s[0:3], 0 offen offset:8
	;; [unrolled: 1-line block ×3, first 2 shown]
	s_waitcnt vmcnt(0)
	ds_write_b128 v32, v[1:4]
	s_waitcnt lgkmcnt(0)
	s_waitcnt_vscnt null, 0x0
	s_barrier
	buffer_gl0_inv
	s_and_saveexec_b32 s8, s4
	s_cbranch_execz .LBB76_27
; %bb.20:
	ds_read_b128 v[1:4], v32
	s_andn2_b32 vcc_lo, exec_lo, s19
	s_cbranch_vccnz .LBB76_22
; %bb.21:
	s_clause 0x3
	buffer_load_dword v33, v31, s[0:3], 0 offen offset:8
	buffer_load_dword v34, v31, s[0:3], 0 offen offset:12
	buffer_load_dword v35, v31, s[0:3], 0 offen
	buffer_load_dword v36, v31, s[0:3], 0 offen offset:4
	s_waitcnt vmcnt(2) lgkmcnt(0)
	v_mul_f64 v[38:39], v[3:4], v[33:34]
	v_mul_f64 v[33:34], v[1:2], v[33:34]
	s_waitcnt vmcnt(0)
	v_fma_f64 v[1:2], v[1:2], v[35:36], -v[38:39]
	v_fma_f64 v[3:4], v[3:4], v[35:36], v[33:34]
.LBB76_22:
	s_and_saveexec_b32 s20, s5
	s_cbranch_execz .LBB76_26
; %bb.23:
	v_add_nc_u32_e32 v33, -10, v0
	s_movk_i32 s21, 0x170
	s_mov_b32 s5, 0
	s_mov_b32 s22, s9
	.p2align	6
.LBB76_24:                              ; =>This Inner Loop Header: Depth=1
	v_mov_b32_e32 v36, s22
	v_add_nc_u32_e32 v33, -1, v33
	s_add_i32 s22, s22, 16
	s_clause 0x3
	buffer_load_dword v34, v36, s[0:3], 0 offen offset:8
	buffer_load_dword v35, v36, s[0:3], 0 offen offset:12
	buffer_load_dword v42, v36, s[0:3], 0 offen
	buffer_load_dword v43, v36, s[0:3], 0 offen offset:4
	v_mov_b32_e32 v36, s21
	v_cmp_eq_u32_e32 vcc_lo, 0, v33
	s_add_i32 s21, s21, 16
	ds_read_b128 v[38:41], v36
	s_or_b32 s5, vcc_lo, s5
	s_waitcnt vmcnt(2) lgkmcnt(0)
	v_mul_f64 v[44:45], v[40:41], v[34:35]
	v_mul_f64 v[34:35], v[38:39], v[34:35]
	s_waitcnt vmcnt(0)
	v_fma_f64 v[38:39], v[38:39], v[42:43], -v[44:45]
	v_fma_f64 v[34:35], v[40:41], v[42:43], v[34:35]
	v_add_f64 v[1:2], v[1:2], v[38:39]
	v_add_f64 v[3:4], v[3:4], v[34:35]
	s_andn2_b32 exec_lo, exec_lo, s5
	s_cbranch_execnz .LBB76_24
; %bb.25:
	s_or_b32 exec_lo, exec_lo, s5
.LBB76_26:
	s_or_b32 exec_lo, exec_lo, s20
	v_mov_b32_e32 v33, 0
	ds_read_b128 v[33:36], v33 offset:144
	s_waitcnt lgkmcnt(0)
	v_mul_f64 v[38:39], v[3:4], v[35:36]
	v_mul_f64 v[35:36], v[1:2], v[35:36]
	v_fma_f64 v[1:2], v[1:2], v[33:34], -v[38:39]
	v_fma_f64 v[3:4], v[3:4], v[33:34], v[35:36]
	buffer_store_dword v2, off, s[0:3], 0 offset:148
	buffer_store_dword v1, off, s[0:3], 0 offset:144
	;; [unrolled: 1-line block ×4, first 2 shown]
.LBB76_27:
	s_or_b32 exec_lo, exec_lo, s8
	v_mov_b32_e32 v4, s11
	v_cmp_lt_u32_e64 s5, 8, v0
	s_clause 0x3
	buffer_load_dword v1, v4, s[0:3], 0 offen
	buffer_load_dword v2, v4, s[0:3], 0 offen offset:4
	buffer_load_dword v3, v4, s[0:3], 0 offen offset:8
	;; [unrolled: 1-line block ×3, first 2 shown]
	s_waitcnt vmcnt(0)
	ds_write_b128 v32, v[1:4]
	s_waitcnt lgkmcnt(0)
	s_waitcnt_vscnt null, 0x0
	s_barrier
	buffer_gl0_inv
	s_and_saveexec_b32 s8, s5
	s_cbranch_execz .LBB76_35
; %bb.28:
	ds_read_b128 v[1:4], v32
	s_andn2_b32 vcc_lo, exec_lo, s19
	s_cbranch_vccnz .LBB76_30
; %bb.29:
	s_clause 0x3
	buffer_load_dword v33, v31, s[0:3], 0 offen offset:8
	buffer_load_dword v34, v31, s[0:3], 0 offen offset:12
	buffer_load_dword v35, v31, s[0:3], 0 offen
	buffer_load_dword v36, v31, s[0:3], 0 offen offset:4
	s_waitcnt vmcnt(2) lgkmcnt(0)
	v_mul_f64 v[38:39], v[3:4], v[33:34]
	v_mul_f64 v[33:34], v[1:2], v[33:34]
	s_waitcnt vmcnt(0)
	v_fma_f64 v[1:2], v[1:2], v[35:36], -v[38:39]
	v_fma_f64 v[3:4], v[3:4], v[35:36], v[33:34]
.LBB76_30:
	s_and_saveexec_b32 s20, s4
	s_cbranch_execz .LBB76_34
; %bb.31:
	v_add_nc_u32_e32 v33, -9, v0
	s_movk_i32 s21, 0x160
	s_mov_b32 s4, 0
	s_mov_b32 s22, s10
	.p2align	6
.LBB76_32:                              ; =>This Inner Loop Header: Depth=1
	v_mov_b32_e32 v36, s22
	v_add_nc_u32_e32 v33, -1, v33
	s_add_i32 s22, s22, 16
	s_clause 0x3
	buffer_load_dword v34, v36, s[0:3], 0 offen offset:8
	buffer_load_dword v35, v36, s[0:3], 0 offen offset:12
	buffer_load_dword v42, v36, s[0:3], 0 offen
	buffer_load_dword v43, v36, s[0:3], 0 offen offset:4
	v_mov_b32_e32 v36, s21
	v_cmp_eq_u32_e32 vcc_lo, 0, v33
	s_add_i32 s21, s21, 16
	ds_read_b128 v[38:41], v36
	s_or_b32 s4, vcc_lo, s4
	s_waitcnt vmcnt(2) lgkmcnt(0)
	v_mul_f64 v[44:45], v[40:41], v[34:35]
	v_mul_f64 v[34:35], v[38:39], v[34:35]
	s_waitcnt vmcnt(0)
	v_fma_f64 v[38:39], v[38:39], v[42:43], -v[44:45]
	v_fma_f64 v[34:35], v[40:41], v[42:43], v[34:35]
	v_add_f64 v[1:2], v[1:2], v[38:39]
	v_add_f64 v[3:4], v[3:4], v[34:35]
	s_andn2_b32 exec_lo, exec_lo, s4
	s_cbranch_execnz .LBB76_32
; %bb.33:
	s_or_b32 exec_lo, exec_lo, s4
.LBB76_34:
	s_or_b32 exec_lo, exec_lo, s20
	v_mov_b32_e32 v33, 0
	ds_read_b128 v[33:36], v33 offset:128
	s_waitcnt lgkmcnt(0)
	v_mul_f64 v[38:39], v[3:4], v[35:36]
	v_mul_f64 v[35:36], v[1:2], v[35:36]
	v_fma_f64 v[1:2], v[1:2], v[33:34], -v[38:39]
	v_fma_f64 v[3:4], v[3:4], v[33:34], v[35:36]
	buffer_store_dword v2, off, s[0:3], 0 offset:132
	buffer_store_dword v1, off, s[0:3], 0 offset:128
	buffer_store_dword v4, off, s[0:3], 0 offset:140
	buffer_store_dword v3, off, s[0:3], 0 offset:136
.LBB76_35:
	s_or_b32 exec_lo, exec_lo, s8
	v_mov_b32_e32 v4, s12
	v_cmp_lt_u32_e64 s4, 7, v0
	s_clause 0x3
	buffer_load_dword v1, v4, s[0:3], 0 offen
	buffer_load_dword v2, v4, s[0:3], 0 offen offset:4
	buffer_load_dword v3, v4, s[0:3], 0 offen offset:8
	;; [unrolled: 1-line block ×3, first 2 shown]
	s_waitcnt vmcnt(0)
	ds_write_b128 v32, v[1:4]
	s_waitcnt lgkmcnt(0)
	s_waitcnt_vscnt null, 0x0
	s_barrier
	buffer_gl0_inv
	s_and_saveexec_b32 s8, s4
	s_cbranch_execz .LBB76_43
; %bb.36:
	ds_read_b128 v[1:4], v32
	s_andn2_b32 vcc_lo, exec_lo, s19
	s_cbranch_vccnz .LBB76_38
; %bb.37:
	s_clause 0x3
	buffer_load_dword v33, v31, s[0:3], 0 offen offset:8
	buffer_load_dword v34, v31, s[0:3], 0 offen offset:12
	buffer_load_dword v35, v31, s[0:3], 0 offen
	buffer_load_dword v36, v31, s[0:3], 0 offen offset:4
	s_waitcnt vmcnt(2) lgkmcnt(0)
	v_mul_f64 v[38:39], v[3:4], v[33:34]
	v_mul_f64 v[33:34], v[1:2], v[33:34]
	s_waitcnt vmcnt(0)
	v_fma_f64 v[1:2], v[1:2], v[35:36], -v[38:39]
	v_fma_f64 v[3:4], v[3:4], v[35:36], v[33:34]
.LBB76_38:
	s_and_saveexec_b32 s20, s5
	s_cbranch_execz .LBB76_42
; %bb.39:
	v_add_nc_u32_e32 v33, -8, v0
	s_movk_i32 s21, 0x150
	s_mov_b32 s5, 0
	s_mov_b32 s22, s11
	.p2align	6
.LBB76_40:                              ; =>This Inner Loop Header: Depth=1
	v_mov_b32_e32 v36, s22
	v_add_nc_u32_e32 v33, -1, v33
	s_add_i32 s22, s22, 16
	s_clause 0x3
	buffer_load_dword v34, v36, s[0:3], 0 offen offset:8
	buffer_load_dword v35, v36, s[0:3], 0 offen offset:12
	buffer_load_dword v42, v36, s[0:3], 0 offen
	buffer_load_dword v43, v36, s[0:3], 0 offen offset:4
	v_mov_b32_e32 v36, s21
	v_cmp_eq_u32_e32 vcc_lo, 0, v33
	s_add_i32 s21, s21, 16
	ds_read_b128 v[38:41], v36
	s_or_b32 s5, vcc_lo, s5
	s_waitcnt vmcnt(2) lgkmcnt(0)
	v_mul_f64 v[44:45], v[40:41], v[34:35]
	v_mul_f64 v[34:35], v[38:39], v[34:35]
	s_waitcnt vmcnt(0)
	v_fma_f64 v[38:39], v[38:39], v[42:43], -v[44:45]
	v_fma_f64 v[34:35], v[40:41], v[42:43], v[34:35]
	v_add_f64 v[1:2], v[1:2], v[38:39]
	v_add_f64 v[3:4], v[3:4], v[34:35]
	s_andn2_b32 exec_lo, exec_lo, s5
	s_cbranch_execnz .LBB76_40
; %bb.41:
	s_or_b32 exec_lo, exec_lo, s5
.LBB76_42:
	s_or_b32 exec_lo, exec_lo, s20
	v_mov_b32_e32 v33, 0
	ds_read_b128 v[33:36], v33 offset:112
	s_waitcnt lgkmcnt(0)
	v_mul_f64 v[38:39], v[3:4], v[35:36]
	v_mul_f64 v[35:36], v[1:2], v[35:36]
	v_fma_f64 v[1:2], v[1:2], v[33:34], -v[38:39]
	v_fma_f64 v[3:4], v[3:4], v[33:34], v[35:36]
	buffer_store_dword v2, off, s[0:3], 0 offset:116
	buffer_store_dword v1, off, s[0:3], 0 offset:112
	;; [unrolled: 1-line block ×4, first 2 shown]
.LBB76_43:
	s_or_b32 exec_lo, exec_lo, s8
	v_mov_b32_e32 v4, s13
	v_cmp_lt_u32_e64 s5, 6, v0
	s_clause 0x3
	buffer_load_dword v1, v4, s[0:3], 0 offen
	buffer_load_dword v2, v4, s[0:3], 0 offen offset:4
	buffer_load_dword v3, v4, s[0:3], 0 offen offset:8
	;; [unrolled: 1-line block ×3, first 2 shown]
	s_waitcnt vmcnt(0)
	ds_write_b128 v32, v[1:4]
	s_waitcnt lgkmcnt(0)
	s_waitcnt_vscnt null, 0x0
	s_barrier
	buffer_gl0_inv
	s_and_saveexec_b32 s8, s5
	s_cbranch_execz .LBB76_51
; %bb.44:
	ds_read_b128 v[1:4], v32
	s_andn2_b32 vcc_lo, exec_lo, s19
	s_cbranch_vccnz .LBB76_46
; %bb.45:
	s_clause 0x3
	buffer_load_dword v33, v31, s[0:3], 0 offen offset:8
	buffer_load_dword v34, v31, s[0:3], 0 offen offset:12
	buffer_load_dword v35, v31, s[0:3], 0 offen
	buffer_load_dword v36, v31, s[0:3], 0 offen offset:4
	s_waitcnt vmcnt(2) lgkmcnt(0)
	v_mul_f64 v[38:39], v[3:4], v[33:34]
	v_mul_f64 v[33:34], v[1:2], v[33:34]
	s_waitcnt vmcnt(0)
	v_fma_f64 v[1:2], v[1:2], v[35:36], -v[38:39]
	v_fma_f64 v[3:4], v[3:4], v[35:36], v[33:34]
.LBB76_46:
	s_and_saveexec_b32 s20, s4
	s_cbranch_execz .LBB76_50
; %bb.47:
	v_add_nc_u32_e32 v33, -7, v0
	s_movk_i32 s21, 0x140
	s_mov_b32 s4, 0
	s_mov_b32 s22, s12
	.p2align	6
.LBB76_48:                              ; =>This Inner Loop Header: Depth=1
	v_mov_b32_e32 v36, s22
	v_add_nc_u32_e32 v33, -1, v33
	s_add_i32 s22, s22, 16
	s_clause 0x3
	buffer_load_dword v34, v36, s[0:3], 0 offen offset:8
	buffer_load_dword v35, v36, s[0:3], 0 offen offset:12
	buffer_load_dword v42, v36, s[0:3], 0 offen
	buffer_load_dword v43, v36, s[0:3], 0 offen offset:4
	v_mov_b32_e32 v36, s21
	v_cmp_eq_u32_e32 vcc_lo, 0, v33
	s_add_i32 s21, s21, 16
	ds_read_b128 v[38:41], v36
	s_or_b32 s4, vcc_lo, s4
	s_waitcnt vmcnt(2) lgkmcnt(0)
	v_mul_f64 v[44:45], v[40:41], v[34:35]
	v_mul_f64 v[34:35], v[38:39], v[34:35]
	s_waitcnt vmcnt(0)
	v_fma_f64 v[38:39], v[38:39], v[42:43], -v[44:45]
	v_fma_f64 v[34:35], v[40:41], v[42:43], v[34:35]
	v_add_f64 v[1:2], v[1:2], v[38:39]
	v_add_f64 v[3:4], v[3:4], v[34:35]
	s_andn2_b32 exec_lo, exec_lo, s4
	s_cbranch_execnz .LBB76_48
; %bb.49:
	s_or_b32 exec_lo, exec_lo, s4
.LBB76_50:
	s_or_b32 exec_lo, exec_lo, s20
	v_mov_b32_e32 v33, 0
	ds_read_b128 v[33:36], v33 offset:96
	s_waitcnt lgkmcnt(0)
	v_mul_f64 v[38:39], v[3:4], v[35:36]
	v_mul_f64 v[35:36], v[1:2], v[35:36]
	v_fma_f64 v[1:2], v[1:2], v[33:34], -v[38:39]
	v_fma_f64 v[3:4], v[3:4], v[33:34], v[35:36]
	buffer_store_dword v2, off, s[0:3], 0 offset:100
	buffer_store_dword v1, off, s[0:3], 0 offset:96
	buffer_store_dword v4, off, s[0:3], 0 offset:108
	buffer_store_dword v3, off, s[0:3], 0 offset:104
.LBB76_51:
	s_or_b32 exec_lo, exec_lo, s8
	v_mov_b32_e32 v4, s14
	v_cmp_lt_u32_e64 s4, 5, v0
	s_clause 0x3
	buffer_load_dword v1, v4, s[0:3], 0 offen
	buffer_load_dword v2, v4, s[0:3], 0 offen offset:4
	buffer_load_dword v3, v4, s[0:3], 0 offen offset:8
	;; [unrolled: 1-line block ×3, first 2 shown]
	s_waitcnt vmcnt(0)
	ds_write_b128 v32, v[1:4]
	s_waitcnt lgkmcnt(0)
	s_waitcnt_vscnt null, 0x0
	s_barrier
	buffer_gl0_inv
	s_and_saveexec_b32 s8, s4
	s_cbranch_execz .LBB76_59
; %bb.52:
	ds_read_b128 v[1:4], v32
	s_andn2_b32 vcc_lo, exec_lo, s19
	s_cbranch_vccnz .LBB76_54
; %bb.53:
	s_clause 0x3
	buffer_load_dword v33, v31, s[0:3], 0 offen offset:8
	buffer_load_dword v34, v31, s[0:3], 0 offen offset:12
	buffer_load_dword v35, v31, s[0:3], 0 offen
	buffer_load_dword v36, v31, s[0:3], 0 offen offset:4
	s_waitcnt vmcnt(2) lgkmcnt(0)
	v_mul_f64 v[38:39], v[3:4], v[33:34]
	v_mul_f64 v[33:34], v[1:2], v[33:34]
	s_waitcnt vmcnt(0)
	v_fma_f64 v[1:2], v[1:2], v[35:36], -v[38:39]
	v_fma_f64 v[3:4], v[3:4], v[35:36], v[33:34]
.LBB76_54:
	s_and_saveexec_b32 s20, s5
	s_cbranch_execz .LBB76_58
; %bb.55:
	v_add_nc_u32_e32 v33, -6, v0
	s_movk_i32 s21, 0x130
	s_mov_b32 s5, 0
	s_mov_b32 s22, s13
	.p2align	6
.LBB76_56:                              ; =>This Inner Loop Header: Depth=1
	v_mov_b32_e32 v36, s22
	v_add_nc_u32_e32 v33, -1, v33
	s_add_i32 s22, s22, 16
	s_clause 0x3
	buffer_load_dword v34, v36, s[0:3], 0 offen offset:8
	buffer_load_dword v35, v36, s[0:3], 0 offen offset:12
	buffer_load_dword v42, v36, s[0:3], 0 offen
	buffer_load_dword v43, v36, s[0:3], 0 offen offset:4
	v_mov_b32_e32 v36, s21
	v_cmp_eq_u32_e32 vcc_lo, 0, v33
	s_add_i32 s21, s21, 16
	ds_read_b128 v[38:41], v36
	s_or_b32 s5, vcc_lo, s5
	s_waitcnt vmcnt(2) lgkmcnt(0)
	v_mul_f64 v[44:45], v[40:41], v[34:35]
	v_mul_f64 v[34:35], v[38:39], v[34:35]
	s_waitcnt vmcnt(0)
	v_fma_f64 v[38:39], v[38:39], v[42:43], -v[44:45]
	v_fma_f64 v[34:35], v[40:41], v[42:43], v[34:35]
	v_add_f64 v[1:2], v[1:2], v[38:39]
	v_add_f64 v[3:4], v[3:4], v[34:35]
	s_andn2_b32 exec_lo, exec_lo, s5
	s_cbranch_execnz .LBB76_56
; %bb.57:
	s_or_b32 exec_lo, exec_lo, s5
.LBB76_58:
	s_or_b32 exec_lo, exec_lo, s20
	v_mov_b32_e32 v33, 0
	ds_read_b128 v[33:36], v33 offset:80
	s_waitcnt lgkmcnt(0)
	v_mul_f64 v[38:39], v[3:4], v[35:36]
	v_mul_f64 v[35:36], v[1:2], v[35:36]
	v_fma_f64 v[1:2], v[1:2], v[33:34], -v[38:39]
	v_fma_f64 v[3:4], v[3:4], v[33:34], v[35:36]
	buffer_store_dword v2, off, s[0:3], 0 offset:84
	buffer_store_dword v1, off, s[0:3], 0 offset:80
	;; [unrolled: 1-line block ×4, first 2 shown]
.LBB76_59:
	s_or_b32 exec_lo, exec_lo, s8
	v_mov_b32_e32 v4, s15
	v_cmp_lt_u32_e64 s5, 4, v0
	s_clause 0x3
	buffer_load_dword v1, v4, s[0:3], 0 offen
	buffer_load_dword v2, v4, s[0:3], 0 offen offset:4
	buffer_load_dword v3, v4, s[0:3], 0 offen offset:8
	;; [unrolled: 1-line block ×3, first 2 shown]
	s_waitcnt vmcnt(0)
	ds_write_b128 v32, v[1:4]
	s_waitcnt lgkmcnt(0)
	s_waitcnt_vscnt null, 0x0
	s_barrier
	buffer_gl0_inv
	s_and_saveexec_b32 s8, s5
	s_cbranch_execz .LBB76_67
; %bb.60:
	ds_read_b128 v[1:4], v32
	s_andn2_b32 vcc_lo, exec_lo, s19
	s_cbranch_vccnz .LBB76_62
; %bb.61:
	s_clause 0x3
	buffer_load_dword v33, v31, s[0:3], 0 offen offset:8
	buffer_load_dword v34, v31, s[0:3], 0 offen offset:12
	buffer_load_dword v35, v31, s[0:3], 0 offen
	buffer_load_dword v36, v31, s[0:3], 0 offen offset:4
	s_waitcnt vmcnt(2) lgkmcnt(0)
	v_mul_f64 v[38:39], v[3:4], v[33:34]
	v_mul_f64 v[33:34], v[1:2], v[33:34]
	s_waitcnt vmcnt(0)
	v_fma_f64 v[1:2], v[1:2], v[35:36], -v[38:39]
	v_fma_f64 v[3:4], v[3:4], v[35:36], v[33:34]
.LBB76_62:
	s_and_saveexec_b32 s20, s4
	s_cbranch_execz .LBB76_66
; %bb.63:
	v_add_nc_u32_e32 v33, -5, v0
	s_movk_i32 s21, 0x120
	s_mov_b32 s4, 0
	s_mov_b32 s22, s14
	.p2align	6
.LBB76_64:                              ; =>This Inner Loop Header: Depth=1
	v_mov_b32_e32 v36, s22
	v_add_nc_u32_e32 v33, -1, v33
	s_add_i32 s22, s22, 16
	s_clause 0x3
	buffer_load_dword v34, v36, s[0:3], 0 offen offset:8
	buffer_load_dword v35, v36, s[0:3], 0 offen offset:12
	buffer_load_dword v42, v36, s[0:3], 0 offen
	buffer_load_dword v43, v36, s[0:3], 0 offen offset:4
	v_mov_b32_e32 v36, s21
	v_cmp_eq_u32_e32 vcc_lo, 0, v33
	s_add_i32 s21, s21, 16
	ds_read_b128 v[38:41], v36
	s_or_b32 s4, vcc_lo, s4
	s_waitcnt vmcnt(2) lgkmcnt(0)
	v_mul_f64 v[44:45], v[40:41], v[34:35]
	v_mul_f64 v[34:35], v[38:39], v[34:35]
	s_waitcnt vmcnt(0)
	v_fma_f64 v[38:39], v[38:39], v[42:43], -v[44:45]
	v_fma_f64 v[34:35], v[40:41], v[42:43], v[34:35]
	v_add_f64 v[1:2], v[1:2], v[38:39]
	v_add_f64 v[3:4], v[3:4], v[34:35]
	s_andn2_b32 exec_lo, exec_lo, s4
	s_cbranch_execnz .LBB76_64
; %bb.65:
	s_or_b32 exec_lo, exec_lo, s4
.LBB76_66:
	s_or_b32 exec_lo, exec_lo, s20
	v_mov_b32_e32 v33, 0
	ds_read_b128 v[33:36], v33 offset:64
	s_waitcnt lgkmcnt(0)
	v_mul_f64 v[38:39], v[3:4], v[35:36]
	v_mul_f64 v[35:36], v[1:2], v[35:36]
	v_fma_f64 v[1:2], v[1:2], v[33:34], -v[38:39]
	v_fma_f64 v[3:4], v[3:4], v[33:34], v[35:36]
	buffer_store_dword v2, off, s[0:3], 0 offset:68
	buffer_store_dword v1, off, s[0:3], 0 offset:64
	;; [unrolled: 1-line block ×4, first 2 shown]
.LBB76_67:
	s_or_b32 exec_lo, exec_lo, s8
	v_mov_b32_e32 v4, s16
	v_cmp_lt_u32_e64 s4, 3, v0
	s_clause 0x3
	buffer_load_dword v1, v4, s[0:3], 0 offen
	buffer_load_dword v2, v4, s[0:3], 0 offen offset:4
	buffer_load_dword v3, v4, s[0:3], 0 offen offset:8
	;; [unrolled: 1-line block ×3, first 2 shown]
	s_waitcnt vmcnt(0)
	ds_write_b128 v32, v[1:4]
	s_waitcnt lgkmcnt(0)
	s_waitcnt_vscnt null, 0x0
	s_barrier
	buffer_gl0_inv
	s_and_saveexec_b32 s8, s4
	s_cbranch_execz .LBB76_75
; %bb.68:
	ds_read_b128 v[1:4], v32
	s_andn2_b32 vcc_lo, exec_lo, s19
	s_cbranch_vccnz .LBB76_70
; %bb.69:
	s_clause 0x3
	buffer_load_dword v33, v31, s[0:3], 0 offen offset:8
	buffer_load_dword v34, v31, s[0:3], 0 offen offset:12
	buffer_load_dword v35, v31, s[0:3], 0 offen
	buffer_load_dword v36, v31, s[0:3], 0 offen offset:4
	s_waitcnt vmcnt(2) lgkmcnt(0)
	v_mul_f64 v[38:39], v[3:4], v[33:34]
	v_mul_f64 v[33:34], v[1:2], v[33:34]
	s_waitcnt vmcnt(0)
	v_fma_f64 v[1:2], v[1:2], v[35:36], -v[38:39]
	v_fma_f64 v[3:4], v[3:4], v[35:36], v[33:34]
.LBB76_70:
	s_and_saveexec_b32 s20, s5
	s_cbranch_execz .LBB76_74
; %bb.71:
	v_add_nc_u32_e32 v33, -4, v0
	s_movk_i32 s21, 0x110
	s_mov_b32 s5, 0
	s_mov_b32 s22, s15
	.p2align	6
.LBB76_72:                              ; =>This Inner Loop Header: Depth=1
	v_mov_b32_e32 v36, s22
	v_add_nc_u32_e32 v33, -1, v33
	s_add_i32 s22, s22, 16
	s_clause 0x3
	buffer_load_dword v34, v36, s[0:3], 0 offen offset:8
	buffer_load_dword v35, v36, s[0:3], 0 offen offset:12
	buffer_load_dword v42, v36, s[0:3], 0 offen
	buffer_load_dword v43, v36, s[0:3], 0 offen offset:4
	v_mov_b32_e32 v36, s21
	v_cmp_eq_u32_e32 vcc_lo, 0, v33
	s_add_i32 s21, s21, 16
	ds_read_b128 v[38:41], v36
	s_or_b32 s5, vcc_lo, s5
	s_waitcnt vmcnt(2) lgkmcnt(0)
	v_mul_f64 v[44:45], v[40:41], v[34:35]
	v_mul_f64 v[34:35], v[38:39], v[34:35]
	s_waitcnt vmcnt(0)
	v_fma_f64 v[38:39], v[38:39], v[42:43], -v[44:45]
	v_fma_f64 v[34:35], v[40:41], v[42:43], v[34:35]
	v_add_f64 v[1:2], v[1:2], v[38:39]
	v_add_f64 v[3:4], v[3:4], v[34:35]
	s_andn2_b32 exec_lo, exec_lo, s5
	s_cbranch_execnz .LBB76_72
; %bb.73:
	s_or_b32 exec_lo, exec_lo, s5
.LBB76_74:
	s_or_b32 exec_lo, exec_lo, s20
	v_mov_b32_e32 v33, 0
	ds_read_b128 v[33:36], v33 offset:48
	s_waitcnt lgkmcnt(0)
	v_mul_f64 v[38:39], v[3:4], v[35:36]
	v_mul_f64 v[35:36], v[1:2], v[35:36]
	v_fma_f64 v[1:2], v[1:2], v[33:34], -v[38:39]
	v_fma_f64 v[3:4], v[3:4], v[33:34], v[35:36]
	buffer_store_dword v2, off, s[0:3], 0 offset:52
	buffer_store_dword v1, off, s[0:3], 0 offset:48
	;; [unrolled: 1-line block ×4, first 2 shown]
.LBB76_75:
	s_or_b32 exec_lo, exec_lo, s8
	v_mov_b32_e32 v4, s17
	v_cmp_lt_u32_e64 s5, 2, v0
	s_clause 0x3
	buffer_load_dword v1, v4, s[0:3], 0 offen
	buffer_load_dword v2, v4, s[0:3], 0 offen offset:4
	buffer_load_dword v3, v4, s[0:3], 0 offen offset:8
	;; [unrolled: 1-line block ×3, first 2 shown]
	s_waitcnt vmcnt(0)
	ds_write_b128 v32, v[1:4]
	s_waitcnt lgkmcnt(0)
	s_waitcnt_vscnt null, 0x0
	s_barrier
	buffer_gl0_inv
	s_and_saveexec_b32 s8, s5
	s_cbranch_execz .LBB76_83
; %bb.76:
	ds_read_b128 v[1:4], v32
	s_andn2_b32 vcc_lo, exec_lo, s19
	s_cbranch_vccnz .LBB76_78
; %bb.77:
	s_clause 0x3
	buffer_load_dword v33, v31, s[0:3], 0 offen offset:8
	buffer_load_dword v34, v31, s[0:3], 0 offen offset:12
	buffer_load_dword v35, v31, s[0:3], 0 offen
	buffer_load_dword v36, v31, s[0:3], 0 offen offset:4
	s_waitcnt vmcnt(2) lgkmcnt(0)
	v_mul_f64 v[38:39], v[3:4], v[33:34]
	v_mul_f64 v[33:34], v[1:2], v[33:34]
	s_waitcnt vmcnt(0)
	v_fma_f64 v[1:2], v[1:2], v[35:36], -v[38:39]
	v_fma_f64 v[3:4], v[3:4], v[35:36], v[33:34]
.LBB76_78:
	s_and_saveexec_b32 s20, s4
	s_cbranch_execz .LBB76_82
; %bb.79:
	v_add_nc_u32_e32 v33, -3, v0
	s_movk_i32 s21, 0x100
	s_mov_b32 s4, 0
	s_mov_b32 s22, s16
	.p2align	6
.LBB76_80:                              ; =>This Inner Loop Header: Depth=1
	v_mov_b32_e32 v36, s22
	v_add_nc_u32_e32 v33, -1, v33
	s_add_i32 s22, s22, 16
	s_clause 0x3
	buffer_load_dword v34, v36, s[0:3], 0 offen offset:8
	buffer_load_dword v35, v36, s[0:3], 0 offen offset:12
	buffer_load_dword v42, v36, s[0:3], 0 offen
	buffer_load_dword v43, v36, s[0:3], 0 offen offset:4
	v_mov_b32_e32 v36, s21
	v_cmp_eq_u32_e32 vcc_lo, 0, v33
	s_add_i32 s21, s21, 16
	ds_read_b128 v[38:41], v36
	s_or_b32 s4, vcc_lo, s4
	s_waitcnt vmcnt(2) lgkmcnt(0)
	v_mul_f64 v[44:45], v[40:41], v[34:35]
	v_mul_f64 v[34:35], v[38:39], v[34:35]
	s_waitcnt vmcnt(0)
	v_fma_f64 v[38:39], v[38:39], v[42:43], -v[44:45]
	v_fma_f64 v[34:35], v[40:41], v[42:43], v[34:35]
	v_add_f64 v[1:2], v[1:2], v[38:39]
	v_add_f64 v[3:4], v[3:4], v[34:35]
	s_andn2_b32 exec_lo, exec_lo, s4
	s_cbranch_execnz .LBB76_80
; %bb.81:
	s_or_b32 exec_lo, exec_lo, s4
.LBB76_82:
	s_or_b32 exec_lo, exec_lo, s20
	v_mov_b32_e32 v33, 0
	ds_read_b128 v[33:36], v33 offset:32
	s_waitcnt lgkmcnt(0)
	v_mul_f64 v[38:39], v[3:4], v[35:36]
	v_mul_f64 v[35:36], v[1:2], v[35:36]
	v_fma_f64 v[1:2], v[1:2], v[33:34], -v[38:39]
	v_fma_f64 v[3:4], v[3:4], v[33:34], v[35:36]
	buffer_store_dword v2, off, s[0:3], 0 offset:36
	buffer_store_dword v1, off, s[0:3], 0 offset:32
	;; [unrolled: 1-line block ×4, first 2 shown]
.LBB76_83:
	s_or_b32 exec_lo, exec_lo, s8
	v_mov_b32_e32 v4, s18
	v_cmp_lt_u32_e64 s4, 1, v0
	s_clause 0x3
	buffer_load_dword v1, v4, s[0:3], 0 offen
	buffer_load_dword v2, v4, s[0:3], 0 offen offset:4
	buffer_load_dword v3, v4, s[0:3], 0 offen offset:8
	;; [unrolled: 1-line block ×3, first 2 shown]
	s_waitcnt vmcnt(0)
	ds_write_b128 v32, v[1:4]
	s_waitcnt lgkmcnt(0)
	s_waitcnt_vscnt null, 0x0
	s_barrier
	buffer_gl0_inv
	s_and_saveexec_b32 s8, s4
	s_cbranch_execz .LBB76_91
; %bb.84:
	ds_read_b128 v[1:4], v32
	s_andn2_b32 vcc_lo, exec_lo, s19
	s_cbranch_vccnz .LBB76_86
; %bb.85:
	s_clause 0x3
	buffer_load_dword v33, v31, s[0:3], 0 offen offset:8
	buffer_load_dword v34, v31, s[0:3], 0 offen offset:12
	buffer_load_dword v35, v31, s[0:3], 0 offen
	buffer_load_dword v36, v31, s[0:3], 0 offen offset:4
	s_waitcnt vmcnt(2) lgkmcnt(0)
	v_mul_f64 v[38:39], v[3:4], v[33:34]
	v_mul_f64 v[33:34], v[1:2], v[33:34]
	s_waitcnt vmcnt(0)
	v_fma_f64 v[1:2], v[1:2], v[35:36], -v[38:39]
	v_fma_f64 v[3:4], v[3:4], v[35:36], v[33:34]
.LBB76_86:
	s_and_saveexec_b32 s20, s5
	s_cbranch_execz .LBB76_90
; %bb.87:
	v_add_nc_u32_e32 v33, -2, v0
	s_movk_i32 s21, 0xf0
	s_mov_b32 s5, 0
	s_mov_b32 s22, s17
	.p2align	6
.LBB76_88:                              ; =>This Inner Loop Header: Depth=1
	v_mov_b32_e32 v36, s22
	v_add_nc_u32_e32 v33, -1, v33
	s_add_i32 s22, s22, 16
	s_clause 0x3
	buffer_load_dword v34, v36, s[0:3], 0 offen offset:8
	buffer_load_dword v35, v36, s[0:3], 0 offen offset:12
	buffer_load_dword v42, v36, s[0:3], 0 offen
	buffer_load_dword v43, v36, s[0:3], 0 offen offset:4
	v_mov_b32_e32 v36, s21
	v_cmp_eq_u32_e32 vcc_lo, 0, v33
	s_add_i32 s21, s21, 16
	ds_read_b128 v[38:41], v36
	s_or_b32 s5, vcc_lo, s5
	s_waitcnt vmcnt(2) lgkmcnt(0)
	v_mul_f64 v[44:45], v[40:41], v[34:35]
	v_mul_f64 v[34:35], v[38:39], v[34:35]
	s_waitcnt vmcnt(0)
	v_fma_f64 v[38:39], v[38:39], v[42:43], -v[44:45]
	v_fma_f64 v[34:35], v[40:41], v[42:43], v[34:35]
	v_add_f64 v[1:2], v[1:2], v[38:39]
	v_add_f64 v[3:4], v[3:4], v[34:35]
	s_andn2_b32 exec_lo, exec_lo, s5
	s_cbranch_execnz .LBB76_88
; %bb.89:
	s_or_b32 exec_lo, exec_lo, s5
.LBB76_90:
	s_or_b32 exec_lo, exec_lo, s20
	v_mov_b32_e32 v33, 0
	ds_read_b128 v[33:36], v33 offset:16
	s_waitcnt lgkmcnt(0)
	v_mul_f64 v[38:39], v[3:4], v[35:36]
	v_mul_f64 v[35:36], v[1:2], v[35:36]
	v_fma_f64 v[1:2], v[1:2], v[33:34], -v[38:39]
	v_fma_f64 v[3:4], v[3:4], v[33:34], v[35:36]
	buffer_store_dword v2, off, s[0:3], 0 offset:20
	buffer_store_dword v1, off, s[0:3], 0 offset:16
	;; [unrolled: 1-line block ×4, first 2 shown]
.LBB76_91:
	s_or_b32 exec_lo, exec_lo, s8
	s_clause 0x3
	buffer_load_dword v1, off, s[0:3], 0
	buffer_load_dword v2, off, s[0:3], 0 offset:4
	buffer_load_dword v3, off, s[0:3], 0 offset:8
	;; [unrolled: 1-line block ×3, first 2 shown]
	s_mov_b32 s8, 0
	s_mov_b32 s5, 0
	s_mov_b32 s20, exec_lo
                                        ; implicit-def: $sgpr21
	s_waitcnt vmcnt(0)
	ds_write_b128 v32, v[1:4]
	s_waitcnt lgkmcnt(0)
	s_waitcnt_vscnt null, 0x0
	s_barrier
	buffer_gl0_inv
                                        ; implicit-def: $vgpr1_vgpr2
	v_cmpx_ne_u32_e32 0, v0
	s_cbranch_execz .LBB76_99
; %bb.92:
	ds_read_b128 v[1:4], v32
	s_andn2_b32 vcc_lo, exec_lo, s19
	s_cbranch_vccnz .LBB76_94
; %bb.93:
	s_clause 0x3
	buffer_load_dword v33, v31, s[0:3], 0 offen offset:8
	buffer_load_dword v34, v31, s[0:3], 0 offen offset:12
	buffer_load_dword v35, v31, s[0:3], 0 offen
	buffer_load_dword v36, v31, s[0:3], 0 offen offset:4
	s_waitcnt vmcnt(2) lgkmcnt(0)
	v_mul_f64 v[38:39], v[3:4], v[33:34]
	v_mul_f64 v[33:34], v[1:2], v[33:34]
	s_waitcnt vmcnt(0)
	v_fma_f64 v[1:2], v[1:2], v[35:36], -v[38:39]
	v_fma_f64 v[3:4], v[3:4], v[35:36], v[33:34]
.LBB76_94:
	s_and_saveexec_b32 s5, s4
	s_cbranch_execz .LBB76_98
; %bb.95:
	v_add_nc_u32_e32 v33, -1, v0
	s_movk_i32 s21, 0xe0
	s_mov_b32 s4, 0
	s_mov_b32 s22, s18
	.p2align	6
.LBB76_96:                              ; =>This Inner Loop Header: Depth=1
	v_mov_b32_e32 v36, s22
	v_add_nc_u32_e32 v33, -1, v33
	s_add_i32 s22, s22, 16
	s_clause 0x3
	buffer_load_dword v34, v36, s[0:3], 0 offen offset:8
	buffer_load_dword v35, v36, s[0:3], 0 offen offset:12
	buffer_load_dword v42, v36, s[0:3], 0 offen
	buffer_load_dword v43, v36, s[0:3], 0 offen offset:4
	v_mov_b32_e32 v36, s21
	v_cmp_eq_u32_e32 vcc_lo, 0, v33
	s_add_i32 s21, s21, 16
	ds_read_b128 v[38:41], v36
	s_or_b32 s4, vcc_lo, s4
	s_waitcnt vmcnt(2) lgkmcnt(0)
	v_mul_f64 v[44:45], v[40:41], v[34:35]
	v_mul_f64 v[34:35], v[38:39], v[34:35]
	s_waitcnt vmcnt(0)
	v_fma_f64 v[38:39], v[38:39], v[42:43], -v[44:45]
	v_fma_f64 v[34:35], v[40:41], v[42:43], v[34:35]
	v_add_f64 v[1:2], v[1:2], v[38:39]
	v_add_f64 v[3:4], v[3:4], v[34:35]
	s_andn2_b32 exec_lo, exec_lo, s4
	s_cbranch_execnz .LBB76_96
; %bb.97:
	s_or_b32 exec_lo, exec_lo, s4
.LBB76_98:
	s_or_b32 exec_lo, exec_lo, s5
	v_mov_b32_e32 v33, 0
	s_mov_b32 s5, exec_lo
	s_or_b32 s21, 0, 8
	ds_read_b128 v[33:36], v33
	s_waitcnt lgkmcnt(0)
	v_mul_f64 v[38:39], v[3:4], v[35:36]
	v_mul_f64 v[35:36], v[1:2], v[35:36]
	v_fma_f64 v[38:39], v[1:2], v[33:34], -v[38:39]
	v_fma_f64 v[1:2], v[3:4], v[33:34], v[35:36]
	buffer_store_dword v39, off, s[0:3], 0 offset:4
	buffer_store_dword v38, off, s[0:3], 0
.LBB76_99:
	s_or_b32 exec_lo, exec_lo, s20
	s_and_b32 vcc_lo, exec_lo, s8
	s_cbranch_vccnz .LBB76_101
	s_branch .LBB76_192
.LBB76_100:
	s_mov_b32 s5, 0
                                        ; implicit-def: $vgpr1_vgpr2
                                        ; implicit-def: $sgpr21
	s_cbranch_execz .LBB76_192
.LBB76_101:
	v_mov_b32_e32 v4, s18
	v_cmp_eq_u32_e64 s4, 0, v0
	v_cndmask_b32_e64 v33, 0, 1, s19
	s_clause 0x3
	buffer_load_dword v1, v4, s[0:3], 0 offen
	buffer_load_dword v2, v4, s[0:3], 0 offen offset:4
	buffer_load_dword v3, v4, s[0:3], 0 offen offset:8
	;; [unrolled: 1-line block ×3, first 2 shown]
	s_waitcnt vmcnt(0)
	ds_write_b128 v32, v[1:4]
	s_waitcnt lgkmcnt(0)
	s_waitcnt_vscnt null, 0x0
	s_barrier
	buffer_gl0_inv
	s_and_saveexec_b32 s8, s4
	s_cbranch_execz .LBB76_105
; %bb.102:
	ds_read_b128 v[1:4], v32
	s_andn2_b32 vcc_lo, exec_lo, s19
	s_cbranch_vccnz .LBB76_104
; %bb.103:
	s_clause 0x3
	buffer_load_dword v34, v31, s[0:3], 0 offen offset:8
	buffer_load_dword v35, v31, s[0:3], 0 offen offset:12
	buffer_load_dword v38, v31, s[0:3], 0 offen
	buffer_load_dword v39, v31, s[0:3], 0 offen offset:4
	s_waitcnt vmcnt(2) lgkmcnt(0)
	v_mul_f64 v[40:41], v[3:4], v[34:35]
	v_mul_f64 v[34:35], v[1:2], v[34:35]
	s_waitcnt vmcnt(0)
	v_fma_f64 v[1:2], v[1:2], v[38:39], -v[40:41]
	v_fma_f64 v[3:4], v[3:4], v[38:39], v[34:35]
.LBB76_104:
	v_mov_b32_e32 v34, 0
	ds_read_b128 v[38:41], v34 offset:16
	s_waitcnt lgkmcnt(0)
	v_mul_f64 v[34:35], v[3:4], v[40:41]
	v_mul_f64 v[40:41], v[1:2], v[40:41]
	v_fma_f64 v[1:2], v[1:2], v[38:39], -v[34:35]
	v_fma_f64 v[3:4], v[3:4], v[38:39], v[40:41]
	buffer_store_dword v2, off, s[0:3], 0 offset:20
	buffer_store_dword v1, off, s[0:3], 0 offset:16
	;; [unrolled: 1-line block ×4, first 2 shown]
.LBB76_105:
	s_or_b32 exec_lo, exec_lo, s8
	v_mov_b32_e32 v4, s17
	s_mov_b32 s8, exec_lo
	s_clause 0x3
	buffer_load_dword v1, v4, s[0:3], 0 offen
	buffer_load_dword v2, v4, s[0:3], 0 offen offset:4
	buffer_load_dword v3, v4, s[0:3], 0 offen offset:8
	buffer_load_dword v4, v4, s[0:3], 0 offen offset:12
	s_waitcnt vmcnt(0)
	ds_write_b128 v32, v[1:4]
	s_waitcnt lgkmcnt(0)
	s_waitcnt_vscnt null, 0x0
	s_barrier
	buffer_gl0_inv
	v_cmpx_gt_u32_e32 2, v0
	s_cbranch_execz .LBB76_111
; %bb.106:
	ds_read_b128 v[1:4], v32
	v_cmp_ne_u32_e32 vcc_lo, 1, v33
	s_cbranch_vccnz .LBB76_108
; %bb.107:
	s_clause 0x3
	buffer_load_dword v34, v31, s[0:3], 0 offen offset:8
	buffer_load_dword v35, v31, s[0:3], 0 offen offset:12
	buffer_load_dword v38, v31, s[0:3], 0 offen
	buffer_load_dword v39, v31, s[0:3], 0 offen offset:4
	s_waitcnt vmcnt(2) lgkmcnt(0)
	v_mul_f64 v[40:41], v[3:4], v[34:35]
	v_mul_f64 v[34:35], v[1:2], v[34:35]
	s_waitcnt vmcnt(0)
	v_fma_f64 v[1:2], v[1:2], v[38:39], -v[40:41]
	v_fma_f64 v[3:4], v[3:4], v[38:39], v[34:35]
.LBB76_108:
	s_and_saveexec_b32 s19, s4
	s_cbranch_execz .LBB76_110
; %bb.109:
	s_clause 0x3
	buffer_load_dword v34, off, s[0:3], 0 offset:24
	buffer_load_dword v35, off, s[0:3], 0 offset:28
	;; [unrolled: 1-line block ×4, first 2 shown]
	v_mov_b32_e32 v36, 0
	ds_read_b128 v[38:41], v36 offset:224
	s_waitcnt vmcnt(2) lgkmcnt(0)
	v_mul_f64 v[44:45], v[40:41], v[34:35]
	v_mul_f64 v[34:35], v[38:39], v[34:35]
	s_waitcnt vmcnt(0)
	v_fma_f64 v[38:39], v[38:39], v[42:43], -v[44:45]
	v_fma_f64 v[34:35], v[40:41], v[42:43], v[34:35]
	v_add_f64 v[1:2], v[1:2], v[38:39]
	v_add_f64 v[3:4], v[3:4], v[34:35]
.LBB76_110:
	s_or_b32 exec_lo, exec_lo, s19
	v_mov_b32_e32 v34, 0
	ds_read_b128 v[38:41], v34 offset:32
	s_waitcnt lgkmcnt(0)
	v_mul_f64 v[34:35], v[3:4], v[40:41]
	v_mul_f64 v[40:41], v[1:2], v[40:41]
	v_fma_f64 v[1:2], v[1:2], v[38:39], -v[34:35]
	v_fma_f64 v[3:4], v[3:4], v[38:39], v[40:41]
	buffer_store_dword v2, off, s[0:3], 0 offset:36
	buffer_store_dword v1, off, s[0:3], 0 offset:32
	;; [unrolled: 1-line block ×4, first 2 shown]
.LBB76_111:
	s_or_b32 exec_lo, exec_lo, s8
	v_mov_b32_e32 v4, s16
	s_mov_b32 s8, exec_lo
	s_clause 0x3
	buffer_load_dword v1, v4, s[0:3], 0 offen
	buffer_load_dword v2, v4, s[0:3], 0 offen offset:4
	buffer_load_dword v3, v4, s[0:3], 0 offen offset:8
	;; [unrolled: 1-line block ×3, first 2 shown]
	s_waitcnt vmcnt(0)
	ds_write_b128 v32, v[1:4]
	s_waitcnt lgkmcnt(0)
	s_waitcnt_vscnt null, 0x0
	s_barrier
	buffer_gl0_inv
	v_cmpx_gt_u32_e32 3, v0
	s_cbranch_execz .LBB76_119
; %bb.112:
	ds_read_b128 v[1:4], v32
	v_cmp_ne_u32_e32 vcc_lo, 1, v33
	s_cbranch_vccnz .LBB76_114
; %bb.113:
	s_clause 0x3
	buffer_load_dword v34, v31, s[0:3], 0 offen offset:8
	buffer_load_dword v35, v31, s[0:3], 0 offen offset:12
	buffer_load_dword v38, v31, s[0:3], 0 offen
	buffer_load_dword v39, v31, s[0:3], 0 offen offset:4
	s_waitcnt vmcnt(2) lgkmcnt(0)
	v_mul_f64 v[40:41], v[3:4], v[34:35]
	v_mul_f64 v[34:35], v[1:2], v[34:35]
	s_waitcnt vmcnt(0)
	v_fma_f64 v[1:2], v[1:2], v[38:39], -v[40:41]
	v_fma_f64 v[3:4], v[3:4], v[38:39], v[34:35]
.LBB76_114:
	s_mov_b32 s19, exec_lo
	v_cmpx_ne_u32_e32 2, v0
	s_cbranch_execz .LBB76_118
; %bb.115:
	s_clause 0x3
	buffer_load_dword v34, v31, s[0:3], 0 offen offset:24
	buffer_load_dword v35, v31, s[0:3], 0 offen offset:28
	;; [unrolled: 1-line block ×4, first 2 shown]
	ds_read_b128 v[38:41], v32 offset:16
	s_waitcnt vmcnt(2) lgkmcnt(0)
	v_mul_f64 v[44:45], v[40:41], v[34:35]
	v_mul_f64 v[34:35], v[38:39], v[34:35]
	s_waitcnt vmcnt(0)
	v_fma_f64 v[38:39], v[38:39], v[42:43], -v[44:45]
	v_fma_f64 v[34:35], v[40:41], v[42:43], v[34:35]
	v_add_f64 v[1:2], v[1:2], v[38:39]
	v_add_f64 v[3:4], v[3:4], v[34:35]
	s_and_saveexec_b32 s20, s4
	s_cbranch_execz .LBB76_117
; %bb.116:
	s_clause 0x3
	buffer_load_dword v34, off, s[0:3], 0 offset:40
	buffer_load_dword v35, off, s[0:3], 0 offset:44
	;; [unrolled: 1-line block ×4, first 2 shown]
	v_mov_b32_e32 v36, 0
	ds_read_b128 v[38:41], v36 offset:240
	s_waitcnt vmcnt(2) lgkmcnt(0)
	v_mul_f64 v[44:45], v[38:39], v[34:35]
	v_mul_f64 v[34:35], v[40:41], v[34:35]
	s_waitcnt vmcnt(0)
	v_fma_f64 v[40:41], v[40:41], v[42:43], v[44:45]
	v_fma_f64 v[34:35], v[38:39], v[42:43], -v[34:35]
	v_add_f64 v[3:4], v[3:4], v[40:41]
	v_add_f64 v[1:2], v[1:2], v[34:35]
.LBB76_117:
	s_or_b32 exec_lo, exec_lo, s20
.LBB76_118:
	s_or_b32 exec_lo, exec_lo, s19
	v_mov_b32_e32 v34, 0
	ds_read_b128 v[38:41], v34 offset:48
	s_waitcnt lgkmcnt(0)
	v_mul_f64 v[34:35], v[3:4], v[40:41]
	v_mul_f64 v[40:41], v[1:2], v[40:41]
	v_fma_f64 v[1:2], v[1:2], v[38:39], -v[34:35]
	v_fma_f64 v[3:4], v[3:4], v[38:39], v[40:41]
	buffer_store_dword v2, off, s[0:3], 0 offset:52
	buffer_store_dword v1, off, s[0:3], 0 offset:48
	;; [unrolled: 1-line block ×4, first 2 shown]
.LBB76_119:
	s_or_b32 exec_lo, exec_lo, s8
	v_mov_b32_e32 v4, s15
	s_mov_b32 s4, exec_lo
	s_clause 0x3
	buffer_load_dword v1, v4, s[0:3], 0 offen
	buffer_load_dword v2, v4, s[0:3], 0 offen offset:4
	buffer_load_dword v3, v4, s[0:3], 0 offen offset:8
	;; [unrolled: 1-line block ×3, first 2 shown]
	s_waitcnt vmcnt(0)
	ds_write_b128 v32, v[1:4]
	s_waitcnt lgkmcnt(0)
	s_waitcnt_vscnt null, 0x0
	s_barrier
	buffer_gl0_inv
	v_cmpx_gt_u32_e32 4, v0
	s_cbranch_execz .LBB76_127
; %bb.120:
	ds_read_b128 v[1:4], v32
	v_cmp_ne_u32_e32 vcc_lo, 1, v33
	s_cbranch_vccnz .LBB76_122
; %bb.121:
	s_clause 0x3
	buffer_load_dword v34, v31, s[0:3], 0 offen offset:8
	buffer_load_dword v35, v31, s[0:3], 0 offen offset:12
	buffer_load_dword v38, v31, s[0:3], 0 offen
	buffer_load_dword v39, v31, s[0:3], 0 offen offset:4
	s_waitcnt vmcnt(2) lgkmcnt(0)
	v_mul_f64 v[40:41], v[3:4], v[34:35]
	v_mul_f64 v[34:35], v[1:2], v[34:35]
	s_waitcnt vmcnt(0)
	v_fma_f64 v[1:2], v[1:2], v[38:39], -v[40:41]
	v_fma_f64 v[3:4], v[3:4], v[38:39], v[34:35]
.LBB76_122:
	s_mov_b32 s8, exec_lo
	v_cmpx_ne_u32_e32 3, v0
	s_cbranch_execz .LBB76_126
; %bb.123:
	v_add_nc_u32_e32 v34, 0xe0, v37
	v_add3_u32 v35, 0, v37, 16
	v_mov_b32_e32 v36, v0
	s_mov_b32 s19, 0
	.p2align	6
.LBB76_124:                             ; =>This Inner Loop Header: Depth=1
	s_clause 0x3
	buffer_load_dword v42, v35, s[0:3], 0 offen offset:8
	buffer_load_dword v43, v35, s[0:3], 0 offen offset:12
	buffer_load_dword v44, v35, s[0:3], 0 offen
	buffer_load_dword v45, v35, s[0:3], 0 offen offset:4
	ds_read_b128 v[38:41], v34
	v_add_nc_u32_e32 v36, 1, v36
	v_add_nc_u32_e32 v34, 16, v34
	;; [unrolled: 1-line block ×3, first 2 shown]
	v_cmp_lt_u32_e32 vcc_lo, 2, v36
	s_or_b32 s19, vcc_lo, s19
	s_waitcnt vmcnt(2) lgkmcnt(0)
	v_mul_f64 v[46:47], v[40:41], v[42:43]
	v_mul_f64 v[42:43], v[38:39], v[42:43]
	s_waitcnt vmcnt(0)
	v_fma_f64 v[38:39], v[38:39], v[44:45], -v[46:47]
	v_fma_f64 v[40:41], v[40:41], v[44:45], v[42:43]
	v_add_f64 v[1:2], v[1:2], v[38:39]
	v_add_f64 v[3:4], v[3:4], v[40:41]
	s_andn2_b32 exec_lo, exec_lo, s19
	s_cbranch_execnz .LBB76_124
; %bb.125:
	s_or_b32 exec_lo, exec_lo, s19
.LBB76_126:
	s_or_b32 exec_lo, exec_lo, s8
	v_mov_b32_e32 v34, 0
	ds_read_b128 v[38:41], v34 offset:64
	s_waitcnt lgkmcnt(0)
	v_mul_f64 v[34:35], v[3:4], v[40:41]
	v_mul_f64 v[40:41], v[1:2], v[40:41]
	v_fma_f64 v[1:2], v[1:2], v[38:39], -v[34:35]
	v_fma_f64 v[3:4], v[3:4], v[38:39], v[40:41]
	buffer_store_dword v2, off, s[0:3], 0 offset:68
	buffer_store_dword v1, off, s[0:3], 0 offset:64
	;; [unrolled: 1-line block ×4, first 2 shown]
.LBB76_127:
	s_or_b32 exec_lo, exec_lo, s4
	v_mov_b32_e32 v4, s14
	s_mov_b32 s4, exec_lo
	s_clause 0x3
	buffer_load_dword v1, v4, s[0:3], 0 offen
	buffer_load_dword v2, v4, s[0:3], 0 offen offset:4
	buffer_load_dword v3, v4, s[0:3], 0 offen offset:8
	;; [unrolled: 1-line block ×3, first 2 shown]
	s_waitcnt vmcnt(0)
	ds_write_b128 v32, v[1:4]
	s_waitcnt lgkmcnt(0)
	s_waitcnt_vscnt null, 0x0
	s_barrier
	buffer_gl0_inv
	v_cmpx_gt_u32_e32 5, v0
	s_cbranch_execz .LBB76_135
; %bb.128:
	ds_read_b128 v[1:4], v32
	v_cmp_ne_u32_e32 vcc_lo, 1, v33
	s_cbranch_vccnz .LBB76_130
; %bb.129:
	s_clause 0x3
	buffer_load_dword v34, v31, s[0:3], 0 offen offset:8
	buffer_load_dword v35, v31, s[0:3], 0 offen offset:12
	buffer_load_dword v38, v31, s[0:3], 0 offen
	buffer_load_dword v39, v31, s[0:3], 0 offen offset:4
	s_waitcnt vmcnt(2) lgkmcnt(0)
	v_mul_f64 v[40:41], v[3:4], v[34:35]
	v_mul_f64 v[34:35], v[1:2], v[34:35]
	s_waitcnt vmcnt(0)
	v_fma_f64 v[1:2], v[1:2], v[38:39], -v[40:41]
	v_fma_f64 v[3:4], v[3:4], v[38:39], v[34:35]
.LBB76_130:
	s_mov_b32 s8, exec_lo
	v_cmpx_ne_u32_e32 4, v0
	s_cbranch_execz .LBB76_134
; %bb.131:
	v_add_nc_u32_e32 v34, 0xe0, v37
	v_add3_u32 v35, 0, v37, 16
	v_mov_b32_e32 v36, v0
	s_mov_b32 s19, 0
	.p2align	6
.LBB76_132:                             ; =>This Inner Loop Header: Depth=1
	s_clause 0x3
	buffer_load_dword v42, v35, s[0:3], 0 offen offset:8
	buffer_load_dword v43, v35, s[0:3], 0 offen offset:12
	buffer_load_dword v44, v35, s[0:3], 0 offen
	buffer_load_dword v45, v35, s[0:3], 0 offen offset:4
	ds_read_b128 v[38:41], v34
	v_add_nc_u32_e32 v36, 1, v36
	v_add_nc_u32_e32 v34, 16, v34
	;; [unrolled: 1-line block ×3, first 2 shown]
	v_cmp_lt_u32_e32 vcc_lo, 3, v36
	s_or_b32 s19, vcc_lo, s19
	s_waitcnt vmcnt(2) lgkmcnt(0)
	v_mul_f64 v[46:47], v[40:41], v[42:43]
	v_mul_f64 v[42:43], v[38:39], v[42:43]
	s_waitcnt vmcnt(0)
	v_fma_f64 v[38:39], v[38:39], v[44:45], -v[46:47]
	v_fma_f64 v[40:41], v[40:41], v[44:45], v[42:43]
	v_add_f64 v[1:2], v[1:2], v[38:39]
	v_add_f64 v[3:4], v[3:4], v[40:41]
	s_andn2_b32 exec_lo, exec_lo, s19
	s_cbranch_execnz .LBB76_132
; %bb.133:
	s_or_b32 exec_lo, exec_lo, s19
.LBB76_134:
	s_or_b32 exec_lo, exec_lo, s8
	v_mov_b32_e32 v34, 0
	ds_read_b128 v[38:41], v34 offset:80
	s_waitcnt lgkmcnt(0)
	v_mul_f64 v[34:35], v[3:4], v[40:41]
	v_mul_f64 v[40:41], v[1:2], v[40:41]
	v_fma_f64 v[1:2], v[1:2], v[38:39], -v[34:35]
	v_fma_f64 v[3:4], v[3:4], v[38:39], v[40:41]
	buffer_store_dword v2, off, s[0:3], 0 offset:84
	buffer_store_dword v1, off, s[0:3], 0 offset:80
	;; [unrolled: 1-line block ×4, first 2 shown]
.LBB76_135:
	s_or_b32 exec_lo, exec_lo, s4
	v_mov_b32_e32 v4, s13
	s_mov_b32 s4, exec_lo
	s_clause 0x3
	buffer_load_dword v1, v4, s[0:3], 0 offen
	buffer_load_dword v2, v4, s[0:3], 0 offen offset:4
	buffer_load_dword v3, v4, s[0:3], 0 offen offset:8
	;; [unrolled: 1-line block ×3, first 2 shown]
	s_waitcnt vmcnt(0)
	ds_write_b128 v32, v[1:4]
	s_waitcnt lgkmcnt(0)
	s_waitcnt_vscnt null, 0x0
	s_barrier
	buffer_gl0_inv
	v_cmpx_gt_u32_e32 6, v0
	s_cbranch_execz .LBB76_143
; %bb.136:
	ds_read_b128 v[1:4], v32
	v_cmp_ne_u32_e32 vcc_lo, 1, v33
	s_cbranch_vccnz .LBB76_138
; %bb.137:
	s_clause 0x3
	buffer_load_dword v34, v31, s[0:3], 0 offen offset:8
	buffer_load_dword v35, v31, s[0:3], 0 offen offset:12
	buffer_load_dword v38, v31, s[0:3], 0 offen
	buffer_load_dword v39, v31, s[0:3], 0 offen offset:4
	s_waitcnt vmcnt(2) lgkmcnt(0)
	v_mul_f64 v[40:41], v[3:4], v[34:35]
	v_mul_f64 v[34:35], v[1:2], v[34:35]
	s_waitcnt vmcnt(0)
	v_fma_f64 v[1:2], v[1:2], v[38:39], -v[40:41]
	v_fma_f64 v[3:4], v[3:4], v[38:39], v[34:35]
.LBB76_138:
	s_mov_b32 s8, exec_lo
	v_cmpx_ne_u32_e32 5, v0
	s_cbranch_execz .LBB76_142
; %bb.139:
	v_add_nc_u32_e32 v34, 0xe0, v37
	v_add3_u32 v35, 0, v37, 16
	v_mov_b32_e32 v36, v0
	s_mov_b32 s19, 0
	.p2align	6
.LBB76_140:                             ; =>This Inner Loop Header: Depth=1
	s_clause 0x3
	buffer_load_dword v42, v35, s[0:3], 0 offen offset:8
	buffer_load_dword v43, v35, s[0:3], 0 offen offset:12
	buffer_load_dword v44, v35, s[0:3], 0 offen
	buffer_load_dword v45, v35, s[0:3], 0 offen offset:4
	ds_read_b128 v[38:41], v34
	v_add_nc_u32_e32 v36, 1, v36
	v_add_nc_u32_e32 v34, 16, v34
	;; [unrolled: 1-line block ×3, first 2 shown]
	v_cmp_lt_u32_e32 vcc_lo, 4, v36
	s_or_b32 s19, vcc_lo, s19
	s_waitcnt vmcnt(2) lgkmcnt(0)
	v_mul_f64 v[46:47], v[40:41], v[42:43]
	v_mul_f64 v[42:43], v[38:39], v[42:43]
	s_waitcnt vmcnt(0)
	v_fma_f64 v[38:39], v[38:39], v[44:45], -v[46:47]
	v_fma_f64 v[40:41], v[40:41], v[44:45], v[42:43]
	v_add_f64 v[1:2], v[1:2], v[38:39]
	v_add_f64 v[3:4], v[3:4], v[40:41]
	s_andn2_b32 exec_lo, exec_lo, s19
	s_cbranch_execnz .LBB76_140
; %bb.141:
	s_or_b32 exec_lo, exec_lo, s19
.LBB76_142:
	s_or_b32 exec_lo, exec_lo, s8
	v_mov_b32_e32 v34, 0
	ds_read_b128 v[38:41], v34 offset:96
	s_waitcnt lgkmcnt(0)
	v_mul_f64 v[34:35], v[3:4], v[40:41]
	v_mul_f64 v[40:41], v[1:2], v[40:41]
	v_fma_f64 v[1:2], v[1:2], v[38:39], -v[34:35]
	v_fma_f64 v[3:4], v[3:4], v[38:39], v[40:41]
	buffer_store_dword v2, off, s[0:3], 0 offset:100
	buffer_store_dword v1, off, s[0:3], 0 offset:96
	;; [unrolled: 1-line block ×4, first 2 shown]
.LBB76_143:
	s_or_b32 exec_lo, exec_lo, s4
	v_mov_b32_e32 v4, s12
	s_mov_b32 s4, exec_lo
	s_clause 0x3
	buffer_load_dword v1, v4, s[0:3], 0 offen
	buffer_load_dword v2, v4, s[0:3], 0 offen offset:4
	buffer_load_dword v3, v4, s[0:3], 0 offen offset:8
	buffer_load_dword v4, v4, s[0:3], 0 offen offset:12
	s_waitcnt vmcnt(0)
	ds_write_b128 v32, v[1:4]
	s_waitcnt lgkmcnt(0)
	s_waitcnt_vscnt null, 0x0
	s_barrier
	buffer_gl0_inv
	v_cmpx_gt_u32_e32 7, v0
	s_cbranch_execz .LBB76_151
; %bb.144:
	ds_read_b128 v[1:4], v32
	v_cmp_ne_u32_e32 vcc_lo, 1, v33
	s_cbranch_vccnz .LBB76_146
; %bb.145:
	s_clause 0x3
	buffer_load_dword v34, v31, s[0:3], 0 offen offset:8
	buffer_load_dword v35, v31, s[0:3], 0 offen offset:12
	buffer_load_dword v38, v31, s[0:3], 0 offen
	buffer_load_dword v39, v31, s[0:3], 0 offen offset:4
	s_waitcnt vmcnt(2) lgkmcnt(0)
	v_mul_f64 v[40:41], v[3:4], v[34:35]
	v_mul_f64 v[34:35], v[1:2], v[34:35]
	s_waitcnt vmcnt(0)
	v_fma_f64 v[1:2], v[1:2], v[38:39], -v[40:41]
	v_fma_f64 v[3:4], v[3:4], v[38:39], v[34:35]
.LBB76_146:
	s_mov_b32 s8, exec_lo
	v_cmpx_ne_u32_e32 6, v0
	s_cbranch_execz .LBB76_150
; %bb.147:
	v_add_nc_u32_e32 v34, 0xe0, v37
	v_add3_u32 v35, 0, v37, 16
	v_mov_b32_e32 v36, v0
	s_mov_b32 s19, 0
	.p2align	6
.LBB76_148:                             ; =>This Inner Loop Header: Depth=1
	s_clause 0x3
	buffer_load_dword v42, v35, s[0:3], 0 offen offset:8
	buffer_load_dword v43, v35, s[0:3], 0 offen offset:12
	buffer_load_dword v44, v35, s[0:3], 0 offen
	buffer_load_dword v45, v35, s[0:3], 0 offen offset:4
	ds_read_b128 v[38:41], v34
	v_add_nc_u32_e32 v36, 1, v36
	v_add_nc_u32_e32 v34, 16, v34
	;; [unrolled: 1-line block ×3, first 2 shown]
	v_cmp_lt_u32_e32 vcc_lo, 5, v36
	s_or_b32 s19, vcc_lo, s19
	s_waitcnt vmcnt(2) lgkmcnt(0)
	v_mul_f64 v[46:47], v[40:41], v[42:43]
	v_mul_f64 v[42:43], v[38:39], v[42:43]
	s_waitcnt vmcnt(0)
	v_fma_f64 v[38:39], v[38:39], v[44:45], -v[46:47]
	v_fma_f64 v[40:41], v[40:41], v[44:45], v[42:43]
	v_add_f64 v[1:2], v[1:2], v[38:39]
	v_add_f64 v[3:4], v[3:4], v[40:41]
	s_andn2_b32 exec_lo, exec_lo, s19
	s_cbranch_execnz .LBB76_148
; %bb.149:
	s_or_b32 exec_lo, exec_lo, s19
.LBB76_150:
	s_or_b32 exec_lo, exec_lo, s8
	v_mov_b32_e32 v34, 0
	ds_read_b128 v[38:41], v34 offset:112
	s_waitcnt lgkmcnt(0)
	v_mul_f64 v[34:35], v[3:4], v[40:41]
	v_mul_f64 v[40:41], v[1:2], v[40:41]
	v_fma_f64 v[1:2], v[1:2], v[38:39], -v[34:35]
	v_fma_f64 v[3:4], v[3:4], v[38:39], v[40:41]
	buffer_store_dword v2, off, s[0:3], 0 offset:116
	buffer_store_dword v1, off, s[0:3], 0 offset:112
	;; [unrolled: 1-line block ×4, first 2 shown]
.LBB76_151:
	s_or_b32 exec_lo, exec_lo, s4
	v_mov_b32_e32 v4, s11
	s_mov_b32 s4, exec_lo
	s_clause 0x3
	buffer_load_dword v1, v4, s[0:3], 0 offen
	buffer_load_dword v2, v4, s[0:3], 0 offen offset:4
	buffer_load_dword v3, v4, s[0:3], 0 offen offset:8
	;; [unrolled: 1-line block ×3, first 2 shown]
	s_waitcnt vmcnt(0)
	ds_write_b128 v32, v[1:4]
	s_waitcnt lgkmcnt(0)
	s_waitcnt_vscnt null, 0x0
	s_barrier
	buffer_gl0_inv
	v_cmpx_gt_u32_e32 8, v0
	s_cbranch_execz .LBB76_159
; %bb.152:
	ds_read_b128 v[1:4], v32
	v_cmp_ne_u32_e32 vcc_lo, 1, v33
	s_cbranch_vccnz .LBB76_154
; %bb.153:
	s_clause 0x3
	buffer_load_dword v34, v31, s[0:3], 0 offen offset:8
	buffer_load_dword v35, v31, s[0:3], 0 offen offset:12
	buffer_load_dword v38, v31, s[0:3], 0 offen
	buffer_load_dword v39, v31, s[0:3], 0 offen offset:4
	s_waitcnt vmcnt(2) lgkmcnt(0)
	v_mul_f64 v[40:41], v[3:4], v[34:35]
	v_mul_f64 v[34:35], v[1:2], v[34:35]
	s_waitcnt vmcnt(0)
	v_fma_f64 v[1:2], v[1:2], v[38:39], -v[40:41]
	v_fma_f64 v[3:4], v[3:4], v[38:39], v[34:35]
.LBB76_154:
	s_mov_b32 s8, exec_lo
	v_cmpx_ne_u32_e32 7, v0
	s_cbranch_execz .LBB76_158
; %bb.155:
	v_add_nc_u32_e32 v34, 0xe0, v37
	v_add3_u32 v35, 0, v37, 16
	v_mov_b32_e32 v36, v0
	s_mov_b32 s19, 0
	.p2align	6
.LBB76_156:                             ; =>This Inner Loop Header: Depth=1
	s_clause 0x3
	buffer_load_dword v42, v35, s[0:3], 0 offen offset:8
	buffer_load_dword v43, v35, s[0:3], 0 offen offset:12
	buffer_load_dword v44, v35, s[0:3], 0 offen
	buffer_load_dword v45, v35, s[0:3], 0 offen offset:4
	ds_read_b128 v[38:41], v34
	v_add_nc_u32_e32 v36, 1, v36
	v_add_nc_u32_e32 v34, 16, v34
	;; [unrolled: 1-line block ×3, first 2 shown]
	v_cmp_lt_u32_e32 vcc_lo, 6, v36
	s_or_b32 s19, vcc_lo, s19
	s_waitcnt vmcnt(2) lgkmcnt(0)
	v_mul_f64 v[46:47], v[40:41], v[42:43]
	v_mul_f64 v[42:43], v[38:39], v[42:43]
	s_waitcnt vmcnt(0)
	v_fma_f64 v[38:39], v[38:39], v[44:45], -v[46:47]
	v_fma_f64 v[40:41], v[40:41], v[44:45], v[42:43]
	v_add_f64 v[1:2], v[1:2], v[38:39]
	v_add_f64 v[3:4], v[3:4], v[40:41]
	s_andn2_b32 exec_lo, exec_lo, s19
	s_cbranch_execnz .LBB76_156
; %bb.157:
	s_or_b32 exec_lo, exec_lo, s19
.LBB76_158:
	s_or_b32 exec_lo, exec_lo, s8
	v_mov_b32_e32 v34, 0
	ds_read_b128 v[38:41], v34 offset:128
	s_waitcnt lgkmcnt(0)
	v_mul_f64 v[34:35], v[3:4], v[40:41]
	v_mul_f64 v[40:41], v[1:2], v[40:41]
	v_fma_f64 v[1:2], v[1:2], v[38:39], -v[34:35]
	v_fma_f64 v[3:4], v[3:4], v[38:39], v[40:41]
	buffer_store_dword v2, off, s[0:3], 0 offset:132
	buffer_store_dword v1, off, s[0:3], 0 offset:128
	;; [unrolled: 1-line block ×4, first 2 shown]
.LBB76_159:
	s_or_b32 exec_lo, exec_lo, s4
	v_mov_b32_e32 v4, s10
	s_mov_b32 s4, exec_lo
	s_clause 0x3
	buffer_load_dword v1, v4, s[0:3], 0 offen
	buffer_load_dword v2, v4, s[0:3], 0 offen offset:4
	buffer_load_dword v3, v4, s[0:3], 0 offen offset:8
	;; [unrolled: 1-line block ×3, first 2 shown]
	s_waitcnt vmcnt(0)
	ds_write_b128 v32, v[1:4]
	s_waitcnt lgkmcnt(0)
	s_waitcnt_vscnt null, 0x0
	s_barrier
	buffer_gl0_inv
	v_cmpx_gt_u32_e32 9, v0
	s_cbranch_execz .LBB76_167
; %bb.160:
	ds_read_b128 v[1:4], v32
	v_cmp_ne_u32_e32 vcc_lo, 1, v33
	s_cbranch_vccnz .LBB76_162
; %bb.161:
	s_clause 0x3
	buffer_load_dword v34, v31, s[0:3], 0 offen offset:8
	buffer_load_dword v35, v31, s[0:3], 0 offen offset:12
	buffer_load_dword v38, v31, s[0:3], 0 offen
	buffer_load_dword v39, v31, s[0:3], 0 offen offset:4
	s_waitcnt vmcnt(2) lgkmcnt(0)
	v_mul_f64 v[40:41], v[3:4], v[34:35]
	v_mul_f64 v[34:35], v[1:2], v[34:35]
	s_waitcnt vmcnt(0)
	v_fma_f64 v[1:2], v[1:2], v[38:39], -v[40:41]
	v_fma_f64 v[3:4], v[3:4], v[38:39], v[34:35]
.LBB76_162:
	s_mov_b32 s8, exec_lo
	v_cmpx_ne_u32_e32 8, v0
	s_cbranch_execz .LBB76_166
; %bb.163:
	v_add_nc_u32_e32 v34, 0xe0, v37
	v_add3_u32 v35, 0, v37, 16
	v_mov_b32_e32 v36, v0
	s_mov_b32 s19, 0
	.p2align	6
.LBB76_164:                             ; =>This Inner Loop Header: Depth=1
	s_clause 0x3
	buffer_load_dword v42, v35, s[0:3], 0 offen offset:8
	buffer_load_dword v43, v35, s[0:3], 0 offen offset:12
	buffer_load_dword v44, v35, s[0:3], 0 offen
	buffer_load_dword v45, v35, s[0:3], 0 offen offset:4
	ds_read_b128 v[38:41], v34
	v_add_nc_u32_e32 v36, 1, v36
	v_add_nc_u32_e32 v34, 16, v34
	;; [unrolled: 1-line block ×3, first 2 shown]
	v_cmp_lt_u32_e32 vcc_lo, 7, v36
	s_or_b32 s19, vcc_lo, s19
	s_waitcnt vmcnt(2) lgkmcnt(0)
	v_mul_f64 v[46:47], v[40:41], v[42:43]
	v_mul_f64 v[42:43], v[38:39], v[42:43]
	s_waitcnt vmcnt(0)
	v_fma_f64 v[38:39], v[38:39], v[44:45], -v[46:47]
	v_fma_f64 v[40:41], v[40:41], v[44:45], v[42:43]
	v_add_f64 v[1:2], v[1:2], v[38:39]
	v_add_f64 v[3:4], v[3:4], v[40:41]
	s_andn2_b32 exec_lo, exec_lo, s19
	s_cbranch_execnz .LBB76_164
; %bb.165:
	s_or_b32 exec_lo, exec_lo, s19
.LBB76_166:
	s_or_b32 exec_lo, exec_lo, s8
	v_mov_b32_e32 v34, 0
	ds_read_b128 v[38:41], v34 offset:144
	s_waitcnt lgkmcnt(0)
	v_mul_f64 v[34:35], v[3:4], v[40:41]
	v_mul_f64 v[40:41], v[1:2], v[40:41]
	v_fma_f64 v[1:2], v[1:2], v[38:39], -v[34:35]
	v_fma_f64 v[3:4], v[3:4], v[38:39], v[40:41]
	buffer_store_dword v2, off, s[0:3], 0 offset:148
	buffer_store_dword v1, off, s[0:3], 0 offset:144
	buffer_store_dword v4, off, s[0:3], 0 offset:156
	buffer_store_dword v3, off, s[0:3], 0 offset:152
.LBB76_167:
	s_or_b32 exec_lo, exec_lo, s4
	v_mov_b32_e32 v4, s9
	s_mov_b32 s4, exec_lo
	s_clause 0x3
	buffer_load_dword v1, v4, s[0:3], 0 offen
	buffer_load_dword v2, v4, s[0:3], 0 offen offset:4
	buffer_load_dword v3, v4, s[0:3], 0 offen offset:8
	;; [unrolled: 1-line block ×3, first 2 shown]
	s_waitcnt vmcnt(0)
	ds_write_b128 v32, v[1:4]
	s_waitcnt lgkmcnt(0)
	s_waitcnt_vscnt null, 0x0
	s_barrier
	buffer_gl0_inv
	v_cmpx_gt_u32_e32 10, v0
	s_cbranch_execz .LBB76_175
; %bb.168:
	ds_read_b128 v[1:4], v32
	v_cmp_ne_u32_e32 vcc_lo, 1, v33
	s_cbranch_vccnz .LBB76_170
; %bb.169:
	s_clause 0x3
	buffer_load_dword v34, v31, s[0:3], 0 offen offset:8
	buffer_load_dword v35, v31, s[0:3], 0 offen offset:12
	buffer_load_dword v38, v31, s[0:3], 0 offen
	buffer_load_dword v39, v31, s[0:3], 0 offen offset:4
	s_waitcnt vmcnt(2) lgkmcnt(0)
	v_mul_f64 v[40:41], v[3:4], v[34:35]
	v_mul_f64 v[34:35], v[1:2], v[34:35]
	s_waitcnt vmcnt(0)
	v_fma_f64 v[1:2], v[1:2], v[38:39], -v[40:41]
	v_fma_f64 v[3:4], v[3:4], v[38:39], v[34:35]
.LBB76_170:
	s_mov_b32 s8, exec_lo
	v_cmpx_ne_u32_e32 9, v0
	s_cbranch_execz .LBB76_174
; %bb.171:
	v_add_nc_u32_e32 v34, 0xe0, v37
	v_add3_u32 v35, 0, v37, 16
	v_mov_b32_e32 v36, v0
	s_mov_b32 s19, 0
	.p2align	6
.LBB76_172:                             ; =>This Inner Loop Header: Depth=1
	s_clause 0x3
	buffer_load_dword v42, v35, s[0:3], 0 offen offset:8
	buffer_load_dword v43, v35, s[0:3], 0 offen offset:12
	buffer_load_dword v44, v35, s[0:3], 0 offen
	buffer_load_dword v45, v35, s[0:3], 0 offen offset:4
	ds_read_b128 v[38:41], v34
	v_add_nc_u32_e32 v36, 1, v36
	v_add_nc_u32_e32 v34, 16, v34
	;; [unrolled: 1-line block ×3, first 2 shown]
	v_cmp_lt_u32_e32 vcc_lo, 8, v36
	s_or_b32 s19, vcc_lo, s19
	s_waitcnt vmcnt(2) lgkmcnt(0)
	v_mul_f64 v[46:47], v[40:41], v[42:43]
	v_mul_f64 v[42:43], v[38:39], v[42:43]
	s_waitcnt vmcnt(0)
	v_fma_f64 v[38:39], v[38:39], v[44:45], -v[46:47]
	v_fma_f64 v[40:41], v[40:41], v[44:45], v[42:43]
	v_add_f64 v[1:2], v[1:2], v[38:39]
	v_add_f64 v[3:4], v[3:4], v[40:41]
	s_andn2_b32 exec_lo, exec_lo, s19
	s_cbranch_execnz .LBB76_172
; %bb.173:
	s_or_b32 exec_lo, exec_lo, s19
.LBB76_174:
	s_or_b32 exec_lo, exec_lo, s8
	v_mov_b32_e32 v34, 0
	ds_read_b128 v[38:41], v34 offset:160
	s_waitcnt lgkmcnt(0)
	v_mul_f64 v[34:35], v[3:4], v[40:41]
	v_mul_f64 v[40:41], v[1:2], v[40:41]
	v_fma_f64 v[1:2], v[1:2], v[38:39], -v[34:35]
	v_fma_f64 v[3:4], v[3:4], v[38:39], v[40:41]
	buffer_store_dword v2, off, s[0:3], 0 offset:164
	buffer_store_dword v1, off, s[0:3], 0 offset:160
	;; [unrolled: 1-line block ×4, first 2 shown]
.LBB76_175:
	s_or_b32 exec_lo, exec_lo, s4
	v_mov_b32_e32 v4, s7
	v_cmp_gt_u32_e64 s4, 11, v0
	s_clause 0x3
	buffer_load_dword v1, v4, s[0:3], 0 offen
	buffer_load_dword v2, v4, s[0:3], 0 offen offset:4
	buffer_load_dword v3, v4, s[0:3], 0 offen offset:8
	;; [unrolled: 1-line block ×3, first 2 shown]
	s_waitcnt vmcnt(0)
	ds_write_b128 v32, v[1:4]
	s_waitcnt lgkmcnt(0)
	s_waitcnt_vscnt null, 0x0
	s_barrier
	buffer_gl0_inv
	s_and_saveexec_b32 s8, s4
	s_cbranch_execz .LBB76_183
; %bb.176:
	ds_read_b128 v[1:4], v32
	v_cmp_ne_u32_e32 vcc_lo, 1, v33
	s_cbranch_vccnz .LBB76_178
; %bb.177:
	s_clause 0x3
	buffer_load_dword v34, v31, s[0:3], 0 offen offset:8
	buffer_load_dword v35, v31, s[0:3], 0 offen offset:12
	buffer_load_dword v38, v31, s[0:3], 0 offen
	buffer_load_dword v39, v31, s[0:3], 0 offen offset:4
	s_waitcnt vmcnt(2) lgkmcnt(0)
	v_mul_f64 v[40:41], v[3:4], v[34:35]
	v_mul_f64 v[34:35], v[1:2], v[34:35]
	s_waitcnt vmcnt(0)
	v_fma_f64 v[1:2], v[1:2], v[38:39], -v[40:41]
	v_fma_f64 v[3:4], v[3:4], v[38:39], v[34:35]
.LBB76_178:
	s_mov_b32 s19, exec_lo
	v_cmpx_ne_u32_e32 10, v0
	s_cbranch_execz .LBB76_182
; %bb.179:
	v_add_nc_u32_e32 v34, 0xe0, v37
	v_add3_u32 v35, 0, v37, 16
	v_mov_b32_e32 v36, v0
	s_mov_b32 s20, 0
	.p2align	6
.LBB76_180:                             ; =>This Inner Loop Header: Depth=1
	s_clause 0x3
	buffer_load_dword v42, v35, s[0:3], 0 offen offset:8
	buffer_load_dword v43, v35, s[0:3], 0 offen offset:12
	buffer_load_dword v44, v35, s[0:3], 0 offen
	buffer_load_dword v45, v35, s[0:3], 0 offen offset:4
	ds_read_b128 v[38:41], v34
	v_add_nc_u32_e32 v36, 1, v36
	v_add_nc_u32_e32 v34, 16, v34
	;; [unrolled: 1-line block ×3, first 2 shown]
	v_cmp_lt_u32_e32 vcc_lo, 9, v36
	s_or_b32 s20, vcc_lo, s20
	s_waitcnt vmcnt(2) lgkmcnt(0)
	v_mul_f64 v[46:47], v[40:41], v[42:43]
	v_mul_f64 v[42:43], v[38:39], v[42:43]
	s_waitcnt vmcnt(0)
	v_fma_f64 v[38:39], v[38:39], v[44:45], -v[46:47]
	v_fma_f64 v[40:41], v[40:41], v[44:45], v[42:43]
	v_add_f64 v[1:2], v[1:2], v[38:39]
	v_add_f64 v[3:4], v[3:4], v[40:41]
	s_andn2_b32 exec_lo, exec_lo, s20
	s_cbranch_execnz .LBB76_180
; %bb.181:
	s_or_b32 exec_lo, exec_lo, s20
.LBB76_182:
	s_or_b32 exec_lo, exec_lo, s19
	v_mov_b32_e32 v34, 0
	ds_read_b128 v[38:41], v34 offset:176
	s_waitcnt lgkmcnt(0)
	v_mul_f64 v[34:35], v[3:4], v[40:41]
	v_mul_f64 v[40:41], v[1:2], v[40:41]
	v_fma_f64 v[1:2], v[1:2], v[38:39], -v[34:35]
	v_fma_f64 v[3:4], v[3:4], v[38:39], v[40:41]
	buffer_store_dword v2, off, s[0:3], 0 offset:180
	buffer_store_dword v1, off, s[0:3], 0 offset:176
	;; [unrolled: 1-line block ×4, first 2 shown]
.LBB76_183:
	s_or_b32 exec_lo, exec_lo, s8
	v_mov_b32_e32 v4, s6
	s_mov_b32 s8, exec_lo
                                        ; implicit-def: $sgpr21
	s_clause 0x3
	buffer_load_dword v1, v4, s[0:3], 0 offen
	buffer_load_dword v2, v4, s[0:3], 0 offen offset:4
	buffer_load_dword v3, v4, s[0:3], 0 offen offset:8
	;; [unrolled: 1-line block ×3, first 2 shown]
	s_waitcnt vmcnt(0)
	ds_write_b128 v32, v[1:4]
	s_waitcnt lgkmcnt(0)
	s_waitcnt_vscnt null, 0x0
	s_barrier
	buffer_gl0_inv
                                        ; implicit-def: $vgpr1_vgpr2
	v_cmpx_ne_u32_e32 12, v0
	s_cbranch_execz .LBB76_191
; %bb.184:
	ds_read_b128 v[1:4], v32
	v_cmp_ne_u32_e32 vcc_lo, 1, v33
	s_cbranch_vccnz .LBB76_186
; %bb.185:
	s_clause 0x3
	buffer_load_dword v32, v31, s[0:3], 0 offen offset:8
	buffer_load_dword v33, v31, s[0:3], 0 offen offset:12
	buffer_load_dword v34, v31, s[0:3], 0 offen
	buffer_load_dword v35, v31, s[0:3], 0 offen offset:4
	s_waitcnt vmcnt(2) lgkmcnt(0)
	v_mul_f64 v[38:39], v[3:4], v[32:33]
	v_mul_f64 v[31:32], v[1:2], v[32:33]
	s_waitcnt vmcnt(0)
	v_fma_f64 v[1:2], v[1:2], v[34:35], -v[38:39]
	v_fma_f64 v[3:4], v[3:4], v[34:35], v[31:32]
.LBB76_186:
	s_and_saveexec_b32 s19, s4
	s_cbranch_execz .LBB76_190
; %bb.187:
	v_add_nc_u32_e32 v31, 0xe0, v37
	v_add3_u32 v32, 0, v37, 16
	s_mov_b32 s4, 0
	.p2align	6
.LBB76_188:                             ; =>This Inner Loop Header: Depth=1
	s_clause 0x3
	buffer_load_dword v37, v32, s[0:3], 0 offen offset:8
	buffer_load_dword v38, v32, s[0:3], 0 offen offset:12
	buffer_load_dword v39, v32, s[0:3], 0 offen
	buffer_load_dword v40, v32, s[0:3], 0 offen offset:4
	ds_read_b128 v[33:36], v31
	v_add_nc_u32_e32 v0, 1, v0
	v_add_nc_u32_e32 v31, 16, v31
	;; [unrolled: 1-line block ×3, first 2 shown]
	v_cmp_lt_u32_e32 vcc_lo, 10, v0
	s_or_b32 s4, vcc_lo, s4
	s_waitcnt vmcnt(2) lgkmcnt(0)
	v_mul_f64 v[41:42], v[35:36], v[37:38]
	v_mul_f64 v[37:38], v[33:34], v[37:38]
	s_waitcnt vmcnt(0)
	v_fma_f64 v[33:34], v[33:34], v[39:40], -v[41:42]
	v_fma_f64 v[35:36], v[35:36], v[39:40], v[37:38]
	v_add_f64 v[1:2], v[1:2], v[33:34]
	v_add_f64 v[3:4], v[3:4], v[35:36]
	s_andn2_b32 exec_lo, exec_lo, s4
	s_cbranch_execnz .LBB76_188
; %bb.189:
	s_or_b32 exec_lo, exec_lo, s4
.LBB76_190:
	s_or_b32 exec_lo, exec_lo, s19
	v_mov_b32_e32 v0, 0
	s_movk_i32 s21, 0xc8
	s_or_b32 s5, s5, exec_lo
	ds_read_b128 v[31:34], v0 offset:192
	s_waitcnt lgkmcnt(0)
	v_mul_f64 v[35:36], v[3:4], v[33:34]
	v_mul_f64 v[33:34], v[1:2], v[33:34]
	v_fma_f64 v[35:36], v[1:2], v[31:32], -v[35:36]
	v_fma_f64 v[1:2], v[3:4], v[31:32], v[33:34]
	buffer_store_dword v36, off, s[0:3], 0 offset:196
	buffer_store_dword v35, off, s[0:3], 0 offset:192
.LBB76_191:
	s_or_b32 exec_lo, exec_lo, s8
.LBB76_192:
	s_and_saveexec_b32 s4, s5
	s_cbranch_execz .LBB76_194
; %bb.193:
	v_mov_b32_e32 v0, s21
	buffer_store_dword v2, v0, s[0:3], 0 offen offset:4
	buffer_store_dword v1, v0, s[0:3], 0 offen
.LBB76_194:
	s_or_b32 exec_lo, exec_lo, s4
	s_clause 0x3
	buffer_load_dword v0, off, s[0:3], 0
	buffer_load_dword v1, off, s[0:3], 0 offset:4
	buffer_load_dword v2, off, s[0:3], 0 offset:8
	;; [unrolled: 1-line block ×3, first 2 shown]
	v_mov_b32_e32 v4, s18
	s_waitcnt vmcnt(0)
	flat_store_dwordx4 v[5:6], v[0:3]
	s_clause 0x3
	buffer_load_dword v0, v4, s[0:3], 0 offen
	buffer_load_dword v1, v4, s[0:3], 0 offen offset:4
	buffer_load_dword v2, v4, s[0:3], 0 offen offset:8
	buffer_load_dword v3, v4, s[0:3], 0 offen offset:12
	v_mov_b32_e32 v4, s17
	s_waitcnt vmcnt(0)
	flat_store_dwordx4 v[7:8], v[0:3]
	s_clause 0x3
	buffer_load_dword v0, v4, s[0:3], 0 offen
	buffer_load_dword v1, v4, s[0:3], 0 offen offset:4
	buffer_load_dword v2, v4, s[0:3], 0 offen offset:8
	buffer_load_dword v3, v4, s[0:3], 0 offen offset:12
	;; [unrolled: 8-line block ×12, first 2 shown]
	s_waitcnt vmcnt(0)
	flat_store_dwordx4 v[29:30], v[0:3]
.LBB76_195:
	s_endpgm
	.section	.rodata,"a",@progbits
	.p2align	6, 0x0
	.amdhsa_kernel _ZN9rocsolver6v33100L18trti2_kernel_smallILi13E19rocblas_complex_numIdEPKPS3_EEv13rocblas_fill_17rocblas_diagonal_T1_iil
		.amdhsa_group_segment_fixed_size 416
		.amdhsa_private_segment_fixed_size 224
		.amdhsa_kernarg_size 32
		.amdhsa_user_sgpr_count 6
		.amdhsa_user_sgpr_private_segment_buffer 1
		.amdhsa_user_sgpr_dispatch_ptr 0
		.amdhsa_user_sgpr_queue_ptr 0
		.amdhsa_user_sgpr_kernarg_segment_ptr 1
		.amdhsa_user_sgpr_dispatch_id 0
		.amdhsa_user_sgpr_flat_scratch_init 0
		.amdhsa_user_sgpr_private_segment_size 0
		.amdhsa_wavefront_size32 1
		.amdhsa_uses_dynamic_stack 0
		.amdhsa_system_sgpr_private_segment_wavefront_offset 1
		.amdhsa_system_sgpr_workgroup_id_x 1
		.amdhsa_system_sgpr_workgroup_id_y 0
		.amdhsa_system_sgpr_workgroup_id_z 0
		.amdhsa_system_sgpr_workgroup_info 0
		.amdhsa_system_vgpr_workitem_id 0
		.amdhsa_next_free_vgpr 48
		.amdhsa_next_free_sgpr 23
		.amdhsa_reserve_vcc 1
		.amdhsa_reserve_flat_scratch 0
		.amdhsa_float_round_mode_32 0
		.amdhsa_float_round_mode_16_64 0
		.amdhsa_float_denorm_mode_32 3
		.amdhsa_float_denorm_mode_16_64 3
		.amdhsa_dx10_clamp 1
		.amdhsa_ieee_mode 1
		.amdhsa_fp16_overflow 0
		.amdhsa_workgroup_processor_mode 1
		.amdhsa_memory_ordered 1
		.amdhsa_forward_progress 1
		.amdhsa_shared_vgpr_count 0
		.amdhsa_exception_fp_ieee_invalid_op 0
		.amdhsa_exception_fp_denorm_src 0
		.amdhsa_exception_fp_ieee_div_zero 0
		.amdhsa_exception_fp_ieee_overflow 0
		.amdhsa_exception_fp_ieee_underflow 0
		.amdhsa_exception_fp_ieee_inexact 0
		.amdhsa_exception_int_div_zero 0
	.end_amdhsa_kernel
	.section	.text._ZN9rocsolver6v33100L18trti2_kernel_smallILi13E19rocblas_complex_numIdEPKPS3_EEv13rocblas_fill_17rocblas_diagonal_T1_iil,"axG",@progbits,_ZN9rocsolver6v33100L18trti2_kernel_smallILi13E19rocblas_complex_numIdEPKPS3_EEv13rocblas_fill_17rocblas_diagonal_T1_iil,comdat
.Lfunc_end76:
	.size	_ZN9rocsolver6v33100L18trti2_kernel_smallILi13E19rocblas_complex_numIdEPKPS3_EEv13rocblas_fill_17rocblas_diagonal_T1_iil, .Lfunc_end76-_ZN9rocsolver6v33100L18trti2_kernel_smallILi13E19rocblas_complex_numIdEPKPS3_EEv13rocblas_fill_17rocblas_diagonal_T1_iil
                                        ; -- End function
	.set _ZN9rocsolver6v33100L18trti2_kernel_smallILi13E19rocblas_complex_numIdEPKPS3_EEv13rocblas_fill_17rocblas_diagonal_T1_iil.num_vgpr, 48
	.set _ZN9rocsolver6v33100L18trti2_kernel_smallILi13E19rocblas_complex_numIdEPKPS3_EEv13rocblas_fill_17rocblas_diagonal_T1_iil.num_agpr, 0
	.set _ZN9rocsolver6v33100L18trti2_kernel_smallILi13E19rocblas_complex_numIdEPKPS3_EEv13rocblas_fill_17rocblas_diagonal_T1_iil.numbered_sgpr, 23
	.set _ZN9rocsolver6v33100L18trti2_kernel_smallILi13E19rocblas_complex_numIdEPKPS3_EEv13rocblas_fill_17rocblas_diagonal_T1_iil.num_named_barrier, 0
	.set _ZN9rocsolver6v33100L18trti2_kernel_smallILi13E19rocblas_complex_numIdEPKPS3_EEv13rocblas_fill_17rocblas_diagonal_T1_iil.private_seg_size, 224
	.set _ZN9rocsolver6v33100L18trti2_kernel_smallILi13E19rocblas_complex_numIdEPKPS3_EEv13rocblas_fill_17rocblas_diagonal_T1_iil.uses_vcc, 1
	.set _ZN9rocsolver6v33100L18trti2_kernel_smallILi13E19rocblas_complex_numIdEPKPS3_EEv13rocblas_fill_17rocblas_diagonal_T1_iil.uses_flat_scratch, 0
	.set _ZN9rocsolver6v33100L18trti2_kernel_smallILi13E19rocblas_complex_numIdEPKPS3_EEv13rocblas_fill_17rocblas_diagonal_T1_iil.has_dyn_sized_stack, 0
	.set _ZN9rocsolver6v33100L18trti2_kernel_smallILi13E19rocblas_complex_numIdEPKPS3_EEv13rocblas_fill_17rocblas_diagonal_T1_iil.has_recursion, 0
	.set _ZN9rocsolver6v33100L18trti2_kernel_smallILi13E19rocblas_complex_numIdEPKPS3_EEv13rocblas_fill_17rocblas_diagonal_T1_iil.has_indirect_call, 0
	.section	.AMDGPU.csdata,"",@progbits
; Kernel info:
; codeLenInByte = 12760
; TotalNumSgprs: 25
; NumVgprs: 48
; ScratchSize: 224
; MemoryBound: 0
; FloatMode: 240
; IeeeMode: 1
; LDSByteSize: 416 bytes/workgroup (compile time only)
; SGPRBlocks: 0
; VGPRBlocks: 5
; NumSGPRsForWavesPerEU: 25
; NumVGPRsForWavesPerEU: 48
; Occupancy: 16
; WaveLimiterHint : 1
; COMPUTE_PGM_RSRC2:SCRATCH_EN: 1
; COMPUTE_PGM_RSRC2:USER_SGPR: 6
; COMPUTE_PGM_RSRC2:TRAP_HANDLER: 0
; COMPUTE_PGM_RSRC2:TGID_X_EN: 1
; COMPUTE_PGM_RSRC2:TGID_Y_EN: 0
; COMPUTE_PGM_RSRC2:TGID_Z_EN: 0
; COMPUTE_PGM_RSRC2:TIDIG_COMP_CNT: 0
	.section	.text._ZN9rocsolver6v33100L18trti2_kernel_smallILi14E19rocblas_complex_numIdEPKPS3_EEv13rocblas_fill_17rocblas_diagonal_T1_iil,"axG",@progbits,_ZN9rocsolver6v33100L18trti2_kernel_smallILi14E19rocblas_complex_numIdEPKPS3_EEv13rocblas_fill_17rocblas_diagonal_T1_iil,comdat
	.globl	_ZN9rocsolver6v33100L18trti2_kernel_smallILi14E19rocblas_complex_numIdEPKPS3_EEv13rocblas_fill_17rocblas_diagonal_T1_iil ; -- Begin function _ZN9rocsolver6v33100L18trti2_kernel_smallILi14E19rocblas_complex_numIdEPKPS3_EEv13rocblas_fill_17rocblas_diagonal_T1_iil
	.p2align	8
	.type	_ZN9rocsolver6v33100L18trti2_kernel_smallILi14E19rocblas_complex_numIdEPKPS3_EEv13rocblas_fill_17rocblas_diagonal_T1_iil,@function
_ZN9rocsolver6v33100L18trti2_kernel_smallILi14E19rocblas_complex_numIdEPKPS3_EEv13rocblas_fill_17rocblas_diagonal_T1_iil: ; @_ZN9rocsolver6v33100L18trti2_kernel_smallILi14E19rocblas_complex_numIdEPKPS3_EEv13rocblas_fill_17rocblas_diagonal_T1_iil
; %bb.0:
	s_add_u32 s0, s0, s7
	s_addc_u32 s1, s1, 0
	s_mov_b32 s7, exec_lo
	v_cmpx_gt_u32_e32 14, v0
	s_cbranch_execz .LBB77_211
; %bb.1:
	s_clause 0x1
	s_load_dwordx2 s[12:13], s[4:5], 0x10
	s_load_dwordx4 s[8:11], s[4:5], 0x0
	s_ashr_i32 s7, s6, 31
	v_lshlrev_b32_e32 v39, 4, v0
	s_lshl_b64 s[4:5], s[6:7], 3
	s_movk_i32 s22, 0xb0
	s_movk_i32 s23, 0xc0
	;; [unrolled: 1-line block ×3, first 2 shown]
	s_waitcnt lgkmcnt(0)
	s_ashr_i32 s7, s12, 31
	s_add_u32 s4, s10, s4
	s_addc_u32 s5, s11, s5
	s_mov_b32 s6, s12
	s_load_dwordx2 s[4:5], s[4:5], 0x0
	s_lshl_b64 s[6:7], s[6:7], 4
	v_add3_u32 v11, s13, s13, v0
	s_movk_i32 s10, 0x90
	s_movk_i32 s11, 0xa0
	v_ashrrev_i32_e32 v12, 31, v11
	v_add_nc_u32_e32 v13, s13, v11
	v_lshlrev_b64 v[9:10], 4, v[11:12]
	v_ashrrev_i32_e32 v14, 31, v13
	v_add_nc_u32_e32 v15, s13, v13
	v_lshlrev_b64 v[11:12], 4, v[13:14]
	v_ashrrev_i32_e32 v16, 31, v15
	s_waitcnt lgkmcnt(0)
	s_add_u32 s4, s4, s6
	s_addc_u32 s5, s5, s7
	v_add_co_u32 v5, s6, s4, v39
	v_add_co_ci_u32_e64 v6, null, s5, 0, s6
	s_mov_b32 s6, s13
	s_ashr_i32 s7, s13, 31
	v_lshlrev_b64 v[13:14], 4, v[15:16]
	flat_load_dwordx4 v[1:4], v[5:6]
	s_lshl_b64 s[6:7], s[6:7], 4
	v_add_nc_u32_e32 v17, s13, v15
	v_add_co_u32 v7, vcc_lo, v5, s6
	v_add_co_ci_u32_e64 v8, null, s7, v6, vcc_lo
	v_add_co_u32 v9, vcc_lo, s4, v9
	v_add_co_ci_u32_e64 v10, null, s5, v10, vcc_lo
	;; [unrolled: 2-line block ×4, first 2 shown]
	v_ashrrev_i32_e32 v18, 31, v17
	v_add_nc_u32_e32 v19, s13, v17
	s_cmpk_lg_i32 s9, 0x84
	s_movk_i32 s6, 0x70
	s_movk_i32 s7, 0x80
	v_lshlrev_b64 v[15:16], 4, v[17:18]
	v_ashrrev_i32_e32 v20, 31, v19
	v_add_nc_u32_e32 v21, s13, v19
	s_cselect_b32 s21, -1, 0
	s_cmpk_eq_i32 s9, 0x84
	s_waitcnt vmcnt(0) lgkmcnt(0)
	buffer_store_dword v4, off, s[0:3], 0 offset:12
	buffer_store_dword v3, off, s[0:3], 0 offset:8
	;; [unrolled: 1-line block ×3, first 2 shown]
	buffer_store_dword v1, off, s[0:3], 0
	flat_load_dwordx4 v[1:4], v[7:8]
	v_add_co_u32 v15, vcc_lo, s4, v15
	v_add_co_ci_u32_e64 v16, null, s5, v16, vcc_lo
	v_lshlrev_b64 v[17:18], 4, v[19:20]
	v_ashrrev_i32_e32 v22, 31, v21
	v_add_nc_u32_e32 v23, s13, v21
	s_waitcnt vmcnt(0) lgkmcnt(0)
	buffer_store_dword v4, off, s[0:3], 0 offset:28
	buffer_store_dword v3, off, s[0:3], 0 offset:24
	buffer_store_dword v2, off, s[0:3], 0 offset:20
	buffer_store_dword v1, off, s[0:3], 0 offset:16
	flat_load_dwordx4 v[1:4], v[9:10]
	v_add_co_u32 v17, vcc_lo, s4, v17
	v_add_co_ci_u32_e64 v18, null, s5, v18, vcc_lo
	v_lshlrev_b64 v[19:20], 4, v[21:22]
	v_ashrrev_i32_e32 v24, 31, v23
	v_add_nc_u32_e32 v25, s13, v23
	s_waitcnt vmcnt(0) lgkmcnt(0)
	buffer_store_dword v4, off, s[0:3], 0 offset:44
	buffer_store_dword v3, off, s[0:3], 0 offset:40
	buffer_store_dword v2, off, s[0:3], 0 offset:36
	buffer_store_dword v1, off, s[0:3], 0 offset:32
	;; [unrolled: 11-line block ×5, first 2 shown]
	flat_load_dwordx4 v[1:4], v[17:18]
	v_add_co_u32 v25, vcc_lo, s4, v25
	v_add_co_ci_u32_e64 v26, null, s5, v26, vcc_lo
	v_lshlrev_b64 v[27:28], 4, v[29:30]
	v_ashrrev_i32_e32 v32, 31, v31
	s_waitcnt vmcnt(0) lgkmcnt(0)
	buffer_store_dword v4, off, s[0:3], 0 offset:108
	buffer_store_dword v3, off, s[0:3], 0 offset:104
	;; [unrolled: 1-line block ×4, first 2 shown]
	flat_load_dwordx4 v[1:4], v[19:20]
	v_add_co_u32 v27, vcc_lo, s4, v27
	v_add_co_ci_u32_e64 v28, null, s5, v28, vcc_lo
	v_lshlrev_b64 v[29:30], 4, v[31:32]
	v_add_nc_u32_e32 v31, s13, v31
	s_waitcnt vmcnt(0) lgkmcnt(0)
	buffer_store_dword v4, off, s[0:3], 0 offset:124
	buffer_store_dword v3, off, s[0:3], 0 offset:120
	;; [unrolled: 1-line block ×4, first 2 shown]
	flat_load_dwordx4 v[1:4], v[21:22]
	v_add_co_u32 v29, vcc_lo, s4, v29
	v_add_co_ci_u32_e64 v30, null, s5, v30, vcc_lo
	v_ashrrev_i32_e32 v32, 31, v31
	s_waitcnt vmcnt(0) lgkmcnt(0)
	buffer_store_dword v4, off, s[0:3], 0 offset:140
	buffer_store_dword v3, off, s[0:3], 0 offset:136
	;; [unrolled: 1-line block ×4, first 2 shown]
	flat_load_dwordx4 v[1:4], v[23:24]
	v_lshlrev_b64 v[31:32], 4, v[31:32]
	s_waitcnt vmcnt(0) lgkmcnt(0)
	buffer_store_dword v4, off, s[0:3], 0 offset:156
	buffer_store_dword v3, off, s[0:3], 0 offset:152
	;; [unrolled: 1-line block ×4, first 2 shown]
	flat_load_dwordx4 v[1:4], v[25:26]
	v_add_co_u32 v31, vcc_lo, s4, v31
	v_add_co_ci_u32_e64 v32, null, s5, v32, vcc_lo
	s_movk_i32 s4, 0x50
	s_movk_i32 s5, 0x60
	s_waitcnt vmcnt(0) lgkmcnt(0)
	buffer_store_dword v4, off, s[0:3], 0 offset:172
	buffer_store_dword v3, off, s[0:3], 0 offset:168
	buffer_store_dword v2, off, s[0:3], 0 offset:164
	buffer_store_dword v1, off, s[0:3], 0 offset:160
	flat_load_dwordx4 v[1:4], v[27:28]
	s_waitcnt vmcnt(0) lgkmcnt(0)
	buffer_store_dword v4, off, s[0:3], 0 offset:188
	buffer_store_dword v3, off, s[0:3], 0 offset:184
	buffer_store_dword v2, off, s[0:3], 0 offset:180
	buffer_store_dword v1, off, s[0:3], 0 offset:176
	flat_load_dwordx4 v[1:4], v[29:30]
	;; [unrolled: 6-line block ×3, first 2 shown]
	s_waitcnt vmcnt(0) lgkmcnt(0)
	buffer_store_dword v4, off, s[0:3], 0 offset:220
	buffer_store_dword v3, off, s[0:3], 0 offset:216
	;; [unrolled: 1-line block ×4, first 2 shown]
	s_cbranch_scc1 .LBB77_7
; %bb.2:
	v_lshl_add_u32 v40, v0, 4, 0
                                        ; implicit-def: $vgpr35_vgpr36
                                        ; implicit-def: $vgpr3_vgpr4
	s_clause 0x3
	buffer_load_dword v33, v40, s[0:3], 0 offen
	buffer_load_dword v34, v40, s[0:3], 0 offen offset:4
	buffer_load_dword v37, v40, s[0:3], 0 offen offset:8
	buffer_load_dword v38, v40, s[0:3], 0 offen offset:12
	s_waitcnt vmcnt(0)
	v_cmp_ngt_f64_e64 s9, |v[33:34]|, |v[37:38]|
	s_and_saveexec_b32 s12, s9
	s_xor_b32 s9, exec_lo, s12
	s_cbranch_execz .LBB77_4
; %bb.3:
	v_div_scale_f64 v[1:2], null, v[37:38], v[37:38], v[33:34]
	v_div_scale_f64 v[41:42], vcc_lo, v[33:34], v[37:38], v[33:34]
	v_rcp_f64_e32 v[3:4], v[1:2]
	v_fma_f64 v[35:36], -v[1:2], v[3:4], 1.0
	v_fma_f64 v[3:4], v[3:4], v[35:36], v[3:4]
	v_fma_f64 v[35:36], -v[1:2], v[3:4], 1.0
	v_fma_f64 v[3:4], v[3:4], v[35:36], v[3:4]
	v_mul_f64 v[35:36], v[41:42], v[3:4]
	v_fma_f64 v[1:2], -v[1:2], v[35:36], v[41:42]
	v_div_fmas_f64 v[1:2], v[1:2], v[3:4], v[35:36]
	v_div_fixup_f64 v[1:2], v[1:2], v[37:38], v[33:34]
	v_fma_f64 v[3:4], v[33:34], v[1:2], v[37:38]
	v_div_scale_f64 v[33:34], null, v[3:4], v[3:4], 1.0
	v_div_scale_f64 v[41:42], vcc_lo, 1.0, v[3:4], 1.0
	v_rcp_f64_e32 v[35:36], v[33:34]
	v_fma_f64 v[37:38], -v[33:34], v[35:36], 1.0
	v_fma_f64 v[35:36], v[35:36], v[37:38], v[35:36]
	v_fma_f64 v[37:38], -v[33:34], v[35:36], 1.0
	v_fma_f64 v[35:36], v[35:36], v[37:38], v[35:36]
	v_mul_f64 v[37:38], v[41:42], v[35:36]
	v_fma_f64 v[33:34], -v[33:34], v[37:38], v[41:42]
	v_div_fmas_f64 v[33:34], v[33:34], v[35:36], v[37:38]
                                        ; implicit-def: $vgpr37_vgpr38
	v_div_fixup_f64 v[3:4], v[33:34], v[3:4], 1.0
                                        ; implicit-def: $vgpr33_vgpr34
	v_mul_f64 v[35:36], v[1:2], v[3:4]
	v_xor_b32_e32 v4, 0x80000000, v4
	v_xor_b32_e32 v2, 0x80000000, v36
	v_mov_b32_e32 v1, v35
.LBB77_4:
	s_andn2_saveexec_b32 s9, s9
	s_cbranch_execz .LBB77_6
; %bb.5:
	v_div_scale_f64 v[1:2], null, v[33:34], v[33:34], v[37:38]
	v_div_scale_f64 v[41:42], vcc_lo, v[37:38], v[33:34], v[37:38]
	v_rcp_f64_e32 v[3:4], v[1:2]
	v_fma_f64 v[35:36], -v[1:2], v[3:4], 1.0
	v_fma_f64 v[3:4], v[3:4], v[35:36], v[3:4]
	v_fma_f64 v[35:36], -v[1:2], v[3:4], 1.0
	v_fma_f64 v[3:4], v[3:4], v[35:36], v[3:4]
	v_mul_f64 v[35:36], v[41:42], v[3:4]
	v_fma_f64 v[1:2], -v[1:2], v[35:36], v[41:42]
	v_div_fmas_f64 v[1:2], v[1:2], v[3:4], v[35:36]
	v_div_fixup_f64 v[1:2], v[1:2], v[33:34], v[37:38]
	v_fma_f64 v[3:4], v[37:38], v[1:2], v[33:34]
	v_div_scale_f64 v[33:34], null, v[3:4], v[3:4], 1.0
	v_rcp_f64_e32 v[35:36], v[33:34]
	v_fma_f64 v[37:38], -v[33:34], v[35:36], 1.0
	v_fma_f64 v[35:36], v[35:36], v[37:38], v[35:36]
	v_fma_f64 v[37:38], -v[33:34], v[35:36], 1.0
	v_fma_f64 v[35:36], v[35:36], v[37:38], v[35:36]
	v_div_scale_f64 v[37:38], vcc_lo, 1.0, v[3:4], 1.0
	v_mul_f64 v[41:42], v[37:38], v[35:36]
	v_fma_f64 v[33:34], -v[33:34], v[41:42], v[37:38]
	v_div_fmas_f64 v[33:34], v[33:34], v[35:36], v[41:42]
	v_div_fixup_f64 v[35:36], v[33:34], v[3:4], 1.0
	v_mul_f64 v[3:4], v[1:2], -v[35:36]
	v_xor_b32_e32 v2, 0x80000000, v36
	v_mov_b32_e32 v1, v35
.LBB77_6:
	s_or_b32 exec_lo, exec_lo, s9
	buffer_store_dword v4, v40, s[0:3], 0 offen offset:12
	v_xor_b32_e32 v4, 0x80000000, v4
	buffer_store_dword v36, v40, s[0:3], 0 offen offset:4
	buffer_store_dword v35, v40, s[0:3], 0 offen
	buffer_store_dword v3, v40, s[0:3], 0 offen offset:8
	s_branch .LBB77_8
.LBB77_7:
	v_mov_b32_e32 v1, 0
	v_mov_b32_e32 v3, 0
	;; [unrolled: 1-line block ×4, first 2 shown]
.LBB77_8:
	v_add_nc_u32_e32 v34, 0xe0, v39
	v_mov_b32_e32 v33, v39
	s_mov_b32 s20, 16
	s_mov_b32 s19, 32
	;; [unrolled: 1-line block ×12, first 2 shown]
	s_cmpk_eq_i32 s8, 0x79
	ds_write_b128 v39, v[1:4]
	s_cbranch_scc1 .LBB77_108
; %bb.9:
	v_mov_b32_e32 v4, s9
	v_cmp_eq_u32_e64 s4, 13, v0
	s_clause 0x3
	buffer_load_dword v1, v4, s[0:3], 0 offen
	buffer_load_dword v2, v4, s[0:3], 0 offen offset:4
	buffer_load_dword v3, v4, s[0:3], 0 offen offset:8
	;; [unrolled: 1-line block ×3, first 2 shown]
	s_waitcnt vmcnt(0)
	ds_write_b128 v34, v[1:4]
	s_waitcnt lgkmcnt(0)
	s_waitcnt_vscnt null, 0x0
	s_barrier
	buffer_gl0_inv
	s_and_saveexec_b32 s5, s4
	s_cbranch_execz .LBB77_13
; %bb.10:
	ds_read_b128 v[1:4], v34
	s_andn2_b32 vcc_lo, exec_lo, s21
	s_cbranch_vccnz .LBB77_12
; %bb.11:
	s_clause 0x3
	buffer_load_dword v35, v33, s[0:3], 0 offen offset:8
	buffer_load_dword v36, v33, s[0:3], 0 offen offset:12
	buffer_load_dword v37, v33, s[0:3], 0 offen
	buffer_load_dword v38, v33, s[0:3], 0 offen offset:4
	s_waitcnt vmcnt(2) lgkmcnt(0)
	v_mul_f64 v[40:41], v[3:4], v[35:36]
	v_mul_f64 v[35:36], v[1:2], v[35:36]
	s_waitcnt vmcnt(0)
	v_fma_f64 v[1:2], v[1:2], v[37:38], -v[40:41]
	v_fma_f64 v[3:4], v[3:4], v[37:38], v[35:36]
.LBB77_12:
	v_mov_b32_e32 v35, 0
	ds_read_b128 v[35:38], v35 offset:192
	s_waitcnt lgkmcnt(0)
	v_mul_f64 v[40:41], v[3:4], v[37:38]
	v_mul_f64 v[37:38], v[1:2], v[37:38]
	v_fma_f64 v[1:2], v[1:2], v[35:36], -v[40:41]
	v_fma_f64 v[3:4], v[3:4], v[35:36], v[37:38]
	buffer_store_dword v2, off, s[0:3], 0 offset:196
	buffer_store_dword v1, off, s[0:3], 0 offset:192
	;; [unrolled: 1-line block ×4, first 2 shown]
.LBB77_13:
	s_or_b32 exec_lo, exec_lo, s5
	v_mov_b32_e32 v4, s10
	v_cmp_lt_u32_e64 s5, 11, v0
	s_clause 0x3
	buffer_load_dword v1, v4, s[0:3], 0 offen
	buffer_load_dword v2, v4, s[0:3], 0 offen offset:4
	buffer_load_dword v3, v4, s[0:3], 0 offen offset:8
	;; [unrolled: 1-line block ×3, first 2 shown]
	s_waitcnt vmcnt(0)
	ds_write_b128 v34, v[1:4]
	s_waitcnt lgkmcnt(0)
	s_waitcnt_vscnt null, 0x0
	s_barrier
	buffer_gl0_inv
	s_and_saveexec_b32 s6, s5
	s_cbranch_execz .LBB77_19
; %bb.14:
	ds_read_b128 v[1:4], v34
	s_andn2_b32 vcc_lo, exec_lo, s21
	s_cbranch_vccnz .LBB77_16
; %bb.15:
	s_clause 0x3
	buffer_load_dword v35, v33, s[0:3], 0 offen offset:8
	buffer_load_dword v36, v33, s[0:3], 0 offen offset:12
	buffer_load_dword v37, v33, s[0:3], 0 offen
	buffer_load_dword v38, v33, s[0:3], 0 offen offset:4
	s_waitcnt vmcnt(2) lgkmcnt(0)
	v_mul_f64 v[40:41], v[3:4], v[35:36]
	v_mul_f64 v[35:36], v[1:2], v[35:36]
	s_waitcnt vmcnt(0)
	v_fma_f64 v[1:2], v[1:2], v[37:38], -v[40:41]
	v_fma_f64 v[3:4], v[3:4], v[37:38], v[35:36]
.LBB77_16:
	s_and_saveexec_b32 s8, s4
	s_cbranch_execz .LBB77_18
; %bb.17:
	s_clause 0x3
	buffer_load_dword v40, off, s[0:3], 0 offset:200
	buffer_load_dword v41, off, s[0:3], 0 offset:204
	;; [unrolled: 1-line block ×4, first 2 shown]
	v_mov_b32_e32 v35, 0
	ds_read_b128 v[35:38], v35 offset:416
	s_waitcnt vmcnt(2) lgkmcnt(0)
	v_mul_f64 v[44:45], v[35:36], v[40:41]
	v_mul_f64 v[40:41], v[37:38], v[40:41]
	s_waitcnt vmcnt(0)
	v_fma_f64 v[37:38], v[37:38], v[42:43], v[44:45]
	v_fma_f64 v[35:36], v[35:36], v[42:43], -v[40:41]
	v_add_f64 v[3:4], v[3:4], v[37:38]
	v_add_f64 v[1:2], v[1:2], v[35:36]
.LBB77_18:
	s_or_b32 exec_lo, exec_lo, s8
	v_mov_b32_e32 v35, 0
	ds_read_b128 v[35:38], v35 offset:176
	s_waitcnt lgkmcnt(0)
	v_mul_f64 v[40:41], v[3:4], v[37:38]
	v_mul_f64 v[37:38], v[1:2], v[37:38]
	v_fma_f64 v[1:2], v[1:2], v[35:36], -v[40:41]
	v_fma_f64 v[3:4], v[3:4], v[35:36], v[37:38]
	buffer_store_dword v2, off, s[0:3], 0 offset:180
	buffer_store_dword v1, off, s[0:3], 0 offset:176
	;; [unrolled: 1-line block ×4, first 2 shown]
.LBB77_19:
	s_or_b32 exec_lo, exec_lo, s6
	v_mov_b32_e32 v4, s11
	v_cmp_lt_u32_e64 s4, 10, v0
	s_clause 0x3
	buffer_load_dword v1, v4, s[0:3], 0 offen
	buffer_load_dword v2, v4, s[0:3], 0 offen offset:4
	buffer_load_dword v3, v4, s[0:3], 0 offen offset:8
	;; [unrolled: 1-line block ×3, first 2 shown]
	s_waitcnt vmcnt(0)
	ds_write_b128 v34, v[1:4]
	s_waitcnt lgkmcnt(0)
	s_waitcnt_vscnt null, 0x0
	s_barrier
	buffer_gl0_inv
	s_and_saveexec_b32 s6, s4
	s_cbranch_execz .LBB77_27
; %bb.20:
	ds_read_b128 v[1:4], v34
	s_andn2_b32 vcc_lo, exec_lo, s21
	s_cbranch_vccnz .LBB77_22
; %bb.21:
	s_clause 0x3
	buffer_load_dword v35, v33, s[0:3], 0 offen offset:8
	buffer_load_dword v36, v33, s[0:3], 0 offen offset:12
	buffer_load_dword v37, v33, s[0:3], 0 offen
	buffer_load_dword v38, v33, s[0:3], 0 offen offset:4
	s_waitcnt vmcnt(2) lgkmcnt(0)
	v_mul_f64 v[40:41], v[3:4], v[35:36]
	v_mul_f64 v[35:36], v[1:2], v[35:36]
	s_waitcnt vmcnt(0)
	v_fma_f64 v[1:2], v[1:2], v[37:38], -v[40:41]
	v_fma_f64 v[3:4], v[3:4], v[37:38], v[35:36]
.LBB77_22:
	s_and_saveexec_b32 s8, s5
	s_cbranch_execz .LBB77_26
; %bb.23:
	v_add_nc_u32_e32 v35, -11, v0
	s_movk_i32 s22, 0x190
	s_mov_b32 s5, 0
	s_mov_b32 s23, s10
	.p2align	6
.LBB77_24:                              ; =>This Inner Loop Header: Depth=1
	v_mov_b32_e32 v38, s23
	v_add_nc_u32_e32 v35, -1, v35
	s_add_i32 s23, s23, 16
	s_clause 0x3
	buffer_load_dword v36, v38, s[0:3], 0 offen offset:8
	buffer_load_dword v37, v38, s[0:3], 0 offen offset:12
	buffer_load_dword v44, v38, s[0:3], 0 offen
	buffer_load_dword v45, v38, s[0:3], 0 offen offset:4
	v_mov_b32_e32 v38, s22
	v_cmp_eq_u32_e32 vcc_lo, 0, v35
	s_add_i32 s22, s22, 16
	ds_read_b128 v[40:43], v38
	s_or_b32 s5, vcc_lo, s5
	s_waitcnt vmcnt(2) lgkmcnt(0)
	v_mul_f64 v[46:47], v[42:43], v[36:37]
	v_mul_f64 v[36:37], v[40:41], v[36:37]
	s_waitcnt vmcnt(0)
	v_fma_f64 v[40:41], v[40:41], v[44:45], -v[46:47]
	v_fma_f64 v[36:37], v[42:43], v[44:45], v[36:37]
	v_add_f64 v[1:2], v[1:2], v[40:41]
	v_add_f64 v[3:4], v[3:4], v[36:37]
	s_andn2_b32 exec_lo, exec_lo, s5
	s_cbranch_execnz .LBB77_24
; %bb.25:
	s_or_b32 exec_lo, exec_lo, s5
.LBB77_26:
	s_or_b32 exec_lo, exec_lo, s8
	v_mov_b32_e32 v35, 0
	ds_read_b128 v[35:38], v35 offset:160
	s_waitcnt lgkmcnt(0)
	v_mul_f64 v[40:41], v[3:4], v[37:38]
	v_mul_f64 v[37:38], v[1:2], v[37:38]
	v_fma_f64 v[1:2], v[1:2], v[35:36], -v[40:41]
	v_fma_f64 v[3:4], v[3:4], v[35:36], v[37:38]
	buffer_store_dword v2, off, s[0:3], 0 offset:164
	buffer_store_dword v1, off, s[0:3], 0 offset:160
	;; [unrolled: 1-line block ×4, first 2 shown]
.LBB77_27:
	s_or_b32 exec_lo, exec_lo, s6
	v_mov_b32_e32 v4, s12
	v_cmp_lt_u32_e64 s5, 9, v0
	s_clause 0x3
	buffer_load_dword v1, v4, s[0:3], 0 offen
	buffer_load_dword v2, v4, s[0:3], 0 offen offset:4
	buffer_load_dword v3, v4, s[0:3], 0 offen offset:8
	buffer_load_dword v4, v4, s[0:3], 0 offen offset:12
	s_waitcnt vmcnt(0)
	ds_write_b128 v34, v[1:4]
	s_waitcnt lgkmcnt(0)
	s_waitcnt_vscnt null, 0x0
	s_barrier
	buffer_gl0_inv
	s_and_saveexec_b32 s6, s5
	s_cbranch_execz .LBB77_35
; %bb.28:
	ds_read_b128 v[1:4], v34
	s_andn2_b32 vcc_lo, exec_lo, s21
	s_cbranch_vccnz .LBB77_30
; %bb.29:
	s_clause 0x3
	buffer_load_dword v35, v33, s[0:3], 0 offen offset:8
	buffer_load_dword v36, v33, s[0:3], 0 offen offset:12
	buffer_load_dword v37, v33, s[0:3], 0 offen
	buffer_load_dword v38, v33, s[0:3], 0 offen offset:4
	s_waitcnt vmcnt(2) lgkmcnt(0)
	v_mul_f64 v[40:41], v[3:4], v[35:36]
	v_mul_f64 v[35:36], v[1:2], v[35:36]
	s_waitcnt vmcnt(0)
	v_fma_f64 v[1:2], v[1:2], v[37:38], -v[40:41]
	v_fma_f64 v[3:4], v[3:4], v[37:38], v[35:36]
.LBB77_30:
	s_and_saveexec_b32 s8, s4
	s_cbranch_execz .LBB77_34
; %bb.31:
	v_add_nc_u32_e32 v35, -10, v0
	s_movk_i32 s22, 0x180
	s_mov_b32 s4, 0
	s_mov_b32 s23, s11
	.p2align	6
.LBB77_32:                              ; =>This Inner Loop Header: Depth=1
	v_mov_b32_e32 v38, s23
	v_add_nc_u32_e32 v35, -1, v35
	s_add_i32 s23, s23, 16
	s_clause 0x3
	buffer_load_dword v36, v38, s[0:3], 0 offen offset:8
	buffer_load_dword v37, v38, s[0:3], 0 offen offset:12
	buffer_load_dword v44, v38, s[0:3], 0 offen
	buffer_load_dword v45, v38, s[0:3], 0 offen offset:4
	v_mov_b32_e32 v38, s22
	v_cmp_eq_u32_e32 vcc_lo, 0, v35
	s_add_i32 s22, s22, 16
	ds_read_b128 v[40:43], v38
	s_or_b32 s4, vcc_lo, s4
	s_waitcnt vmcnt(2) lgkmcnt(0)
	v_mul_f64 v[46:47], v[42:43], v[36:37]
	v_mul_f64 v[36:37], v[40:41], v[36:37]
	s_waitcnt vmcnt(0)
	v_fma_f64 v[40:41], v[40:41], v[44:45], -v[46:47]
	v_fma_f64 v[36:37], v[42:43], v[44:45], v[36:37]
	v_add_f64 v[1:2], v[1:2], v[40:41]
	v_add_f64 v[3:4], v[3:4], v[36:37]
	s_andn2_b32 exec_lo, exec_lo, s4
	s_cbranch_execnz .LBB77_32
; %bb.33:
	s_or_b32 exec_lo, exec_lo, s4
.LBB77_34:
	s_or_b32 exec_lo, exec_lo, s8
	v_mov_b32_e32 v35, 0
	ds_read_b128 v[35:38], v35 offset:144
	s_waitcnt lgkmcnt(0)
	v_mul_f64 v[40:41], v[3:4], v[37:38]
	v_mul_f64 v[37:38], v[1:2], v[37:38]
	v_fma_f64 v[1:2], v[1:2], v[35:36], -v[40:41]
	v_fma_f64 v[3:4], v[3:4], v[35:36], v[37:38]
	buffer_store_dword v2, off, s[0:3], 0 offset:148
	buffer_store_dword v1, off, s[0:3], 0 offset:144
	;; [unrolled: 1-line block ×4, first 2 shown]
.LBB77_35:
	s_or_b32 exec_lo, exec_lo, s6
	v_mov_b32_e32 v4, s13
	v_cmp_lt_u32_e64 s4, 8, v0
	s_clause 0x3
	buffer_load_dword v1, v4, s[0:3], 0 offen
	buffer_load_dword v2, v4, s[0:3], 0 offen offset:4
	buffer_load_dword v3, v4, s[0:3], 0 offen offset:8
	;; [unrolled: 1-line block ×3, first 2 shown]
	s_waitcnt vmcnt(0)
	ds_write_b128 v34, v[1:4]
	s_waitcnt lgkmcnt(0)
	s_waitcnt_vscnt null, 0x0
	s_barrier
	buffer_gl0_inv
	s_and_saveexec_b32 s6, s4
	s_cbranch_execz .LBB77_43
; %bb.36:
	ds_read_b128 v[1:4], v34
	s_andn2_b32 vcc_lo, exec_lo, s21
	s_cbranch_vccnz .LBB77_38
; %bb.37:
	s_clause 0x3
	buffer_load_dword v35, v33, s[0:3], 0 offen offset:8
	buffer_load_dword v36, v33, s[0:3], 0 offen offset:12
	buffer_load_dword v37, v33, s[0:3], 0 offen
	buffer_load_dword v38, v33, s[0:3], 0 offen offset:4
	s_waitcnt vmcnt(2) lgkmcnt(0)
	v_mul_f64 v[40:41], v[3:4], v[35:36]
	v_mul_f64 v[35:36], v[1:2], v[35:36]
	s_waitcnt vmcnt(0)
	v_fma_f64 v[1:2], v[1:2], v[37:38], -v[40:41]
	v_fma_f64 v[3:4], v[3:4], v[37:38], v[35:36]
.LBB77_38:
	s_and_saveexec_b32 s8, s5
	s_cbranch_execz .LBB77_42
; %bb.39:
	v_add_nc_u32_e32 v35, -9, v0
	s_movk_i32 s22, 0x170
	s_mov_b32 s5, 0
	s_mov_b32 s23, s12
	.p2align	6
.LBB77_40:                              ; =>This Inner Loop Header: Depth=1
	v_mov_b32_e32 v38, s23
	v_add_nc_u32_e32 v35, -1, v35
	s_add_i32 s23, s23, 16
	s_clause 0x3
	buffer_load_dword v36, v38, s[0:3], 0 offen offset:8
	buffer_load_dword v37, v38, s[0:3], 0 offen offset:12
	buffer_load_dword v44, v38, s[0:3], 0 offen
	buffer_load_dword v45, v38, s[0:3], 0 offen offset:4
	v_mov_b32_e32 v38, s22
	v_cmp_eq_u32_e32 vcc_lo, 0, v35
	s_add_i32 s22, s22, 16
	ds_read_b128 v[40:43], v38
	s_or_b32 s5, vcc_lo, s5
	s_waitcnt vmcnt(2) lgkmcnt(0)
	v_mul_f64 v[46:47], v[42:43], v[36:37]
	v_mul_f64 v[36:37], v[40:41], v[36:37]
	s_waitcnt vmcnt(0)
	v_fma_f64 v[40:41], v[40:41], v[44:45], -v[46:47]
	v_fma_f64 v[36:37], v[42:43], v[44:45], v[36:37]
	v_add_f64 v[1:2], v[1:2], v[40:41]
	v_add_f64 v[3:4], v[3:4], v[36:37]
	s_andn2_b32 exec_lo, exec_lo, s5
	s_cbranch_execnz .LBB77_40
; %bb.41:
	s_or_b32 exec_lo, exec_lo, s5
.LBB77_42:
	s_or_b32 exec_lo, exec_lo, s8
	v_mov_b32_e32 v35, 0
	ds_read_b128 v[35:38], v35 offset:128
	s_waitcnt lgkmcnt(0)
	v_mul_f64 v[40:41], v[3:4], v[37:38]
	v_mul_f64 v[37:38], v[1:2], v[37:38]
	v_fma_f64 v[1:2], v[1:2], v[35:36], -v[40:41]
	v_fma_f64 v[3:4], v[3:4], v[35:36], v[37:38]
	buffer_store_dword v2, off, s[0:3], 0 offset:132
	buffer_store_dword v1, off, s[0:3], 0 offset:128
	;; [unrolled: 1-line block ×4, first 2 shown]
.LBB77_43:
	s_or_b32 exec_lo, exec_lo, s6
	v_mov_b32_e32 v4, s14
	v_cmp_lt_u32_e64 s5, 7, v0
	s_clause 0x3
	buffer_load_dword v1, v4, s[0:3], 0 offen
	buffer_load_dword v2, v4, s[0:3], 0 offen offset:4
	buffer_load_dword v3, v4, s[0:3], 0 offen offset:8
	;; [unrolled: 1-line block ×3, first 2 shown]
	s_waitcnt vmcnt(0)
	ds_write_b128 v34, v[1:4]
	s_waitcnt lgkmcnt(0)
	s_waitcnt_vscnt null, 0x0
	s_barrier
	buffer_gl0_inv
	s_and_saveexec_b32 s6, s5
	s_cbranch_execz .LBB77_51
; %bb.44:
	ds_read_b128 v[1:4], v34
	s_andn2_b32 vcc_lo, exec_lo, s21
	s_cbranch_vccnz .LBB77_46
; %bb.45:
	s_clause 0x3
	buffer_load_dword v35, v33, s[0:3], 0 offen offset:8
	buffer_load_dword v36, v33, s[0:3], 0 offen offset:12
	buffer_load_dword v37, v33, s[0:3], 0 offen
	buffer_load_dword v38, v33, s[0:3], 0 offen offset:4
	s_waitcnt vmcnt(2) lgkmcnt(0)
	v_mul_f64 v[40:41], v[3:4], v[35:36]
	v_mul_f64 v[35:36], v[1:2], v[35:36]
	s_waitcnt vmcnt(0)
	v_fma_f64 v[1:2], v[1:2], v[37:38], -v[40:41]
	v_fma_f64 v[3:4], v[3:4], v[37:38], v[35:36]
.LBB77_46:
	s_and_saveexec_b32 s8, s4
	s_cbranch_execz .LBB77_50
; %bb.47:
	v_add_nc_u32_e32 v35, -8, v0
	s_movk_i32 s22, 0x160
	s_mov_b32 s4, 0
	s_mov_b32 s23, s13
	.p2align	6
.LBB77_48:                              ; =>This Inner Loop Header: Depth=1
	v_mov_b32_e32 v38, s23
	v_add_nc_u32_e32 v35, -1, v35
	s_add_i32 s23, s23, 16
	s_clause 0x3
	buffer_load_dword v36, v38, s[0:3], 0 offen offset:8
	buffer_load_dword v37, v38, s[0:3], 0 offen offset:12
	buffer_load_dword v44, v38, s[0:3], 0 offen
	buffer_load_dword v45, v38, s[0:3], 0 offen offset:4
	v_mov_b32_e32 v38, s22
	v_cmp_eq_u32_e32 vcc_lo, 0, v35
	s_add_i32 s22, s22, 16
	ds_read_b128 v[40:43], v38
	s_or_b32 s4, vcc_lo, s4
	s_waitcnt vmcnt(2) lgkmcnt(0)
	v_mul_f64 v[46:47], v[42:43], v[36:37]
	v_mul_f64 v[36:37], v[40:41], v[36:37]
	s_waitcnt vmcnt(0)
	v_fma_f64 v[40:41], v[40:41], v[44:45], -v[46:47]
	v_fma_f64 v[36:37], v[42:43], v[44:45], v[36:37]
	v_add_f64 v[1:2], v[1:2], v[40:41]
	v_add_f64 v[3:4], v[3:4], v[36:37]
	s_andn2_b32 exec_lo, exec_lo, s4
	s_cbranch_execnz .LBB77_48
; %bb.49:
	s_or_b32 exec_lo, exec_lo, s4
.LBB77_50:
	s_or_b32 exec_lo, exec_lo, s8
	v_mov_b32_e32 v35, 0
	ds_read_b128 v[35:38], v35 offset:112
	s_waitcnt lgkmcnt(0)
	v_mul_f64 v[40:41], v[3:4], v[37:38]
	v_mul_f64 v[37:38], v[1:2], v[37:38]
	v_fma_f64 v[1:2], v[1:2], v[35:36], -v[40:41]
	v_fma_f64 v[3:4], v[3:4], v[35:36], v[37:38]
	buffer_store_dword v2, off, s[0:3], 0 offset:116
	buffer_store_dword v1, off, s[0:3], 0 offset:112
	;; [unrolled: 1-line block ×4, first 2 shown]
.LBB77_51:
	s_or_b32 exec_lo, exec_lo, s6
	v_mov_b32_e32 v4, s15
	v_cmp_lt_u32_e64 s4, 6, v0
	s_clause 0x3
	buffer_load_dword v1, v4, s[0:3], 0 offen
	buffer_load_dword v2, v4, s[0:3], 0 offen offset:4
	buffer_load_dword v3, v4, s[0:3], 0 offen offset:8
	;; [unrolled: 1-line block ×3, first 2 shown]
	s_waitcnt vmcnt(0)
	ds_write_b128 v34, v[1:4]
	s_waitcnt lgkmcnt(0)
	s_waitcnt_vscnt null, 0x0
	s_barrier
	buffer_gl0_inv
	s_and_saveexec_b32 s6, s4
	s_cbranch_execz .LBB77_59
; %bb.52:
	ds_read_b128 v[1:4], v34
	s_andn2_b32 vcc_lo, exec_lo, s21
	s_cbranch_vccnz .LBB77_54
; %bb.53:
	s_clause 0x3
	buffer_load_dword v35, v33, s[0:3], 0 offen offset:8
	buffer_load_dword v36, v33, s[0:3], 0 offen offset:12
	buffer_load_dword v37, v33, s[0:3], 0 offen
	buffer_load_dword v38, v33, s[0:3], 0 offen offset:4
	s_waitcnt vmcnt(2) lgkmcnt(0)
	v_mul_f64 v[40:41], v[3:4], v[35:36]
	v_mul_f64 v[35:36], v[1:2], v[35:36]
	s_waitcnt vmcnt(0)
	v_fma_f64 v[1:2], v[1:2], v[37:38], -v[40:41]
	v_fma_f64 v[3:4], v[3:4], v[37:38], v[35:36]
.LBB77_54:
	s_and_saveexec_b32 s8, s5
	s_cbranch_execz .LBB77_58
; %bb.55:
	v_add_nc_u32_e32 v35, -7, v0
	s_movk_i32 s22, 0x150
	s_mov_b32 s5, 0
	s_mov_b32 s23, s14
	.p2align	6
.LBB77_56:                              ; =>This Inner Loop Header: Depth=1
	v_mov_b32_e32 v38, s23
	v_add_nc_u32_e32 v35, -1, v35
	s_add_i32 s23, s23, 16
	s_clause 0x3
	buffer_load_dword v36, v38, s[0:3], 0 offen offset:8
	buffer_load_dword v37, v38, s[0:3], 0 offen offset:12
	buffer_load_dword v44, v38, s[0:3], 0 offen
	buffer_load_dword v45, v38, s[0:3], 0 offen offset:4
	v_mov_b32_e32 v38, s22
	v_cmp_eq_u32_e32 vcc_lo, 0, v35
	s_add_i32 s22, s22, 16
	ds_read_b128 v[40:43], v38
	s_or_b32 s5, vcc_lo, s5
	s_waitcnt vmcnt(2) lgkmcnt(0)
	v_mul_f64 v[46:47], v[42:43], v[36:37]
	v_mul_f64 v[36:37], v[40:41], v[36:37]
	s_waitcnt vmcnt(0)
	v_fma_f64 v[40:41], v[40:41], v[44:45], -v[46:47]
	v_fma_f64 v[36:37], v[42:43], v[44:45], v[36:37]
	v_add_f64 v[1:2], v[1:2], v[40:41]
	v_add_f64 v[3:4], v[3:4], v[36:37]
	s_andn2_b32 exec_lo, exec_lo, s5
	s_cbranch_execnz .LBB77_56
; %bb.57:
	s_or_b32 exec_lo, exec_lo, s5
.LBB77_58:
	s_or_b32 exec_lo, exec_lo, s8
	v_mov_b32_e32 v35, 0
	ds_read_b128 v[35:38], v35 offset:96
	s_waitcnt lgkmcnt(0)
	v_mul_f64 v[40:41], v[3:4], v[37:38]
	v_mul_f64 v[37:38], v[1:2], v[37:38]
	v_fma_f64 v[1:2], v[1:2], v[35:36], -v[40:41]
	v_fma_f64 v[3:4], v[3:4], v[35:36], v[37:38]
	buffer_store_dword v2, off, s[0:3], 0 offset:100
	buffer_store_dword v1, off, s[0:3], 0 offset:96
	;; [unrolled: 1-line block ×4, first 2 shown]
.LBB77_59:
	s_or_b32 exec_lo, exec_lo, s6
	v_mov_b32_e32 v4, s16
	v_cmp_lt_u32_e64 s5, 5, v0
	s_clause 0x3
	buffer_load_dword v1, v4, s[0:3], 0 offen
	buffer_load_dword v2, v4, s[0:3], 0 offen offset:4
	buffer_load_dword v3, v4, s[0:3], 0 offen offset:8
	;; [unrolled: 1-line block ×3, first 2 shown]
	s_waitcnt vmcnt(0)
	ds_write_b128 v34, v[1:4]
	s_waitcnt lgkmcnt(0)
	s_waitcnt_vscnt null, 0x0
	s_barrier
	buffer_gl0_inv
	s_and_saveexec_b32 s6, s5
	s_cbranch_execz .LBB77_67
; %bb.60:
	ds_read_b128 v[1:4], v34
	s_andn2_b32 vcc_lo, exec_lo, s21
	s_cbranch_vccnz .LBB77_62
; %bb.61:
	s_clause 0x3
	buffer_load_dword v35, v33, s[0:3], 0 offen offset:8
	buffer_load_dword v36, v33, s[0:3], 0 offen offset:12
	buffer_load_dword v37, v33, s[0:3], 0 offen
	buffer_load_dword v38, v33, s[0:3], 0 offen offset:4
	s_waitcnt vmcnt(2) lgkmcnt(0)
	v_mul_f64 v[40:41], v[3:4], v[35:36]
	v_mul_f64 v[35:36], v[1:2], v[35:36]
	s_waitcnt vmcnt(0)
	v_fma_f64 v[1:2], v[1:2], v[37:38], -v[40:41]
	v_fma_f64 v[3:4], v[3:4], v[37:38], v[35:36]
.LBB77_62:
	s_and_saveexec_b32 s8, s4
	s_cbranch_execz .LBB77_66
; %bb.63:
	v_add_nc_u32_e32 v35, -6, v0
	s_movk_i32 s22, 0x140
	s_mov_b32 s4, 0
	s_mov_b32 s23, s15
	.p2align	6
.LBB77_64:                              ; =>This Inner Loop Header: Depth=1
	v_mov_b32_e32 v38, s23
	v_add_nc_u32_e32 v35, -1, v35
	s_add_i32 s23, s23, 16
	s_clause 0x3
	buffer_load_dword v36, v38, s[0:3], 0 offen offset:8
	buffer_load_dword v37, v38, s[0:3], 0 offen offset:12
	buffer_load_dword v44, v38, s[0:3], 0 offen
	buffer_load_dword v45, v38, s[0:3], 0 offen offset:4
	v_mov_b32_e32 v38, s22
	v_cmp_eq_u32_e32 vcc_lo, 0, v35
	s_add_i32 s22, s22, 16
	ds_read_b128 v[40:43], v38
	s_or_b32 s4, vcc_lo, s4
	s_waitcnt vmcnt(2) lgkmcnt(0)
	v_mul_f64 v[46:47], v[42:43], v[36:37]
	v_mul_f64 v[36:37], v[40:41], v[36:37]
	s_waitcnt vmcnt(0)
	v_fma_f64 v[40:41], v[40:41], v[44:45], -v[46:47]
	v_fma_f64 v[36:37], v[42:43], v[44:45], v[36:37]
	v_add_f64 v[1:2], v[1:2], v[40:41]
	v_add_f64 v[3:4], v[3:4], v[36:37]
	s_andn2_b32 exec_lo, exec_lo, s4
	s_cbranch_execnz .LBB77_64
; %bb.65:
	s_or_b32 exec_lo, exec_lo, s4
.LBB77_66:
	s_or_b32 exec_lo, exec_lo, s8
	v_mov_b32_e32 v35, 0
	ds_read_b128 v[35:38], v35 offset:80
	s_waitcnt lgkmcnt(0)
	v_mul_f64 v[40:41], v[3:4], v[37:38]
	v_mul_f64 v[37:38], v[1:2], v[37:38]
	v_fma_f64 v[1:2], v[1:2], v[35:36], -v[40:41]
	v_fma_f64 v[3:4], v[3:4], v[35:36], v[37:38]
	buffer_store_dword v2, off, s[0:3], 0 offset:84
	buffer_store_dword v1, off, s[0:3], 0 offset:80
	;; [unrolled: 1-line block ×4, first 2 shown]
.LBB77_67:
	s_or_b32 exec_lo, exec_lo, s6
	v_mov_b32_e32 v4, s17
	v_cmp_lt_u32_e64 s4, 4, v0
	s_clause 0x3
	buffer_load_dword v1, v4, s[0:3], 0 offen
	buffer_load_dword v2, v4, s[0:3], 0 offen offset:4
	buffer_load_dword v3, v4, s[0:3], 0 offen offset:8
	;; [unrolled: 1-line block ×3, first 2 shown]
	s_waitcnt vmcnt(0)
	ds_write_b128 v34, v[1:4]
	s_waitcnt lgkmcnt(0)
	s_waitcnt_vscnt null, 0x0
	s_barrier
	buffer_gl0_inv
	s_and_saveexec_b32 s6, s4
	s_cbranch_execz .LBB77_75
; %bb.68:
	ds_read_b128 v[1:4], v34
	s_andn2_b32 vcc_lo, exec_lo, s21
	s_cbranch_vccnz .LBB77_70
; %bb.69:
	s_clause 0x3
	buffer_load_dword v35, v33, s[0:3], 0 offen offset:8
	buffer_load_dword v36, v33, s[0:3], 0 offen offset:12
	buffer_load_dword v37, v33, s[0:3], 0 offen
	buffer_load_dword v38, v33, s[0:3], 0 offen offset:4
	s_waitcnt vmcnt(2) lgkmcnt(0)
	v_mul_f64 v[40:41], v[3:4], v[35:36]
	v_mul_f64 v[35:36], v[1:2], v[35:36]
	s_waitcnt vmcnt(0)
	v_fma_f64 v[1:2], v[1:2], v[37:38], -v[40:41]
	v_fma_f64 v[3:4], v[3:4], v[37:38], v[35:36]
.LBB77_70:
	s_and_saveexec_b32 s8, s5
	s_cbranch_execz .LBB77_74
; %bb.71:
	v_add_nc_u32_e32 v35, -5, v0
	s_movk_i32 s22, 0x130
	s_mov_b32 s5, 0
	s_mov_b32 s23, s16
	.p2align	6
.LBB77_72:                              ; =>This Inner Loop Header: Depth=1
	v_mov_b32_e32 v38, s23
	v_add_nc_u32_e32 v35, -1, v35
	s_add_i32 s23, s23, 16
	s_clause 0x3
	buffer_load_dword v36, v38, s[0:3], 0 offen offset:8
	buffer_load_dword v37, v38, s[0:3], 0 offen offset:12
	buffer_load_dword v44, v38, s[0:3], 0 offen
	buffer_load_dword v45, v38, s[0:3], 0 offen offset:4
	v_mov_b32_e32 v38, s22
	v_cmp_eq_u32_e32 vcc_lo, 0, v35
	s_add_i32 s22, s22, 16
	ds_read_b128 v[40:43], v38
	s_or_b32 s5, vcc_lo, s5
	s_waitcnt vmcnt(2) lgkmcnt(0)
	v_mul_f64 v[46:47], v[42:43], v[36:37]
	v_mul_f64 v[36:37], v[40:41], v[36:37]
	s_waitcnt vmcnt(0)
	v_fma_f64 v[40:41], v[40:41], v[44:45], -v[46:47]
	v_fma_f64 v[36:37], v[42:43], v[44:45], v[36:37]
	v_add_f64 v[1:2], v[1:2], v[40:41]
	v_add_f64 v[3:4], v[3:4], v[36:37]
	s_andn2_b32 exec_lo, exec_lo, s5
	s_cbranch_execnz .LBB77_72
; %bb.73:
	s_or_b32 exec_lo, exec_lo, s5
.LBB77_74:
	s_or_b32 exec_lo, exec_lo, s8
	v_mov_b32_e32 v35, 0
	ds_read_b128 v[35:38], v35 offset:64
	s_waitcnt lgkmcnt(0)
	v_mul_f64 v[40:41], v[3:4], v[37:38]
	v_mul_f64 v[37:38], v[1:2], v[37:38]
	v_fma_f64 v[1:2], v[1:2], v[35:36], -v[40:41]
	v_fma_f64 v[3:4], v[3:4], v[35:36], v[37:38]
	buffer_store_dword v2, off, s[0:3], 0 offset:68
	buffer_store_dword v1, off, s[0:3], 0 offset:64
	;; [unrolled: 1-line block ×4, first 2 shown]
.LBB77_75:
	s_or_b32 exec_lo, exec_lo, s6
	v_mov_b32_e32 v4, s18
	v_cmp_lt_u32_e64 s5, 3, v0
	s_clause 0x3
	buffer_load_dword v1, v4, s[0:3], 0 offen
	buffer_load_dword v2, v4, s[0:3], 0 offen offset:4
	buffer_load_dword v3, v4, s[0:3], 0 offen offset:8
	;; [unrolled: 1-line block ×3, first 2 shown]
	s_waitcnt vmcnt(0)
	ds_write_b128 v34, v[1:4]
	s_waitcnt lgkmcnt(0)
	s_waitcnt_vscnt null, 0x0
	s_barrier
	buffer_gl0_inv
	s_and_saveexec_b32 s6, s5
	s_cbranch_execz .LBB77_83
; %bb.76:
	ds_read_b128 v[1:4], v34
	s_andn2_b32 vcc_lo, exec_lo, s21
	s_cbranch_vccnz .LBB77_78
; %bb.77:
	s_clause 0x3
	buffer_load_dword v35, v33, s[0:3], 0 offen offset:8
	buffer_load_dword v36, v33, s[0:3], 0 offen offset:12
	buffer_load_dword v37, v33, s[0:3], 0 offen
	buffer_load_dword v38, v33, s[0:3], 0 offen offset:4
	s_waitcnt vmcnt(2) lgkmcnt(0)
	v_mul_f64 v[40:41], v[3:4], v[35:36]
	v_mul_f64 v[35:36], v[1:2], v[35:36]
	s_waitcnt vmcnt(0)
	v_fma_f64 v[1:2], v[1:2], v[37:38], -v[40:41]
	v_fma_f64 v[3:4], v[3:4], v[37:38], v[35:36]
.LBB77_78:
	s_and_saveexec_b32 s8, s4
	s_cbranch_execz .LBB77_82
; %bb.79:
	v_add_nc_u32_e32 v35, -4, v0
	s_movk_i32 s22, 0x120
	s_mov_b32 s4, 0
	s_mov_b32 s23, s17
	.p2align	6
.LBB77_80:                              ; =>This Inner Loop Header: Depth=1
	v_mov_b32_e32 v38, s23
	v_add_nc_u32_e32 v35, -1, v35
	s_add_i32 s23, s23, 16
	s_clause 0x3
	buffer_load_dword v36, v38, s[0:3], 0 offen offset:8
	buffer_load_dword v37, v38, s[0:3], 0 offen offset:12
	buffer_load_dword v44, v38, s[0:3], 0 offen
	buffer_load_dword v45, v38, s[0:3], 0 offen offset:4
	v_mov_b32_e32 v38, s22
	v_cmp_eq_u32_e32 vcc_lo, 0, v35
	s_add_i32 s22, s22, 16
	ds_read_b128 v[40:43], v38
	s_or_b32 s4, vcc_lo, s4
	s_waitcnt vmcnt(2) lgkmcnt(0)
	v_mul_f64 v[46:47], v[42:43], v[36:37]
	v_mul_f64 v[36:37], v[40:41], v[36:37]
	s_waitcnt vmcnt(0)
	v_fma_f64 v[40:41], v[40:41], v[44:45], -v[46:47]
	v_fma_f64 v[36:37], v[42:43], v[44:45], v[36:37]
	v_add_f64 v[1:2], v[1:2], v[40:41]
	v_add_f64 v[3:4], v[3:4], v[36:37]
	s_andn2_b32 exec_lo, exec_lo, s4
	s_cbranch_execnz .LBB77_80
; %bb.81:
	s_or_b32 exec_lo, exec_lo, s4
.LBB77_82:
	s_or_b32 exec_lo, exec_lo, s8
	v_mov_b32_e32 v35, 0
	ds_read_b128 v[35:38], v35 offset:48
	s_waitcnt lgkmcnt(0)
	v_mul_f64 v[40:41], v[3:4], v[37:38]
	v_mul_f64 v[37:38], v[1:2], v[37:38]
	v_fma_f64 v[1:2], v[1:2], v[35:36], -v[40:41]
	v_fma_f64 v[3:4], v[3:4], v[35:36], v[37:38]
	buffer_store_dword v2, off, s[0:3], 0 offset:52
	buffer_store_dword v1, off, s[0:3], 0 offset:48
	;; [unrolled: 1-line block ×4, first 2 shown]
.LBB77_83:
	s_or_b32 exec_lo, exec_lo, s6
	v_mov_b32_e32 v4, s19
	v_cmp_lt_u32_e64 s6, 2, v0
	s_clause 0x3
	buffer_load_dword v1, v4, s[0:3], 0 offen
	buffer_load_dword v2, v4, s[0:3], 0 offen offset:4
	buffer_load_dword v3, v4, s[0:3], 0 offen offset:8
	buffer_load_dword v4, v4, s[0:3], 0 offen offset:12
	s_waitcnt vmcnt(0)
	ds_write_b128 v34, v[1:4]
	s_waitcnt lgkmcnt(0)
	s_waitcnt_vscnt null, 0x0
	s_barrier
	buffer_gl0_inv
	s_and_saveexec_b32 s4, s6
	s_cbranch_execz .LBB77_91
; %bb.84:
	ds_read_b128 v[1:4], v34
	s_andn2_b32 vcc_lo, exec_lo, s21
	s_cbranch_vccnz .LBB77_86
; %bb.85:
	s_clause 0x3
	buffer_load_dword v35, v33, s[0:3], 0 offen offset:8
	buffer_load_dword v36, v33, s[0:3], 0 offen offset:12
	buffer_load_dword v37, v33, s[0:3], 0 offen
	buffer_load_dword v38, v33, s[0:3], 0 offen offset:4
	s_waitcnt vmcnt(2) lgkmcnt(0)
	v_mul_f64 v[40:41], v[3:4], v[35:36]
	v_mul_f64 v[35:36], v[1:2], v[35:36]
	s_waitcnt vmcnt(0)
	v_fma_f64 v[1:2], v[1:2], v[37:38], -v[40:41]
	v_fma_f64 v[3:4], v[3:4], v[37:38], v[35:36]
.LBB77_86:
	s_and_saveexec_b32 s8, s5
	s_cbranch_execz .LBB77_90
; %bb.87:
	v_add_nc_u32_e32 v35, -3, v0
	s_movk_i32 s22, 0x110
	s_mov_b32 s5, 0
	s_mov_b32 s23, s18
	.p2align	6
.LBB77_88:                              ; =>This Inner Loop Header: Depth=1
	v_mov_b32_e32 v38, s23
	v_add_nc_u32_e32 v35, -1, v35
	s_add_i32 s23, s23, 16
	s_clause 0x3
	buffer_load_dword v36, v38, s[0:3], 0 offen offset:8
	buffer_load_dword v37, v38, s[0:3], 0 offen offset:12
	buffer_load_dword v44, v38, s[0:3], 0 offen
	buffer_load_dword v45, v38, s[0:3], 0 offen offset:4
	v_mov_b32_e32 v38, s22
	v_cmp_eq_u32_e32 vcc_lo, 0, v35
	s_add_i32 s22, s22, 16
	ds_read_b128 v[40:43], v38
	s_or_b32 s5, vcc_lo, s5
	s_waitcnt vmcnt(2) lgkmcnt(0)
	v_mul_f64 v[46:47], v[42:43], v[36:37]
	v_mul_f64 v[36:37], v[40:41], v[36:37]
	s_waitcnt vmcnt(0)
	v_fma_f64 v[40:41], v[40:41], v[44:45], -v[46:47]
	v_fma_f64 v[36:37], v[42:43], v[44:45], v[36:37]
	v_add_f64 v[1:2], v[1:2], v[40:41]
	v_add_f64 v[3:4], v[3:4], v[36:37]
	s_andn2_b32 exec_lo, exec_lo, s5
	s_cbranch_execnz .LBB77_88
; %bb.89:
	s_or_b32 exec_lo, exec_lo, s5
.LBB77_90:
	s_or_b32 exec_lo, exec_lo, s8
	v_mov_b32_e32 v35, 0
	ds_read_b128 v[35:38], v35 offset:32
	s_waitcnt lgkmcnt(0)
	v_mul_f64 v[40:41], v[3:4], v[37:38]
	v_mul_f64 v[37:38], v[1:2], v[37:38]
	v_fma_f64 v[1:2], v[1:2], v[35:36], -v[40:41]
	v_fma_f64 v[3:4], v[3:4], v[35:36], v[37:38]
	buffer_store_dword v2, off, s[0:3], 0 offset:36
	buffer_store_dword v1, off, s[0:3], 0 offset:32
	;; [unrolled: 1-line block ×4, first 2 shown]
.LBB77_91:
	s_or_b32 exec_lo, exec_lo, s4
	v_mov_b32_e32 v4, s20
	v_cmp_lt_u32_e64 s4, 1, v0
	s_clause 0x3
	buffer_load_dword v1, v4, s[0:3], 0 offen
	buffer_load_dword v2, v4, s[0:3], 0 offen offset:4
	buffer_load_dword v3, v4, s[0:3], 0 offen offset:8
	;; [unrolled: 1-line block ×3, first 2 shown]
	s_waitcnt vmcnt(0)
	ds_write_b128 v34, v[1:4]
	s_waitcnt lgkmcnt(0)
	s_waitcnt_vscnt null, 0x0
	s_barrier
	buffer_gl0_inv
	s_and_saveexec_b32 s5, s4
	s_cbranch_execz .LBB77_99
; %bb.92:
	ds_read_b128 v[1:4], v34
	s_andn2_b32 vcc_lo, exec_lo, s21
	s_cbranch_vccnz .LBB77_94
; %bb.93:
	s_clause 0x3
	buffer_load_dword v35, v33, s[0:3], 0 offen offset:8
	buffer_load_dword v36, v33, s[0:3], 0 offen offset:12
	buffer_load_dword v37, v33, s[0:3], 0 offen
	buffer_load_dword v38, v33, s[0:3], 0 offen offset:4
	s_waitcnt vmcnt(2) lgkmcnt(0)
	v_mul_f64 v[40:41], v[3:4], v[35:36]
	v_mul_f64 v[35:36], v[1:2], v[35:36]
	s_waitcnt vmcnt(0)
	v_fma_f64 v[1:2], v[1:2], v[37:38], -v[40:41]
	v_fma_f64 v[3:4], v[3:4], v[37:38], v[35:36]
.LBB77_94:
	s_and_saveexec_b32 s8, s6
	s_cbranch_execz .LBB77_98
; %bb.95:
	v_add_nc_u32_e32 v35, -2, v0
	s_movk_i32 s22, 0x100
	s_mov_b32 s6, 0
	s_mov_b32 s23, s19
	.p2align	6
.LBB77_96:                              ; =>This Inner Loop Header: Depth=1
	v_mov_b32_e32 v38, s23
	v_add_nc_u32_e32 v35, -1, v35
	s_add_i32 s23, s23, 16
	s_clause 0x3
	buffer_load_dword v36, v38, s[0:3], 0 offen offset:8
	buffer_load_dword v37, v38, s[0:3], 0 offen offset:12
	buffer_load_dword v44, v38, s[0:3], 0 offen
	buffer_load_dword v45, v38, s[0:3], 0 offen offset:4
	v_mov_b32_e32 v38, s22
	v_cmp_eq_u32_e32 vcc_lo, 0, v35
	s_add_i32 s22, s22, 16
	ds_read_b128 v[40:43], v38
	s_or_b32 s6, vcc_lo, s6
	s_waitcnt vmcnt(2) lgkmcnt(0)
	v_mul_f64 v[46:47], v[42:43], v[36:37]
	v_mul_f64 v[36:37], v[40:41], v[36:37]
	s_waitcnt vmcnt(0)
	v_fma_f64 v[40:41], v[40:41], v[44:45], -v[46:47]
	v_fma_f64 v[36:37], v[42:43], v[44:45], v[36:37]
	v_add_f64 v[1:2], v[1:2], v[40:41]
	v_add_f64 v[3:4], v[3:4], v[36:37]
	s_andn2_b32 exec_lo, exec_lo, s6
	s_cbranch_execnz .LBB77_96
; %bb.97:
	s_or_b32 exec_lo, exec_lo, s6
.LBB77_98:
	s_or_b32 exec_lo, exec_lo, s8
	v_mov_b32_e32 v35, 0
	ds_read_b128 v[35:38], v35 offset:16
	s_waitcnt lgkmcnt(0)
	v_mul_f64 v[40:41], v[3:4], v[37:38]
	v_mul_f64 v[37:38], v[1:2], v[37:38]
	v_fma_f64 v[1:2], v[1:2], v[35:36], -v[40:41]
	v_fma_f64 v[3:4], v[3:4], v[35:36], v[37:38]
	buffer_store_dword v2, off, s[0:3], 0 offset:20
	buffer_store_dword v1, off, s[0:3], 0 offset:16
	;; [unrolled: 1-line block ×4, first 2 shown]
.LBB77_99:
	s_or_b32 exec_lo, exec_lo, s5
	s_clause 0x3
	buffer_load_dword v1, off, s[0:3], 0
	buffer_load_dword v2, off, s[0:3], 0 offset:4
	buffer_load_dword v3, off, s[0:3], 0 offset:8
	;; [unrolled: 1-line block ×3, first 2 shown]
	s_mov_b32 s6, 0
	s_mov_b32 s5, 0
	s_mov_b32 s8, exec_lo
                                        ; implicit-def: $sgpr22
	s_waitcnt vmcnt(0)
	ds_write_b128 v34, v[1:4]
	s_waitcnt lgkmcnt(0)
	s_waitcnt_vscnt null, 0x0
	s_barrier
	buffer_gl0_inv
                                        ; implicit-def: $vgpr1_vgpr2
	v_cmpx_ne_u32_e32 0, v0
	s_cbranch_execz .LBB77_107
; %bb.100:
	ds_read_b128 v[1:4], v34
	s_andn2_b32 vcc_lo, exec_lo, s21
	s_cbranch_vccnz .LBB77_102
; %bb.101:
	s_clause 0x3
	buffer_load_dword v35, v33, s[0:3], 0 offen offset:8
	buffer_load_dword v36, v33, s[0:3], 0 offen offset:12
	buffer_load_dword v37, v33, s[0:3], 0 offen
	buffer_load_dword v38, v33, s[0:3], 0 offen offset:4
	s_waitcnt vmcnt(2) lgkmcnt(0)
	v_mul_f64 v[40:41], v[3:4], v[35:36]
	v_mul_f64 v[35:36], v[1:2], v[35:36]
	s_waitcnt vmcnt(0)
	v_fma_f64 v[1:2], v[1:2], v[37:38], -v[40:41]
	v_fma_f64 v[3:4], v[3:4], v[37:38], v[35:36]
.LBB77_102:
	s_and_saveexec_b32 s5, s4
	s_cbranch_execz .LBB77_106
; %bb.103:
	v_add_nc_u32_e32 v35, -1, v0
	s_movk_i32 s22, 0xf0
	s_mov_b32 s4, 0
	s_mov_b32 s23, s20
	.p2align	6
.LBB77_104:                             ; =>This Inner Loop Header: Depth=1
	v_mov_b32_e32 v38, s23
	v_add_nc_u32_e32 v35, -1, v35
	s_add_i32 s23, s23, 16
	s_clause 0x3
	buffer_load_dword v36, v38, s[0:3], 0 offen offset:8
	buffer_load_dword v37, v38, s[0:3], 0 offen offset:12
	buffer_load_dword v44, v38, s[0:3], 0 offen
	buffer_load_dword v45, v38, s[0:3], 0 offen offset:4
	v_mov_b32_e32 v38, s22
	v_cmp_eq_u32_e32 vcc_lo, 0, v35
	s_add_i32 s22, s22, 16
	ds_read_b128 v[40:43], v38
	s_or_b32 s4, vcc_lo, s4
	s_waitcnt vmcnt(2) lgkmcnt(0)
	v_mul_f64 v[46:47], v[42:43], v[36:37]
	v_mul_f64 v[36:37], v[40:41], v[36:37]
	s_waitcnt vmcnt(0)
	v_fma_f64 v[40:41], v[40:41], v[44:45], -v[46:47]
	v_fma_f64 v[36:37], v[42:43], v[44:45], v[36:37]
	v_add_f64 v[1:2], v[1:2], v[40:41]
	v_add_f64 v[3:4], v[3:4], v[36:37]
	s_andn2_b32 exec_lo, exec_lo, s4
	s_cbranch_execnz .LBB77_104
; %bb.105:
	s_or_b32 exec_lo, exec_lo, s4
.LBB77_106:
	s_or_b32 exec_lo, exec_lo, s5
	v_mov_b32_e32 v35, 0
	s_mov_b32 s5, exec_lo
	s_or_b32 s22, 0, 8
	ds_read_b128 v[35:38], v35
	s_waitcnt lgkmcnt(0)
	v_mul_f64 v[40:41], v[3:4], v[37:38]
	v_mul_f64 v[37:38], v[1:2], v[37:38]
	v_fma_f64 v[40:41], v[1:2], v[35:36], -v[40:41]
	v_fma_f64 v[1:2], v[3:4], v[35:36], v[37:38]
	buffer_store_dword v41, off, s[0:3], 0 offset:4
	buffer_store_dword v40, off, s[0:3], 0
.LBB77_107:
	s_or_b32 exec_lo, exec_lo, s8
	s_and_b32 vcc_lo, exec_lo, s6
	s_cbranch_vccnz .LBB77_109
	s_branch .LBB77_208
.LBB77_108:
	s_mov_b32 s5, 0
                                        ; implicit-def: $vgpr1_vgpr2
                                        ; implicit-def: $sgpr22
	s_cbranch_execz .LBB77_208
.LBB77_109:
	v_mov_b32_e32 v4, s20
	v_cmp_eq_u32_e64 s4, 0, v0
	v_cndmask_b32_e64 v35, 0, 1, s21
	s_clause 0x3
	buffer_load_dword v1, v4, s[0:3], 0 offen
	buffer_load_dword v2, v4, s[0:3], 0 offen offset:4
	buffer_load_dword v3, v4, s[0:3], 0 offen offset:8
	;; [unrolled: 1-line block ×3, first 2 shown]
	s_waitcnt vmcnt(0)
	ds_write_b128 v34, v[1:4]
	s_waitcnt lgkmcnt(0)
	s_waitcnt_vscnt null, 0x0
	s_barrier
	buffer_gl0_inv
	s_and_saveexec_b32 s6, s4
	s_cbranch_execz .LBB77_113
; %bb.110:
	ds_read_b128 v[1:4], v34
	s_andn2_b32 vcc_lo, exec_lo, s21
	s_cbranch_vccnz .LBB77_112
; %bb.111:
	s_clause 0x3
	buffer_load_dword v36, v33, s[0:3], 0 offen offset:8
	buffer_load_dword v37, v33, s[0:3], 0 offen offset:12
	buffer_load_dword v40, v33, s[0:3], 0 offen
	buffer_load_dword v41, v33, s[0:3], 0 offen offset:4
	s_waitcnt vmcnt(2) lgkmcnt(0)
	v_mul_f64 v[42:43], v[3:4], v[36:37]
	v_mul_f64 v[36:37], v[1:2], v[36:37]
	s_waitcnt vmcnt(0)
	v_fma_f64 v[1:2], v[1:2], v[40:41], -v[42:43]
	v_fma_f64 v[3:4], v[3:4], v[40:41], v[36:37]
.LBB77_112:
	v_mov_b32_e32 v36, 0
	ds_read_b128 v[40:43], v36 offset:16
	s_waitcnt lgkmcnt(0)
	v_mul_f64 v[36:37], v[3:4], v[42:43]
	v_mul_f64 v[42:43], v[1:2], v[42:43]
	v_fma_f64 v[1:2], v[1:2], v[40:41], -v[36:37]
	v_fma_f64 v[3:4], v[3:4], v[40:41], v[42:43]
	buffer_store_dword v2, off, s[0:3], 0 offset:20
	buffer_store_dword v1, off, s[0:3], 0 offset:16
	buffer_store_dword v4, off, s[0:3], 0 offset:28
	buffer_store_dword v3, off, s[0:3], 0 offset:24
.LBB77_113:
	s_or_b32 exec_lo, exec_lo, s6
	v_mov_b32_e32 v4, s19
	s_mov_b32 s6, exec_lo
	s_clause 0x3
	buffer_load_dword v1, v4, s[0:3], 0 offen
	buffer_load_dword v2, v4, s[0:3], 0 offen offset:4
	buffer_load_dword v3, v4, s[0:3], 0 offen offset:8
	;; [unrolled: 1-line block ×3, first 2 shown]
	s_waitcnt vmcnt(0)
	ds_write_b128 v34, v[1:4]
	s_waitcnt lgkmcnt(0)
	s_waitcnt_vscnt null, 0x0
	s_barrier
	buffer_gl0_inv
	v_cmpx_gt_u32_e32 2, v0
	s_cbranch_execz .LBB77_119
; %bb.114:
	ds_read_b128 v[1:4], v34
	v_cmp_ne_u32_e32 vcc_lo, 1, v35
	s_cbranch_vccnz .LBB77_116
; %bb.115:
	s_clause 0x3
	buffer_load_dword v36, v33, s[0:3], 0 offen offset:8
	buffer_load_dword v37, v33, s[0:3], 0 offen offset:12
	buffer_load_dword v40, v33, s[0:3], 0 offen
	buffer_load_dword v41, v33, s[0:3], 0 offen offset:4
	s_waitcnt vmcnt(2) lgkmcnt(0)
	v_mul_f64 v[42:43], v[3:4], v[36:37]
	v_mul_f64 v[36:37], v[1:2], v[36:37]
	s_waitcnt vmcnt(0)
	v_fma_f64 v[1:2], v[1:2], v[40:41], -v[42:43]
	v_fma_f64 v[3:4], v[3:4], v[40:41], v[36:37]
.LBB77_116:
	s_and_saveexec_b32 s8, s4
	s_cbranch_execz .LBB77_118
; %bb.117:
	s_clause 0x3
	buffer_load_dword v36, off, s[0:3], 0 offset:24
	buffer_load_dword v37, off, s[0:3], 0 offset:28
	;; [unrolled: 1-line block ×4, first 2 shown]
	v_mov_b32_e32 v38, 0
	ds_read_b128 v[40:43], v38 offset:240
	s_waitcnt vmcnt(2) lgkmcnt(0)
	v_mul_f64 v[46:47], v[42:43], v[36:37]
	v_mul_f64 v[36:37], v[40:41], v[36:37]
	s_waitcnt vmcnt(0)
	v_fma_f64 v[40:41], v[40:41], v[44:45], -v[46:47]
	v_fma_f64 v[36:37], v[42:43], v[44:45], v[36:37]
	v_add_f64 v[1:2], v[1:2], v[40:41]
	v_add_f64 v[3:4], v[3:4], v[36:37]
.LBB77_118:
	s_or_b32 exec_lo, exec_lo, s8
	v_mov_b32_e32 v36, 0
	ds_read_b128 v[40:43], v36 offset:32
	s_waitcnt lgkmcnt(0)
	v_mul_f64 v[36:37], v[3:4], v[42:43]
	v_mul_f64 v[42:43], v[1:2], v[42:43]
	v_fma_f64 v[1:2], v[1:2], v[40:41], -v[36:37]
	v_fma_f64 v[3:4], v[3:4], v[40:41], v[42:43]
	buffer_store_dword v2, off, s[0:3], 0 offset:36
	buffer_store_dword v1, off, s[0:3], 0 offset:32
	;; [unrolled: 1-line block ×4, first 2 shown]
.LBB77_119:
	s_or_b32 exec_lo, exec_lo, s6
	v_mov_b32_e32 v4, s18
	s_mov_b32 s6, exec_lo
	s_clause 0x3
	buffer_load_dword v1, v4, s[0:3], 0 offen
	buffer_load_dword v2, v4, s[0:3], 0 offen offset:4
	buffer_load_dword v3, v4, s[0:3], 0 offen offset:8
	;; [unrolled: 1-line block ×3, first 2 shown]
	s_waitcnt vmcnt(0)
	ds_write_b128 v34, v[1:4]
	s_waitcnt lgkmcnt(0)
	s_waitcnt_vscnt null, 0x0
	s_barrier
	buffer_gl0_inv
	v_cmpx_gt_u32_e32 3, v0
	s_cbranch_execz .LBB77_127
; %bb.120:
	ds_read_b128 v[1:4], v34
	v_cmp_ne_u32_e32 vcc_lo, 1, v35
	s_cbranch_vccnz .LBB77_122
; %bb.121:
	s_clause 0x3
	buffer_load_dword v36, v33, s[0:3], 0 offen offset:8
	buffer_load_dword v37, v33, s[0:3], 0 offen offset:12
	buffer_load_dword v40, v33, s[0:3], 0 offen
	buffer_load_dword v41, v33, s[0:3], 0 offen offset:4
	s_waitcnt vmcnt(2) lgkmcnt(0)
	v_mul_f64 v[42:43], v[3:4], v[36:37]
	v_mul_f64 v[36:37], v[1:2], v[36:37]
	s_waitcnt vmcnt(0)
	v_fma_f64 v[1:2], v[1:2], v[40:41], -v[42:43]
	v_fma_f64 v[3:4], v[3:4], v[40:41], v[36:37]
.LBB77_122:
	s_mov_b32 s8, exec_lo
	v_cmpx_ne_u32_e32 2, v0
	s_cbranch_execz .LBB77_126
; %bb.123:
	s_clause 0x3
	buffer_load_dword v36, v33, s[0:3], 0 offen offset:24
	buffer_load_dword v37, v33, s[0:3], 0 offen offset:28
	buffer_load_dword v44, v33, s[0:3], 0 offen offset:16
	buffer_load_dword v45, v33, s[0:3], 0 offen offset:20
	ds_read_b128 v[40:43], v34 offset:16
	s_waitcnt vmcnt(2) lgkmcnt(0)
	v_mul_f64 v[46:47], v[42:43], v[36:37]
	v_mul_f64 v[36:37], v[40:41], v[36:37]
	s_waitcnt vmcnt(0)
	v_fma_f64 v[40:41], v[40:41], v[44:45], -v[46:47]
	v_fma_f64 v[36:37], v[42:43], v[44:45], v[36:37]
	v_add_f64 v[1:2], v[1:2], v[40:41]
	v_add_f64 v[3:4], v[3:4], v[36:37]
	s_and_saveexec_b32 s21, s4
	s_cbranch_execz .LBB77_125
; %bb.124:
	s_clause 0x3
	buffer_load_dword v36, off, s[0:3], 0 offset:40
	buffer_load_dword v37, off, s[0:3], 0 offset:44
	;; [unrolled: 1-line block ×4, first 2 shown]
	v_mov_b32_e32 v38, 0
	ds_read_b128 v[40:43], v38 offset:256
	s_waitcnt vmcnt(2) lgkmcnt(0)
	v_mul_f64 v[46:47], v[40:41], v[36:37]
	v_mul_f64 v[36:37], v[42:43], v[36:37]
	s_waitcnt vmcnt(0)
	v_fma_f64 v[42:43], v[42:43], v[44:45], v[46:47]
	v_fma_f64 v[36:37], v[40:41], v[44:45], -v[36:37]
	v_add_f64 v[3:4], v[3:4], v[42:43]
	v_add_f64 v[1:2], v[1:2], v[36:37]
.LBB77_125:
	s_or_b32 exec_lo, exec_lo, s21
.LBB77_126:
	s_or_b32 exec_lo, exec_lo, s8
	v_mov_b32_e32 v36, 0
	ds_read_b128 v[40:43], v36 offset:48
	s_waitcnt lgkmcnt(0)
	v_mul_f64 v[36:37], v[3:4], v[42:43]
	v_mul_f64 v[42:43], v[1:2], v[42:43]
	v_fma_f64 v[1:2], v[1:2], v[40:41], -v[36:37]
	v_fma_f64 v[3:4], v[3:4], v[40:41], v[42:43]
	buffer_store_dword v2, off, s[0:3], 0 offset:52
	buffer_store_dword v1, off, s[0:3], 0 offset:48
	;; [unrolled: 1-line block ×4, first 2 shown]
.LBB77_127:
	s_or_b32 exec_lo, exec_lo, s6
	v_mov_b32_e32 v4, s17
	s_mov_b32 s4, exec_lo
	s_clause 0x3
	buffer_load_dword v1, v4, s[0:3], 0 offen
	buffer_load_dword v2, v4, s[0:3], 0 offen offset:4
	buffer_load_dword v3, v4, s[0:3], 0 offen offset:8
	;; [unrolled: 1-line block ×3, first 2 shown]
	s_waitcnt vmcnt(0)
	ds_write_b128 v34, v[1:4]
	s_waitcnt lgkmcnt(0)
	s_waitcnt_vscnt null, 0x0
	s_barrier
	buffer_gl0_inv
	v_cmpx_gt_u32_e32 4, v0
	s_cbranch_execz .LBB77_135
; %bb.128:
	ds_read_b128 v[1:4], v34
	v_cmp_ne_u32_e32 vcc_lo, 1, v35
	s_cbranch_vccnz .LBB77_130
; %bb.129:
	s_clause 0x3
	buffer_load_dword v36, v33, s[0:3], 0 offen offset:8
	buffer_load_dword v37, v33, s[0:3], 0 offen offset:12
	buffer_load_dword v40, v33, s[0:3], 0 offen
	buffer_load_dword v41, v33, s[0:3], 0 offen offset:4
	s_waitcnt vmcnt(2) lgkmcnt(0)
	v_mul_f64 v[42:43], v[3:4], v[36:37]
	v_mul_f64 v[36:37], v[1:2], v[36:37]
	s_waitcnt vmcnt(0)
	v_fma_f64 v[1:2], v[1:2], v[40:41], -v[42:43]
	v_fma_f64 v[3:4], v[3:4], v[40:41], v[36:37]
.LBB77_130:
	s_mov_b32 s6, exec_lo
	v_cmpx_ne_u32_e32 3, v0
	s_cbranch_execz .LBB77_134
; %bb.131:
	v_add_nc_u32_e32 v36, 0xf0, v39
	v_add3_u32 v37, 0, v39, 16
	v_mov_b32_e32 v38, v0
	s_mov_b32 s8, 0
	.p2align	6
.LBB77_132:                             ; =>This Inner Loop Header: Depth=1
	s_clause 0x3
	buffer_load_dword v44, v37, s[0:3], 0 offen offset:8
	buffer_load_dword v45, v37, s[0:3], 0 offen offset:12
	buffer_load_dword v46, v37, s[0:3], 0 offen
	buffer_load_dword v47, v37, s[0:3], 0 offen offset:4
	ds_read_b128 v[40:43], v36
	v_add_nc_u32_e32 v38, 1, v38
	v_add_nc_u32_e32 v36, 16, v36
	;; [unrolled: 1-line block ×3, first 2 shown]
	v_cmp_lt_u32_e32 vcc_lo, 2, v38
	s_or_b32 s8, vcc_lo, s8
	s_waitcnt vmcnt(2) lgkmcnt(0)
	v_mul_f64 v[48:49], v[42:43], v[44:45]
	v_mul_f64 v[44:45], v[40:41], v[44:45]
	s_waitcnt vmcnt(0)
	v_fma_f64 v[40:41], v[40:41], v[46:47], -v[48:49]
	v_fma_f64 v[42:43], v[42:43], v[46:47], v[44:45]
	v_add_f64 v[1:2], v[1:2], v[40:41]
	v_add_f64 v[3:4], v[3:4], v[42:43]
	s_andn2_b32 exec_lo, exec_lo, s8
	s_cbranch_execnz .LBB77_132
; %bb.133:
	s_or_b32 exec_lo, exec_lo, s8
.LBB77_134:
	s_or_b32 exec_lo, exec_lo, s6
	v_mov_b32_e32 v36, 0
	ds_read_b128 v[40:43], v36 offset:64
	s_waitcnt lgkmcnt(0)
	v_mul_f64 v[36:37], v[3:4], v[42:43]
	v_mul_f64 v[42:43], v[1:2], v[42:43]
	v_fma_f64 v[1:2], v[1:2], v[40:41], -v[36:37]
	v_fma_f64 v[3:4], v[3:4], v[40:41], v[42:43]
	buffer_store_dword v2, off, s[0:3], 0 offset:68
	buffer_store_dword v1, off, s[0:3], 0 offset:64
	;; [unrolled: 1-line block ×4, first 2 shown]
.LBB77_135:
	s_or_b32 exec_lo, exec_lo, s4
	v_mov_b32_e32 v4, s16
	s_mov_b32 s4, exec_lo
	s_clause 0x3
	buffer_load_dword v1, v4, s[0:3], 0 offen
	buffer_load_dword v2, v4, s[0:3], 0 offen offset:4
	buffer_load_dword v3, v4, s[0:3], 0 offen offset:8
	;; [unrolled: 1-line block ×3, first 2 shown]
	s_waitcnt vmcnt(0)
	ds_write_b128 v34, v[1:4]
	s_waitcnt lgkmcnt(0)
	s_waitcnt_vscnt null, 0x0
	s_barrier
	buffer_gl0_inv
	v_cmpx_gt_u32_e32 5, v0
	s_cbranch_execz .LBB77_143
; %bb.136:
	ds_read_b128 v[1:4], v34
	v_cmp_ne_u32_e32 vcc_lo, 1, v35
	s_cbranch_vccnz .LBB77_138
; %bb.137:
	s_clause 0x3
	buffer_load_dword v36, v33, s[0:3], 0 offen offset:8
	buffer_load_dword v37, v33, s[0:3], 0 offen offset:12
	buffer_load_dword v40, v33, s[0:3], 0 offen
	buffer_load_dword v41, v33, s[0:3], 0 offen offset:4
	s_waitcnt vmcnt(2) lgkmcnt(0)
	v_mul_f64 v[42:43], v[3:4], v[36:37]
	v_mul_f64 v[36:37], v[1:2], v[36:37]
	s_waitcnt vmcnt(0)
	v_fma_f64 v[1:2], v[1:2], v[40:41], -v[42:43]
	v_fma_f64 v[3:4], v[3:4], v[40:41], v[36:37]
.LBB77_138:
	s_mov_b32 s6, exec_lo
	v_cmpx_ne_u32_e32 4, v0
	s_cbranch_execz .LBB77_142
; %bb.139:
	v_add_nc_u32_e32 v36, 0xf0, v39
	v_add3_u32 v37, 0, v39, 16
	v_mov_b32_e32 v38, v0
	s_mov_b32 s8, 0
	.p2align	6
.LBB77_140:                             ; =>This Inner Loop Header: Depth=1
	s_clause 0x3
	buffer_load_dword v44, v37, s[0:3], 0 offen offset:8
	buffer_load_dword v45, v37, s[0:3], 0 offen offset:12
	buffer_load_dword v46, v37, s[0:3], 0 offen
	buffer_load_dword v47, v37, s[0:3], 0 offen offset:4
	ds_read_b128 v[40:43], v36
	v_add_nc_u32_e32 v38, 1, v38
	v_add_nc_u32_e32 v36, 16, v36
	;; [unrolled: 1-line block ×3, first 2 shown]
	v_cmp_lt_u32_e32 vcc_lo, 3, v38
	s_or_b32 s8, vcc_lo, s8
	s_waitcnt vmcnt(2) lgkmcnt(0)
	v_mul_f64 v[48:49], v[42:43], v[44:45]
	v_mul_f64 v[44:45], v[40:41], v[44:45]
	s_waitcnt vmcnt(0)
	v_fma_f64 v[40:41], v[40:41], v[46:47], -v[48:49]
	v_fma_f64 v[42:43], v[42:43], v[46:47], v[44:45]
	v_add_f64 v[1:2], v[1:2], v[40:41]
	v_add_f64 v[3:4], v[3:4], v[42:43]
	s_andn2_b32 exec_lo, exec_lo, s8
	s_cbranch_execnz .LBB77_140
; %bb.141:
	s_or_b32 exec_lo, exec_lo, s8
.LBB77_142:
	s_or_b32 exec_lo, exec_lo, s6
	v_mov_b32_e32 v36, 0
	ds_read_b128 v[40:43], v36 offset:80
	s_waitcnt lgkmcnt(0)
	v_mul_f64 v[36:37], v[3:4], v[42:43]
	v_mul_f64 v[42:43], v[1:2], v[42:43]
	v_fma_f64 v[1:2], v[1:2], v[40:41], -v[36:37]
	v_fma_f64 v[3:4], v[3:4], v[40:41], v[42:43]
	buffer_store_dword v2, off, s[0:3], 0 offset:84
	buffer_store_dword v1, off, s[0:3], 0 offset:80
	;; [unrolled: 1-line block ×4, first 2 shown]
.LBB77_143:
	s_or_b32 exec_lo, exec_lo, s4
	v_mov_b32_e32 v4, s15
	s_mov_b32 s4, exec_lo
	s_clause 0x3
	buffer_load_dword v1, v4, s[0:3], 0 offen
	buffer_load_dword v2, v4, s[0:3], 0 offen offset:4
	buffer_load_dword v3, v4, s[0:3], 0 offen offset:8
	;; [unrolled: 1-line block ×3, first 2 shown]
	s_waitcnt vmcnt(0)
	ds_write_b128 v34, v[1:4]
	s_waitcnt lgkmcnt(0)
	s_waitcnt_vscnt null, 0x0
	s_barrier
	buffer_gl0_inv
	v_cmpx_gt_u32_e32 6, v0
	s_cbranch_execz .LBB77_151
; %bb.144:
	ds_read_b128 v[1:4], v34
	v_cmp_ne_u32_e32 vcc_lo, 1, v35
	s_cbranch_vccnz .LBB77_146
; %bb.145:
	s_clause 0x3
	buffer_load_dword v36, v33, s[0:3], 0 offen offset:8
	buffer_load_dword v37, v33, s[0:3], 0 offen offset:12
	buffer_load_dword v40, v33, s[0:3], 0 offen
	buffer_load_dword v41, v33, s[0:3], 0 offen offset:4
	s_waitcnt vmcnt(2) lgkmcnt(0)
	v_mul_f64 v[42:43], v[3:4], v[36:37]
	v_mul_f64 v[36:37], v[1:2], v[36:37]
	s_waitcnt vmcnt(0)
	v_fma_f64 v[1:2], v[1:2], v[40:41], -v[42:43]
	v_fma_f64 v[3:4], v[3:4], v[40:41], v[36:37]
.LBB77_146:
	s_mov_b32 s6, exec_lo
	v_cmpx_ne_u32_e32 5, v0
	s_cbranch_execz .LBB77_150
; %bb.147:
	v_add_nc_u32_e32 v36, 0xf0, v39
	v_add3_u32 v37, 0, v39, 16
	v_mov_b32_e32 v38, v0
	s_mov_b32 s8, 0
	.p2align	6
.LBB77_148:                             ; =>This Inner Loop Header: Depth=1
	s_clause 0x3
	buffer_load_dword v44, v37, s[0:3], 0 offen offset:8
	buffer_load_dword v45, v37, s[0:3], 0 offen offset:12
	buffer_load_dword v46, v37, s[0:3], 0 offen
	buffer_load_dword v47, v37, s[0:3], 0 offen offset:4
	ds_read_b128 v[40:43], v36
	v_add_nc_u32_e32 v38, 1, v38
	v_add_nc_u32_e32 v36, 16, v36
	v_add_nc_u32_e32 v37, 16, v37
	v_cmp_lt_u32_e32 vcc_lo, 4, v38
	s_or_b32 s8, vcc_lo, s8
	s_waitcnt vmcnt(2) lgkmcnt(0)
	v_mul_f64 v[48:49], v[42:43], v[44:45]
	v_mul_f64 v[44:45], v[40:41], v[44:45]
	s_waitcnt vmcnt(0)
	v_fma_f64 v[40:41], v[40:41], v[46:47], -v[48:49]
	v_fma_f64 v[42:43], v[42:43], v[46:47], v[44:45]
	v_add_f64 v[1:2], v[1:2], v[40:41]
	v_add_f64 v[3:4], v[3:4], v[42:43]
	s_andn2_b32 exec_lo, exec_lo, s8
	s_cbranch_execnz .LBB77_148
; %bb.149:
	s_or_b32 exec_lo, exec_lo, s8
.LBB77_150:
	s_or_b32 exec_lo, exec_lo, s6
	v_mov_b32_e32 v36, 0
	ds_read_b128 v[40:43], v36 offset:96
	s_waitcnt lgkmcnt(0)
	v_mul_f64 v[36:37], v[3:4], v[42:43]
	v_mul_f64 v[42:43], v[1:2], v[42:43]
	v_fma_f64 v[1:2], v[1:2], v[40:41], -v[36:37]
	v_fma_f64 v[3:4], v[3:4], v[40:41], v[42:43]
	buffer_store_dword v2, off, s[0:3], 0 offset:100
	buffer_store_dword v1, off, s[0:3], 0 offset:96
	;; [unrolled: 1-line block ×4, first 2 shown]
.LBB77_151:
	s_or_b32 exec_lo, exec_lo, s4
	v_mov_b32_e32 v4, s14
	s_mov_b32 s4, exec_lo
	s_clause 0x3
	buffer_load_dword v1, v4, s[0:3], 0 offen
	buffer_load_dword v2, v4, s[0:3], 0 offen offset:4
	buffer_load_dword v3, v4, s[0:3], 0 offen offset:8
	;; [unrolled: 1-line block ×3, first 2 shown]
	s_waitcnt vmcnt(0)
	ds_write_b128 v34, v[1:4]
	s_waitcnt lgkmcnt(0)
	s_waitcnt_vscnt null, 0x0
	s_barrier
	buffer_gl0_inv
	v_cmpx_gt_u32_e32 7, v0
	s_cbranch_execz .LBB77_159
; %bb.152:
	ds_read_b128 v[1:4], v34
	v_cmp_ne_u32_e32 vcc_lo, 1, v35
	s_cbranch_vccnz .LBB77_154
; %bb.153:
	s_clause 0x3
	buffer_load_dword v36, v33, s[0:3], 0 offen offset:8
	buffer_load_dword v37, v33, s[0:3], 0 offen offset:12
	buffer_load_dword v40, v33, s[0:3], 0 offen
	buffer_load_dword v41, v33, s[0:3], 0 offen offset:4
	s_waitcnt vmcnt(2) lgkmcnt(0)
	v_mul_f64 v[42:43], v[3:4], v[36:37]
	v_mul_f64 v[36:37], v[1:2], v[36:37]
	s_waitcnt vmcnt(0)
	v_fma_f64 v[1:2], v[1:2], v[40:41], -v[42:43]
	v_fma_f64 v[3:4], v[3:4], v[40:41], v[36:37]
.LBB77_154:
	s_mov_b32 s6, exec_lo
	v_cmpx_ne_u32_e32 6, v0
	s_cbranch_execz .LBB77_158
; %bb.155:
	v_add_nc_u32_e32 v36, 0xf0, v39
	v_add3_u32 v37, 0, v39, 16
	v_mov_b32_e32 v38, v0
	s_mov_b32 s8, 0
	.p2align	6
.LBB77_156:                             ; =>This Inner Loop Header: Depth=1
	s_clause 0x3
	buffer_load_dword v44, v37, s[0:3], 0 offen offset:8
	buffer_load_dword v45, v37, s[0:3], 0 offen offset:12
	buffer_load_dword v46, v37, s[0:3], 0 offen
	buffer_load_dword v47, v37, s[0:3], 0 offen offset:4
	ds_read_b128 v[40:43], v36
	v_add_nc_u32_e32 v38, 1, v38
	v_add_nc_u32_e32 v36, 16, v36
	v_add_nc_u32_e32 v37, 16, v37
	v_cmp_lt_u32_e32 vcc_lo, 5, v38
	s_or_b32 s8, vcc_lo, s8
	s_waitcnt vmcnt(2) lgkmcnt(0)
	v_mul_f64 v[48:49], v[42:43], v[44:45]
	v_mul_f64 v[44:45], v[40:41], v[44:45]
	s_waitcnt vmcnt(0)
	v_fma_f64 v[40:41], v[40:41], v[46:47], -v[48:49]
	v_fma_f64 v[42:43], v[42:43], v[46:47], v[44:45]
	v_add_f64 v[1:2], v[1:2], v[40:41]
	v_add_f64 v[3:4], v[3:4], v[42:43]
	s_andn2_b32 exec_lo, exec_lo, s8
	s_cbranch_execnz .LBB77_156
; %bb.157:
	s_or_b32 exec_lo, exec_lo, s8
.LBB77_158:
	s_or_b32 exec_lo, exec_lo, s6
	v_mov_b32_e32 v36, 0
	ds_read_b128 v[40:43], v36 offset:112
	s_waitcnt lgkmcnt(0)
	v_mul_f64 v[36:37], v[3:4], v[42:43]
	v_mul_f64 v[42:43], v[1:2], v[42:43]
	v_fma_f64 v[1:2], v[1:2], v[40:41], -v[36:37]
	v_fma_f64 v[3:4], v[3:4], v[40:41], v[42:43]
	buffer_store_dword v2, off, s[0:3], 0 offset:116
	buffer_store_dword v1, off, s[0:3], 0 offset:112
	;; [unrolled: 1-line block ×4, first 2 shown]
.LBB77_159:
	s_or_b32 exec_lo, exec_lo, s4
	v_mov_b32_e32 v4, s13
	s_mov_b32 s4, exec_lo
	s_clause 0x3
	buffer_load_dword v1, v4, s[0:3], 0 offen
	buffer_load_dword v2, v4, s[0:3], 0 offen offset:4
	buffer_load_dword v3, v4, s[0:3], 0 offen offset:8
	;; [unrolled: 1-line block ×3, first 2 shown]
	s_waitcnt vmcnt(0)
	ds_write_b128 v34, v[1:4]
	s_waitcnt lgkmcnt(0)
	s_waitcnt_vscnt null, 0x0
	s_barrier
	buffer_gl0_inv
	v_cmpx_gt_u32_e32 8, v0
	s_cbranch_execz .LBB77_167
; %bb.160:
	ds_read_b128 v[1:4], v34
	v_cmp_ne_u32_e32 vcc_lo, 1, v35
	s_cbranch_vccnz .LBB77_162
; %bb.161:
	s_clause 0x3
	buffer_load_dword v36, v33, s[0:3], 0 offen offset:8
	buffer_load_dword v37, v33, s[0:3], 0 offen offset:12
	buffer_load_dword v40, v33, s[0:3], 0 offen
	buffer_load_dword v41, v33, s[0:3], 0 offen offset:4
	s_waitcnt vmcnt(2) lgkmcnt(0)
	v_mul_f64 v[42:43], v[3:4], v[36:37]
	v_mul_f64 v[36:37], v[1:2], v[36:37]
	s_waitcnt vmcnt(0)
	v_fma_f64 v[1:2], v[1:2], v[40:41], -v[42:43]
	v_fma_f64 v[3:4], v[3:4], v[40:41], v[36:37]
.LBB77_162:
	s_mov_b32 s6, exec_lo
	v_cmpx_ne_u32_e32 7, v0
	s_cbranch_execz .LBB77_166
; %bb.163:
	v_add_nc_u32_e32 v36, 0xf0, v39
	v_add3_u32 v37, 0, v39, 16
	v_mov_b32_e32 v38, v0
	s_mov_b32 s8, 0
	.p2align	6
.LBB77_164:                             ; =>This Inner Loop Header: Depth=1
	s_clause 0x3
	buffer_load_dword v44, v37, s[0:3], 0 offen offset:8
	buffer_load_dword v45, v37, s[0:3], 0 offen offset:12
	buffer_load_dword v46, v37, s[0:3], 0 offen
	buffer_load_dword v47, v37, s[0:3], 0 offen offset:4
	ds_read_b128 v[40:43], v36
	v_add_nc_u32_e32 v38, 1, v38
	v_add_nc_u32_e32 v36, 16, v36
	;; [unrolled: 1-line block ×3, first 2 shown]
	v_cmp_lt_u32_e32 vcc_lo, 6, v38
	s_or_b32 s8, vcc_lo, s8
	s_waitcnt vmcnt(2) lgkmcnt(0)
	v_mul_f64 v[48:49], v[42:43], v[44:45]
	v_mul_f64 v[44:45], v[40:41], v[44:45]
	s_waitcnt vmcnt(0)
	v_fma_f64 v[40:41], v[40:41], v[46:47], -v[48:49]
	v_fma_f64 v[42:43], v[42:43], v[46:47], v[44:45]
	v_add_f64 v[1:2], v[1:2], v[40:41]
	v_add_f64 v[3:4], v[3:4], v[42:43]
	s_andn2_b32 exec_lo, exec_lo, s8
	s_cbranch_execnz .LBB77_164
; %bb.165:
	s_or_b32 exec_lo, exec_lo, s8
.LBB77_166:
	s_or_b32 exec_lo, exec_lo, s6
	v_mov_b32_e32 v36, 0
	ds_read_b128 v[40:43], v36 offset:128
	s_waitcnt lgkmcnt(0)
	v_mul_f64 v[36:37], v[3:4], v[42:43]
	v_mul_f64 v[42:43], v[1:2], v[42:43]
	v_fma_f64 v[1:2], v[1:2], v[40:41], -v[36:37]
	v_fma_f64 v[3:4], v[3:4], v[40:41], v[42:43]
	buffer_store_dword v2, off, s[0:3], 0 offset:132
	buffer_store_dword v1, off, s[0:3], 0 offset:128
	;; [unrolled: 1-line block ×4, first 2 shown]
.LBB77_167:
	s_or_b32 exec_lo, exec_lo, s4
	v_mov_b32_e32 v4, s12
	s_mov_b32 s4, exec_lo
	s_clause 0x3
	buffer_load_dword v1, v4, s[0:3], 0 offen
	buffer_load_dword v2, v4, s[0:3], 0 offen offset:4
	buffer_load_dword v3, v4, s[0:3], 0 offen offset:8
	;; [unrolled: 1-line block ×3, first 2 shown]
	s_waitcnt vmcnt(0)
	ds_write_b128 v34, v[1:4]
	s_waitcnt lgkmcnt(0)
	s_waitcnt_vscnt null, 0x0
	s_barrier
	buffer_gl0_inv
	v_cmpx_gt_u32_e32 9, v0
	s_cbranch_execz .LBB77_175
; %bb.168:
	ds_read_b128 v[1:4], v34
	v_cmp_ne_u32_e32 vcc_lo, 1, v35
	s_cbranch_vccnz .LBB77_170
; %bb.169:
	s_clause 0x3
	buffer_load_dword v36, v33, s[0:3], 0 offen offset:8
	buffer_load_dword v37, v33, s[0:3], 0 offen offset:12
	buffer_load_dword v40, v33, s[0:3], 0 offen
	buffer_load_dword v41, v33, s[0:3], 0 offen offset:4
	s_waitcnt vmcnt(2) lgkmcnt(0)
	v_mul_f64 v[42:43], v[3:4], v[36:37]
	v_mul_f64 v[36:37], v[1:2], v[36:37]
	s_waitcnt vmcnt(0)
	v_fma_f64 v[1:2], v[1:2], v[40:41], -v[42:43]
	v_fma_f64 v[3:4], v[3:4], v[40:41], v[36:37]
.LBB77_170:
	s_mov_b32 s6, exec_lo
	v_cmpx_ne_u32_e32 8, v0
	s_cbranch_execz .LBB77_174
; %bb.171:
	v_add_nc_u32_e32 v36, 0xf0, v39
	v_add3_u32 v37, 0, v39, 16
	v_mov_b32_e32 v38, v0
	s_mov_b32 s8, 0
	.p2align	6
.LBB77_172:                             ; =>This Inner Loop Header: Depth=1
	s_clause 0x3
	buffer_load_dword v44, v37, s[0:3], 0 offen offset:8
	buffer_load_dword v45, v37, s[0:3], 0 offen offset:12
	buffer_load_dword v46, v37, s[0:3], 0 offen
	buffer_load_dword v47, v37, s[0:3], 0 offen offset:4
	ds_read_b128 v[40:43], v36
	v_add_nc_u32_e32 v38, 1, v38
	v_add_nc_u32_e32 v36, 16, v36
	;; [unrolled: 1-line block ×3, first 2 shown]
	v_cmp_lt_u32_e32 vcc_lo, 7, v38
	s_or_b32 s8, vcc_lo, s8
	s_waitcnt vmcnt(2) lgkmcnt(0)
	v_mul_f64 v[48:49], v[42:43], v[44:45]
	v_mul_f64 v[44:45], v[40:41], v[44:45]
	s_waitcnt vmcnt(0)
	v_fma_f64 v[40:41], v[40:41], v[46:47], -v[48:49]
	v_fma_f64 v[42:43], v[42:43], v[46:47], v[44:45]
	v_add_f64 v[1:2], v[1:2], v[40:41]
	v_add_f64 v[3:4], v[3:4], v[42:43]
	s_andn2_b32 exec_lo, exec_lo, s8
	s_cbranch_execnz .LBB77_172
; %bb.173:
	s_or_b32 exec_lo, exec_lo, s8
.LBB77_174:
	s_or_b32 exec_lo, exec_lo, s6
	v_mov_b32_e32 v36, 0
	ds_read_b128 v[40:43], v36 offset:144
	s_waitcnt lgkmcnt(0)
	v_mul_f64 v[36:37], v[3:4], v[42:43]
	v_mul_f64 v[42:43], v[1:2], v[42:43]
	v_fma_f64 v[1:2], v[1:2], v[40:41], -v[36:37]
	v_fma_f64 v[3:4], v[3:4], v[40:41], v[42:43]
	buffer_store_dword v2, off, s[0:3], 0 offset:148
	buffer_store_dword v1, off, s[0:3], 0 offset:144
	;; [unrolled: 1-line block ×4, first 2 shown]
.LBB77_175:
	s_or_b32 exec_lo, exec_lo, s4
	v_mov_b32_e32 v4, s11
	s_mov_b32 s4, exec_lo
	s_clause 0x3
	buffer_load_dword v1, v4, s[0:3], 0 offen
	buffer_load_dword v2, v4, s[0:3], 0 offen offset:4
	buffer_load_dword v3, v4, s[0:3], 0 offen offset:8
	;; [unrolled: 1-line block ×3, first 2 shown]
	s_waitcnt vmcnt(0)
	ds_write_b128 v34, v[1:4]
	s_waitcnt lgkmcnt(0)
	s_waitcnt_vscnt null, 0x0
	s_barrier
	buffer_gl0_inv
	v_cmpx_gt_u32_e32 10, v0
	s_cbranch_execz .LBB77_183
; %bb.176:
	ds_read_b128 v[1:4], v34
	v_cmp_ne_u32_e32 vcc_lo, 1, v35
	s_cbranch_vccnz .LBB77_178
; %bb.177:
	s_clause 0x3
	buffer_load_dword v36, v33, s[0:3], 0 offen offset:8
	buffer_load_dword v37, v33, s[0:3], 0 offen offset:12
	buffer_load_dword v40, v33, s[0:3], 0 offen
	buffer_load_dword v41, v33, s[0:3], 0 offen offset:4
	s_waitcnt vmcnt(2) lgkmcnt(0)
	v_mul_f64 v[42:43], v[3:4], v[36:37]
	v_mul_f64 v[36:37], v[1:2], v[36:37]
	s_waitcnt vmcnt(0)
	v_fma_f64 v[1:2], v[1:2], v[40:41], -v[42:43]
	v_fma_f64 v[3:4], v[3:4], v[40:41], v[36:37]
.LBB77_178:
	s_mov_b32 s6, exec_lo
	v_cmpx_ne_u32_e32 9, v0
	s_cbranch_execz .LBB77_182
; %bb.179:
	v_add_nc_u32_e32 v36, 0xf0, v39
	v_add3_u32 v37, 0, v39, 16
	v_mov_b32_e32 v38, v0
	s_mov_b32 s8, 0
	.p2align	6
.LBB77_180:                             ; =>This Inner Loop Header: Depth=1
	s_clause 0x3
	buffer_load_dword v44, v37, s[0:3], 0 offen offset:8
	buffer_load_dword v45, v37, s[0:3], 0 offen offset:12
	buffer_load_dword v46, v37, s[0:3], 0 offen
	buffer_load_dword v47, v37, s[0:3], 0 offen offset:4
	ds_read_b128 v[40:43], v36
	v_add_nc_u32_e32 v38, 1, v38
	v_add_nc_u32_e32 v36, 16, v36
	v_add_nc_u32_e32 v37, 16, v37
	v_cmp_lt_u32_e32 vcc_lo, 8, v38
	s_or_b32 s8, vcc_lo, s8
	s_waitcnt vmcnt(2) lgkmcnt(0)
	v_mul_f64 v[48:49], v[42:43], v[44:45]
	v_mul_f64 v[44:45], v[40:41], v[44:45]
	s_waitcnt vmcnt(0)
	v_fma_f64 v[40:41], v[40:41], v[46:47], -v[48:49]
	v_fma_f64 v[42:43], v[42:43], v[46:47], v[44:45]
	v_add_f64 v[1:2], v[1:2], v[40:41]
	v_add_f64 v[3:4], v[3:4], v[42:43]
	s_andn2_b32 exec_lo, exec_lo, s8
	s_cbranch_execnz .LBB77_180
; %bb.181:
	s_or_b32 exec_lo, exec_lo, s8
.LBB77_182:
	s_or_b32 exec_lo, exec_lo, s6
	v_mov_b32_e32 v36, 0
	ds_read_b128 v[40:43], v36 offset:160
	s_waitcnt lgkmcnt(0)
	v_mul_f64 v[36:37], v[3:4], v[42:43]
	v_mul_f64 v[42:43], v[1:2], v[42:43]
	v_fma_f64 v[1:2], v[1:2], v[40:41], -v[36:37]
	v_fma_f64 v[3:4], v[3:4], v[40:41], v[42:43]
	buffer_store_dword v2, off, s[0:3], 0 offset:164
	buffer_store_dword v1, off, s[0:3], 0 offset:160
	;; [unrolled: 1-line block ×4, first 2 shown]
.LBB77_183:
	s_or_b32 exec_lo, exec_lo, s4
	v_mov_b32_e32 v4, s10
	s_mov_b32 s4, exec_lo
	s_clause 0x3
	buffer_load_dword v1, v4, s[0:3], 0 offen
	buffer_load_dword v2, v4, s[0:3], 0 offen offset:4
	buffer_load_dword v3, v4, s[0:3], 0 offen offset:8
	;; [unrolled: 1-line block ×3, first 2 shown]
	s_waitcnt vmcnt(0)
	ds_write_b128 v34, v[1:4]
	s_waitcnt lgkmcnt(0)
	s_waitcnt_vscnt null, 0x0
	s_barrier
	buffer_gl0_inv
	v_cmpx_gt_u32_e32 11, v0
	s_cbranch_execz .LBB77_191
; %bb.184:
	ds_read_b128 v[1:4], v34
	v_cmp_ne_u32_e32 vcc_lo, 1, v35
	s_cbranch_vccnz .LBB77_186
; %bb.185:
	s_clause 0x3
	buffer_load_dword v36, v33, s[0:3], 0 offen offset:8
	buffer_load_dword v37, v33, s[0:3], 0 offen offset:12
	buffer_load_dword v40, v33, s[0:3], 0 offen
	buffer_load_dword v41, v33, s[0:3], 0 offen offset:4
	s_waitcnt vmcnt(2) lgkmcnt(0)
	v_mul_f64 v[42:43], v[3:4], v[36:37]
	v_mul_f64 v[36:37], v[1:2], v[36:37]
	s_waitcnt vmcnt(0)
	v_fma_f64 v[1:2], v[1:2], v[40:41], -v[42:43]
	v_fma_f64 v[3:4], v[3:4], v[40:41], v[36:37]
.LBB77_186:
	s_mov_b32 s6, exec_lo
	v_cmpx_ne_u32_e32 10, v0
	s_cbranch_execz .LBB77_190
; %bb.187:
	v_add_nc_u32_e32 v36, 0xf0, v39
	v_add3_u32 v37, 0, v39, 16
	v_mov_b32_e32 v38, v0
	s_mov_b32 s8, 0
	.p2align	6
.LBB77_188:                             ; =>This Inner Loop Header: Depth=1
	s_clause 0x3
	buffer_load_dword v44, v37, s[0:3], 0 offen offset:8
	buffer_load_dword v45, v37, s[0:3], 0 offen offset:12
	buffer_load_dword v46, v37, s[0:3], 0 offen
	buffer_load_dword v47, v37, s[0:3], 0 offen offset:4
	ds_read_b128 v[40:43], v36
	v_add_nc_u32_e32 v38, 1, v38
	v_add_nc_u32_e32 v36, 16, v36
	;; [unrolled: 1-line block ×3, first 2 shown]
	v_cmp_lt_u32_e32 vcc_lo, 9, v38
	s_or_b32 s8, vcc_lo, s8
	s_waitcnt vmcnt(2) lgkmcnt(0)
	v_mul_f64 v[48:49], v[42:43], v[44:45]
	v_mul_f64 v[44:45], v[40:41], v[44:45]
	s_waitcnt vmcnt(0)
	v_fma_f64 v[40:41], v[40:41], v[46:47], -v[48:49]
	v_fma_f64 v[42:43], v[42:43], v[46:47], v[44:45]
	v_add_f64 v[1:2], v[1:2], v[40:41]
	v_add_f64 v[3:4], v[3:4], v[42:43]
	s_andn2_b32 exec_lo, exec_lo, s8
	s_cbranch_execnz .LBB77_188
; %bb.189:
	s_or_b32 exec_lo, exec_lo, s8
.LBB77_190:
	s_or_b32 exec_lo, exec_lo, s6
	v_mov_b32_e32 v36, 0
	ds_read_b128 v[40:43], v36 offset:176
	s_waitcnt lgkmcnt(0)
	v_mul_f64 v[36:37], v[3:4], v[42:43]
	v_mul_f64 v[42:43], v[1:2], v[42:43]
	v_fma_f64 v[1:2], v[1:2], v[40:41], -v[36:37]
	v_fma_f64 v[3:4], v[3:4], v[40:41], v[42:43]
	buffer_store_dword v2, off, s[0:3], 0 offset:180
	buffer_store_dword v1, off, s[0:3], 0 offset:176
	;; [unrolled: 1-line block ×4, first 2 shown]
.LBB77_191:
	s_or_b32 exec_lo, exec_lo, s4
	v_mov_b32_e32 v4, s9
	v_cmp_gt_u32_e64 s4, 12, v0
	s_clause 0x3
	buffer_load_dword v1, v4, s[0:3], 0 offen
	buffer_load_dword v2, v4, s[0:3], 0 offen offset:4
	buffer_load_dword v3, v4, s[0:3], 0 offen offset:8
	;; [unrolled: 1-line block ×3, first 2 shown]
	s_waitcnt vmcnt(0)
	ds_write_b128 v34, v[1:4]
	s_waitcnt lgkmcnt(0)
	s_waitcnt_vscnt null, 0x0
	s_barrier
	buffer_gl0_inv
	s_and_saveexec_b32 s6, s4
	s_cbranch_execz .LBB77_199
; %bb.192:
	ds_read_b128 v[1:4], v34
	v_cmp_ne_u32_e32 vcc_lo, 1, v35
	s_cbranch_vccnz .LBB77_194
; %bb.193:
	s_clause 0x3
	buffer_load_dword v36, v33, s[0:3], 0 offen offset:8
	buffer_load_dword v37, v33, s[0:3], 0 offen offset:12
	buffer_load_dword v40, v33, s[0:3], 0 offen
	buffer_load_dword v41, v33, s[0:3], 0 offen offset:4
	s_waitcnt vmcnt(2) lgkmcnt(0)
	v_mul_f64 v[42:43], v[3:4], v[36:37]
	v_mul_f64 v[36:37], v[1:2], v[36:37]
	s_waitcnt vmcnt(0)
	v_fma_f64 v[1:2], v[1:2], v[40:41], -v[42:43]
	v_fma_f64 v[3:4], v[3:4], v[40:41], v[36:37]
.LBB77_194:
	s_mov_b32 s8, exec_lo
	v_cmpx_ne_u32_e32 11, v0
	s_cbranch_execz .LBB77_198
; %bb.195:
	v_add_nc_u32_e32 v36, 0xf0, v39
	v_add3_u32 v37, 0, v39, 16
	v_mov_b32_e32 v38, v0
	s_mov_b32 s21, 0
	.p2align	6
.LBB77_196:                             ; =>This Inner Loop Header: Depth=1
	s_clause 0x3
	buffer_load_dword v44, v37, s[0:3], 0 offen offset:8
	buffer_load_dword v45, v37, s[0:3], 0 offen offset:12
	buffer_load_dword v46, v37, s[0:3], 0 offen
	buffer_load_dword v47, v37, s[0:3], 0 offen offset:4
	ds_read_b128 v[40:43], v36
	v_add_nc_u32_e32 v38, 1, v38
	v_add_nc_u32_e32 v36, 16, v36
	;; [unrolled: 1-line block ×3, first 2 shown]
	v_cmp_lt_u32_e32 vcc_lo, 10, v38
	s_or_b32 s21, vcc_lo, s21
	s_waitcnt vmcnt(2) lgkmcnt(0)
	v_mul_f64 v[48:49], v[42:43], v[44:45]
	v_mul_f64 v[44:45], v[40:41], v[44:45]
	s_waitcnt vmcnt(0)
	v_fma_f64 v[40:41], v[40:41], v[46:47], -v[48:49]
	v_fma_f64 v[42:43], v[42:43], v[46:47], v[44:45]
	v_add_f64 v[1:2], v[1:2], v[40:41]
	v_add_f64 v[3:4], v[3:4], v[42:43]
	s_andn2_b32 exec_lo, exec_lo, s21
	s_cbranch_execnz .LBB77_196
; %bb.197:
	s_or_b32 exec_lo, exec_lo, s21
.LBB77_198:
	s_or_b32 exec_lo, exec_lo, s8
	v_mov_b32_e32 v36, 0
	ds_read_b128 v[40:43], v36 offset:192
	s_waitcnt lgkmcnt(0)
	v_mul_f64 v[36:37], v[3:4], v[42:43]
	v_mul_f64 v[42:43], v[1:2], v[42:43]
	v_fma_f64 v[1:2], v[1:2], v[40:41], -v[36:37]
	v_fma_f64 v[3:4], v[3:4], v[40:41], v[42:43]
	buffer_store_dword v2, off, s[0:3], 0 offset:196
	buffer_store_dword v1, off, s[0:3], 0 offset:192
	;; [unrolled: 1-line block ×4, first 2 shown]
.LBB77_199:
	s_or_b32 exec_lo, exec_lo, s6
	v_mov_b32_e32 v4, s7
	s_mov_b32 s6, exec_lo
                                        ; implicit-def: $sgpr22
	s_clause 0x3
	buffer_load_dword v1, v4, s[0:3], 0 offen
	buffer_load_dword v2, v4, s[0:3], 0 offen offset:4
	buffer_load_dword v3, v4, s[0:3], 0 offen offset:8
	;; [unrolled: 1-line block ×3, first 2 shown]
	s_waitcnt vmcnt(0)
	ds_write_b128 v34, v[1:4]
	s_waitcnt lgkmcnt(0)
	s_waitcnt_vscnt null, 0x0
	s_barrier
	buffer_gl0_inv
                                        ; implicit-def: $vgpr1_vgpr2
	v_cmpx_ne_u32_e32 13, v0
	s_cbranch_execz .LBB77_207
; %bb.200:
	ds_read_b128 v[1:4], v34
	v_cmp_ne_u32_e32 vcc_lo, 1, v35
	s_cbranch_vccnz .LBB77_202
; %bb.201:
	s_clause 0x3
	buffer_load_dword v34, v33, s[0:3], 0 offen offset:8
	buffer_load_dword v35, v33, s[0:3], 0 offen offset:12
	buffer_load_dword v36, v33, s[0:3], 0 offen
	buffer_load_dword v37, v33, s[0:3], 0 offen offset:4
	s_waitcnt vmcnt(2) lgkmcnt(0)
	v_mul_f64 v[40:41], v[3:4], v[34:35]
	v_mul_f64 v[33:34], v[1:2], v[34:35]
	s_waitcnt vmcnt(0)
	v_fma_f64 v[1:2], v[1:2], v[36:37], -v[40:41]
	v_fma_f64 v[3:4], v[3:4], v[36:37], v[33:34]
.LBB77_202:
	s_and_saveexec_b32 s8, s4
	s_cbranch_execz .LBB77_206
; %bb.203:
	v_add_nc_u32_e32 v33, 0xf0, v39
	v_add3_u32 v34, 0, v39, 16
	s_mov_b32 s4, 0
	.p2align	6
.LBB77_204:                             ; =>This Inner Loop Header: Depth=1
	s_clause 0x3
	buffer_load_dword v39, v34, s[0:3], 0 offen offset:8
	buffer_load_dword v40, v34, s[0:3], 0 offen offset:12
	buffer_load_dword v41, v34, s[0:3], 0 offen
	buffer_load_dword v42, v34, s[0:3], 0 offen offset:4
	ds_read_b128 v[35:38], v33
	v_add_nc_u32_e32 v0, 1, v0
	v_add_nc_u32_e32 v33, 16, v33
	;; [unrolled: 1-line block ×3, first 2 shown]
	v_cmp_lt_u32_e32 vcc_lo, 11, v0
	s_or_b32 s4, vcc_lo, s4
	s_waitcnt vmcnt(2) lgkmcnt(0)
	v_mul_f64 v[43:44], v[37:38], v[39:40]
	v_mul_f64 v[39:40], v[35:36], v[39:40]
	s_waitcnt vmcnt(0)
	v_fma_f64 v[35:36], v[35:36], v[41:42], -v[43:44]
	v_fma_f64 v[37:38], v[37:38], v[41:42], v[39:40]
	v_add_f64 v[1:2], v[1:2], v[35:36]
	v_add_f64 v[3:4], v[3:4], v[37:38]
	s_andn2_b32 exec_lo, exec_lo, s4
	s_cbranch_execnz .LBB77_204
; %bb.205:
	s_or_b32 exec_lo, exec_lo, s4
.LBB77_206:
	s_or_b32 exec_lo, exec_lo, s8
	v_mov_b32_e32 v0, 0
	s_movk_i32 s22, 0xd8
	s_or_b32 s5, s5, exec_lo
	ds_read_b128 v[33:36], v0 offset:208
	s_waitcnt lgkmcnt(0)
	v_mul_f64 v[37:38], v[3:4], v[35:36]
	v_mul_f64 v[35:36], v[1:2], v[35:36]
	v_fma_f64 v[37:38], v[1:2], v[33:34], -v[37:38]
	v_fma_f64 v[1:2], v[3:4], v[33:34], v[35:36]
	buffer_store_dword v38, off, s[0:3], 0 offset:212
	buffer_store_dword v37, off, s[0:3], 0 offset:208
.LBB77_207:
	s_or_b32 exec_lo, exec_lo, s6
.LBB77_208:
	s_and_saveexec_b32 s4, s5
	s_cbranch_execz .LBB77_210
; %bb.209:
	v_mov_b32_e32 v0, s22
	buffer_store_dword v2, v0, s[0:3], 0 offen offset:4
	buffer_store_dword v1, v0, s[0:3], 0 offen
.LBB77_210:
	s_or_b32 exec_lo, exec_lo, s4
	s_clause 0x3
	buffer_load_dword v0, off, s[0:3], 0
	buffer_load_dword v1, off, s[0:3], 0 offset:4
	buffer_load_dword v2, off, s[0:3], 0 offset:8
	;; [unrolled: 1-line block ×3, first 2 shown]
	v_mov_b32_e32 v4, s20
	s_waitcnt vmcnt(0)
	flat_store_dwordx4 v[5:6], v[0:3]
	s_clause 0x3
	buffer_load_dword v0, v4, s[0:3], 0 offen
	buffer_load_dword v1, v4, s[0:3], 0 offen offset:4
	buffer_load_dword v2, v4, s[0:3], 0 offen offset:8
	buffer_load_dword v3, v4, s[0:3], 0 offen offset:12
	v_mov_b32_e32 v4, s19
	s_waitcnt vmcnt(0)
	flat_store_dwordx4 v[7:8], v[0:3]
	s_clause 0x3
	buffer_load_dword v0, v4, s[0:3], 0 offen
	buffer_load_dword v1, v4, s[0:3], 0 offen offset:4
	buffer_load_dword v2, v4, s[0:3], 0 offen offset:8
	buffer_load_dword v3, v4, s[0:3], 0 offen offset:12
	v_mov_b32_e32 v4, s18
	s_waitcnt vmcnt(0)
	flat_store_dwordx4 v[9:10], v[0:3]
	s_clause 0x3
	buffer_load_dword v0, v4, s[0:3], 0 offen
	buffer_load_dword v1, v4, s[0:3], 0 offen offset:4
	buffer_load_dword v2, v4, s[0:3], 0 offen offset:8
	buffer_load_dword v3, v4, s[0:3], 0 offen offset:12
	v_mov_b32_e32 v4, s17
	s_waitcnt vmcnt(0)
	flat_store_dwordx4 v[11:12], v[0:3]
	s_clause 0x3
	buffer_load_dword v0, v4, s[0:3], 0 offen
	buffer_load_dword v1, v4, s[0:3], 0 offen offset:4
	buffer_load_dword v2, v4, s[0:3], 0 offen offset:8
	buffer_load_dword v3, v4, s[0:3], 0 offen offset:12
	v_mov_b32_e32 v4, s16
	s_waitcnt vmcnt(0)
	flat_store_dwordx4 v[13:14], v[0:3]
	s_clause 0x3
	buffer_load_dword v0, v4, s[0:3], 0 offen
	buffer_load_dword v1, v4, s[0:3], 0 offen offset:4
	buffer_load_dword v2, v4, s[0:3], 0 offen offset:8
	buffer_load_dword v3, v4, s[0:3], 0 offen offset:12
	v_mov_b32_e32 v4, s15
	s_waitcnt vmcnt(0)
	flat_store_dwordx4 v[15:16], v[0:3]
	s_clause 0x3
	buffer_load_dword v0, v4, s[0:3], 0 offen
	buffer_load_dword v1, v4, s[0:3], 0 offen offset:4
	buffer_load_dword v2, v4, s[0:3], 0 offen offset:8
	buffer_load_dword v3, v4, s[0:3], 0 offen offset:12
	v_mov_b32_e32 v4, s14
	s_waitcnt vmcnt(0)
	flat_store_dwordx4 v[17:18], v[0:3]
	s_clause 0x3
	buffer_load_dword v0, v4, s[0:3], 0 offen
	buffer_load_dword v1, v4, s[0:3], 0 offen offset:4
	buffer_load_dword v2, v4, s[0:3], 0 offen offset:8
	buffer_load_dword v3, v4, s[0:3], 0 offen offset:12
	v_mov_b32_e32 v4, s13
	s_waitcnt vmcnt(0)
	flat_store_dwordx4 v[19:20], v[0:3]
	s_clause 0x3
	buffer_load_dword v0, v4, s[0:3], 0 offen
	buffer_load_dword v1, v4, s[0:3], 0 offen offset:4
	buffer_load_dword v2, v4, s[0:3], 0 offen offset:8
	buffer_load_dword v3, v4, s[0:3], 0 offen offset:12
	v_mov_b32_e32 v4, s12
	s_waitcnt vmcnt(0)
	flat_store_dwordx4 v[21:22], v[0:3]
	s_clause 0x3
	buffer_load_dword v0, v4, s[0:3], 0 offen
	buffer_load_dword v1, v4, s[0:3], 0 offen offset:4
	buffer_load_dword v2, v4, s[0:3], 0 offen offset:8
	buffer_load_dword v3, v4, s[0:3], 0 offen offset:12
	v_mov_b32_e32 v4, s11
	s_waitcnt vmcnt(0)
	flat_store_dwordx4 v[23:24], v[0:3]
	s_clause 0x3
	buffer_load_dword v0, v4, s[0:3], 0 offen
	buffer_load_dword v1, v4, s[0:3], 0 offen offset:4
	buffer_load_dword v2, v4, s[0:3], 0 offen offset:8
	buffer_load_dword v3, v4, s[0:3], 0 offen offset:12
	v_mov_b32_e32 v4, s10
	s_waitcnt vmcnt(0)
	flat_store_dwordx4 v[25:26], v[0:3]
	s_clause 0x3
	buffer_load_dword v0, v4, s[0:3], 0 offen
	buffer_load_dword v1, v4, s[0:3], 0 offen offset:4
	buffer_load_dword v2, v4, s[0:3], 0 offen offset:8
	buffer_load_dword v3, v4, s[0:3], 0 offen offset:12
	v_mov_b32_e32 v4, s9
	s_waitcnt vmcnt(0)
	flat_store_dwordx4 v[27:28], v[0:3]
	s_clause 0x3
	buffer_load_dword v0, v4, s[0:3], 0 offen
	buffer_load_dword v1, v4, s[0:3], 0 offen offset:4
	buffer_load_dword v2, v4, s[0:3], 0 offen offset:8
	buffer_load_dword v3, v4, s[0:3], 0 offen offset:12
	v_mov_b32_e32 v4, s7
	s_waitcnt vmcnt(0)
	flat_store_dwordx4 v[29:30], v[0:3]
	s_clause 0x3
	buffer_load_dword v0, v4, s[0:3], 0 offen
	buffer_load_dword v1, v4, s[0:3], 0 offen offset:4
	buffer_load_dword v2, v4, s[0:3], 0 offen offset:8
	buffer_load_dword v3, v4, s[0:3], 0 offen offset:12
	s_waitcnt vmcnt(0)
	flat_store_dwordx4 v[31:32], v[0:3]
.LBB77_211:
	s_endpgm
	.section	.rodata,"a",@progbits
	.p2align	6, 0x0
	.amdhsa_kernel _ZN9rocsolver6v33100L18trti2_kernel_smallILi14E19rocblas_complex_numIdEPKPS3_EEv13rocblas_fill_17rocblas_diagonal_T1_iil
		.amdhsa_group_segment_fixed_size 448
		.amdhsa_private_segment_fixed_size 240
		.amdhsa_kernarg_size 32
		.amdhsa_user_sgpr_count 6
		.amdhsa_user_sgpr_private_segment_buffer 1
		.amdhsa_user_sgpr_dispatch_ptr 0
		.amdhsa_user_sgpr_queue_ptr 0
		.amdhsa_user_sgpr_kernarg_segment_ptr 1
		.amdhsa_user_sgpr_dispatch_id 0
		.amdhsa_user_sgpr_flat_scratch_init 0
		.amdhsa_user_sgpr_private_segment_size 0
		.amdhsa_wavefront_size32 1
		.amdhsa_uses_dynamic_stack 0
		.amdhsa_system_sgpr_private_segment_wavefront_offset 1
		.amdhsa_system_sgpr_workgroup_id_x 1
		.amdhsa_system_sgpr_workgroup_id_y 0
		.amdhsa_system_sgpr_workgroup_id_z 0
		.amdhsa_system_sgpr_workgroup_info 0
		.amdhsa_system_vgpr_workitem_id 0
		.amdhsa_next_free_vgpr 50
		.amdhsa_next_free_sgpr 25
		.amdhsa_reserve_vcc 1
		.amdhsa_reserve_flat_scratch 0
		.amdhsa_float_round_mode_32 0
		.amdhsa_float_round_mode_16_64 0
		.amdhsa_float_denorm_mode_32 3
		.amdhsa_float_denorm_mode_16_64 3
		.amdhsa_dx10_clamp 1
		.amdhsa_ieee_mode 1
		.amdhsa_fp16_overflow 0
		.amdhsa_workgroup_processor_mode 1
		.amdhsa_memory_ordered 1
		.amdhsa_forward_progress 1
		.amdhsa_shared_vgpr_count 0
		.amdhsa_exception_fp_ieee_invalid_op 0
		.amdhsa_exception_fp_denorm_src 0
		.amdhsa_exception_fp_ieee_div_zero 0
		.amdhsa_exception_fp_ieee_overflow 0
		.amdhsa_exception_fp_ieee_underflow 0
		.amdhsa_exception_fp_ieee_inexact 0
		.amdhsa_exception_int_div_zero 0
	.end_amdhsa_kernel
	.section	.text._ZN9rocsolver6v33100L18trti2_kernel_smallILi14E19rocblas_complex_numIdEPKPS3_EEv13rocblas_fill_17rocblas_diagonal_T1_iil,"axG",@progbits,_ZN9rocsolver6v33100L18trti2_kernel_smallILi14E19rocblas_complex_numIdEPKPS3_EEv13rocblas_fill_17rocblas_diagonal_T1_iil,comdat
.Lfunc_end77:
	.size	_ZN9rocsolver6v33100L18trti2_kernel_smallILi14E19rocblas_complex_numIdEPKPS3_EEv13rocblas_fill_17rocblas_diagonal_T1_iil, .Lfunc_end77-_ZN9rocsolver6v33100L18trti2_kernel_smallILi14E19rocblas_complex_numIdEPKPS3_EEv13rocblas_fill_17rocblas_diagonal_T1_iil
                                        ; -- End function
	.set _ZN9rocsolver6v33100L18trti2_kernel_smallILi14E19rocblas_complex_numIdEPKPS3_EEv13rocblas_fill_17rocblas_diagonal_T1_iil.num_vgpr, 50
	.set _ZN9rocsolver6v33100L18trti2_kernel_smallILi14E19rocblas_complex_numIdEPKPS3_EEv13rocblas_fill_17rocblas_diagonal_T1_iil.num_agpr, 0
	.set _ZN9rocsolver6v33100L18trti2_kernel_smallILi14E19rocblas_complex_numIdEPKPS3_EEv13rocblas_fill_17rocblas_diagonal_T1_iil.numbered_sgpr, 25
	.set _ZN9rocsolver6v33100L18trti2_kernel_smallILi14E19rocblas_complex_numIdEPKPS3_EEv13rocblas_fill_17rocblas_diagonal_T1_iil.num_named_barrier, 0
	.set _ZN9rocsolver6v33100L18trti2_kernel_smallILi14E19rocblas_complex_numIdEPKPS3_EEv13rocblas_fill_17rocblas_diagonal_T1_iil.private_seg_size, 240
	.set _ZN9rocsolver6v33100L18trti2_kernel_smallILi14E19rocblas_complex_numIdEPKPS3_EEv13rocblas_fill_17rocblas_diagonal_T1_iil.uses_vcc, 1
	.set _ZN9rocsolver6v33100L18trti2_kernel_smallILi14E19rocblas_complex_numIdEPKPS3_EEv13rocblas_fill_17rocblas_diagonal_T1_iil.uses_flat_scratch, 0
	.set _ZN9rocsolver6v33100L18trti2_kernel_smallILi14E19rocblas_complex_numIdEPKPS3_EEv13rocblas_fill_17rocblas_diagonal_T1_iil.has_dyn_sized_stack, 0
	.set _ZN9rocsolver6v33100L18trti2_kernel_smallILi14E19rocblas_complex_numIdEPKPS3_EEv13rocblas_fill_17rocblas_diagonal_T1_iil.has_recursion, 0
	.set _ZN9rocsolver6v33100L18trti2_kernel_smallILi14E19rocblas_complex_numIdEPKPS3_EEv13rocblas_fill_17rocblas_diagonal_T1_iil.has_indirect_call, 0
	.section	.AMDGPU.csdata,"",@progbits
; Kernel info:
; codeLenInByte = 13772
; TotalNumSgprs: 27
; NumVgprs: 50
; ScratchSize: 240
; MemoryBound: 0
; FloatMode: 240
; IeeeMode: 1
; LDSByteSize: 448 bytes/workgroup (compile time only)
; SGPRBlocks: 0
; VGPRBlocks: 6
; NumSGPRsForWavesPerEU: 27
; NumVGPRsForWavesPerEU: 50
; Occupancy: 16
; WaveLimiterHint : 1
; COMPUTE_PGM_RSRC2:SCRATCH_EN: 1
; COMPUTE_PGM_RSRC2:USER_SGPR: 6
; COMPUTE_PGM_RSRC2:TRAP_HANDLER: 0
; COMPUTE_PGM_RSRC2:TGID_X_EN: 1
; COMPUTE_PGM_RSRC2:TGID_Y_EN: 0
; COMPUTE_PGM_RSRC2:TGID_Z_EN: 0
; COMPUTE_PGM_RSRC2:TIDIG_COMP_CNT: 0
	.section	.text._ZN9rocsolver6v33100L18trti2_kernel_smallILi15E19rocblas_complex_numIdEPKPS3_EEv13rocblas_fill_17rocblas_diagonal_T1_iil,"axG",@progbits,_ZN9rocsolver6v33100L18trti2_kernel_smallILi15E19rocblas_complex_numIdEPKPS3_EEv13rocblas_fill_17rocblas_diagonal_T1_iil,comdat
	.globl	_ZN9rocsolver6v33100L18trti2_kernel_smallILi15E19rocblas_complex_numIdEPKPS3_EEv13rocblas_fill_17rocblas_diagonal_T1_iil ; -- Begin function _ZN9rocsolver6v33100L18trti2_kernel_smallILi15E19rocblas_complex_numIdEPKPS3_EEv13rocblas_fill_17rocblas_diagonal_T1_iil
	.p2align	8
	.type	_ZN9rocsolver6v33100L18trti2_kernel_smallILi15E19rocblas_complex_numIdEPKPS3_EEv13rocblas_fill_17rocblas_diagonal_T1_iil,@function
_ZN9rocsolver6v33100L18trti2_kernel_smallILi15E19rocblas_complex_numIdEPKPS3_EEv13rocblas_fill_17rocblas_diagonal_T1_iil: ; @_ZN9rocsolver6v33100L18trti2_kernel_smallILi15E19rocblas_complex_numIdEPKPS3_EEv13rocblas_fill_17rocblas_diagonal_T1_iil
; %bb.0:
	s_add_u32 s0, s0, s7
	s_addc_u32 s1, s1, 0
	s_mov_b32 s7, exec_lo
	v_cmpx_gt_u32_e32 15, v0
	s_cbranch_execz .LBB78_227
; %bb.1:
	s_clause 0x1
	s_load_dwordx2 s[12:13], s[4:5], 0x10
	s_load_dwordx4 s[8:11], s[4:5], 0x0
	s_ashr_i32 s7, s6, 31
	v_lshlrev_b32_e32 v41, 4, v0
	s_lshl_b64 s[4:5], s[6:7], 3
	s_movk_i32 s22, 0xb0
	s_movk_i32 s23, 0xc0
	;; [unrolled: 1-line block ×4, first 2 shown]
	s_waitcnt lgkmcnt(0)
	s_ashr_i32 s7, s12, 31
	s_add_u32 s4, s10, s4
	s_addc_u32 s5, s11, s5
	s_mov_b32 s6, s12
	s_load_dwordx2 s[4:5], s[4:5], 0x0
	s_lshl_b64 s[6:7], s[6:7], 4
	v_add3_u32 v11, s13, s13, v0
	s_movk_i32 s10, 0x90
	s_movk_i32 s11, 0xa0
	v_ashrrev_i32_e32 v12, 31, v11
	v_add_nc_u32_e32 v13, s13, v11
	v_lshlrev_b64 v[9:10], 4, v[11:12]
	v_ashrrev_i32_e32 v14, 31, v13
	v_add_nc_u32_e32 v15, s13, v13
	v_lshlrev_b64 v[11:12], 4, v[13:14]
	v_ashrrev_i32_e32 v16, 31, v15
	s_waitcnt lgkmcnt(0)
	s_add_u32 s4, s4, s6
	s_addc_u32 s5, s5, s7
	v_add_co_u32 v5, s6, s4, v41
	v_add_co_ci_u32_e64 v6, null, s5, 0, s6
	s_mov_b32 s6, s13
	s_ashr_i32 s7, s13, 31
	v_lshlrev_b64 v[13:14], 4, v[15:16]
	flat_load_dwordx4 v[1:4], v[5:6]
	s_lshl_b64 s[6:7], s[6:7], 4
	v_add_nc_u32_e32 v17, s13, v15
	v_add_co_u32 v7, vcc_lo, v5, s6
	v_add_co_ci_u32_e64 v8, null, s7, v6, vcc_lo
	v_add_co_u32 v9, vcc_lo, s4, v9
	v_add_co_ci_u32_e64 v10, null, s5, v10, vcc_lo
	;; [unrolled: 2-line block ×4, first 2 shown]
	v_ashrrev_i32_e32 v18, 31, v17
	v_add_nc_u32_e32 v19, s13, v17
	s_cmpk_lg_i32 s9, 0x84
	s_movk_i32 s6, 0x70
	s_movk_i32 s7, 0x80
	v_lshlrev_b64 v[15:16], 4, v[17:18]
	v_ashrrev_i32_e32 v20, 31, v19
	v_add_nc_u32_e32 v21, s13, v19
	s_cselect_b32 s21, -1, 0
	s_cmpk_eq_i32 s9, 0x84
	s_waitcnt vmcnt(0) lgkmcnt(0)
	buffer_store_dword v4, off, s[0:3], 0 offset:12
	buffer_store_dword v3, off, s[0:3], 0 offset:8
	;; [unrolled: 1-line block ×3, first 2 shown]
	buffer_store_dword v1, off, s[0:3], 0
	flat_load_dwordx4 v[1:4], v[7:8]
	v_add_co_u32 v15, vcc_lo, s4, v15
	v_add_co_ci_u32_e64 v16, null, s5, v16, vcc_lo
	v_lshlrev_b64 v[17:18], 4, v[19:20]
	v_ashrrev_i32_e32 v22, 31, v21
	v_add_nc_u32_e32 v23, s13, v21
	s_waitcnt vmcnt(0) lgkmcnt(0)
	buffer_store_dword v4, off, s[0:3], 0 offset:28
	buffer_store_dword v3, off, s[0:3], 0 offset:24
	buffer_store_dword v2, off, s[0:3], 0 offset:20
	buffer_store_dword v1, off, s[0:3], 0 offset:16
	flat_load_dwordx4 v[1:4], v[9:10]
	v_add_co_u32 v17, vcc_lo, s4, v17
	v_add_co_ci_u32_e64 v18, null, s5, v18, vcc_lo
	v_lshlrev_b64 v[19:20], 4, v[21:22]
	v_ashrrev_i32_e32 v24, 31, v23
	v_add_nc_u32_e32 v25, s13, v23
	s_waitcnt vmcnt(0) lgkmcnt(0)
	buffer_store_dword v4, off, s[0:3], 0 offset:44
	buffer_store_dword v3, off, s[0:3], 0 offset:40
	buffer_store_dword v2, off, s[0:3], 0 offset:36
	buffer_store_dword v1, off, s[0:3], 0 offset:32
	;; [unrolled: 11-line block ×6, first 2 shown]
	flat_load_dwordx4 v[1:4], v[19:20]
	v_add_co_u32 v27, vcc_lo, s4, v27
	v_add_co_ci_u32_e64 v28, null, s5, v28, vcc_lo
	v_lshlrev_b64 v[29:30], 4, v[31:32]
	v_ashrrev_i32_e32 v34, 31, v33
	s_waitcnt vmcnt(0) lgkmcnt(0)
	buffer_store_dword v4, off, s[0:3], 0 offset:124
	buffer_store_dword v3, off, s[0:3], 0 offset:120
	;; [unrolled: 1-line block ×4, first 2 shown]
	flat_load_dwordx4 v[1:4], v[21:22]
	v_add_co_u32 v29, vcc_lo, s4, v29
	v_add_co_ci_u32_e64 v30, null, s5, v30, vcc_lo
	v_lshlrev_b64 v[31:32], 4, v[33:34]
	v_add_nc_u32_e32 v33, s13, v33
	s_waitcnt vmcnt(0) lgkmcnt(0)
	buffer_store_dword v4, off, s[0:3], 0 offset:140
	buffer_store_dword v3, off, s[0:3], 0 offset:136
	;; [unrolled: 1-line block ×4, first 2 shown]
	flat_load_dwordx4 v[1:4], v[23:24]
	v_add_co_u32 v31, vcc_lo, s4, v31
	v_add_co_ci_u32_e64 v32, null, s5, v32, vcc_lo
	v_ashrrev_i32_e32 v34, 31, v33
	s_waitcnt vmcnt(0) lgkmcnt(0)
	buffer_store_dword v4, off, s[0:3], 0 offset:156
	buffer_store_dword v3, off, s[0:3], 0 offset:152
	;; [unrolled: 1-line block ×4, first 2 shown]
	flat_load_dwordx4 v[1:4], v[25:26]
	v_lshlrev_b64 v[33:34], 4, v[33:34]
	s_waitcnt vmcnt(0) lgkmcnt(0)
	buffer_store_dword v4, off, s[0:3], 0 offset:172
	buffer_store_dword v3, off, s[0:3], 0 offset:168
	;; [unrolled: 1-line block ×4, first 2 shown]
	flat_load_dwordx4 v[1:4], v[27:28]
	v_add_co_u32 v33, vcc_lo, s4, v33
	v_add_co_ci_u32_e64 v34, null, s5, v34, vcc_lo
	s_movk_i32 s4, 0x50
	s_movk_i32 s5, 0x60
	s_waitcnt vmcnt(0) lgkmcnt(0)
	buffer_store_dword v4, off, s[0:3], 0 offset:188
	buffer_store_dword v3, off, s[0:3], 0 offset:184
	buffer_store_dword v2, off, s[0:3], 0 offset:180
	buffer_store_dword v1, off, s[0:3], 0 offset:176
	flat_load_dwordx4 v[1:4], v[29:30]
	s_waitcnt vmcnt(0) lgkmcnt(0)
	buffer_store_dword v4, off, s[0:3], 0 offset:204
	buffer_store_dword v3, off, s[0:3], 0 offset:200
	buffer_store_dword v2, off, s[0:3], 0 offset:196
	buffer_store_dword v1, off, s[0:3], 0 offset:192
	flat_load_dwordx4 v[1:4], v[31:32]
	;; [unrolled: 6-line block ×3, first 2 shown]
	s_waitcnt vmcnt(0) lgkmcnt(0)
	buffer_store_dword v4, off, s[0:3], 0 offset:236
	buffer_store_dword v3, off, s[0:3], 0 offset:232
	;; [unrolled: 1-line block ×4, first 2 shown]
	s_cbranch_scc1 .LBB78_7
; %bb.2:
	v_lshl_add_u32 v42, v0, 4, 0
                                        ; implicit-def: $vgpr37_vgpr38
                                        ; implicit-def: $vgpr3_vgpr4
	s_clause 0x3
	buffer_load_dword v35, v42, s[0:3], 0 offen
	buffer_load_dword v36, v42, s[0:3], 0 offen offset:4
	buffer_load_dword v39, v42, s[0:3], 0 offen offset:8
	;; [unrolled: 1-line block ×3, first 2 shown]
	s_waitcnt vmcnt(0)
	v_cmp_ngt_f64_e64 s9, |v[35:36]|, |v[39:40]|
	s_and_saveexec_b32 s12, s9
	s_xor_b32 s9, exec_lo, s12
	s_cbranch_execz .LBB78_4
; %bb.3:
	v_div_scale_f64 v[1:2], null, v[39:40], v[39:40], v[35:36]
	v_div_scale_f64 v[43:44], vcc_lo, v[35:36], v[39:40], v[35:36]
	v_rcp_f64_e32 v[3:4], v[1:2]
	v_fma_f64 v[37:38], -v[1:2], v[3:4], 1.0
	v_fma_f64 v[3:4], v[3:4], v[37:38], v[3:4]
	v_fma_f64 v[37:38], -v[1:2], v[3:4], 1.0
	v_fma_f64 v[3:4], v[3:4], v[37:38], v[3:4]
	v_mul_f64 v[37:38], v[43:44], v[3:4]
	v_fma_f64 v[1:2], -v[1:2], v[37:38], v[43:44]
	v_div_fmas_f64 v[1:2], v[1:2], v[3:4], v[37:38]
	v_div_fixup_f64 v[1:2], v[1:2], v[39:40], v[35:36]
	v_fma_f64 v[3:4], v[35:36], v[1:2], v[39:40]
	v_div_scale_f64 v[35:36], null, v[3:4], v[3:4], 1.0
	v_div_scale_f64 v[43:44], vcc_lo, 1.0, v[3:4], 1.0
	v_rcp_f64_e32 v[37:38], v[35:36]
	v_fma_f64 v[39:40], -v[35:36], v[37:38], 1.0
	v_fma_f64 v[37:38], v[37:38], v[39:40], v[37:38]
	v_fma_f64 v[39:40], -v[35:36], v[37:38], 1.0
	v_fma_f64 v[37:38], v[37:38], v[39:40], v[37:38]
	v_mul_f64 v[39:40], v[43:44], v[37:38]
	v_fma_f64 v[35:36], -v[35:36], v[39:40], v[43:44]
	v_div_fmas_f64 v[35:36], v[35:36], v[37:38], v[39:40]
                                        ; implicit-def: $vgpr39_vgpr40
	v_div_fixup_f64 v[3:4], v[35:36], v[3:4], 1.0
                                        ; implicit-def: $vgpr35_vgpr36
	v_mul_f64 v[37:38], v[1:2], v[3:4]
	v_xor_b32_e32 v4, 0x80000000, v4
	v_xor_b32_e32 v2, 0x80000000, v38
	v_mov_b32_e32 v1, v37
.LBB78_4:
	s_andn2_saveexec_b32 s9, s9
	s_cbranch_execz .LBB78_6
; %bb.5:
	v_div_scale_f64 v[1:2], null, v[35:36], v[35:36], v[39:40]
	v_div_scale_f64 v[43:44], vcc_lo, v[39:40], v[35:36], v[39:40]
	v_rcp_f64_e32 v[3:4], v[1:2]
	v_fma_f64 v[37:38], -v[1:2], v[3:4], 1.0
	v_fma_f64 v[3:4], v[3:4], v[37:38], v[3:4]
	v_fma_f64 v[37:38], -v[1:2], v[3:4], 1.0
	v_fma_f64 v[3:4], v[3:4], v[37:38], v[3:4]
	v_mul_f64 v[37:38], v[43:44], v[3:4]
	v_fma_f64 v[1:2], -v[1:2], v[37:38], v[43:44]
	v_div_fmas_f64 v[1:2], v[1:2], v[3:4], v[37:38]
	v_div_fixup_f64 v[1:2], v[1:2], v[35:36], v[39:40]
	v_fma_f64 v[3:4], v[39:40], v[1:2], v[35:36]
	v_div_scale_f64 v[35:36], null, v[3:4], v[3:4], 1.0
	v_rcp_f64_e32 v[37:38], v[35:36]
	v_fma_f64 v[39:40], -v[35:36], v[37:38], 1.0
	v_fma_f64 v[37:38], v[37:38], v[39:40], v[37:38]
	v_fma_f64 v[39:40], -v[35:36], v[37:38], 1.0
	v_fma_f64 v[37:38], v[37:38], v[39:40], v[37:38]
	v_div_scale_f64 v[39:40], vcc_lo, 1.0, v[3:4], 1.0
	v_mul_f64 v[43:44], v[39:40], v[37:38]
	v_fma_f64 v[35:36], -v[35:36], v[43:44], v[39:40]
	v_div_fmas_f64 v[35:36], v[35:36], v[37:38], v[43:44]
	v_div_fixup_f64 v[37:38], v[35:36], v[3:4], 1.0
	v_mul_f64 v[3:4], v[1:2], -v[37:38]
	v_xor_b32_e32 v2, 0x80000000, v38
	v_mov_b32_e32 v1, v37
.LBB78_6:
	s_or_b32 exec_lo, exec_lo, s9
	buffer_store_dword v4, v42, s[0:3], 0 offen offset:12
	v_xor_b32_e32 v4, 0x80000000, v4
	buffer_store_dword v38, v42, s[0:3], 0 offen offset:4
	buffer_store_dword v37, v42, s[0:3], 0 offen
	buffer_store_dword v3, v42, s[0:3], 0 offen offset:8
	s_branch .LBB78_8
.LBB78_7:
	v_mov_b32_e32 v1, 0
	v_mov_b32_e32 v3, 0
	v_mov_b32_e32 v2, 0xbff00000
	v_mov_b32_e32 v4, 0
.LBB78_8:
	v_add_nc_u32_e32 v36, 0xf0, v41
	v_mov_b32_e32 v35, v41
	s_mov_b32 s20, 16
	s_mov_b32 s19, 32
	s_mov_b32 s18, 48
	s_mov_b32 s17, 64
	s_mov_b32 s16, s4
	s_mov_b32 s15, s5
	s_mov_b32 s14, s6
	s_mov_b32 s13, s7
	s_mov_b32 s12, s10
	s_mov_b32 s10, s22
	s_mov_b32 s9, s23
	s_mov_b32 s7, s24
	s_mov_b32 s6, s25
	s_cmpk_eq_i32 s8, 0x79
	ds_write_b128 v41, v[1:4]
	s_cbranch_scc1 .LBB78_116
; %bb.9:
	v_mov_b32_e32 v4, s7
	v_cmp_eq_u32_e64 s4, 14, v0
	s_clause 0x3
	buffer_load_dword v1, v4, s[0:3], 0 offen
	buffer_load_dword v2, v4, s[0:3], 0 offen offset:4
	buffer_load_dword v3, v4, s[0:3], 0 offen offset:8
	;; [unrolled: 1-line block ×3, first 2 shown]
	s_waitcnt vmcnt(0)
	ds_write_b128 v36, v[1:4]
	s_waitcnt lgkmcnt(0)
	s_waitcnt_vscnt null, 0x0
	s_barrier
	buffer_gl0_inv
	s_and_saveexec_b32 s5, s4
	s_cbranch_execz .LBB78_13
; %bb.10:
	ds_read_b128 v[1:4], v36
	s_andn2_b32 vcc_lo, exec_lo, s21
	s_cbranch_vccnz .LBB78_12
; %bb.11:
	s_clause 0x3
	buffer_load_dword v37, v35, s[0:3], 0 offen offset:8
	buffer_load_dword v38, v35, s[0:3], 0 offen offset:12
	buffer_load_dword v39, v35, s[0:3], 0 offen
	buffer_load_dword v40, v35, s[0:3], 0 offen offset:4
	s_waitcnt vmcnt(2) lgkmcnt(0)
	v_mul_f64 v[42:43], v[3:4], v[37:38]
	v_mul_f64 v[37:38], v[1:2], v[37:38]
	s_waitcnt vmcnt(0)
	v_fma_f64 v[1:2], v[1:2], v[39:40], -v[42:43]
	v_fma_f64 v[3:4], v[3:4], v[39:40], v[37:38]
.LBB78_12:
	v_mov_b32_e32 v37, 0
	ds_read_b128 v[37:40], v37 offset:208
	s_waitcnt lgkmcnt(0)
	v_mul_f64 v[42:43], v[3:4], v[39:40]
	v_mul_f64 v[39:40], v[1:2], v[39:40]
	v_fma_f64 v[1:2], v[1:2], v[37:38], -v[42:43]
	v_fma_f64 v[3:4], v[3:4], v[37:38], v[39:40]
	buffer_store_dword v2, off, s[0:3], 0 offset:212
	buffer_store_dword v1, off, s[0:3], 0 offset:208
	;; [unrolled: 1-line block ×4, first 2 shown]
.LBB78_13:
	s_or_b32 exec_lo, exec_lo, s5
	v_mov_b32_e32 v4, s9
	v_cmp_lt_u32_e64 s5, 12, v0
	s_clause 0x3
	buffer_load_dword v1, v4, s[0:3], 0 offen
	buffer_load_dword v2, v4, s[0:3], 0 offen offset:4
	buffer_load_dword v3, v4, s[0:3], 0 offen offset:8
	;; [unrolled: 1-line block ×3, first 2 shown]
	s_waitcnt vmcnt(0)
	ds_write_b128 v36, v[1:4]
	s_waitcnt lgkmcnt(0)
	s_waitcnt_vscnt null, 0x0
	s_barrier
	buffer_gl0_inv
	s_and_saveexec_b32 s8, s5
	s_cbranch_execz .LBB78_19
; %bb.14:
	ds_read_b128 v[1:4], v36
	s_andn2_b32 vcc_lo, exec_lo, s21
	s_cbranch_vccnz .LBB78_16
; %bb.15:
	s_clause 0x3
	buffer_load_dword v37, v35, s[0:3], 0 offen offset:8
	buffer_load_dword v38, v35, s[0:3], 0 offen offset:12
	buffer_load_dword v39, v35, s[0:3], 0 offen
	buffer_load_dword v40, v35, s[0:3], 0 offen offset:4
	s_waitcnt vmcnt(2) lgkmcnt(0)
	v_mul_f64 v[42:43], v[3:4], v[37:38]
	v_mul_f64 v[37:38], v[1:2], v[37:38]
	s_waitcnt vmcnt(0)
	v_fma_f64 v[1:2], v[1:2], v[39:40], -v[42:43]
	v_fma_f64 v[3:4], v[3:4], v[39:40], v[37:38]
.LBB78_16:
	s_and_saveexec_b32 s22, s4
	s_cbranch_execz .LBB78_18
; %bb.17:
	s_clause 0x3
	buffer_load_dword v42, off, s[0:3], 0 offset:216
	buffer_load_dword v43, off, s[0:3], 0 offset:220
	;; [unrolled: 1-line block ×4, first 2 shown]
	v_mov_b32_e32 v37, 0
	ds_read_b128 v[37:40], v37 offset:448
	s_waitcnt vmcnt(2) lgkmcnt(0)
	v_mul_f64 v[46:47], v[37:38], v[42:43]
	v_mul_f64 v[42:43], v[39:40], v[42:43]
	s_waitcnt vmcnt(0)
	v_fma_f64 v[39:40], v[39:40], v[44:45], v[46:47]
	v_fma_f64 v[37:38], v[37:38], v[44:45], -v[42:43]
	v_add_f64 v[3:4], v[3:4], v[39:40]
	v_add_f64 v[1:2], v[1:2], v[37:38]
.LBB78_18:
	s_or_b32 exec_lo, exec_lo, s22
	v_mov_b32_e32 v37, 0
	ds_read_b128 v[37:40], v37 offset:192
	s_waitcnt lgkmcnt(0)
	v_mul_f64 v[42:43], v[3:4], v[39:40]
	v_mul_f64 v[39:40], v[1:2], v[39:40]
	v_fma_f64 v[1:2], v[1:2], v[37:38], -v[42:43]
	v_fma_f64 v[3:4], v[3:4], v[37:38], v[39:40]
	buffer_store_dword v2, off, s[0:3], 0 offset:196
	buffer_store_dword v1, off, s[0:3], 0 offset:192
	;; [unrolled: 1-line block ×4, first 2 shown]
.LBB78_19:
	s_or_b32 exec_lo, exec_lo, s8
	v_mov_b32_e32 v4, s10
	v_cmp_lt_u32_e64 s4, 11, v0
	s_clause 0x3
	buffer_load_dword v1, v4, s[0:3], 0 offen
	buffer_load_dword v2, v4, s[0:3], 0 offen offset:4
	buffer_load_dword v3, v4, s[0:3], 0 offen offset:8
	;; [unrolled: 1-line block ×3, first 2 shown]
	s_waitcnt vmcnt(0)
	ds_write_b128 v36, v[1:4]
	s_waitcnt lgkmcnt(0)
	s_waitcnt_vscnt null, 0x0
	s_barrier
	buffer_gl0_inv
	s_and_saveexec_b32 s8, s4
	s_cbranch_execz .LBB78_27
; %bb.20:
	ds_read_b128 v[1:4], v36
	s_andn2_b32 vcc_lo, exec_lo, s21
	s_cbranch_vccnz .LBB78_22
; %bb.21:
	s_clause 0x3
	buffer_load_dword v37, v35, s[0:3], 0 offen offset:8
	buffer_load_dword v38, v35, s[0:3], 0 offen offset:12
	buffer_load_dword v39, v35, s[0:3], 0 offen
	buffer_load_dword v40, v35, s[0:3], 0 offen offset:4
	s_waitcnt vmcnt(2) lgkmcnt(0)
	v_mul_f64 v[42:43], v[3:4], v[37:38]
	v_mul_f64 v[37:38], v[1:2], v[37:38]
	s_waitcnt vmcnt(0)
	v_fma_f64 v[1:2], v[1:2], v[39:40], -v[42:43]
	v_fma_f64 v[3:4], v[3:4], v[39:40], v[37:38]
.LBB78_22:
	s_and_saveexec_b32 s22, s5
	s_cbranch_execz .LBB78_26
; %bb.23:
	v_add_nc_u32_e32 v37, -12, v0
	s_movk_i32 s23, 0x1b0
	s_mov_b32 s5, 0
	s_mov_b32 s24, s9
	.p2align	6
.LBB78_24:                              ; =>This Inner Loop Header: Depth=1
	v_mov_b32_e32 v40, s24
	v_add_nc_u32_e32 v37, -1, v37
	s_add_i32 s24, s24, 16
	s_clause 0x3
	buffer_load_dword v38, v40, s[0:3], 0 offen offset:8
	buffer_load_dword v39, v40, s[0:3], 0 offen offset:12
	buffer_load_dword v46, v40, s[0:3], 0 offen
	buffer_load_dword v47, v40, s[0:3], 0 offen offset:4
	v_mov_b32_e32 v40, s23
	v_cmp_eq_u32_e32 vcc_lo, 0, v37
	s_add_i32 s23, s23, 16
	ds_read_b128 v[42:45], v40
	s_or_b32 s5, vcc_lo, s5
	s_waitcnt vmcnt(2) lgkmcnt(0)
	v_mul_f64 v[48:49], v[44:45], v[38:39]
	v_mul_f64 v[38:39], v[42:43], v[38:39]
	s_waitcnt vmcnt(0)
	v_fma_f64 v[42:43], v[42:43], v[46:47], -v[48:49]
	v_fma_f64 v[38:39], v[44:45], v[46:47], v[38:39]
	v_add_f64 v[1:2], v[1:2], v[42:43]
	v_add_f64 v[3:4], v[3:4], v[38:39]
	s_andn2_b32 exec_lo, exec_lo, s5
	s_cbranch_execnz .LBB78_24
; %bb.25:
	s_or_b32 exec_lo, exec_lo, s5
.LBB78_26:
	s_or_b32 exec_lo, exec_lo, s22
	v_mov_b32_e32 v37, 0
	ds_read_b128 v[37:40], v37 offset:176
	s_waitcnt lgkmcnt(0)
	v_mul_f64 v[42:43], v[3:4], v[39:40]
	v_mul_f64 v[39:40], v[1:2], v[39:40]
	v_fma_f64 v[1:2], v[1:2], v[37:38], -v[42:43]
	v_fma_f64 v[3:4], v[3:4], v[37:38], v[39:40]
	buffer_store_dword v2, off, s[0:3], 0 offset:180
	buffer_store_dword v1, off, s[0:3], 0 offset:176
	;; [unrolled: 1-line block ×4, first 2 shown]
.LBB78_27:
	s_or_b32 exec_lo, exec_lo, s8
	v_mov_b32_e32 v4, s11
	v_cmp_lt_u32_e64 s5, 10, v0
	s_clause 0x3
	buffer_load_dword v1, v4, s[0:3], 0 offen
	buffer_load_dword v2, v4, s[0:3], 0 offen offset:4
	buffer_load_dword v3, v4, s[0:3], 0 offen offset:8
	;; [unrolled: 1-line block ×3, first 2 shown]
	s_waitcnt vmcnt(0)
	ds_write_b128 v36, v[1:4]
	s_waitcnt lgkmcnt(0)
	s_waitcnt_vscnt null, 0x0
	s_barrier
	buffer_gl0_inv
	s_and_saveexec_b32 s8, s5
	s_cbranch_execz .LBB78_35
; %bb.28:
	ds_read_b128 v[1:4], v36
	s_andn2_b32 vcc_lo, exec_lo, s21
	s_cbranch_vccnz .LBB78_30
; %bb.29:
	s_clause 0x3
	buffer_load_dword v37, v35, s[0:3], 0 offen offset:8
	buffer_load_dword v38, v35, s[0:3], 0 offen offset:12
	buffer_load_dword v39, v35, s[0:3], 0 offen
	buffer_load_dword v40, v35, s[0:3], 0 offen offset:4
	s_waitcnt vmcnt(2) lgkmcnt(0)
	v_mul_f64 v[42:43], v[3:4], v[37:38]
	v_mul_f64 v[37:38], v[1:2], v[37:38]
	s_waitcnt vmcnt(0)
	v_fma_f64 v[1:2], v[1:2], v[39:40], -v[42:43]
	v_fma_f64 v[3:4], v[3:4], v[39:40], v[37:38]
.LBB78_30:
	s_and_saveexec_b32 s22, s4
	s_cbranch_execz .LBB78_34
; %bb.31:
	v_add_nc_u32_e32 v37, -11, v0
	s_movk_i32 s23, 0x1a0
	s_mov_b32 s4, 0
	s_mov_b32 s24, s10
	.p2align	6
.LBB78_32:                              ; =>This Inner Loop Header: Depth=1
	v_mov_b32_e32 v40, s24
	v_add_nc_u32_e32 v37, -1, v37
	s_add_i32 s24, s24, 16
	s_clause 0x3
	buffer_load_dword v38, v40, s[0:3], 0 offen offset:8
	buffer_load_dword v39, v40, s[0:3], 0 offen offset:12
	buffer_load_dword v46, v40, s[0:3], 0 offen
	buffer_load_dword v47, v40, s[0:3], 0 offen offset:4
	v_mov_b32_e32 v40, s23
	v_cmp_eq_u32_e32 vcc_lo, 0, v37
	s_add_i32 s23, s23, 16
	ds_read_b128 v[42:45], v40
	s_or_b32 s4, vcc_lo, s4
	s_waitcnt vmcnt(2) lgkmcnt(0)
	v_mul_f64 v[48:49], v[44:45], v[38:39]
	v_mul_f64 v[38:39], v[42:43], v[38:39]
	s_waitcnt vmcnt(0)
	v_fma_f64 v[42:43], v[42:43], v[46:47], -v[48:49]
	v_fma_f64 v[38:39], v[44:45], v[46:47], v[38:39]
	v_add_f64 v[1:2], v[1:2], v[42:43]
	v_add_f64 v[3:4], v[3:4], v[38:39]
	s_andn2_b32 exec_lo, exec_lo, s4
	s_cbranch_execnz .LBB78_32
; %bb.33:
	s_or_b32 exec_lo, exec_lo, s4
.LBB78_34:
	s_or_b32 exec_lo, exec_lo, s22
	v_mov_b32_e32 v37, 0
	ds_read_b128 v[37:40], v37 offset:160
	s_waitcnt lgkmcnt(0)
	v_mul_f64 v[42:43], v[3:4], v[39:40]
	v_mul_f64 v[39:40], v[1:2], v[39:40]
	v_fma_f64 v[1:2], v[1:2], v[37:38], -v[42:43]
	v_fma_f64 v[3:4], v[3:4], v[37:38], v[39:40]
	buffer_store_dword v2, off, s[0:3], 0 offset:164
	buffer_store_dword v1, off, s[0:3], 0 offset:160
	;; [unrolled: 1-line block ×4, first 2 shown]
.LBB78_35:
	s_or_b32 exec_lo, exec_lo, s8
	v_mov_b32_e32 v4, s12
	v_cmp_lt_u32_e64 s4, 9, v0
	s_clause 0x3
	buffer_load_dword v1, v4, s[0:3], 0 offen
	buffer_load_dword v2, v4, s[0:3], 0 offen offset:4
	buffer_load_dword v3, v4, s[0:3], 0 offen offset:8
	;; [unrolled: 1-line block ×3, first 2 shown]
	s_waitcnt vmcnt(0)
	ds_write_b128 v36, v[1:4]
	s_waitcnt lgkmcnt(0)
	s_waitcnt_vscnt null, 0x0
	s_barrier
	buffer_gl0_inv
	s_and_saveexec_b32 s8, s4
	s_cbranch_execz .LBB78_43
; %bb.36:
	ds_read_b128 v[1:4], v36
	s_andn2_b32 vcc_lo, exec_lo, s21
	s_cbranch_vccnz .LBB78_38
; %bb.37:
	s_clause 0x3
	buffer_load_dword v37, v35, s[0:3], 0 offen offset:8
	buffer_load_dword v38, v35, s[0:3], 0 offen offset:12
	buffer_load_dword v39, v35, s[0:3], 0 offen
	buffer_load_dword v40, v35, s[0:3], 0 offen offset:4
	s_waitcnt vmcnt(2) lgkmcnt(0)
	v_mul_f64 v[42:43], v[3:4], v[37:38]
	v_mul_f64 v[37:38], v[1:2], v[37:38]
	s_waitcnt vmcnt(0)
	v_fma_f64 v[1:2], v[1:2], v[39:40], -v[42:43]
	v_fma_f64 v[3:4], v[3:4], v[39:40], v[37:38]
.LBB78_38:
	s_and_saveexec_b32 s22, s5
	s_cbranch_execz .LBB78_42
; %bb.39:
	v_add_nc_u32_e32 v37, -10, v0
	s_movk_i32 s23, 0x190
	s_mov_b32 s5, 0
	s_mov_b32 s24, s11
	.p2align	6
.LBB78_40:                              ; =>This Inner Loop Header: Depth=1
	v_mov_b32_e32 v40, s24
	v_add_nc_u32_e32 v37, -1, v37
	s_add_i32 s24, s24, 16
	s_clause 0x3
	buffer_load_dword v38, v40, s[0:3], 0 offen offset:8
	buffer_load_dword v39, v40, s[0:3], 0 offen offset:12
	buffer_load_dword v46, v40, s[0:3], 0 offen
	buffer_load_dword v47, v40, s[0:3], 0 offen offset:4
	v_mov_b32_e32 v40, s23
	v_cmp_eq_u32_e32 vcc_lo, 0, v37
	s_add_i32 s23, s23, 16
	ds_read_b128 v[42:45], v40
	s_or_b32 s5, vcc_lo, s5
	s_waitcnt vmcnt(2) lgkmcnt(0)
	v_mul_f64 v[48:49], v[44:45], v[38:39]
	v_mul_f64 v[38:39], v[42:43], v[38:39]
	s_waitcnt vmcnt(0)
	v_fma_f64 v[42:43], v[42:43], v[46:47], -v[48:49]
	v_fma_f64 v[38:39], v[44:45], v[46:47], v[38:39]
	v_add_f64 v[1:2], v[1:2], v[42:43]
	v_add_f64 v[3:4], v[3:4], v[38:39]
	s_andn2_b32 exec_lo, exec_lo, s5
	s_cbranch_execnz .LBB78_40
; %bb.41:
	s_or_b32 exec_lo, exec_lo, s5
.LBB78_42:
	s_or_b32 exec_lo, exec_lo, s22
	v_mov_b32_e32 v37, 0
	ds_read_b128 v[37:40], v37 offset:144
	s_waitcnt lgkmcnt(0)
	v_mul_f64 v[42:43], v[3:4], v[39:40]
	v_mul_f64 v[39:40], v[1:2], v[39:40]
	v_fma_f64 v[1:2], v[1:2], v[37:38], -v[42:43]
	v_fma_f64 v[3:4], v[3:4], v[37:38], v[39:40]
	buffer_store_dword v2, off, s[0:3], 0 offset:148
	buffer_store_dword v1, off, s[0:3], 0 offset:144
	;; [unrolled: 1-line block ×4, first 2 shown]
.LBB78_43:
	s_or_b32 exec_lo, exec_lo, s8
	v_mov_b32_e32 v4, s13
	v_cmp_lt_u32_e64 s5, 8, v0
	s_clause 0x3
	buffer_load_dword v1, v4, s[0:3], 0 offen
	buffer_load_dword v2, v4, s[0:3], 0 offen offset:4
	buffer_load_dword v3, v4, s[0:3], 0 offen offset:8
	;; [unrolled: 1-line block ×3, first 2 shown]
	s_waitcnt vmcnt(0)
	ds_write_b128 v36, v[1:4]
	s_waitcnt lgkmcnt(0)
	s_waitcnt_vscnt null, 0x0
	s_barrier
	buffer_gl0_inv
	s_and_saveexec_b32 s8, s5
	s_cbranch_execz .LBB78_51
; %bb.44:
	ds_read_b128 v[1:4], v36
	s_andn2_b32 vcc_lo, exec_lo, s21
	s_cbranch_vccnz .LBB78_46
; %bb.45:
	s_clause 0x3
	buffer_load_dword v37, v35, s[0:3], 0 offen offset:8
	buffer_load_dword v38, v35, s[0:3], 0 offen offset:12
	buffer_load_dword v39, v35, s[0:3], 0 offen
	buffer_load_dword v40, v35, s[0:3], 0 offen offset:4
	s_waitcnt vmcnt(2) lgkmcnt(0)
	v_mul_f64 v[42:43], v[3:4], v[37:38]
	v_mul_f64 v[37:38], v[1:2], v[37:38]
	s_waitcnt vmcnt(0)
	v_fma_f64 v[1:2], v[1:2], v[39:40], -v[42:43]
	v_fma_f64 v[3:4], v[3:4], v[39:40], v[37:38]
.LBB78_46:
	s_and_saveexec_b32 s22, s4
	s_cbranch_execz .LBB78_50
; %bb.47:
	v_add_nc_u32_e32 v37, -9, v0
	s_movk_i32 s23, 0x180
	s_mov_b32 s4, 0
	s_mov_b32 s24, s12
	.p2align	6
.LBB78_48:                              ; =>This Inner Loop Header: Depth=1
	v_mov_b32_e32 v40, s24
	v_add_nc_u32_e32 v37, -1, v37
	s_add_i32 s24, s24, 16
	s_clause 0x3
	buffer_load_dword v38, v40, s[0:3], 0 offen offset:8
	buffer_load_dword v39, v40, s[0:3], 0 offen offset:12
	buffer_load_dword v46, v40, s[0:3], 0 offen
	buffer_load_dword v47, v40, s[0:3], 0 offen offset:4
	v_mov_b32_e32 v40, s23
	v_cmp_eq_u32_e32 vcc_lo, 0, v37
	s_add_i32 s23, s23, 16
	ds_read_b128 v[42:45], v40
	s_or_b32 s4, vcc_lo, s4
	s_waitcnt vmcnt(2) lgkmcnt(0)
	v_mul_f64 v[48:49], v[44:45], v[38:39]
	v_mul_f64 v[38:39], v[42:43], v[38:39]
	s_waitcnt vmcnt(0)
	v_fma_f64 v[42:43], v[42:43], v[46:47], -v[48:49]
	v_fma_f64 v[38:39], v[44:45], v[46:47], v[38:39]
	v_add_f64 v[1:2], v[1:2], v[42:43]
	v_add_f64 v[3:4], v[3:4], v[38:39]
	s_andn2_b32 exec_lo, exec_lo, s4
	s_cbranch_execnz .LBB78_48
; %bb.49:
	s_or_b32 exec_lo, exec_lo, s4
.LBB78_50:
	s_or_b32 exec_lo, exec_lo, s22
	v_mov_b32_e32 v37, 0
	ds_read_b128 v[37:40], v37 offset:128
	s_waitcnt lgkmcnt(0)
	v_mul_f64 v[42:43], v[3:4], v[39:40]
	v_mul_f64 v[39:40], v[1:2], v[39:40]
	v_fma_f64 v[1:2], v[1:2], v[37:38], -v[42:43]
	v_fma_f64 v[3:4], v[3:4], v[37:38], v[39:40]
	buffer_store_dword v2, off, s[0:3], 0 offset:132
	buffer_store_dword v1, off, s[0:3], 0 offset:128
	;; [unrolled: 1-line block ×4, first 2 shown]
.LBB78_51:
	s_or_b32 exec_lo, exec_lo, s8
	v_mov_b32_e32 v4, s14
	v_cmp_lt_u32_e64 s4, 7, v0
	s_clause 0x3
	buffer_load_dword v1, v4, s[0:3], 0 offen
	buffer_load_dword v2, v4, s[0:3], 0 offen offset:4
	buffer_load_dword v3, v4, s[0:3], 0 offen offset:8
	;; [unrolled: 1-line block ×3, first 2 shown]
	s_waitcnt vmcnt(0)
	ds_write_b128 v36, v[1:4]
	s_waitcnt lgkmcnt(0)
	s_waitcnt_vscnt null, 0x0
	s_barrier
	buffer_gl0_inv
	s_and_saveexec_b32 s8, s4
	s_cbranch_execz .LBB78_59
; %bb.52:
	ds_read_b128 v[1:4], v36
	s_andn2_b32 vcc_lo, exec_lo, s21
	s_cbranch_vccnz .LBB78_54
; %bb.53:
	s_clause 0x3
	buffer_load_dword v37, v35, s[0:3], 0 offen offset:8
	buffer_load_dword v38, v35, s[0:3], 0 offen offset:12
	buffer_load_dword v39, v35, s[0:3], 0 offen
	buffer_load_dword v40, v35, s[0:3], 0 offen offset:4
	s_waitcnt vmcnt(2) lgkmcnt(0)
	v_mul_f64 v[42:43], v[3:4], v[37:38]
	v_mul_f64 v[37:38], v[1:2], v[37:38]
	s_waitcnt vmcnt(0)
	v_fma_f64 v[1:2], v[1:2], v[39:40], -v[42:43]
	v_fma_f64 v[3:4], v[3:4], v[39:40], v[37:38]
.LBB78_54:
	s_and_saveexec_b32 s22, s5
	s_cbranch_execz .LBB78_58
; %bb.55:
	v_add_nc_u32_e32 v37, -8, v0
	s_movk_i32 s23, 0x170
	s_mov_b32 s5, 0
	s_mov_b32 s24, s13
	.p2align	6
.LBB78_56:                              ; =>This Inner Loop Header: Depth=1
	v_mov_b32_e32 v40, s24
	v_add_nc_u32_e32 v37, -1, v37
	s_add_i32 s24, s24, 16
	s_clause 0x3
	buffer_load_dword v38, v40, s[0:3], 0 offen offset:8
	buffer_load_dword v39, v40, s[0:3], 0 offen offset:12
	buffer_load_dword v46, v40, s[0:3], 0 offen
	buffer_load_dword v47, v40, s[0:3], 0 offen offset:4
	v_mov_b32_e32 v40, s23
	v_cmp_eq_u32_e32 vcc_lo, 0, v37
	s_add_i32 s23, s23, 16
	ds_read_b128 v[42:45], v40
	s_or_b32 s5, vcc_lo, s5
	s_waitcnt vmcnt(2) lgkmcnt(0)
	v_mul_f64 v[48:49], v[44:45], v[38:39]
	v_mul_f64 v[38:39], v[42:43], v[38:39]
	s_waitcnt vmcnt(0)
	v_fma_f64 v[42:43], v[42:43], v[46:47], -v[48:49]
	v_fma_f64 v[38:39], v[44:45], v[46:47], v[38:39]
	v_add_f64 v[1:2], v[1:2], v[42:43]
	v_add_f64 v[3:4], v[3:4], v[38:39]
	s_andn2_b32 exec_lo, exec_lo, s5
	s_cbranch_execnz .LBB78_56
; %bb.57:
	s_or_b32 exec_lo, exec_lo, s5
.LBB78_58:
	s_or_b32 exec_lo, exec_lo, s22
	v_mov_b32_e32 v37, 0
	ds_read_b128 v[37:40], v37 offset:112
	s_waitcnt lgkmcnt(0)
	v_mul_f64 v[42:43], v[3:4], v[39:40]
	v_mul_f64 v[39:40], v[1:2], v[39:40]
	v_fma_f64 v[1:2], v[1:2], v[37:38], -v[42:43]
	v_fma_f64 v[3:4], v[3:4], v[37:38], v[39:40]
	buffer_store_dword v2, off, s[0:3], 0 offset:116
	buffer_store_dword v1, off, s[0:3], 0 offset:112
	buffer_store_dword v4, off, s[0:3], 0 offset:124
	buffer_store_dword v3, off, s[0:3], 0 offset:120
.LBB78_59:
	s_or_b32 exec_lo, exec_lo, s8
	v_mov_b32_e32 v4, s15
	v_cmp_lt_u32_e64 s5, 6, v0
	s_clause 0x3
	buffer_load_dword v1, v4, s[0:3], 0 offen
	buffer_load_dword v2, v4, s[0:3], 0 offen offset:4
	buffer_load_dword v3, v4, s[0:3], 0 offen offset:8
	;; [unrolled: 1-line block ×3, first 2 shown]
	s_waitcnt vmcnt(0)
	ds_write_b128 v36, v[1:4]
	s_waitcnt lgkmcnt(0)
	s_waitcnt_vscnt null, 0x0
	s_barrier
	buffer_gl0_inv
	s_and_saveexec_b32 s8, s5
	s_cbranch_execz .LBB78_67
; %bb.60:
	ds_read_b128 v[1:4], v36
	s_andn2_b32 vcc_lo, exec_lo, s21
	s_cbranch_vccnz .LBB78_62
; %bb.61:
	s_clause 0x3
	buffer_load_dword v37, v35, s[0:3], 0 offen offset:8
	buffer_load_dword v38, v35, s[0:3], 0 offen offset:12
	buffer_load_dword v39, v35, s[0:3], 0 offen
	buffer_load_dword v40, v35, s[0:3], 0 offen offset:4
	s_waitcnt vmcnt(2) lgkmcnt(0)
	v_mul_f64 v[42:43], v[3:4], v[37:38]
	v_mul_f64 v[37:38], v[1:2], v[37:38]
	s_waitcnt vmcnt(0)
	v_fma_f64 v[1:2], v[1:2], v[39:40], -v[42:43]
	v_fma_f64 v[3:4], v[3:4], v[39:40], v[37:38]
.LBB78_62:
	s_and_saveexec_b32 s22, s4
	s_cbranch_execz .LBB78_66
; %bb.63:
	v_add_nc_u32_e32 v37, -7, v0
	s_movk_i32 s23, 0x160
	s_mov_b32 s4, 0
	s_mov_b32 s24, s14
	.p2align	6
.LBB78_64:                              ; =>This Inner Loop Header: Depth=1
	v_mov_b32_e32 v40, s24
	v_add_nc_u32_e32 v37, -1, v37
	s_add_i32 s24, s24, 16
	s_clause 0x3
	buffer_load_dword v38, v40, s[0:3], 0 offen offset:8
	buffer_load_dword v39, v40, s[0:3], 0 offen offset:12
	buffer_load_dword v46, v40, s[0:3], 0 offen
	buffer_load_dword v47, v40, s[0:3], 0 offen offset:4
	v_mov_b32_e32 v40, s23
	v_cmp_eq_u32_e32 vcc_lo, 0, v37
	s_add_i32 s23, s23, 16
	ds_read_b128 v[42:45], v40
	s_or_b32 s4, vcc_lo, s4
	s_waitcnt vmcnt(2) lgkmcnt(0)
	v_mul_f64 v[48:49], v[44:45], v[38:39]
	v_mul_f64 v[38:39], v[42:43], v[38:39]
	s_waitcnt vmcnt(0)
	v_fma_f64 v[42:43], v[42:43], v[46:47], -v[48:49]
	v_fma_f64 v[38:39], v[44:45], v[46:47], v[38:39]
	v_add_f64 v[1:2], v[1:2], v[42:43]
	v_add_f64 v[3:4], v[3:4], v[38:39]
	s_andn2_b32 exec_lo, exec_lo, s4
	s_cbranch_execnz .LBB78_64
; %bb.65:
	s_or_b32 exec_lo, exec_lo, s4
.LBB78_66:
	s_or_b32 exec_lo, exec_lo, s22
	v_mov_b32_e32 v37, 0
	ds_read_b128 v[37:40], v37 offset:96
	s_waitcnt lgkmcnt(0)
	v_mul_f64 v[42:43], v[3:4], v[39:40]
	v_mul_f64 v[39:40], v[1:2], v[39:40]
	v_fma_f64 v[1:2], v[1:2], v[37:38], -v[42:43]
	v_fma_f64 v[3:4], v[3:4], v[37:38], v[39:40]
	buffer_store_dword v2, off, s[0:3], 0 offset:100
	buffer_store_dword v1, off, s[0:3], 0 offset:96
	;; [unrolled: 1-line block ×4, first 2 shown]
.LBB78_67:
	s_or_b32 exec_lo, exec_lo, s8
	v_mov_b32_e32 v4, s16
	v_cmp_lt_u32_e64 s4, 5, v0
	s_clause 0x3
	buffer_load_dword v1, v4, s[0:3], 0 offen
	buffer_load_dword v2, v4, s[0:3], 0 offen offset:4
	buffer_load_dword v3, v4, s[0:3], 0 offen offset:8
	;; [unrolled: 1-line block ×3, first 2 shown]
	s_waitcnt vmcnt(0)
	ds_write_b128 v36, v[1:4]
	s_waitcnt lgkmcnt(0)
	s_waitcnt_vscnt null, 0x0
	s_barrier
	buffer_gl0_inv
	s_and_saveexec_b32 s8, s4
	s_cbranch_execz .LBB78_75
; %bb.68:
	ds_read_b128 v[1:4], v36
	s_andn2_b32 vcc_lo, exec_lo, s21
	s_cbranch_vccnz .LBB78_70
; %bb.69:
	s_clause 0x3
	buffer_load_dword v37, v35, s[0:3], 0 offen offset:8
	buffer_load_dword v38, v35, s[0:3], 0 offen offset:12
	buffer_load_dword v39, v35, s[0:3], 0 offen
	buffer_load_dword v40, v35, s[0:3], 0 offen offset:4
	s_waitcnt vmcnt(2) lgkmcnt(0)
	v_mul_f64 v[42:43], v[3:4], v[37:38]
	v_mul_f64 v[37:38], v[1:2], v[37:38]
	s_waitcnt vmcnt(0)
	v_fma_f64 v[1:2], v[1:2], v[39:40], -v[42:43]
	v_fma_f64 v[3:4], v[3:4], v[39:40], v[37:38]
.LBB78_70:
	s_and_saveexec_b32 s22, s5
	s_cbranch_execz .LBB78_74
; %bb.71:
	v_add_nc_u32_e32 v37, -6, v0
	s_movk_i32 s23, 0x150
	s_mov_b32 s5, 0
	s_mov_b32 s24, s15
	.p2align	6
.LBB78_72:                              ; =>This Inner Loop Header: Depth=1
	v_mov_b32_e32 v40, s24
	v_add_nc_u32_e32 v37, -1, v37
	s_add_i32 s24, s24, 16
	s_clause 0x3
	buffer_load_dword v38, v40, s[0:3], 0 offen offset:8
	buffer_load_dword v39, v40, s[0:3], 0 offen offset:12
	buffer_load_dword v46, v40, s[0:3], 0 offen
	buffer_load_dword v47, v40, s[0:3], 0 offen offset:4
	v_mov_b32_e32 v40, s23
	v_cmp_eq_u32_e32 vcc_lo, 0, v37
	s_add_i32 s23, s23, 16
	ds_read_b128 v[42:45], v40
	s_or_b32 s5, vcc_lo, s5
	s_waitcnt vmcnt(2) lgkmcnt(0)
	v_mul_f64 v[48:49], v[44:45], v[38:39]
	v_mul_f64 v[38:39], v[42:43], v[38:39]
	s_waitcnt vmcnt(0)
	v_fma_f64 v[42:43], v[42:43], v[46:47], -v[48:49]
	v_fma_f64 v[38:39], v[44:45], v[46:47], v[38:39]
	v_add_f64 v[1:2], v[1:2], v[42:43]
	v_add_f64 v[3:4], v[3:4], v[38:39]
	s_andn2_b32 exec_lo, exec_lo, s5
	s_cbranch_execnz .LBB78_72
; %bb.73:
	s_or_b32 exec_lo, exec_lo, s5
.LBB78_74:
	s_or_b32 exec_lo, exec_lo, s22
	v_mov_b32_e32 v37, 0
	ds_read_b128 v[37:40], v37 offset:80
	s_waitcnt lgkmcnt(0)
	v_mul_f64 v[42:43], v[3:4], v[39:40]
	v_mul_f64 v[39:40], v[1:2], v[39:40]
	v_fma_f64 v[1:2], v[1:2], v[37:38], -v[42:43]
	v_fma_f64 v[3:4], v[3:4], v[37:38], v[39:40]
	buffer_store_dword v2, off, s[0:3], 0 offset:84
	buffer_store_dword v1, off, s[0:3], 0 offset:80
	;; [unrolled: 1-line block ×4, first 2 shown]
.LBB78_75:
	s_or_b32 exec_lo, exec_lo, s8
	v_mov_b32_e32 v4, s17
	v_cmp_lt_u32_e64 s5, 4, v0
	s_clause 0x3
	buffer_load_dword v1, v4, s[0:3], 0 offen
	buffer_load_dword v2, v4, s[0:3], 0 offen offset:4
	buffer_load_dword v3, v4, s[0:3], 0 offen offset:8
	;; [unrolled: 1-line block ×3, first 2 shown]
	s_waitcnt vmcnt(0)
	ds_write_b128 v36, v[1:4]
	s_waitcnt lgkmcnt(0)
	s_waitcnt_vscnt null, 0x0
	s_barrier
	buffer_gl0_inv
	s_and_saveexec_b32 s8, s5
	s_cbranch_execz .LBB78_83
; %bb.76:
	ds_read_b128 v[1:4], v36
	s_andn2_b32 vcc_lo, exec_lo, s21
	s_cbranch_vccnz .LBB78_78
; %bb.77:
	s_clause 0x3
	buffer_load_dword v37, v35, s[0:3], 0 offen offset:8
	buffer_load_dword v38, v35, s[0:3], 0 offen offset:12
	buffer_load_dword v39, v35, s[0:3], 0 offen
	buffer_load_dword v40, v35, s[0:3], 0 offen offset:4
	s_waitcnt vmcnt(2) lgkmcnt(0)
	v_mul_f64 v[42:43], v[3:4], v[37:38]
	v_mul_f64 v[37:38], v[1:2], v[37:38]
	s_waitcnt vmcnt(0)
	v_fma_f64 v[1:2], v[1:2], v[39:40], -v[42:43]
	v_fma_f64 v[3:4], v[3:4], v[39:40], v[37:38]
.LBB78_78:
	s_and_saveexec_b32 s22, s4
	s_cbranch_execz .LBB78_82
; %bb.79:
	v_add_nc_u32_e32 v37, -5, v0
	s_movk_i32 s23, 0x140
	s_mov_b32 s4, 0
	s_mov_b32 s24, s16
	.p2align	6
.LBB78_80:                              ; =>This Inner Loop Header: Depth=1
	v_mov_b32_e32 v40, s24
	v_add_nc_u32_e32 v37, -1, v37
	s_add_i32 s24, s24, 16
	s_clause 0x3
	buffer_load_dword v38, v40, s[0:3], 0 offen offset:8
	buffer_load_dword v39, v40, s[0:3], 0 offen offset:12
	buffer_load_dword v46, v40, s[0:3], 0 offen
	buffer_load_dword v47, v40, s[0:3], 0 offen offset:4
	v_mov_b32_e32 v40, s23
	v_cmp_eq_u32_e32 vcc_lo, 0, v37
	s_add_i32 s23, s23, 16
	ds_read_b128 v[42:45], v40
	s_or_b32 s4, vcc_lo, s4
	s_waitcnt vmcnt(2) lgkmcnt(0)
	v_mul_f64 v[48:49], v[44:45], v[38:39]
	v_mul_f64 v[38:39], v[42:43], v[38:39]
	s_waitcnt vmcnt(0)
	v_fma_f64 v[42:43], v[42:43], v[46:47], -v[48:49]
	v_fma_f64 v[38:39], v[44:45], v[46:47], v[38:39]
	v_add_f64 v[1:2], v[1:2], v[42:43]
	v_add_f64 v[3:4], v[3:4], v[38:39]
	s_andn2_b32 exec_lo, exec_lo, s4
	s_cbranch_execnz .LBB78_80
; %bb.81:
	s_or_b32 exec_lo, exec_lo, s4
.LBB78_82:
	s_or_b32 exec_lo, exec_lo, s22
	v_mov_b32_e32 v37, 0
	ds_read_b128 v[37:40], v37 offset:64
	s_waitcnt lgkmcnt(0)
	v_mul_f64 v[42:43], v[3:4], v[39:40]
	v_mul_f64 v[39:40], v[1:2], v[39:40]
	v_fma_f64 v[1:2], v[1:2], v[37:38], -v[42:43]
	v_fma_f64 v[3:4], v[3:4], v[37:38], v[39:40]
	buffer_store_dword v2, off, s[0:3], 0 offset:68
	buffer_store_dword v1, off, s[0:3], 0 offset:64
	;; [unrolled: 1-line block ×4, first 2 shown]
.LBB78_83:
	s_or_b32 exec_lo, exec_lo, s8
	v_mov_b32_e32 v4, s18
	v_cmp_lt_u32_e64 s4, 3, v0
	s_clause 0x3
	buffer_load_dword v1, v4, s[0:3], 0 offen
	buffer_load_dword v2, v4, s[0:3], 0 offen offset:4
	buffer_load_dword v3, v4, s[0:3], 0 offen offset:8
	;; [unrolled: 1-line block ×3, first 2 shown]
	s_waitcnt vmcnt(0)
	ds_write_b128 v36, v[1:4]
	s_waitcnt lgkmcnt(0)
	s_waitcnt_vscnt null, 0x0
	s_barrier
	buffer_gl0_inv
	s_and_saveexec_b32 s8, s4
	s_cbranch_execz .LBB78_91
; %bb.84:
	ds_read_b128 v[1:4], v36
	s_andn2_b32 vcc_lo, exec_lo, s21
	s_cbranch_vccnz .LBB78_86
; %bb.85:
	s_clause 0x3
	buffer_load_dword v37, v35, s[0:3], 0 offen offset:8
	buffer_load_dword v38, v35, s[0:3], 0 offen offset:12
	buffer_load_dword v39, v35, s[0:3], 0 offen
	buffer_load_dword v40, v35, s[0:3], 0 offen offset:4
	s_waitcnt vmcnt(2) lgkmcnt(0)
	v_mul_f64 v[42:43], v[3:4], v[37:38]
	v_mul_f64 v[37:38], v[1:2], v[37:38]
	s_waitcnt vmcnt(0)
	v_fma_f64 v[1:2], v[1:2], v[39:40], -v[42:43]
	v_fma_f64 v[3:4], v[3:4], v[39:40], v[37:38]
.LBB78_86:
	s_and_saveexec_b32 s22, s5
	s_cbranch_execz .LBB78_90
; %bb.87:
	v_add_nc_u32_e32 v37, -4, v0
	s_movk_i32 s23, 0x130
	s_mov_b32 s5, 0
	s_mov_b32 s24, s17
	.p2align	6
.LBB78_88:                              ; =>This Inner Loop Header: Depth=1
	v_mov_b32_e32 v40, s24
	v_add_nc_u32_e32 v37, -1, v37
	s_add_i32 s24, s24, 16
	s_clause 0x3
	buffer_load_dword v38, v40, s[0:3], 0 offen offset:8
	buffer_load_dword v39, v40, s[0:3], 0 offen offset:12
	buffer_load_dword v46, v40, s[0:3], 0 offen
	buffer_load_dword v47, v40, s[0:3], 0 offen offset:4
	v_mov_b32_e32 v40, s23
	v_cmp_eq_u32_e32 vcc_lo, 0, v37
	s_add_i32 s23, s23, 16
	ds_read_b128 v[42:45], v40
	s_or_b32 s5, vcc_lo, s5
	s_waitcnt vmcnt(2) lgkmcnt(0)
	v_mul_f64 v[48:49], v[44:45], v[38:39]
	v_mul_f64 v[38:39], v[42:43], v[38:39]
	s_waitcnt vmcnt(0)
	v_fma_f64 v[42:43], v[42:43], v[46:47], -v[48:49]
	v_fma_f64 v[38:39], v[44:45], v[46:47], v[38:39]
	v_add_f64 v[1:2], v[1:2], v[42:43]
	v_add_f64 v[3:4], v[3:4], v[38:39]
	s_andn2_b32 exec_lo, exec_lo, s5
	s_cbranch_execnz .LBB78_88
; %bb.89:
	s_or_b32 exec_lo, exec_lo, s5
.LBB78_90:
	s_or_b32 exec_lo, exec_lo, s22
	v_mov_b32_e32 v37, 0
	ds_read_b128 v[37:40], v37 offset:48
	s_waitcnt lgkmcnt(0)
	v_mul_f64 v[42:43], v[3:4], v[39:40]
	v_mul_f64 v[39:40], v[1:2], v[39:40]
	v_fma_f64 v[1:2], v[1:2], v[37:38], -v[42:43]
	v_fma_f64 v[3:4], v[3:4], v[37:38], v[39:40]
	buffer_store_dword v2, off, s[0:3], 0 offset:52
	buffer_store_dword v1, off, s[0:3], 0 offset:48
	;; [unrolled: 1-line block ×4, first 2 shown]
.LBB78_91:
	s_or_b32 exec_lo, exec_lo, s8
	v_mov_b32_e32 v4, s19
	v_cmp_lt_u32_e64 s5, 2, v0
	s_clause 0x3
	buffer_load_dword v1, v4, s[0:3], 0 offen
	buffer_load_dword v2, v4, s[0:3], 0 offen offset:4
	buffer_load_dword v3, v4, s[0:3], 0 offen offset:8
	;; [unrolled: 1-line block ×3, first 2 shown]
	s_waitcnt vmcnt(0)
	ds_write_b128 v36, v[1:4]
	s_waitcnt lgkmcnt(0)
	s_waitcnt_vscnt null, 0x0
	s_barrier
	buffer_gl0_inv
	s_and_saveexec_b32 s8, s5
	s_cbranch_execz .LBB78_99
; %bb.92:
	ds_read_b128 v[1:4], v36
	s_andn2_b32 vcc_lo, exec_lo, s21
	s_cbranch_vccnz .LBB78_94
; %bb.93:
	s_clause 0x3
	buffer_load_dword v37, v35, s[0:3], 0 offen offset:8
	buffer_load_dword v38, v35, s[0:3], 0 offen offset:12
	buffer_load_dword v39, v35, s[0:3], 0 offen
	buffer_load_dword v40, v35, s[0:3], 0 offen offset:4
	s_waitcnt vmcnt(2) lgkmcnt(0)
	v_mul_f64 v[42:43], v[3:4], v[37:38]
	v_mul_f64 v[37:38], v[1:2], v[37:38]
	s_waitcnt vmcnt(0)
	v_fma_f64 v[1:2], v[1:2], v[39:40], -v[42:43]
	v_fma_f64 v[3:4], v[3:4], v[39:40], v[37:38]
.LBB78_94:
	s_and_saveexec_b32 s22, s4
	s_cbranch_execz .LBB78_98
; %bb.95:
	v_add_nc_u32_e32 v37, -3, v0
	s_movk_i32 s23, 0x120
	s_mov_b32 s4, 0
	s_mov_b32 s24, s18
	.p2align	6
.LBB78_96:                              ; =>This Inner Loop Header: Depth=1
	v_mov_b32_e32 v40, s24
	v_add_nc_u32_e32 v37, -1, v37
	s_add_i32 s24, s24, 16
	s_clause 0x3
	buffer_load_dword v38, v40, s[0:3], 0 offen offset:8
	buffer_load_dword v39, v40, s[0:3], 0 offen offset:12
	buffer_load_dword v46, v40, s[0:3], 0 offen
	buffer_load_dword v47, v40, s[0:3], 0 offen offset:4
	v_mov_b32_e32 v40, s23
	v_cmp_eq_u32_e32 vcc_lo, 0, v37
	s_add_i32 s23, s23, 16
	ds_read_b128 v[42:45], v40
	s_or_b32 s4, vcc_lo, s4
	s_waitcnt vmcnt(2) lgkmcnt(0)
	v_mul_f64 v[48:49], v[44:45], v[38:39]
	v_mul_f64 v[38:39], v[42:43], v[38:39]
	s_waitcnt vmcnt(0)
	v_fma_f64 v[42:43], v[42:43], v[46:47], -v[48:49]
	v_fma_f64 v[38:39], v[44:45], v[46:47], v[38:39]
	v_add_f64 v[1:2], v[1:2], v[42:43]
	v_add_f64 v[3:4], v[3:4], v[38:39]
	s_andn2_b32 exec_lo, exec_lo, s4
	s_cbranch_execnz .LBB78_96
; %bb.97:
	s_or_b32 exec_lo, exec_lo, s4
.LBB78_98:
	s_or_b32 exec_lo, exec_lo, s22
	v_mov_b32_e32 v37, 0
	ds_read_b128 v[37:40], v37 offset:32
	s_waitcnt lgkmcnt(0)
	v_mul_f64 v[42:43], v[3:4], v[39:40]
	v_mul_f64 v[39:40], v[1:2], v[39:40]
	v_fma_f64 v[1:2], v[1:2], v[37:38], -v[42:43]
	v_fma_f64 v[3:4], v[3:4], v[37:38], v[39:40]
	buffer_store_dword v2, off, s[0:3], 0 offset:36
	buffer_store_dword v1, off, s[0:3], 0 offset:32
	buffer_store_dword v4, off, s[0:3], 0 offset:44
	buffer_store_dword v3, off, s[0:3], 0 offset:40
.LBB78_99:
	s_or_b32 exec_lo, exec_lo, s8
	v_mov_b32_e32 v4, s20
	v_cmp_lt_u32_e64 s4, 1, v0
	s_clause 0x3
	buffer_load_dword v1, v4, s[0:3], 0 offen
	buffer_load_dword v2, v4, s[0:3], 0 offen offset:4
	buffer_load_dword v3, v4, s[0:3], 0 offen offset:8
	buffer_load_dword v4, v4, s[0:3], 0 offen offset:12
	s_waitcnt vmcnt(0)
	ds_write_b128 v36, v[1:4]
	s_waitcnt lgkmcnt(0)
	s_waitcnt_vscnt null, 0x0
	s_barrier
	buffer_gl0_inv
	s_and_saveexec_b32 s8, s4
	s_cbranch_execz .LBB78_107
; %bb.100:
	ds_read_b128 v[1:4], v36
	s_andn2_b32 vcc_lo, exec_lo, s21
	s_cbranch_vccnz .LBB78_102
; %bb.101:
	s_clause 0x3
	buffer_load_dword v37, v35, s[0:3], 0 offen offset:8
	buffer_load_dword v38, v35, s[0:3], 0 offen offset:12
	buffer_load_dword v39, v35, s[0:3], 0 offen
	buffer_load_dword v40, v35, s[0:3], 0 offen offset:4
	s_waitcnt vmcnt(2) lgkmcnt(0)
	v_mul_f64 v[42:43], v[3:4], v[37:38]
	v_mul_f64 v[37:38], v[1:2], v[37:38]
	s_waitcnt vmcnt(0)
	v_fma_f64 v[1:2], v[1:2], v[39:40], -v[42:43]
	v_fma_f64 v[3:4], v[3:4], v[39:40], v[37:38]
.LBB78_102:
	s_and_saveexec_b32 s22, s5
	s_cbranch_execz .LBB78_106
; %bb.103:
	v_add_nc_u32_e32 v37, -2, v0
	s_movk_i32 s23, 0x110
	s_mov_b32 s5, 0
	s_mov_b32 s24, s19
	.p2align	6
.LBB78_104:                             ; =>This Inner Loop Header: Depth=1
	v_mov_b32_e32 v40, s24
	v_add_nc_u32_e32 v37, -1, v37
	s_add_i32 s24, s24, 16
	s_clause 0x3
	buffer_load_dword v38, v40, s[0:3], 0 offen offset:8
	buffer_load_dword v39, v40, s[0:3], 0 offen offset:12
	buffer_load_dword v46, v40, s[0:3], 0 offen
	buffer_load_dword v47, v40, s[0:3], 0 offen offset:4
	v_mov_b32_e32 v40, s23
	v_cmp_eq_u32_e32 vcc_lo, 0, v37
	s_add_i32 s23, s23, 16
	ds_read_b128 v[42:45], v40
	s_or_b32 s5, vcc_lo, s5
	s_waitcnt vmcnt(2) lgkmcnt(0)
	v_mul_f64 v[48:49], v[44:45], v[38:39]
	v_mul_f64 v[38:39], v[42:43], v[38:39]
	s_waitcnt vmcnt(0)
	v_fma_f64 v[42:43], v[42:43], v[46:47], -v[48:49]
	v_fma_f64 v[38:39], v[44:45], v[46:47], v[38:39]
	v_add_f64 v[1:2], v[1:2], v[42:43]
	v_add_f64 v[3:4], v[3:4], v[38:39]
	s_andn2_b32 exec_lo, exec_lo, s5
	s_cbranch_execnz .LBB78_104
; %bb.105:
	s_or_b32 exec_lo, exec_lo, s5
.LBB78_106:
	s_or_b32 exec_lo, exec_lo, s22
	v_mov_b32_e32 v37, 0
	ds_read_b128 v[37:40], v37 offset:16
	s_waitcnt lgkmcnt(0)
	v_mul_f64 v[42:43], v[3:4], v[39:40]
	v_mul_f64 v[39:40], v[1:2], v[39:40]
	v_fma_f64 v[1:2], v[1:2], v[37:38], -v[42:43]
	v_fma_f64 v[3:4], v[3:4], v[37:38], v[39:40]
	buffer_store_dword v2, off, s[0:3], 0 offset:20
	buffer_store_dword v1, off, s[0:3], 0 offset:16
	;; [unrolled: 1-line block ×4, first 2 shown]
.LBB78_107:
	s_or_b32 exec_lo, exec_lo, s8
	s_clause 0x3
	buffer_load_dword v1, off, s[0:3], 0
	buffer_load_dword v2, off, s[0:3], 0 offset:4
	buffer_load_dword v3, off, s[0:3], 0 offset:8
	;; [unrolled: 1-line block ×3, first 2 shown]
	s_mov_b32 s8, 0
	s_mov_b32 s5, 0
	s_mov_b32 s22, exec_lo
                                        ; implicit-def: $sgpr23
	s_waitcnt vmcnt(0)
	ds_write_b128 v36, v[1:4]
	s_waitcnt lgkmcnt(0)
	s_waitcnt_vscnt null, 0x0
	s_barrier
	buffer_gl0_inv
                                        ; implicit-def: $vgpr1_vgpr2
	v_cmpx_ne_u32_e32 0, v0
	s_cbranch_execz .LBB78_115
; %bb.108:
	ds_read_b128 v[1:4], v36
	s_andn2_b32 vcc_lo, exec_lo, s21
	s_cbranch_vccnz .LBB78_110
; %bb.109:
	s_clause 0x3
	buffer_load_dword v37, v35, s[0:3], 0 offen offset:8
	buffer_load_dword v38, v35, s[0:3], 0 offen offset:12
	buffer_load_dword v39, v35, s[0:3], 0 offen
	buffer_load_dword v40, v35, s[0:3], 0 offen offset:4
	s_waitcnt vmcnt(2) lgkmcnt(0)
	v_mul_f64 v[42:43], v[3:4], v[37:38]
	v_mul_f64 v[37:38], v[1:2], v[37:38]
	s_waitcnt vmcnt(0)
	v_fma_f64 v[1:2], v[1:2], v[39:40], -v[42:43]
	v_fma_f64 v[3:4], v[3:4], v[39:40], v[37:38]
.LBB78_110:
	s_and_saveexec_b32 s5, s4
	s_cbranch_execz .LBB78_114
; %bb.111:
	v_add_nc_u32_e32 v37, -1, v0
	s_movk_i32 s23, 0x100
	s_mov_b32 s4, 0
	s_mov_b32 s24, s20
	.p2align	6
.LBB78_112:                             ; =>This Inner Loop Header: Depth=1
	v_mov_b32_e32 v40, s24
	v_add_nc_u32_e32 v37, -1, v37
	s_add_i32 s24, s24, 16
	s_clause 0x3
	buffer_load_dword v38, v40, s[0:3], 0 offen offset:8
	buffer_load_dword v39, v40, s[0:3], 0 offen offset:12
	buffer_load_dword v46, v40, s[0:3], 0 offen
	buffer_load_dword v47, v40, s[0:3], 0 offen offset:4
	v_mov_b32_e32 v40, s23
	v_cmp_eq_u32_e32 vcc_lo, 0, v37
	s_add_i32 s23, s23, 16
	ds_read_b128 v[42:45], v40
	s_or_b32 s4, vcc_lo, s4
	s_waitcnt vmcnt(2) lgkmcnt(0)
	v_mul_f64 v[48:49], v[44:45], v[38:39]
	v_mul_f64 v[38:39], v[42:43], v[38:39]
	s_waitcnt vmcnt(0)
	v_fma_f64 v[42:43], v[42:43], v[46:47], -v[48:49]
	v_fma_f64 v[38:39], v[44:45], v[46:47], v[38:39]
	v_add_f64 v[1:2], v[1:2], v[42:43]
	v_add_f64 v[3:4], v[3:4], v[38:39]
	s_andn2_b32 exec_lo, exec_lo, s4
	s_cbranch_execnz .LBB78_112
; %bb.113:
	s_or_b32 exec_lo, exec_lo, s4
.LBB78_114:
	s_or_b32 exec_lo, exec_lo, s5
	v_mov_b32_e32 v37, 0
	s_mov_b32 s5, exec_lo
	s_or_b32 s23, 0, 8
	ds_read_b128 v[37:40], v37
	s_waitcnt lgkmcnt(0)
	v_mul_f64 v[42:43], v[3:4], v[39:40]
	v_mul_f64 v[39:40], v[1:2], v[39:40]
	v_fma_f64 v[42:43], v[1:2], v[37:38], -v[42:43]
	v_fma_f64 v[1:2], v[3:4], v[37:38], v[39:40]
	buffer_store_dword v43, off, s[0:3], 0 offset:4
	buffer_store_dword v42, off, s[0:3], 0
.LBB78_115:
	s_or_b32 exec_lo, exec_lo, s22
	s_and_b32 vcc_lo, exec_lo, s8
	s_cbranch_vccnz .LBB78_117
	s_branch .LBB78_224
.LBB78_116:
	s_mov_b32 s5, 0
                                        ; implicit-def: $vgpr1_vgpr2
                                        ; implicit-def: $sgpr23
	s_cbranch_execz .LBB78_224
.LBB78_117:
	v_mov_b32_e32 v4, s20
	v_cmp_eq_u32_e64 s4, 0, v0
	v_cndmask_b32_e64 v37, 0, 1, s21
	s_clause 0x3
	buffer_load_dword v1, v4, s[0:3], 0 offen
	buffer_load_dword v2, v4, s[0:3], 0 offen offset:4
	buffer_load_dword v3, v4, s[0:3], 0 offen offset:8
	;; [unrolled: 1-line block ×3, first 2 shown]
	s_waitcnt vmcnt(0)
	ds_write_b128 v36, v[1:4]
	s_waitcnt lgkmcnt(0)
	s_waitcnt_vscnt null, 0x0
	s_barrier
	buffer_gl0_inv
	s_and_saveexec_b32 s8, s4
	s_cbranch_execz .LBB78_121
; %bb.118:
	ds_read_b128 v[1:4], v36
	s_andn2_b32 vcc_lo, exec_lo, s21
	s_cbranch_vccnz .LBB78_120
; %bb.119:
	s_clause 0x3
	buffer_load_dword v38, v35, s[0:3], 0 offen offset:8
	buffer_load_dword v39, v35, s[0:3], 0 offen offset:12
	buffer_load_dword v42, v35, s[0:3], 0 offen
	buffer_load_dword v43, v35, s[0:3], 0 offen offset:4
	s_waitcnt vmcnt(2) lgkmcnt(0)
	v_mul_f64 v[44:45], v[3:4], v[38:39]
	v_mul_f64 v[38:39], v[1:2], v[38:39]
	s_waitcnt vmcnt(0)
	v_fma_f64 v[1:2], v[1:2], v[42:43], -v[44:45]
	v_fma_f64 v[3:4], v[3:4], v[42:43], v[38:39]
.LBB78_120:
	v_mov_b32_e32 v38, 0
	ds_read_b128 v[42:45], v38 offset:16
	s_waitcnt lgkmcnt(0)
	v_mul_f64 v[38:39], v[3:4], v[44:45]
	v_mul_f64 v[44:45], v[1:2], v[44:45]
	v_fma_f64 v[1:2], v[1:2], v[42:43], -v[38:39]
	v_fma_f64 v[3:4], v[3:4], v[42:43], v[44:45]
	buffer_store_dword v2, off, s[0:3], 0 offset:20
	buffer_store_dword v1, off, s[0:3], 0 offset:16
	;; [unrolled: 1-line block ×4, first 2 shown]
.LBB78_121:
	s_or_b32 exec_lo, exec_lo, s8
	v_mov_b32_e32 v4, s19
	s_mov_b32 s8, exec_lo
	s_clause 0x3
	buffer_load_dword v1, v4, s[0:3], 0 offen
	buffer_load_dword v2, v4, s[0:3], 0 offen offset:4
	buffer_load_dword v3, v4, s[0:3], 0 offen offset:8
	;; [unrolled: 1-line block ×3, first 2 shown]
	s_waitcnt vmcnt(0)
	ds_write_b128 v36, v[1:4]
	s_waitcnt lgkmcnt(0)
	s_waitcnt_vscnt null, 0x0
	s_barrier
	buffer_gl0_inv
	v_cmpx_gt_u32_e32 2, v0
	s_cbranch_execz .LBB78_127
; %bb.122:
	ds_read_b128 v[1:4], v36
	v_cmp_ne_u32_e32 vcc_lo, 1, v37
	s_cbranch_vccnz .LBB78_124
; %bb.123:
	s_clause 0x3
	buffer_load_dword v38, v35, s[0:3], 0 offen offset:8
	buffer_load_dword v39, v35, s[0:3], 0 offen offset:12
	buffer_load_dword v42, v35, s[0:3], 0 offen
	buffer_load_dword v43, v35, s[0:3], 0 offen offset:4
	s_waitcnt vmcnt(2) lgkmcnt(0)
	v_mul_f64 v[44:45], v[3:4], v[38:39]
	v_mul_f64 v[38:39], v[1:2], v[38:39]
	s_waitcnt vmcnt(0)
	v_fma_f64 v[1:2], v[1:2], v[42:43], -v[44:45]
	v_fma_f64 v[3:4], v[3:4], v[42:43], v[38:39]
.LBB78_124:
	s_and_saveexec_b32 s21, s4
	s_cbranch_execz .LBB78_126
; %bb.125:
	s_clause 0x3
	buffer_load_dword v38, off, s[0:3], 0 offset:24
	buffer_load_dword v39, off, s[0:3], 0 offset:28
	;; [unrolled: 1-line block ×4, first 2 shown]
	v_mov_b32_e32 v40, 0
	ds_read_b128 v[42:45], v40 offset:256
	s_waitcnt vmcnt(2) lgkmcnt(0)
	v_mul_f64 v[48:49], v[44:45], v[38:39]
	v_mul_f64 v[38:39], v[42:43], v[38:39]
	s_waitcnt vmcnt(0)
	v_fma_f64 v[42:43], v[42:43], v[46:47], -v[48:49]
	v_fma_f64 v[38:39], v[44:45], v[46:47], v[38:39]
	v_add_f64 v[1:2], v[1:2], v[42:43]
	v_add_f64 v[3:4], v[3:4], v[38:39]
.LBB78_126:
	s_or_b32 exec_lo, exec_lo, s21
	v_mov_b32_e32 v38, 0
	ds_read_b128 v[42:45], v38 offset:32
	s_waitcnt lgkmcnt(0)
	v_mul_f64 v[38:39], v[3:4], v[44:45]
	v_mul_f64 v[44:45], v[1:2], v[44:45]
	v_fma_f64 v[1:2], v[1:2], v[42:43], -v[38:39]
	v_fma_f64 v[3:4], v[3:4], v[42:43], v[44:45]
	buffer_store_dword v2, off, s[0:3], 0 offset:36
	buffer_store_dword v1, off, s[0:3], 0 offset:32
	;; [unrolled: 1-line block ×4, first 2 shown]
.LBB78_127:
	s_or_b32 exec_lo, exec_lo, s8
	v_mov_b32_e32 v4, s18
	s_mov_b32 s8, exec_lo
	s_clause 0x3
	buffer_load_dword v1, v4, s[0:3], 0 offen
	buffer_load_dword v2, v4, s[0:3], 0 offen offset:4
	buffer_load_dword v3, v4, s[0:3], 0 offen offset:8
	;; [unrolled: 1-line block ×3, first 2 shown]
	s_waitcnt vmcnt(0)
	ds_write_b128 v36, v[1:4]
	s_waitcnt lgkmcnt(0)
	s_waitcnt_vscnt null, 0x0
	s_barrier
	buffer_gl0_inv
	v_cmpx_gt_u32_e32 3, v0
	s_cbranch_execz .LBB78_135
; %bb.128:
	ds_read_b128 v[1:4], v36
	v_cmp_ne_u32_e32 vcc_lo, 1, v37
	s_cbranch_vccnz .LBB78_130
; %bb.129:
	s_clause 0x3
	buffer_load_dword v38, v35, s[0:3], 0 offen offset:8
	buffer_load_dword v39, v35, s[0:3], 0 offen offset:12
	buffer_load_dword v42, v35, s[0:3], 0 offen
	buffer_load_dword v43, v35, s[0:3], 0 offen offset:4
	s_waitcnt vmcnt(2) lgkmcnt(0)
	v_mul_f64 v[44:45], v[3:4], v[38:39]
	v_mul_f64 v[38:39], v[1:2], v[38:39]
	s_waitcnt vmcnt(0)
	v_fma_f64 v[1:2], v[1:2], v[42:43], -v[44:45]
	v_fma_f64 v[3:4], v[3:4], v[42:43], v[38:39]
.LBB78_130:
	s_mov_b32 s21, exec_lo
	v_cmpx_ne_u32_e32 2, v0
	s_cbranch_execz .LBB78_134
; %bb.131:
	s_clause 0x3
	buffer_load_dword v38, v35, s[0:3], 0 offen offset:24
	buffer_load_dword v39, v35, s[0:3], 0 offen offset:28
	;; [unrolled: 1-line block ×4, first 2 shown]
	ds_read_b128 v[42:45], v36 offset:16
	s_waitcnt vmcnt(2) lgkmcnt(0)
	v_mul_f64 v[48:49], v[44:45], v[38:39]
	v_mul_f64 v[38:39], v[42:43], v[38:39]
	s_waitcnt vmcnt(0)
	v_fma_f64 v[42:43], v[42:43], v[46:47], -v[48:49]
	v_fma_f64 v[38:39], v[44:45], v[46:47], v[38:39]
	v_add_f64 v[1:2], v[1:2], v[42:43]
	v_add_f64 v[3:4], v[3:4], v[38:39]
	s_and_saveexec_b32 s22, s4
	s_cbranch_execz .LBB78_133
; %bb.132:
	s_clause 0x3
	buffer_load_dword v38, off, s[0:3], 0 offset:40
	buffer_load_dword v39, off, s[0:3], 0 offset:44
	;; [unrolled: 1-line block ×4, first 2 shown]
	v_mov_b32_e32 v40, 0
	ds_read_b128 v[42:45], v40 offset:272
	s_waitcnt vmcnt(2) lgkmcnt(0)
	v_mul_f64 v[48:49], v[42:43], v[38:39]
	v_mul_f64 v[38:39], v[44:45], v[38:39]
	s_waitcnt vmcnt(0)
	v_fma_f64 v[44:45], v[44:45], v[46:47], v[48:49]
	v_fma_f64 v[38:39], v[42:43], v[46:47], -v[38:39]
	v_add_f64 v[3:4], v[3:4], v[44:45]
	v_add_f64 v[1:2], v[1:2], v[38:39]
.LBB78_133:
	s_or_b32 exec_lo, exec_lo, s22
.LBB78_134:
	s_or_b32 exec_lo, exec_lo, s21
	v_mov_b32_e32 v38, 0
	ds_read_b128 v[42:45], v38 offset:48
	s_waitcnt lgkmcnt(0)
	v_mul_f64 v[38:39], v[3:4], v[44:45]
	v_mul_f64 v[44:45], v[1:2], v[44:45]
	v_fma_f64 v[1:2], v[1:2], v[42:43], -v[38:39]
	v_fma_f64 v[3:4], v[3:4], v[42:43], v[44:45]
	buffer_store_dword v2, off, s[0:3], 0 offset:52
	buffer_store_dword v1, off, s[0:3], 0 offset:48
	;; [unrolled: 1-line block ×4, first 2 shown]
.LBB78_135:
	s_or_b32 exec_lo, exec_lo, s8
	v_mov_b32_e32 v4, s17
	s_mov_b32 s4, exec_lo
	s_clause 0x3
	buffer_load_dword v1, v4, s[0:3], 0 offen
	buffer_load_dword v2, v4, s[0:3], 0 offen offset:4
	buffer_load_dword v3, v4, s[0:3], 0 offen offset:8
	;; [unrolled: 1-line block ×3, first 2 shown]
	s_waitcnt vmcnt(0)
	ds_write_b128 v36, v[1:4]
	s_waitcnt lgkmcnt(0)
	s_waitcnt_vscnt null, 0x0
	s_barrier
	buffer_gl0_inv
	v_cmpx_gt_u32_e32 4, v0
	s_cbranch_execz .LBB78_143
; %bb.136:
	ds_read_b128 v[1:4], v36
	v_cmp_ne_u32_e32 vcc_lo, 1, v37
	s_cbranch_vccnz .LBB78_138
; %bb.137:
	s_clause 0x3
	buffer_load_dword v38, v35, s[0:3], 0 offen offset:8
	buffer_load_dword v39, v35, s[0:3], 0 offen offset:12
	buffer_load_dword v42, v35, s[0:3], 0 offen
	buffer_load_dword v43, v35, s[0:3], 0 offen offset:4
	s_waitcnt vmcnt(2) lgkmcnt(0)
	v_mul_f64 v[44:45], v[3:4], v[38:39]
	v_mul_f64 v[38:39], v[1:2], v[38:39]
	s_waitcnt vmcnt(0)
	v_fma_f64 v[1:2], v[1:2], v[42:43], -v[44:45]
	v_fma_f64 v[3:4], v[3:4], v[42:43], v[38:39]
.LBB78_138:
	s_mov_b32 s8, exec_lo
	v_cmpx_ne_u32_e32 3, v0
	s_cbranch_execz .LBB78_142
; %bb.139:
	v_add_nc_u32_e32 v38, 0x100, v41
	v_add3_u32 v39, 0, v41, 16
	v_mov_b32_e32 v40, v0
	s_mov_b32 s21, 0
	.p2align	6
.LBB78_140:                             ; =>This Inner Loop Header: Depth=1
	s_clause 0x3
	buffer_load_dword v46, v39, s[0:3], 0 offen offset:8
	buffer_load_dword v47, v39, s[0:3], 0 offen offset:12
	buffer_load_dword v48, v39, s[0:3], 0 offen
	buffer_load_dword v49, v39, s[0:3], 0 offen offset:4
	ds_read_b128 v[42:45], v38
	v_add_nc_u32_e32 v40, 1, v40
	v_add_nc_u32_e32 v38, 16, v38
	;; [unrolled: 1-line block ×3, first 2 shown]
	v_cmp_lt_u32_e32 vcc_lo, 2, v40
	s_or_b32 s21, vcc_lo, s21
	s_waitcnt vmcnt(2) lgkmcnt(0)
	v_mul_f64 v[50:51], v[44:45], v[46:47]
	v_mul_f64 v[46:47], v[42:43], v[46:47]
	s_waitcnt vmcnt(0)
	v_fma_f64 v[42:43], v[42:43], v[48:49], -v[50:51]
	v_fma_f64 v[44:45], v[44:45], v[48:49], v[46:47]
	v_add_f64 v[1:2], v[1:2], v[42:43]
	v_add_f64 v[3:4], v[3:4], v[44:45]
	s_andn2_b32 exec_lo, exec_lo, s21
	s_cbranch_execnz .LBB78_140
; %bb.141:
	s_or_b32 exec_lo, exec_lo, s21
.LBB78_142:
	s_or_b32 exec_lo, exec_lo, s8
	v_mov_b32_e32 v38, 0
	ds_read_b128 v[42:45], v38 offset:64
	s_waitcnt lgkmcnt(0)
	v_mul_f64 v[38:39], v[3:4], v[44:45]
	v_mul_f64 v[44:45], v[1:2], v[44:45]
	v_fma_f64 v[1:2], v[1:2], v[42:43], -v[38:39]
	v_fma_f64 v[3:4], v[3:4], v[42:43], v[44:45]
	buffer_store_dword v2, off, s[0:3], 0 offset:68
	buffer_store_dword v1, off, s[0:3], 0 offset:64
	;; [unrolled: 1-line block ×4, first 2 shown]
.LBB78_143:
	s_or_b32 exec_lo, exec_lo, s4
	v_mov_b32_e32 v4, s16
	s_mov_b32 s4, exec_lo
	s_clause 0x3
	buffer_load_dword v1, v4, s[0:3], 0 offen
	buffer_load_dword v2, v4, s[0:3], 0 offen offset:4
	buffer_load_dword v3, v4, s[0:3], 0 offen offset:8
	;; [unrolled: 1-line block ×3, first 2 shown]
	s_waitcnt vmcnt(0)
	ds_write_b128 v36, v[1:4]
	s_waitcnt lgkmcnt(0)
	s_waitcnt_vscnt null, 0x0
	s_barrier
	buffer_gl0_inv
	v_cmpx_gt_u32_e32 5, v0
	s_cbranch_execz .LBB78_151
; %bb.144:
	ds_read_b128 v[1:4], v36
	v_cmp_ne_u32_e32 vcc_lo, 1, v37
	s_cbranch_vccnz .LBB78_146
; %bb.145:
	s_clause 0x3
	buffer_load_dword v38, v35, s[0:3], 0 offen offset:8
	buffer_load_dword v39, v35, s[0:3], 0 offen offset:12
	buffer_load_dword v42, v35, s[0:3], 0 offen
	buffer_load_dword v43, v35, s[0:3], 0 offen offset:4
	s_waitcnt vmcnt(2) lgkmcnt(0)
	v_mul_f64 v[44:45], v[3:4], v[38:39]
	v_mul_f64 v[38:39], v[1:2], v[38:39]
	s_waitcnt vmcnt(0)
	v_fma_f64 v[1:2], v[1:2], v[42:43], -v[44:45]
	v_fma_f64 v[3:4], v[3:4], v[42:43], v[38:39]
.LBB78_146:
	s_mov_b32 s8, exec_lo
	v_cmpx_ne_u32_e32 4, v0
	s_cbranch_execz .LBB78_150
; %bb.147:
	v_add_nc_u32_e32 v38, 0x100, v41
	v_add3_u32 v39, 0, v41, 16
	v_mov_b32_e32 v40, v0
	s_mov_b32 s21, 0
	.p2align	6
.LBB78_148:                             ; =>This Inner Loop Header: Depth=1
	s_clause 0x3
	buffer_load_dword v46, v39, s[0:3], 0 offen offset:8
	buffer_load_dword v47, v39, s[0:3], 0 offen offset:12
	buffer_load_dword v48, v39, s[0:3], 0 offen
	buffer_load_dword v49, v39, s[0:3], 0 offen offset:4
	ds_read_b128 v[42:45], v38
	v_add_nc_u32_e32 v40, 1, v40
	v_add_nc_u32_e32 v38, 16, v38
	;; [unrolled: 1-line block ×3, first 2 shown]
	v_cmp_lt_u32_e32 vcc_lo, 3, v40
	s_or_b32 s21, vcc_lo, s21
	s_waitcnt vmcnt(2) lgkmcnt(0)
	v_mul_f64 v[50:51], v[44:45], v[46:47]
	v_mul_f64 v[46:47], v[42:43], v[46:47]
	s_waitcnt vmcnt(0)
	v_fma_f64 v[42:43], v[42:43], v[48:49], -v[50:51]
	v_fma_f64 v[44:45], v[44:45], v[48:49], v[46:47]
	v_add_f64 v[1:2], v[1:2], v[42:43]
	v_add_f64 v[3:4], v[3:4], v[44:45]
	s_andn2_b32 exec_lo, exec_lo, s21
	s_cbranch_execnz .LBB78_148
; %bb.149:
	s_or_b32 exec_lo, exec_lo, s21
.LBB78_150:
	s_or_b32 exec_lo, exec_lo, s8
	v_mov_b32_e32 v38, 0
	ds_read_b128 v[42:45], v38 offset:80
	s_waitcnt lgkmcnt(0)
	v_mul_f64 v[38:39], v[3:4], v[44:45]
	v_mul_f64 v[44:45], v[1:2], v[44:45]
	v_fma_f64 v[1:2], v[1:2], v[42:43], -v[38:39]
	v_fma_f64 v[3:4], v[3:4], v[42:43], v[44:45]
	buffer_store_dword v2, off, s[0:3], 0 offset:84
	buffer_store_dword v1, off, s[0:3], 0 offset:80
	;; [unrolled: 1-line block ×4, first 2 shown]
.LBB78_151:
	s_or_b32 exec_lo, exec_lo, s4
	v_mov_b32_e32 v4, s15
	s_mov_b32 s4, exec_lo
	s_clause 0x3
	buffer_load_dword v1, v4, s[0:3], 0 offen
	buffer_load_dword v2, v4, s[0:3], 0 offen offset:4
	buffer_load_dword v3, v4, s[0:3], 0 offen offset:8
	;; [unrolled: 1-line block ×3, first 2 shown]
	s_waitcnt vmcnt(0)
	ds_write_b128 v36, v[1:4]
	s_waitcnt lgkmcnt(0)
	s_waitcnt_vscnt null, 0x0
	s_barrier
	buffer_gl0_inv
	v_cmpx_gt_u32_e32 6, v0
	s_cbranch_execz .LBB78_159
; %bb.152:
	ds_read_b128 v[1:4], v36
	v_cmp_ne_u32_e32 vcc_lo, 1, v37
	s_cbranch_vccnz .LBB78_154
; %bb.153:
	s_clause 0x3
	buffer_load_dword v38, v35, s[0:3], 0 offen offset:8
	buffer_load_dword v39, v35, s[0:3], 0 offen offset:12
	buffer_load_dword v42, v35, s[0:3], 0 offen
	buffer_load_dword v43, v35, s[0:3], 0 offen offset:4
	s_waitcnt vmcnt(2) lgkmcnt(0)
	v_mul_f64 v[44:45], v[3:4], v[38:39]
	v_mul_f64 v[38:39], v[1:2], v[38:39]
	s_waitcnt vmcnt(0)
	v_fma_f64 v[1:2], v[1:2], v[42:43], -v[44:45]
	v_fma_f64 v[3:4], v[3:4], v[42:43], v[38:39]
.LBB78_154:
	s_mov_b32 s8, exec_lo
	v_cmpx_ne_u32_e32 5, v0
	s_cbranch_execz .LBB78_158
; %bb.155:
	v_add_nc_u32_e32 v38, 0x100, v41
	v_add3_u32 v39, 0, v41, 16
	v_mov_b32_e32 v40, v0
	s_mov_b32 s21, 0
	.p2align	6
.LBB78_156:                             ; =>This Inner Loop Header: Depth=1
	s_clause 0x3
	buffer_load_dword v46, v39, s[0:3], 0 offen offset:8
	buffer_load_dword v47, v39, s[0:3], 0 offen offset:12
	buffer_load_dword v48, v39, s[0:3], 0 offen
	buffer_load_dword v49, v39, s[0:3], 0 offen offset:4
	ds_read_b128 v[42:45], v38
	v_add_nc_u32_e32 v40, 1, v40
	v_add_nc_u32_e32 v38, 16, v38
	;; [unrolled: 1-line block ×3, first 2 shown]
	v_cmp_lt_u32_e32 vcc_lo, 4, v40
	s_or_b32 s21, vcc_lo, s21
	s_waitcnt vmcnt(2) lgkmcnt(0)
	v_mul_f64 v[50:51], v[44:45], v[46:47]
	v_mul_f64 v[46:47], v[42:43], v[46:47]
	s_waitcnt vmcnt(0)
	v_fma_f64 v[42:43], v[42:43], v[48:49], -v[50:51]
	v_fma_f64 v[44:45], v[44:45], v[48:49], v[46:47]
	v_add_f64 v[1:2], v[1:2], v[42:43]
	v_add_f64 v[3:4], v[3:4], v[44:45]
	s_andn2_b32 exec_lo, exec_lo, s21
	s_cbranch_execnz .LBB78_156
; %bb.157:
	s_or_b32 exec_lo, exec_lo, s21
.LBB78_158:
	s_or_b32 exec_lo, exec_lo, s8
	v_mov_b32_e32 v38, 0
	ds_read_b128 v[42:45], v38 offset:96
	s_waitcnt lgkmcnt(0)
	v_mul_f64 v[38:39], v[3:4], v[44:45]
	v_mul_f64 v[44:45], v[1:2], v[44:45]
	v_fma_f64 v[1:2], v[1:2], v[42:43], -v[38:39]
	v_fma_f64 v[3:4], v[3:4], v[42:43], v[44:45]
	buffer_store_dword v2, off, s[0:3], 0 offset:100
	buffer_store_dword v1, off, s[0:3], 0 offset:96
	;; [unrolled: 1-line block ×4, first 2 shown]
.LBB78_159:
	s_or_b32 exec_lo, exec_lo, s4
	v_mov_b32_e32 v4, s14
	s_mov_b32 s4, exec_lo
	s_clause 0x3
	buffer_load_dword v1, v4, s[0:3], 0 offen
	buffer_load_dword v2, v4, s[0:3], 0 offen offset:4
	buffer_load_dword v3, v4, s[0:3], 0 offen offset:8
	;; [unrolled: 1-line block ×3, first 2 shown]
	s_waitcnt vmcnt(0)
	ds_write_b128 v36, v[1:4]
	s_waitcnt lgkmcnt(0)
	s_waitcnt_vscnt null, 0x0
	s_barrier
	buffer_gl0_inv
	v_cmpx_gt_u32_e32 7, v0
	s_cbranch_execz .LBB78_167
; %bb.160:
	ds_read_b128 v[1:4], v36
	v_cmp_ne_u32_e32 vcc_lo, 1, v37
	s_cbranch_vccnz .LBB78_162
; %bb.161:
	s_clause 0x3
	buffer_load_dword v38, v35, s[0:3], 0 offen offset:8
	buffer_load_dword v39, v35, s[0:3], 0 offen offset:12
	buffer_load_dword v42, v35, s[0:3], 0 offen
	buffer_load_dword v43, v35, s[0:3], 0 offen offset:4
	s_waitcnt vmcnt(2) lgkmcnt(0)
	v_mul_f64 v[44:45], v[3:4], v[38:39]
	v_mul_f64 v[38:39], v[1:2], v[38:39]
	s_waitcnt vmcnt(0)
	v_fma_f64 v[1:2], v[1:2], v[42:43], -v[44:45]
	v_fma_f64 v[3:4], v[3:4], v[42:43], v[38:39]
.LBB78_162:
	s_mov_b32 s8, exec_lo
	v_cmpx_ne_u32_e32 6, v0
	s_cbranch_execz .LBB78_166
; %bb.163:
	v_add_nc_u32_e32 v38, 0x100, v41
	v_add3_u32 v39, 0, v41, 16
	v_mov_b32_e32 v40, v0
	s_mov_b32 s21, 0
	.p2align	6
.LBB78_164:                             ; =>This Inner Loop Header: Depth=1
	s_clause 0x3
	buffer_load_dword v46, v39, s[0:3], 0 offen offset:8
	buffer_load_dword v47, v39, s[0:3], 0 offen offset:12
	buffer_load_dword v48, v39, s[0:3], 0 offen
	buffer_load_dword v49, v39, s[0:3], 0 offen offset:4
	ds_read_b128 v[42:45], v38
	v_add_nc_u32_e32 v40, 1, v40
	v_add_nc_u32_e32 v38, 16, v38
	;; [unrolled: 1-line block ×3, first 2 shown]
	v_cmp_lt_u32_e32 vcc_lo, 5, v40
	s_or_b32 s21, vcc_lo, s21
	s_waitcnt vmcnt(2) lgkmcnt(0)
	v_mul_f64 v[50:51], v[44:45], v[46:47]
	v_mul_f64 v[46:47], v[42:43], v[46:47]
	s_waitcnt vmcnt(0)
	v_fma_f64 v[42:43], v[42:43], v[48:49], -v[50:51]
	v_fma_f64 v[44:45], v[44:45], v[48:49], v[46:47]
	v_add_f64 v[1:2], v[1:2], v[42:43]
	v_add_f64 v[3:4], v[3:4], v[44:45]
	s_andn2_b32 exec_lo, exec_lo, s21
	s_cbranch_execnz .LBB78_164
; %bb.165:
	s_or_b32 exec_lo, exec_lo, s21
.LBB78_166:
	s_or_b32 exec_lo, exec_lo, s8
	v_mov_b32_e32 v38, 0
	ds_read_b128 v[42:45], v38 offset:112
	s_waitcnt lgkmcnt(0)
	v_mul_f64 v[38:39], v[3:4], v[44:45]
	v_mul_f64 v[44:45], v[1:2], v[44:45]
	v_fma_f64 v[1:2], v[1:2], v[42:43], -v[38:39]
	v_fma_f64 v[3:4], v[3:4], v[42:43], v[44:45]
	buffer_store_dword v2, off, s[0:3], 0 offset:116
	buffer_store_dword v1, off, s[0:3], 0 offset:112
	;; [unrolled: 1-line block ×4, first 2 shown]
.LBB78_167:
	s_or_b32 exec_lo, exec_lo, s4
	v_mov_b32_e32 v4, s13
	s_mov_b32 s4, exec_lo
	s_clause 0x3
	buffer_load_dword v1, v4, s[0:3], 0 offen
	buffer_load_dword v2, v4, s[0:3], 0 offen offset:4
	buffer_load_dword v3, v4, s[0:3], 0 offen offset:8
	;; [unrolled: 1-line block ×3, first 2 shown]
	s_waitcnt vmcnt(0)
	ds_write_b128 v36, v[1:4]
	s_waitcnt lgkmcnt(0)
	s_waitcnt_vscnt null, 0x0
	s_barrier
	buffer_gl0_inv
	v_cmpx_gt_u32_e32 8, v0
	s_cbranch_execz .LBB78_175
; %bb.168:
	ds_read_b128 v[1:4], v36
	v_cmp_ne_u32_e32 vcc_lo, 1, v37
	s_cbranch_vccnz .LBB78_170
; %bb.169:
	s_clause 0x3
	buffer_load_dword v38, v35, s[0:3], 0 offen offset:8
	buffer_load_dword v39, v35, s[0:3], 0 offen offset:12
	buffer_load_dword v42, v35, s[0:3], 0 offen
	buffer_load_dword v43, v35, s[0:3], 0 offen offset:4
	s_waitcnt vmcnt(2) lgkmcnt(0)
	v_mul_f64 v[44:45], v[3:4], v[38:39]
	v_mul_f64 v[38:39], v[1:2], v[38:39]
	s_waitcnt vmcnt(0)
	v_fma_f64 v[1:2], v[1:2], v[42:43], -v[44:45]
	v_fma_f64 v[3:4], v[3:4], v[42:43], v[38:39]
.LBB78_170:
	s_mov_b32 s8, exec_lo
	v_cmpx_ne_u32_e32 7, v0
	s_cbranch_execz .LBB78_174
; %bb.171:
	v_add_nc_u32_e32 v38, 0x100, v41
	v_add3_u32 v39, 0, v41, 16
	v_mov_b32_e32 v40, v0
	s_mov_b32 s21, 0
	.p2align	6
.LBB78_172:                             ; =>This Inner Loop Header: Depth=1
	s_clause 0x3
	buffer_load_dword v46, v39, s[0:3], 0 offen offset:8
	buffer_load_dword v47, v39, s[0:3], 0 offen offset:12
	buffer_load_dword v48, v39, s[0:3], 0 offen
	buffer_load_dword v49, v39, s[0:3], 0 offen offset:4
	ds_read_b128 v[42:45], v38
	v_add_nc_u32_e32 v40, 1, v40
	v_add_nc_u32_e32 v38, 16, v38
	;; [unrolled: 1-line block ×3, first 2 shown]
	v_cmp_lt_u32_e32 vcc_lo, 6, v40
	s_or_b32 s21, vcc_lo, s21
	s_waitcnt vmcnt(2) lgkmcnt(0)
	v_mul_f64 v[50:51], v[44:45], v[46:47]
	v_mul_f64 v[46:47], v[42:43], v[46:47]
	s_waitcnt vmcnt(0)
	v_fma_f64 v[42:43], v[42:43], v[48:49], -v[50:51]
	v_fma_f64 v[44:45], v[44:45], v[48:49], v[46:47]
	v_add_f64 v[1:2], v[1:2], v[42:43]
	v_add_f64 v[3:4], v[3:4], v[44:45]
	s_andn2_b32 exec_lo, exec_lo, s21
	s_cbranch_execnz .LBB78_172
; %bb.173:
	s_or_b32 exec_lo, exec_lo, s21
.LBB78_174:
	s_or_b32 exec_lo, exec_lo, s8
	v_mov_b32_e32 v38, 0
	ds_read_b128 v[42:45], v38 offset:128
	s_waitcnt lgkmcnt(0)
	v_mul_f64 v[38:39], v[3:4], v[44:45]
	v_mul_f64 v[44:45], v[1:2], v[44:45]
	v_fma_f64 v[1:2], v[1:2], v[42:43], -v[38:39]
	v_fma_f64 v[3:4], v[3:4], v[42:43], v[44:45]
	buffer_store_dword v2, off, s[0:3], 0 offset:132
	buffer_store_dword v1, off, s[0:3], 0 offset:128
	;; [unrolled: 1-line block ×4, first 2 shown]
.LBB78_175:
	s_or_b32 exec_lo, exec_lo, s4
	v_mov_b32_e32 v4, s12
	s_mov_b32 s4, exec_lo
	s_clause 0x3
	buffer_load_dword v1, v4, s[0:3], 0 offen
	buffer_load_dword v2, v4, s[0:3], 0 offen offset:4
	buffer_load_dword v3, v4, s[0:3], 0 offen offset:8
	;; [unrolled: 1-line block ×3, first 2 shown]
	s_waitcnt vmcnt(0)
	ds_write_b128 v36, v[1:4]
	s_waitcnt lgkmcnt(0)
	s_waitcnt_vscnt null, 0x0
	s_barrier
	buffer_gl0_inv
	v_cmpx_gt_u32_e32 9, v0
	s_cbranch_execz .LBB78_183
; %bb.176:
	ds_read_b128 v[1:4], v36
	v_cmp_ne_u32_e32 vcc_lo, 1, v37
	s_cbranch_vccnz .LBB78_178
; %bb.177:
	s_clause 0x3
	buffer_load_dword v38, v35, s[0:3], 0 offen offset:8
	buffer_load_dword v39, v35, s[0:3], 0 offen offset:12
	buffer_load_dword v42, v35, s[0:3], 0 offen
	buffer_load_dword v43, v35, s[0:3], 0 offen offset:4
	s_waitcnt vmcnt(2) lgkmcnt(0)
	v_mul_f64 v[44:45], v[3:4], v[38:39]
	v_mul_f64 v[38:39], v[1:2], v[38:39]
	s_waitcnt vmcnt(0)
	v_fma_f64 v[1:2], v[1:2], v[42:43], -v[44:45]
	v_fma_f64 v[3:4], v[3:4], v[42:43], v[38:39]
.LBB78_178:
	s_mov_b32 s8, exec_lo
	v_cmpx_ne_u32_e32 8, v0
	s_cbranch_execz .LBB78_182
; %bb.179:
	v_add_nc_u32_e32 v38, 0x100, v41
	v_add3_u32 v39, 0, v41, 16
	v_mov_b32_e32 v40, v0
	s_mov_b32 s21, 0
	.p2align	6
.LBB78_180:                             ; =>This Inner Loop Header: Depth=1
	s_clause 0x3
	buffer_load_dword v46, v39, s[0:3], 0 offen offset:8
	buffer_load_dword v47, v39, s[0:3], 0 offen offset:12
	buffer_load_dword v48, v39, s[0:3], 0 offen
	buffer_load_dword v49, v39, s[0:3], 0 offen offset:4
	ds_read_b128 v[42:45], v38
	v_add_nc_u32_e32 v40, 1, v40
	v_add_nc_u32_e32 v38, 16, v38
	v_add_nc_u32_e32 v39, 16, v39
	v_cmp_lt_u32_e32 vcc_lo, 7, v40
	s_or_b32 s21, vcc_lo, s21
	s_waitcnt vmcnt(2) lgkmcnt(0)
	v_mul_f64 v[50:51], v[44:45], v[46:47]
	v_mul_f64 v[46:47], v[42:43], v[46:47]
	s_waitcnt vmcnt(0)
	v_fma_f64 v[42:43], v[42:43], v[48:49], -v[50:51]
	v_fma_f64 v[44:45], v[44:45], v[48:49], v[46:47]
	v_add_f64 v[1:2], v[1:2], v[42:43]
	v_add_f64 v[3:4], v[3:4], v[44:45]
	s_andn2_b32 exec_lo, exec_lo, s21
	s_cbranch_execnz .LBB78_180
; %bb.181:
	s_or_b32 exec_lo, exec_lo, s21
.LBB78_182:
	s_or_b32 exec_lo, exec_lo, s8
	v_mov_b32_e32 v38, 0
	ds_read_b128 v[42:45], v38 offset:144
	s_waitcnt lgkmcnt(0)
	v_mul_f64 v[38:39], v[3:4], v[44:45]
	v_mul_f64 v[44:45], v[1:2], v[44:45]
	v_fma_f64 v[1:2], v[1:2], v[42:43], -v[38:39]
	v_fma_f64 v[3:4], v[3:4], v[42:43], v[44:45]
	buffer_store_dword v2, off, s[0:3], 0 offset:148
	buffer_store_dword v1, off, s[0:3], 0 offset:144
	;; [unrolled: 1-line block ×4, first 2 shown]
.LBB78_183:
	s_or_b32 exec_lo, exec_lo, s4
	v_mov_b32_e32 v4, s11
	s_mov_b32 s4, exec_lo
	s_clause 0x3
	buffer_load_dword v1, v4, s[0:3], 0 offen
	buffer_load_dword v2, v4, s[0:3], 0 offen offset:4
	buffer_load_dword v3, v4, s[0:3], 0 offen offset:8
	;; [unrolled: 1-line block ×3, first 2 shown]
	s_waitcnt vmcnt(0)
	ds_write_b128 v36, v[1:4]
	s_waitcnt lgkmcnt(0)
	s_waitcnt_vscnt null, 0x0
	s_barrier
	buffer_gl0_inv
	v_cmpx_gt_u32_e32 10, v0
	s_cbranch_execz .LBB78_191
; %bb.184:
	ds_read_b128 v[1:4], v36
	v_cmp_ne_u32_e32 vcc_lo, 1, v37
	s_cbranch_vccnz .LBB78_186
; %bb.185:
	s_clause 0x3
	buffer_load_dword v38, v35, s[0:3], 0 offen offset:8
	buffer_load_dword v39, v35, s[0:3], 0 offen offset:12
	buffer_load_dword v42, v35, s[0:3], 0 offen
	buffer_load_dword v43, v35, s[0:3], 0 offen offset:4
	s_waitcnt vmcnt(2) lgkmcnt(0)
	v_mul_f64 v[44:45], v[3:4], v[38:39]
	v_mul_f64 v[38:39], v[1:2], v[38:39]
	s_waitcnt vmcnt(0)
	v_fma_f64 v[1:2], v[1:2], v[42:43], -v[44:45]
	v_fma_f64 v[3:4], v[3:4], v[42:43], v[38:39]
.LBB78_186:
	s_mov_b32 s8, exec_lo
	v_cmpx_ne_u32_e32 9, v0
	s_cbranch_execz .LBB78_190
; %bb.187:
	v_add_nc_u32_e32 v38, 0x100, v41
	v_add3_u32 v39, 0, v41, 16
	v_mov_b32_e32 v40, v0
	s_mov_b32 s21, 0
	.p2align	6
.LBB78_188:                             ; =>This Inner Loop Header: Depth=1
	s_clause 0x3
	buffer_load_dword v46, v39, s[0:3], 0 offen offset:8
	buffer_load_dword v47, v39, s[0:3], 0 offen offset:12
	buffer_load_dword v48, v39, s[0:3], 0 offen
	buffer_load_dword v49, v39, s[0:3], 0 offen offset:4
	ds_read_b128 v[42:45], v38
	v_add_nc_u32_e32 v40, 1, v40
	v_add_nc_u32_e32 v38, 16, v38
	;; [unrolled: 1-line block ×3, first 2 shown]
	v_cmp_lt_u32_e32 vcc_lo, 8, v40
	s_or_b32 s21, vcc_lo, s21
	s_waitcnt vmcnt(2) lgkmcnt(0)
	v_mul_f64 v[50:51], v[44:45], v[46:47]
	v_mul_f64 v[46:47], v[42:43], v[46:47]
	s_waitcnt vmcnt(0)
	v_fma_f64 v[42:43], v[42:43], v[48:49], -v[50:51]
	v_fma_f64 v[44:45], v[44:45], v[48:49], v[46:47]
	v_add_f64 v[1:2], v[1:2], v[42:43]
	v_add_f64 v[3:4], v[3:4], v[44:45]
	s_andn2_b32 exec_lo, exec_lo, s21
	s_cbranch_execnz .LBB78_188
; %bb.189:
	s_or_b32 exec_lo, exec_lo, s21
.LBB78_190:
	s_or_b32 exec_lo, exec_lo, s8
	v_mov_b32_e32 v38, 0
	ds_read_b128 v[42:45], v38 offset:160
	s_waitcnt lgkmcnt(0)
	v_mul_f64 v[38:39], v[3:4], v[44:45]
	v_mul_f64 v[44:45], v[1:2], v[44:45]
	v_fma_f64 v[1:2], v[1:2], v[42:43], -v[38:39]
	v_fma_f64 v[3:4], v[3:4], v[42:43], v[44:45]
	buffer_store_dword v2, off, s[0:3], 0 offset:164
	buffer_store_dword v1, off, s[0:3], 0 offset:160
	;; [unrolled: 1-line block ×4, first 2 shown]
.LBB78_191:
	s_or_b32 exec_lo, exec_lo, s4
	v_mov_b32_e32 v4, s10
	s_mov_b32 s4, exec_lo
	s_clause 0x3
	buffer_load_dword v1, v4, s[0:3], 0 offen
	buffer_load_dword v2, v4, s[0:3], 0 offen offset:4
	buffer_load_dword v3, v4, s[0:3], 0 offen offset:8
	;; [unrolled: 1-line block ×3, first 2 shown]
	s_waitcnt vmcnt(0)
	ds_write_b128 v36, v[1:4]
	s_waitcnt lgkmcnt(0)
	s_waitcnt_vscnt null, 0x0
	s_barrier
	buffer_gl0_inv
	v_cmpx_gt_u32_e32 11, v0
	s_cbranch_execz .LBB78_199
; %bb.192:
	ds_read_b128 v[1:4], v36
	v_cmp_ne_u32_e32 vcc_lo, 1, v37
	s_cbranch_vccnz .LBB78_194
; %bb.193:
	s_clause 0x3
	buffer_load_dword v38, v35, s[0:3], 0 offen offset:8
	buffer_load_dword v39, v35, s[0:3], 0 offen offset:12
	buffer_load_dword v42, v35, s[0:3], 0 offen
	buffer_load_dword v43, v35, s[0:3], 0 offen offset:4
	s_waitcnt vmcnt(2) lgkmcnt(0)
	v_mul_f64 v[44:45], v[3:4], v[38:39]
	v_mul_f64 v[38:39], v[1:2], v[38:39]
	s_waitcnt vmcnt(0)
	v_fma_f64 v[1:2], v[1:2], v[42:43], -v[44:45]
	v_fma_f64 v[3:4], v[3:4], v[42:43], v[38:39]
.LBB78_194:
	s_mov_b32 s8, exec_lo
	v_cmpx_ne_u32_e32 10, v0
	s_cbranch_execz .LBB78_198
; %bb.195:
	v_add_nc_u32_e32 v38, 0x100, v41
	v_add3_u32 v39, 0, v41, 16
	v_mov_b32_e32 v40, v0
	s_mov_b32 s21, 0
	.p2align	6
.LBB78_196:                             ; =>This Inner Loop Header: Depth=1
	s_clause 0x3
	buffer_load_dword v46, v39, s[0:3], 0 offen offset:8
	buffer_load_dword v47, v39, s[0:3], 0 offen offset:12
	buffer_load_dword v48, v39, s[0:3], 0 offen
	buffer_load_dword v49, v39, s[0:3], 0 offen offset:4
	ds_read_b128 v[42:45], v38
	v_add_nc_u32_e32 v40, 1, v40
	v_add_nc_u32_e32 v38, 16, v38
	;; [unrolled: 1-line block ×3, first 2 shown]
	v_cmp_lt_u32_e32 vcc_lo, 9, v40
	s_or_b32 s21, vcc_lo, s21
	s_waitcnt vmcnt(2) lgkmcnt(0)
	v_mul_f64 v[50:51], v[44:45], v[46:47]
	v_mul_f64 v[46:47], v[42:43], v[46:47]
	s_waitcnt vmcnt(0)
	v_fma_f64 v[42:43], v[42:43], v[48:49], -v[50:51]
	v_fma_f64 v[44:45], v[44:45], v[48:49], v[46:47]
	v_add_f64 v[1:2], v[1:2], v[42:43]
	v_add_f64 v[3:4], v[3:4], v[44:45]
	s_andn2_b32 exec_lo, exec_lo, s21
	s_cbranch_execnz .LBB78_196
; %bb.197:
	s_or_b32 exec_lo, exec_lo, s21
.LBB78_198:
	s_or_b32 exec_lo, exec_lo, s8
	v_mov_b32_e32 v38, 0
	ds_read_b128 v[42:45], v38 offset:176
	s_waitcnt lgkmcnt(0)
	v_mul_f64 v[38:39], v[3:4], v[44:45]
	v_mul_f64 v[44:45], v[1:2], v[44:45]
	v_fma_f64 v[1:2], v[1:2], v[42:43], -v[38:39]
	v_fma_f64 v[3:4], v[3:4], v[42:43], v[44:45]
	buffer_store_dword v2, off, s[0:3], 0 offset:180
	buffer_store_dword v1, off, s[0:3], 0 offset:176
	;; [unrolled: 1-line block ×4, first 2 shown]
.LBB78_199:
	s_or_b32 exec_lo, exec_lo, s4
	v_mov_b32_e32 v4, s9
	s_mov_b32 s4, exec_lo
	s_clause 0x3
	buffer_load_dword v1, v4, s[0:3], 0 offen
	buffer_load_dword v2, v4, s[0:3], 0 offen offset:4
	buffer_load_dword v3, v4, s[0:3], 0 offen offset:8
	;; [unrolled: 1-line block ×3, first 2 shown]
	s_waitcnt vmcnt(0)
	ds_write_b128 v36, v[1:4]
	s_waitcnt lgkmcnt(0)
	s_waitcnt_vscnt null, 0x0
	s_barrier
	buffer_gl0_inv
	v_cmpx_gt_u32_e32 12, v0
	s_cbranch_execz .LBB78_207
; %bb.200:
	ds_read_b128 v[1:4], v36
	v_cmp_ne_u32_e32 vcc_lo, 1, v37
	s_cbranch_vccnz .LBB78_202
; %bb.201:
	s_clause 0x3
	buffer_load_dword v38, v35, s[0:3], 0 offen offset:8
	buffer_load_dword v39, v35, s[0:3], 0 offen offset:12
	buffer_load_dword v42, v35, s[0:3], 0 offen
	buffer_load_dword v43, v35, s[0:3], 0 offen offset:4
	s_waitcnt vmcnt(2) lgkmcnt(0)
	v_mul_f64 v[44:45], v[3:4], v[38:39]
	v_mul_f64 v[38:39], v[1:2], v[38:39]
	s_waitcnt vmcnt(0)
	v_fma_f64 v[1:2], v[1:2], v[42:43], -v[44:45]
	v_fma_f64 v[3:4], v[3:4], v[42:43], v[38:39]
.LBB78_202:
	s_mov_b32 s8, exec_lo
	v_cmpx_ne_u32_e32 11, v0
	s_cbranch_execz .LBB78_206
; %bb.203:
	v_add_nc_u32_e32 v38, 0x100, v41
	v_add3_u32 v39, 0, v41, 16
	v_mov_b32_e32 v40, v0
	s_mov_b32 s21, 0
	.p2align	6
.LBB78_204:                             ; =>This Inner Loop Header: Depth=1
	s_clause 0x3
	buffer_load_dword v46, v39, s[0:3], 0 offen offset:8
	buffer_load_dword v47, v39, s[0:3], 0 offen offset:12
	buffer_load_dword v48, v39, s[0:3], 0 offen
	buffer_load_dword v49, v39, s[0:3], 0 offen offset:4
	ds_read_b128 v[42:45], v38
	v_add_nc_u32_e32 v40, 1, v40
	v_add_nc_u32_e32 v38, 16, v38
	;; [unrolled: 1-line block ×3, first 2 shown]
	v_cmp_lt_u32_e32 vcc_lo, 10, v40
	s_or_b32 s21, vcc_lo, s21
	s_waitcnt vmcnt(2) lgkmcnt(0)
	v_mul_f64 v[50:51], v[44:45], v[46:47]
	v_mul_f64 v[46:47], v[42:43], v[46:47]
	s_waitcnt vmcnt(0)
	v_fma_f64 v[42:43], v[42:43], v[48:49], -v[50:51]
	v_fma_f64 v[44:45], v[44:45], v[48:49], v[46:47]
	v_add_f64 v[1:2], v[1:2], v[42:43]
	v_add_f64 v[3:4], v[3:4], v[44:45]
	s_andn2_b32 exec_lo, exec_lo, s21
	s_cbranch_execnz .LBB78_204
; %bb.205:
	s_or_b32 exec_lo, exec_lo, s21
.LBB78_206:
	s_or_b32 exec_lo, exec_lo, s8
	v_mov_b32_e32 v38, 0
	ds_read_b128 v[42:45], v38 offset:192
	s_waitcnt lgkmcnt(0)
	v_mul_f64 v[38:39], v[3:4], v[44:45]
	v_mul_f64 v[44:45], v[1:2], v[44:45]
	v_fma_f64 v[1:2], v[1:2], v[42:43], -v[38:39]
	v_fma_f64 v[3:4], v[3:4], v[42:43], v[44:45]
	buffer_store_dword v2, off, s[0:3], 0 offset:196
	buffer_store_dword v1, off, s[0:3], 0 offset:192
	;; [unrolled: 1-line block ×4, first 2 shown]
.LBB78_207:
	s_or_b32 exec_lo, exec_lo, s4
	v_mov_b32_e32 v4, s7
	v_cmp_gt_u32_e64 s4, 13, v0
	s_clause 0x3
	buffer_load_dword v1, v4, s[0:3], 0 offen
	buffer_load_dword v2, v4, s[0:3], 0 offen offset:4
	buffer_load_dword v3, v4, s[0:3], 0 offen offset:8
	;; [unrolled: 1-line block ×3, first 2 shown]
	s_waitcnt vmcnt(0)
	ds_write_b128 v36, v[1:4]
	s_waitcnt lgkmcnt(0)
	s_waitcnt_vscnt null, 0x0
	s_barrier
	buffer_gl0_inv
	s_and_saveexec_b32 s8, s4
	s_cbranch_execz .LBB78_215
; %bb.208:
	ds_read_b128 v[1:4], v36
	v_cmp_ne_u32_e32 vcc_lo, 1, v37
	s_cbranch_vccnz .LBB78_210
; %bb.209:
	s_clause 0x3
	buffer_load_dword v38, v35, s[0:3], 0 offen offset:8
	buffer_load_dword v39, v35, s[0:3], 0 offen offset:12
	buffer_load_dword v42, v35, s[0:3], 0 offen
	buffer_load_dword v43, v35, s[0:3], 0 offen offset:4
	s_waitcnt vmcnt(2) lgkmcnt(0)
	v_mul_f64 v[44:45], v[3:4], v[38:39]
	v_mul_f64 v[38:39], v[1:2], v[38:39]
	s_waitcnt vmcnt(0)
	v_fma_f64 v[1:2], v[1:2], v[42:43], -v[44:45]
	v_fma_f64 v[3:4], v[3:4], v[42:43], v[38:39]
.LBB78_210:
	s_mov_b32 s21, exec_lo
	v_cmpx_ne_u32_e32 12, v0
	s_cbranch_execz .LBB78_214
; %bb.211:
	v_add_nc_u32_e32 v38, 0x100, v41
	v_add3_u32 v39, 0, v41, 16
	v_mov_b32_e32 v40, v0
	s_mov_b32 s22, 0
	.p2align	6
.LBB78_212:                             ; =>This Inner Loop Header: Depth=1
	s_clause 0x3
	buffer_load_dword v46, v39, s[0:3], 0 offen offset:8
	buffer_load_dword v47, v39, s[0:3], 0 offen offset:12
	buffer_load_dword v48, v39, s[0:3], 0 offen
	buffer_load_dword v49, v39, s[0:3], 0 offen offset:4
	ds_read_b128 v[42:45], v38
	v_add_nc_u32_e32 v40, 1, v40
	v_add_nc_u32_e32 v38, 16, v38
	;; [unrolled: 1-line block ×3, first 2 shown]
	v_cmp_lt_u32_e32 vcc_lo, 11, v40
	s_or_b32 s22, vcc_lo, s22
	s_waitcnt vmcnt(2) lgkmcnt(0)
	v_mul_f64 v[50:51], v[44:45], v[46:47]
	v_mul_f64 v[46:47], v[42:43], v[46:47]
	s_waitcnt vmcnt(0)
	v_fma_f64 v[42:43], v[42:43], v[48:49], -v[50:51]
	v_fma_f64 v[44:45], v[44:45], v[48:49], v[46:47]
	v_add_f64 v[1:2], v[1:2], v[42:43]
	v_add_f64 v[3:4], v[3:4], v[44:45]
	s_andn2_b32 exec_lo, exec_lo, s22
	s_cbranch_execnz .LBB78_212
; %bb.213:
	s_or_b32 exec_lo, exec_lo, s22
.LBB78_214:
	s_or_b32 exec_lo, exec_lo, s21
	v_mov_b32_e32 v38, 0
	ds_read_b128 v[42:45], v38 offset:208
	s_waitcnt lgkmcnt(0)
	v_mul_f64 v[38:39], v[3:4], v[44:45]
	v_mul_f64 v[44:45], v[1:2], v[44:45]
	v_fma_f64 v[1:2], v[1:2], v[42:43], -v[38:39]
	v_fma_f64 v[3:4], v[3:4], v[42:43], v[44:45]
	buffer_store_dword v2, off, s[0:3], 0 offset:212
	buffer_store_dword v1, off, s[0:3], 0 offset:208
	;; [unrolled: 1-line block ×4, first 2 shown]
.LBB78_215:
	s_or_b32 exec_lo, exec_lo, s8
	v_mov_b32_e32 v4, s6
	s_mov_b32 s8, exec_lo
                                        ; implicit-def: $sgpr23
	s_clause 0x3
	buffer_load_dword v1, v4, s[0:3], 0 offen
	buffer_load_dword v2, v4, s[0:3], 0 offen offset:4
	buffer_load_dword v3, v4, s[0:3], 0 offen offset:8
	;; [unrolled: 1-line block ×3, first 2 shown]
	s_waitcnt vmcnt(0)
	ds_write_b128 v36, v[1:4]
	s_waitcnt lgkmcnt(0)
	s_waitcnt_vscnt null, 0x0
	s_barrier
	buffer_gl0_inv
                                        ; implicit-def: $vgpr1_vgpr2
	v_cmpx_ne_u32_e32 14, v0
	s_cbranch_execz .LBB78_223
; %bb.216:
	ds_read_b128 v[1:4], v36
	v_cmp_ne_u32_e32 vcc_lo, 1, v37
	s_cbranch_vccnz .LBB78_218
; %bb.217:
	s_clause 0x3
	buffer_load_dword v36, v35, s[0:3], 0 offen offset:8
	buffer_load_dword v37, v35, s[0:3], 0 offen offset:12
	buffer_load_dword v38, v35, s[0:3], 0 offen
	buffer_load_dword v39, v35, s[0:3], 0 offen offset:4
	s_waitcnt vmcnt(2) lgkmcnt(0)
	v_mul_f64 v[42:43], v[3:4], v[36:37]
	v_mul_f64 v[35:36], v[1:2], v[36:37]
	s_waitcnt vmcnt(0)
	v_fma_f64 v[1:2], v[1:2], v[38:39], -v[42:43]
	v_fma_f64 v[3:4], v[3:4], v[38:39], v[35:36]
.LBB78_218:
	s_and_saveexec_b32 s21, s4
	s_cbranch_execz .LBB78_222
; %bb.219:
	v_add_nc_u32_e32 v35, 0x100, v41
	v_add3_u32 v36, 0, v41, 16
	s_mov_b32 s4, 0
	.p2align	6
.LBB78_220:                             ; =>This Inner Loop Header: Depth=1
	s_clause 0x3
	buffer_load_dword v41, v36, s[0:3], 0 offen offset:8
	buffer_load_dword v42, v36, s[0:3], 0 offen offset:12
	buffer_load_dword v43, v36, s[0:3], 0 offen
	buffer_load_dword v44, v36, s[0:3], 0 offen offset:4
	ds_read_b128 v[37:40], v35
	v_add_nc_u32_e32 v0, 1, v0
	v_add_nc_u32_e32 v35, 16, v35
	;; [unrolled: 1-line block ×3, first 2 shown]
	v_cmp_lt_u32_e32 vcc_lo, 12, v0
	s_or_b32 s4, vcc_lo, s4
	s_waitcnt vmcnt(2) lgkmcnt(0)
	v_mul_f64 v[45:46], v[39:40], v[41:42]
	v_mul_f64 v[41:42], v[37:38], v[41:42]
	s_waitcnt vmcnt(0)
	v_fma_f64 v[37:38], v[37:38], v[43:44], -v[45:46]
	v_fma_f64 v[39:40], v[39:40], v[43:44], v[41:42]
	v_add_f64 v[1:2], v[1:2], v[37:38]
	v_add_f64 v[3:4], v[3:4], v[39:40]
	s_andn2_b32 exec_lo, exec_lo, s4
	s_cbranch_execnz .LBB78_220
; %bb.221:
	s_or_b32 exec_lo, exec_lo, s4
.LBB78_222:
	s_or_b32 exec_lo, exec_lo, s21
	v_mov_b32_e32 v0, 0
	s_movk_i32 s23, 0xe8
	s_or_b32 s5, s5, exec_lo
	ds_read_b128 v[35:38], v0 offset:224
	s_waitcnt lgkmcnt(0)
	v_mul_f64 v[39:40], v[3:4], v[37:38]
	v_mul_f64 v[37:38], v[1:2], v[37:38]
	v_fma_f64 v[39:40], v[1:2], v[35:36], -v[39:40]
	v_fma_f64 v[1:2], v[3:4], v[35:36], v[37:38]
	buffer_store_dword v40, off, s[0:3], 0 offset:228
	buffer_store_dword v39, off, s[0:3], 0 offset:224
.LBB78_223:
	s_or_b32 exec_lo, exec_lo, s8
.LBB78_224:
	s_and_saveexec_b32 s4, s5
	s_cbranch_execz .LBB78_226
; %bb.225:
	v_mov_b32_e32 v0, s23
	buffer_store_dword v2, v0, s[0:3], 0 offen offset:4
	buffer_store_dword v1, v0, s[0:3], 0 offen
.LBB78_226:
	s_or_b32 exec_lo, exec_lo, s4
	s_clause 0x3
	buffer_load_dword v0, off, s[0:3], 0
	buffer_load_dword v1, off, s[0:3], 0 offset:4
	buffer_load_dword v2, off, s[0:3], 0 offset:8
	;; [unrolled: 1-line block ×3, first 2 shown]
	v_mov_b32_e32 v4, s20
	s_waitcnt vmcnt(0)
	flat_store_dwordx4 v[5:6], v[0:3]
	s_clause 0x3
	buffer_load_dword v0, v4, s[0:3], 0 offen
	buffer_load_dword v1, v4, s[0:3], 0 offen offset:4
	buffer_load_dword v2, v4, s[0:3], 0 offen offset:8
	buffer_load_dword v3, v4, s[0:3], 0 offen offset:12
	v_mov_b32_e32 v4, s19
	s_waitcnt vmcnt(0)
	flat_store_dwordx4 v[7:8], v[0:3]
	s_clause 0x3
	buffer_load_dword v0, v4, s[0:3], 0 offen
	buffer_load_dword v1, v4, s[0:3], 0 offen offset:4
	buffer_load_dword v2, v4, s[0:3], 0 offen offset:8
	buffer_load_dword v3, v4, s[0:3], 0 offen offset:12
	;; [unrolled: 8-line block ×14, first 2 shown]
	s_waitcnt vmcnt(0)
	flat_store_dwordx4 v[33:34], v[0:3]
.LBB78_227:
	s_endpgm
	.section	.rodata,"a",@progbits
	.p2align	6, 0x0
	.amdhsa_kernel _ZN9rocsolver6v33100L18trti2_kernel_smallILi15E19rocblas_complex_numIdEPKPS3_EEv13rocblas_fill_17rocblas_diagonal_T1_iil
		.amdhsa_group_segment_fixed_size 480
		.amdhsa_private_segment_fixed_size 256
		.amdhsa_kernarg_size 32
		.amdhsa_user_sgpr_count 6
		.amdhsa_user_sgpr_private_segment_buffer 1
		.amdhsa_user_sgpr_dispatch_ptr 0
		.amdhsa_user_sgpr_queue_ptr 0
		.amdhsa_user_sgpr_kernarg_segment_ptr 1
		.amdhsa_user_sgpr_dispatch_id 0
		.amdhsa_user_sgpr_flat_scratch_init 0
		.amdhsa_user_sgpr_private_segment_size 0
		.amdhsa_wavefront_size32 1
		.amdhsa_uses_dynamic_stack 0
		.amdhsa_system_sgpr_private_segment_wavefront_offset 1
		.amdhsa_system_sgpr_workgroup_id_x 1
		.amdhsa_system_sgpr_workgroup_id_y 0
		.amdhsa_system_sgpr_workgroup_id_z 0
		.amdhsa_system_sgpr_workgroup_info 0
		.amdhsa_system_vgpr_workitem_id 0
		.amdhsa_next_free_vgpr 52
		.amdhsa_next_free_sgpr 26
		.amdhsa_reserve_vcc 1
		.amdhsa_reserve_flat_scratch 0
		.amdhsa_float_round_mode_32 0
		.amdhsa_float_round_mode_16_64 0
		.amdhsa_float_denorm_mode_32 3
		.amdhsa_float_denorm_mode_16_64 3
		.amdhsa_dx10_clamp 1
		.amdhsa_ieee_mode 1
		.amdhsa_fp16_overflow 0
		.amdhsa_workgroup_processor_mode 1
		.amdhsa_memory_ordered 1
		.amdhsa_forward_progress 1
		.amdhsa_shared_vgpr_count 0
		.amdhsa_exception_fp_ieee_invalid_op 0
		.amdhsa_exception_fp_denorm_src 0
		.amdhsa_exception_fp_ieee_div_zero 0
		.amdhsa_exception_fp_ieee_overflow 0
		.amdhsa_exception_fp_ieee_underflow 0
		.amdhsa_exception_fp_ieee_inexact 0
		.amdhsa_exception_int_div_zero 0
	.end_amdhsa_kernel
	.section	.text._ZN9rocsolver6v33100L18trti2_kernel_smallILi15E19rocblas_complex_numIdEPKPS3_EEv13rocblas_fill_17rocblas_diagonal_T1_iil,"axG",@progbits,_ZN9rocsolver6v33100L18trti2_kernel_smallILi15E19rocblas_complex_numIdEPKPS3_EEv13rocblas_fill_17rocblas_diagonal_T1_iil,comdat
.Lfunc_end78:
	.size	_ZN9rocsolver6v33100L18trti2_kernel_smallILi15E19rocblas_complex_numIdEPKPS3_EEv13rocblas_fill_17rocblas_diagonal_T1_iil, .Lfunc_end78-_ZN9rocsolver6v33100L18trti2_kernel_smallILi15E19rocblas_complex_numIdEPKPS3_EEv13rocblas_fill_17rocblas_diagonal_T1_iil
                                        ; -- End function
	.set _ZN9rocsolver6v33100L18trti2_kernel_smallILi15E19rocblas_complex_numIdEPKPS3_EEv13rocblas_fill_17rocblas_diagonal_T1_iil.num_vgpr, 52
	.set _ZN9rocsolver6v33100L18trti2_kernel_smallILi15E19rocblas_complex_numIdEPKPS3_EEv13rocblas_fill_17rocblas_diagonal_T1_iil.num_agpr, 0
	.set _ZN9rocsolver6v33100L18trti2_kernel_smallILi15E19rocblas_complex_numIdEPKPS3_EEv13rocblas_fill_17rocblas_diagonal_T1_iil.numbered_sgpr, 26
	.set _ZN9rocsolver6v33100L18trti2_kernel_smallILi15E19rocblas_complex_numIdEPKPS3_EEv13rocblas_fill_17rocblas_diagonal_T1_iil.num_named_barrier, 0
	.set _ZN9rocsolver6v33100L18trti2_kernel_smallILi15E19rocblas_complex_numIdEPKPS3_EEv13rocblas_fill_17rocblas_diagonal_T1_iil.private_seg_size, 256
	.set _ZN9rocsolver6v33100L18trti2_kernel_smallILi15E19rocblas_complex_numIdEPKPS3_EEv13rocblas_fill_17rocblas_diagonal_T1_iil.uses_vcc, 1
	.set _ZN9rocsolver6v33100L18trti2_kernel_smallILi15E19rocblas_complex_numIdEPKPS3_EEv13rocblas_fill_17rocblas_diagonal_T1_iil.uses_flat_scratch, 0
	.set _ZN9rocsolver6v33100L18trti2_kernel_smallILi15E19rocblas_complex_numIdEPKPS3_EEv13rocblas_fill_17rocblas_diagonal_T1_iil.has_dyn_sized_stack, 0
	.set _ZN9rocsolver6v33100L18trti2_kernel_smallILi15E19rocblas_complex_numIdEPKPS3_EEv13rocblas_fill_17rocblas_diagonal_T1_iil.has_recursion, 0
	.set _ZN9rocsolver6v33100L18trti2_kernel_smallILi15E19rocblas_complex_numIdEPKPS3_EEv13rocblas_fill_17rocblas_diagonal_T1_iil.has_indirect_call, 0
	.section	.AMDGPU.csdata,"",@progbits
; Kernel info:
; codeLenInByte = 14784
; TotalNumSgprs: 28
; NumVgprs: 52
; ScratchSize: 256
; MemoryBound: 0
; FloatMode: 240
; IeeeMode: 1
; LDSByteSize: 480 bytes/workgroup (compile time only)
; SGPRBlocks: 0
; VGPRBlocks: 6
; NumSGPRsForWavesPerEU: 28
; NumVGPRsForWavesPerEU: 52
; Occupancy: 16
; WaveLimiterHint : 1
; COMPUTE_PGM_RSRC2:SCRATCH_EN: 1
; COMPUTE_PGM_RSRC2:USER_SGPR: 6
; COMPUTE_PGM_RSRC2:TRAP_HANDLER: 0
; COMPUTE_PGM_RSRC2:TGID_X_EN: 1
; COMPUTE_PGM_RSRC2:TGID_Y_EN: 0
; COMPUTE_PGM_RSRC2:TGID_Z_EN: 0
; COMPUTE_PGM_RSRC2:TIDIG_COMP_CNT: 0
	.section	.text._ZN9rocsolver6v33100L18trti2_kernel_smallILi16E19rocblas_complex_numIdEPKPS3_EEv13rocblas_fill_17rocblas_diagonal_T1_iil,"axG",@progbits,_ZN9rocsolver6v33100L18trti2_kernel_smallILi16E19rocblas_complex_numIdEPKPS3_EEv13rocblas_fill_17rocblas_diagonal_T1_iil,comdat
	.globl	_ZN9rocsolver6v33100L18trti2_kernel_smallILi16E19rocblas_complex_numIdEPKPS3_EEv13rocblas_fill_17rocblas_diagonal_T1_iil ; -- Begin function _ZN9rocsolver6v33100L18trti2_kernel_smallILi16E19rocblas_complex_numIdEPKPS3_EEv13rocblas_fill_17rocblas_diagonal_T1_iil
	.p2align	8
	.type	_ZN9rocsolver6v33100L18trti2_kernel_smallILi16E19rocblas_complex_numIdEPKPS3_EEv13rocblas_fill_17rocblas_diagonal_T1_iil,@function
_ZN9rocsolver6v33100L18trti2_kernel_smallILi16E19rocblas_complex_numIdEPKPS3_EEv13rocblas_fill_17rocblas_diagonal_T1_iil: ; @_ZN9rocsolver6v33100L18trti2_kernel_smallILi16E19rocblas_complex_numIdEPKPS3_EEv13rocblas_fill_17rocblas_diagonal_T1_iil
; %bb.0:
	s_add_u32 s0, s0, s7
	s_addc_u32 s1, s1, 0
	s_mov_b32 s7, exec_lo
	v_cmpx_gt_u32_e32 16, v0
	s_cbranch_execz .LBB79_243
; %bb.1:
	s_clause 0x1
	s_load_dwordx2 s[12:13], s[4:5], 0x10
	s_load_dwordx4 s[8:11], s[4:5], 0x0
	s_ashr_i32 s7, s6, 31
	v_lshlrev_b32_e32 v43, 4, v0
	s_lshl_b64 s[4:5], s[6:7], 3
	s_movk_i32 s24, 0xc0
	s_movk_i32 s25, 0xd0
	;; [unrolled: 1-line block ×4, first 2 shown]
	s_waitcnt lgkmcnt(0)
	s_ashr_i32 s7, s12, 31
	s_add_u32 s4, s10, s4
	s_addc_u32 s5, s11, s5
	s_mov_b32 s6, s12
	s_load_dwordx2 s[4:5], s[4:5], 0x0
	s_lshl_b64 s[6:7], s[6:7], 4
	v_add3_u32 v11, s13, s13, v0
	s_movk_i32 s10, 0x90
	s_movk_i32 s11, 0xa0
	;; [unrolled: 1-line block ×3, first 2 shown]
	v_ashrrev_i32_e32 v12, 31, v11
	v_add_nc_u32_e32 v13, s13, v11
	v_lshlrev_b64 v[9:10], 4, v[11:12]
	v_ashrrev_i32_e32 v14, 31, v13
	v_add_nc_u32_e32 v15, s13, v13
	v_lshlrev_b64 v[11:12], 4, v[13:14]
	v_ashrrev_i32_e32 v16, 31, v15
	s_waitcnt lgkmcnt(0)
	s_add_u32 s4, s4, s6
	s_addc_u32 s5, s5, s7
	v_add_co_u32 v5, s6, s4, v43
	v_add_co_ci_u32_e64 v6, null, s5, 0, s6
	s_mov_b32 s6, s13
	s_ashr_i32 s7, s13, 31
	v_lshlrev_b64 v[13:14], 4, v[15:16]
	flat_load_dwordx4 v[1:4], v[5:6]
	s_lshl_b64 s[6:7], s[6:7], 4
	v_add_nc_u32_e32 v17, s13, v15
	v_add_co_u32 v7, vcc_lo, v5, s6
	v_add_co_ci_u32_e64 v8, null, s7, v6, vcc_lo
	v_add_co_u32 v9, vcc_lo, s4, v9
	v_add_co_ci_u32_e64 v10, null, s5, v10, vcc_lo
	;; [unrolled: 2-line block ×4, first 2 shown]
	v_ashrrev_i32_e32 v18, 31, v17
	v_add_nc_u32_e32 v19, s13, v17
	s_cmpk_lg_i32 s9, 0x84
	s_movk_i32 s6, 0x70
	s_movk_i32 s7, 0x80
	v_lshlrev_b64 v[15:16], 4, v[17:18]
	v_ashrrev_i32_e32 v20, 31, v19
	v_add_nc_u32_e32 v21, s13, v19
	s_cselect_b32 s23, -1, 0
	s_cmpk_eq_i32 s9, 0x84
	s_waitcnt vmcnt(0) lgkmcnt(0)
	buffer_store_dword v4, off, s[0:3], 0 offset:12
	buffer_store_dword v3, off, s[0:3], 0 offset:8
	;; [unrolled: 1-line block ×3, first 2 shown]
	buffer_store_dword v1, off, s[0:3], 0
	flat_load_dwordx4 v[1:4], v[7:8]
	v_add_co_u32 v15, vcc_lo, s4, v15
	v_add_co_ci_u32_e64 v16, null, s5, v16, vcc_lo
	v_lshlrev_b64 v[17:18], 4, v[19:20]
	v_ashrrev_i32_e32 v22, 31, v21
	v_add_nc_u32_e32 v23, s13, v21
	s_waitcnt vmcnt(0) lgkmcnt(0)
	buffer_store_dword v4, off, s[0:3], 0 offset:28
	buffer_store_dword v3, off, s[0:3], 0 offset:24
	buffer_store_dword v2, off, s[0:3], 0 offset:20
	buffer_store_dword v1, off, s[0:3], 0 offset:16
	flat_load_dwordx4 v[1:4], v[9:10]
	v_add_co_u32 v17, vcc_lo, s4, v17
	v_add_co_ci_u32_e64 v18, null, s5, v18, vcc_lo
	v_lshlrev_b64 v[19:20], 4, v[21:22]
	v_ashrrev_i32_e32 v24, 31, v23
	v_add_nc_u32_e32 v25, s13, v23
	s_waitcnt vmcnt(0) lgkmcnt(0)
	buffer_store_dword v4, off, s[0:3], 0 offset:44
	buffer_store_dword v3, off, s[0:3], 0 offset:40
	buffer_store_dword v2, off, s[0:3], 0 offset:36
	buffer_store_dword v1, off, s[0:3], 0 offset:32
	;; [unrolled: 11-line block ×7, first 2 shown]
	flat_load_dwordx4 v[1:4], v[21:22]
	v_add_co_u32 v29, vcc_lo, s4, v29
	v_add_co_ci_u32_e64 v30, null, s5, v30, vcc_lo
	v_lshlrev_b64 v[31:32], 4, v[33:34]
	v_ashrrev_i32_e32 v36, 31, v35
	s_waitcnt vmcnt(0) lgkmcnt(0)
	buffer_store_dword v4, off, s[0:3], 0 offset:140
	buffer_store_dword v3, off, s[0:3], 0 offset:136
	;; [unrolled: 1-line block ×4, first 2 shown]
	flat_load_dwordx4 v[1:4], v[23:24]
	v_add_co_u32 v31, vcc_lo, s4, v31
	v_add_co_ci_u32_e64 v32, null, s5, v32, vcc_lo
	v_lshlrev_b64 v[33:34], 4, v[35:36]
	v_add_nc_u32_e32 v35, s13, v35
	s_waitcnt vmcnt(0) lgkmcnt(0)
	buffer_store_dword v4, off, s[0:3], 0 offset:156
	buffer_store_dword v3, off, s[0:3], 0 offset:152
	;; [unrolled: 1-line block ×4, first 2 shown]
	flat_load_dwordx4 v[1:4], v[25:26]
	v_add_co_u32 v33, vcc_lo, s4, v33
	v_add_co_ci_u32_e64 v34, null, s5, v34, vcc_lo
	v_ashrrev_i32_e32 v36, 31, v35
	s_waitcnt vmcnt(0) lgkmcnt(0)
	buffer_store_dword v4, off, s[0:3], 0 offset:172
	buffer_store_dword v3, off, s[0:3], 0 offset:168
	buffer_store_dword v2, off, s[0:3], 0 offset:164
	buffer_store_dword v1, off, s[0:3], 0 offset:160
	flat_load_dwordx4 v[1:4], v[27:28]
	v_lshlrev_b64 v[35:36], 4, v[35:36]
	s_waitcnt vmcnt(0) lgkmcnt(0)
	buffer_store_dword v4, off, s[0:3], 0 offset:188
	buffer_store_dword v3, off, s[0:3], 0 offset:184
	buffer_store_dword v2, off, s[0:3], 0 offset:180
	buffer_store_dword v1, off, s[0:3], 0 offset:176
	flat_load_dwordx4 v[1:4], v[29:30]
	v_add_co_u32 v35, vcc_lo, s4, v35
	v_add_co_ci_u32_e64 v36, null, s5, v36, vcc_lo
	s_movk_i32 s4, 0x50
	s_movk_i32 s5, 0x60
	s_waitcnt vmcnt(0) lgkmcnt(0)
	buffer_store_dword v4, off, s[0:3], 0 offset:204
	buffer_store_dword v3, off, s[0:3], 0 offset:200
	buffer_store_dword v2, off, s[0:3], 0 offset:196
	buffer_store_dword v1, off, s[0:3], 0 offset:192
	flat_load_dwordx4 v[1:4], v[31:32]
	s_waitcnt vmcnt(0) lgkmcnt(0)
	buffer_store_dword v4, off, s[0:3], 0 offset:220
	buffer_store_dword v3, off, s[0:3], 0 offset:216
	buffer_store_dword v2, off, s[0:3], 0 offset:212
	buffer_store_dword v1, off, s[0:3], 0 offset:208
	flat_load_dwordx4 v[1:4], v[33:34]
	;; [unrolled: 6-line block ×3, first 2 shown]
	s_waitcnt vmcnt(0) lgkmcnt(0)
	buffer_store_dword v4, off, s[0:3], 0 offset:252
	buffer_store_dword v3, off, s[0:3], 0 offset:248
	;; [unrolled: 1-line block ×4, first 2 shown]
	s_cbranch_scc1 .LBB79_7
; %bb.2:
	v_lshl_add_u32 v44, v0, 4, 0
                                        ; implicit-def: $vgpr39_vgpr40
                                        ; implicit-def: $vgpr3_vgpr4
	s_clause 0x3
	buffer_load_dword v37, v44, s[0:3], 0 offen
	buffer_load_dword v38, v44, s[0:3], 0 offen offset:4
	buffer_load_dword v41, v44, s[0:3], 0 offen offset:8
	;; [unrolled: 1-line block ×3, first 2 shown]
	s_waitcnt vmcnt(0)
	v_cmp_ngt_f64_e64 s9, |v[37:38]|, |v[41:42]|
	s_and_saveexec_b32 s13, s9
	s_xor_b32 s9, exec_lo, s13
	s_cbranch_execz .LBB79_4
; %bb.3:
	v_div_scale_f64 v[1:2], null, v[41:42], v[41:42], v[37:38]
	v_div_scale_f64 v[45:46], vcc_lo, v[37:38], v[41:42], v[37:38]
	v_rcp_f64_e32 v[3:4], v[1:2]
	v_fma_f64 v[39:40], -v[1:2], v[3:4], 1.0
	v_fma_f64 v[3:4], v[3:4], v[39:40], v[3:4]
	v_fma_f64 v[39:40], -v[1:2], v[3:4], 1.0
	v_fma_f64 v[3:4], v[3:4], v[39:40], v[3:4]
	v_mul_f64 v[39:40], v[45:46], v[3:4]
	v_fma_f64 v[1:2], -v[1:2], v[39:40], v[45:46]
	v_div_fmas_f64 v[1:2], v[1:2], v[3:4], v[39:40]
	v_div_fixup_f64 v[1:2], v[1:2], v[41:42], v[37:38]
	v_fma_f64 v[3:4], v[37:38], v[1:2], v[41:42]
	v_div_scale_f64 v[37:38], null, v[3:4], v[3:4], 1.0
	v_div_scale_f64 v[45:46], vcc_lo, 1.0, v[3:4], 1.0
	v_rcp_f64_e32 v[39:40], v[37:38]
	v_fma_f64 v[41:42], -v[37:38], v[39:40], 1.0
	v_fma_f64 v[39:40], v[39:40], v[41:42], v[39:40]
	v_fma_f64 v[41:42], -v[37:38], v[39:40], 1.0
	v_fma_f64 v[39:40], v[39:40], v[41:42], v[39:40]
	v_mul_f64 v[41:42], v[45:46], v[39:40]
	v_fma_f64 v[37:38], -v[37:38], v[41:42], v[45:46]
	v_div_fmas_f64 v[37:38], v[37:38], v[39:40], v[41:42]
                                        ; implicit-def: $vgpr41_vgpr42
	v_div_fixup_f64 v[3:4], v[37:38], v[3:4], 1.0
                                        ; implicit-def: $vgpr37_vgpr38
	v_mul_f64 v[39:40], v[1:2], v[3:4]
	v_xor_b32_e32 v4, 0x80000000, v4
	v_xor_b32_e32 v2, 0x80000000, v40
	v_mov_b32_e32 v1, v39
.LBB79_4:
	s_andn2_saveexec_b32 s9, s9
	s_cbranch_execz .LBB79_6
; %bb.5:
	v_div_scale_f64 v[1:2], null, v[37:38], v[37:38], v[41:42]
	v_div_scale_f64 v[45:46], vcc_lo, v[41:42], v[37:38], v[41:42]
	v_rcp_f64_e32 v[3:4], v[1:2]
	v_fma_f64 v[39:40], -v[1:2], v[3:4], 1.0
	v_fma_f64 v[3:4], v[3:4], v[39:40], v[3:4]
	v_fma_f64 v[39:40], -v[1:2], v[3:4], 1.0
	v_fma_f64 v[3:4], v[3:4], v[39:40], v[3:4]
	v_mul_f64 v[39:40], v[45:46], v[3:4]
	v_fma_f64 v[1:2], -v[1:2], v[39:40], v[45:46]
	v_div_fmas_f64 v[1:2], v[1:2], v[3:4], v[39:40]
	v_div_fixup_f64 v[1:2], v[1:2], v[37:38], v[41:42]
	v_fma_f64 v[3:4], v[41:42], v[1:2], v[37:38]
	v_div_scale_f64 v[37:38], null, v[3:4], v[3:4], 1.0
	v_rcp_f64_e32 v[39:40], v[37:38]
	v_fma_f64 v[41:42], -v[37:38], v[39:40], 1.0
	v_fma_f64 v[39:40], v[39:40], v[41:42], v[39:40]
	v_fma_f64 v[41:42], -v[37:38], v[39:40], 1.0
	v_fma_f64 v[39:40], v[39:40], v[41:42], v[39:40]
	v_div_scale_f64 v[41:42], vcc_lo, 1.0, v[3:4], 1.0
	v_mul_f64 v[45:46], v[41:42], v[39:40]
	v_fma_f64 v[37:38], -v[37:38], v[45:46], v[41:42]
	v_div_fmas_f64 v[37:38], v[37:38], v[39:40], v[45:46]
	v_div_fixup_f64 v[39:40], v[37:38], v[3:4], 1.0
	v_mul_f64 v[3:4], v[1:2], -v[39:40]
	v_xor_b32_e32 v2, 0x80000000, v40
	v_mov_b32_e32 v1, v39
.LBB79_6:
	s_or_b32 exec_lo, exec_lo, s9
	buffer_store_dword v4, v44, s[0:3], 0 offen offset:12
	v_xor_b32_e32 v4, 0x80000000, v4
	buffer_store_dword v40, v44, s[0:3], 0 offen offset:4
	buffer_store_dword v39, v44, s[0:3], 0 offen
	buffer_store_dword v3, v44, s[0:3], 0 offen offset:8
	s_branch .LBB79_8
.LBB79_7:
	v_mov_b32_e32 v1, 0
	v_mov_b32_e32 v3, 0
	;; [unrolled: 1-line block ×4, first 2 shown]
.LBB79_8:
	v_add_nc_u32_e32 v38, 0x100, v43
	v_mov_b32_e32 v37, v43
	s_mov_b32 s22, 16
	s_mov_b32 s21, 32
	;; [unrolled: 1-line block ×14, first 2 shown]
	s_cmpk_eq_i32 s8, 0x79
	ds_write_b128 v43, v[1:4]
	s_cbranch_scc1 .LBB79_124
; %bb.9:
	v_mov_b32_e32 v4, s9
	v_cmp_eq_u32_e64 s4, 15, v0
	s_clause 0x3
	buffer_load_dword v1, v4, s[0:3], 0 offen
	buffer_load_dword v2, v4, s[0:3], 0 offen offset:4
	buffer_load_dword v3, v4, s[0:3], 0 offen offset:8
	;; [unrolled: 1-line block ×3, first 2 shown]
	s_waitcnt vmcnt(0)
	ds_write_b128 v38, v[1:4]
	s_waitcnt lgkmcnt(0)
	s_waitcnt_vscnt null, 0x0
	s_barrier
	buffer_gl0_inv
	s_and_saveexec_b32 s5, s4
	s_cbranch_execz .LBB79_13
; %bb.10:
	ds_read_b128 v[1:4], v38
	s_andn2_b32 vcc_lo, exec_lo, s23
	s_cbranch_vccnz .LBB79_12
; %bb.11:
	s_clause 0x3
	buffer_load_dword v39, v37, s[0:3], 0 offen offset:8
	buffer_load_dword v40, v37, s[0:3], 0 offen offset:12
	buffer_load_dword v41, v37, s[0:3], 0 offen
	buffer_load_dword v42, v37, s[0:3], 0 offen offset:4
	s_waitcnt vmcnt(2) lgkmcnt(0)
	v_mul_f64 v[44:45], v[3:4], v[39:40]
	v_mul_f64 v[39:40], v[1:2], v[39:40]
	s_waitcnt vmcnt(0)
	v_fma_f64 v[1:2], v[1:2], v[41:42], -v[44:45]
	v_fma_f64 v[3:4], v[3:4], v[41:42], v[39:40]
.LBB79_12:
	v_mov_b32_e32 v39, 0
	ds_read_b128 v[39:42], v39 offset:224
	s_waitcnt lgkmcnt(0)
	v_mul_f64 v[44:45], v[3:4], v[41:42]
	v_mul_f64 v[41:42], v[1:2], v[41:42]
	v_fma_f64 v[1:2], v[1:2], v[39:40], -v[44:45]
	v_fma_f64 v[3:4], v[3:4], v[39:40], v[41:42]
	buffer_store_dword v2, off, s[0:3], 0 offset:228
	buffer_store_dword v1, off, s[0:3], 0 offset:224
	;; [unrolled: 1-line block ×4, first 2 shown]
.LBB79_13:
	s_or_b32 exec_lo, exec_lo, s5
	v_mov_b32_e32 v4, s10
	v_cmp_lt_u32_e64 s5, 13, v0
	s_clause 0x3
	buffer_load_dword v1, v4, s[0:3], 0 offen
	buffer_load_dword v2, v4, s[0:3], 0 offen offset:4
	buffer_load_dword v3, v4, s[0:3], 0 offen offset:8
	;; [unrolled: 1-line block ×3, first 2 shown]
	s_waitcnt vmcnt(0)
	ds_write_b128 v38, v[1:4]
	s_waitcnt lgkmcnt(0)
	s_waitcnt_vscnt null, 0x0
	s_barrier
	buffer_gl0_inv
	s_and_saveexec_b32 s6, s5
	s_cbranch_execz .LBB79_19
; %bb.14:
	ds_read_b128 v[1:4], v38
	s_andn2_b32 vcc_lo, exec_lo, s23
	s_cbranch_vccnz .LBB79_16
; %bb.15:
	s_clause 0x3
	buffer_load_dword v39, v37, s[0:3], 0 offen offset:8
	buffer_load_dword v40, v37, s[0:3], 0 offen offset:12
	buffer_load_dword v41, v37, s[0:3], 0 offen
	buffer_load_dword v42, v37, s[0:3], 0 offen offset:4
	s_waitcnt vmcnt(2) lgkmcnt(0)
	v_mul_f64 v[44:45], v[3:4], v[39:40]
	v_mul_f64 v[39:40], v[1:2], v[39:40]
	s_waitcnt vmcnt(0)
	v_fma_f64 v[1:2], v[1:2], v[41:42], -v[44:45]
	v_fma_f64 v[3:4], v[3:4], v[41:42], v[39:40]
.LBB79_16:
	s_and_saveexec_b32 s8, s4
	s_cbranch_execz .LBB79_18
; %bb.17:
	s_clause 0x3
	buffer_load_dword v44, off, s[0:3], 0 offset:232
	buffer_load_dword v45, off, s[0:3], 0 offset:236
	;; [unrolled: 1-line block ×4, first 2 shown]
	v_mov_b32_e32 v39, 0
	ds_read_b128 v[39:42], v39 offset:480
	s_waitcnt vmcnt(2) lgkmcnt(0)
	v_mul_f64 v[48:49], v[39:40], v[44:45]
	v_mul_f64 v[44:45], v[41:42], v[44:45]
	s_waitcnt vmcnt(0)
	v_fma_f64 v[41:42], v[41:42], v[46:47], v[48:49]
	v_fma_f64 v[39:40], v[39:40], v[46:47], -v[44:45]
	v_add_f64 v[3:4], v[3:4], v[41:42]
	v_add_f64 v[1:2], v[1:2], v[39:40]
.LBB79_18:
	s_or_b32 exec_lo, exec_lo, s8
	v_mov_b32_e32 v39, 0
	ds_read_b128 v[39:42], v39 offset:208
	s_waitcnt lgkmcnt(0)
	v_mul_f64 v[44:45], v[3:4], v[41:42]
	v_mul_f64 v[41:42], v[1:2], v[41:42]
	v_fma_f64 v[1:2], v[1:2], v[39:40], -v[44:45]
	v_fma_f64 v[3:4], v[3:4], v[39:40], v[41:42]
	buffer_store_dword v2, off, s[0:3], 0 offset:212
	buffer_store_dword v1, off, s[0:3], 0 offset:208
	;; [unrolled: 1-line block ×4, first 2 shown]
.LBB79_19:
	s_or_b32 exec_lo, exec_lo, s6
	v_mov_b32_e32 v4, s11
	v_cmp_lt_u32_e64 s4, 12, v0
	s_clause 0x3
	buffer_load_dword v1, v4, s[0:3], 0 offen
	buffer_load_dword v2, v4, s[0:3], 0 offen offset:4
	buffer_load_dword v3, v4, s[0:3], 0 offen offset:8
	;; [unrolled: 1-line block ×3, first 2 shown]
	s_waitcnt vmcnt(0)
	ds_write_b128 v38, v[1:4]
	s_waitcnt lgkmcnt(0)
	s_waitcnt_vscnt null, 0x0
	s_barrier
	buffer_gl0_inv
	s_and_saveexec_b32 s6, s4
	s_cbranch_execz .LBB79_27
; %bb.20:
	ds_read_b128 v[1:4], v38
	s_andn2_b32 vcc_lo, exec_lo, s23
	s_cbranch_vccnz .LBB79_22
; %bb.21:
	s_clause 0x3
	buffer_load_dword v39, v37, s[0:3], 0 offen offset:8
	buffer_load_dword v40, v37, s[0:3], 0 offen offset:12
	buffer_load_dword v41, v37, s[0:3], 0 offen
	buffer_load_dword v42, v37, s[0:3], 0 offen offset:4
	s_waitcnt vmcnt(2) lgkmcnt(0)
	v_mul_f64 v[44:45], v[3:4], v[39:40]
	v_mul_f64 v[39:40], v[1:2], v[39:40]
	s_waitcnt vmcnt(0)
	v_fma_f64 v[1:2], v[1:2], v[41:42], -v[44:45]
	v_fma_f64 v[3:4], v[3:4], v[41:42], v[39:40]
.LBB79_22:
	s_and_saveexec_b32 s8, s5
	s_cbranch_execz .LBB79_26
; %bb.23:
	v_add_nc_u32_e32 v39, -13, v0
	s_movk_i32 s24, 0x1d0
	s_mov_b32 s5, 0
	s_mov_b32 s25, s10
	.p2align	6
.LBB79_24:                              ; =>This Inner Loop Header: Depth=1
	v_mov_b32_e32 v42, s25
	v_add_nc_u32_e32 v39, -1, v39
	s_add_i32 s25, s25, 16
	s_clause 0x3
	buffer_load_dword v40, v42, s[0:3], 0 offen offset:8
	buffer_load_dword v41, v42, s[0:3], 0 offen offset:12
	buffer_load_dword v48, v42, s[0:3], 0 offen
	buffer_load_dword v49, v42, s[0:3], 0 offen offset:4
	v_mov_b32_e32 v42, s24
	v_cmp_eq_u32_e32 vcc_lo, 0, v39
	s_add_i32 s24, s24, 16
	ds_read_b128 v[44:47], v42
	s_or_b32 s5, vcc_lo, s5
	s_waitcnt vmcnt(2) lgkmcnt(0)
	v_mul_f64 v[50:51], v[46:47], v[40:41]
	v_mul_f64 v[40:41], v[44:45], v[40:41]
	s_waitcnt vmcnt(0)
	v_fma_f64 v[44:45], v[44:45], v[48:49], -v[50:51]
	v_fma_f64 v[40:41], v[46:47], v[48:49], v[40:41]
	v_add_f64 v[1:2], v[1:2], v[44:45]
	v_add_f64 v[3:4], v[3:4], v[40:41]
	s_andn2_b32 exec_lo, exec_lo, s5
	s_cbranch_execnz .LBB79_24
; %bb.25:
	s_or_b32 exec_lo, exec_lo, s5
.LBB79_26:
	s_or_b32 exec_lo, exec_lo, s8
	v_mov_b32_e32 v39, 0
	ds_read_b128 v[39:42], v39 offset:192
	s_waitcnt lgkmcnt(0)
	v_mul_f64 v[44:45], v[3:4], v[41:42]
	v_mul_f64 v[41:42], v[1:2], v[41:42]
	v_fma_f64 v[1:2], v[1:2], v[39:40], -v[44:45]
	v_fma_f64 v[3:4], v[3:4], v[39:40], v[41:42]
	buffer_store_dword v2, off, s[0:3], 0 offset:196
	buffer_store_dword v1, off, s[0:3], 0 offset:192
	;; [unrolled: 1-line block ×4, first 2 shown]
.LBB79_27:
	s_or_b32 exec_lo, exec_lo, s6
	v_mov_b32_e32 v4, s12
	v_cmp_lt_u32_e64 s5, 11, v0
	s_clause 0x3
	buffer_load_dword v1, v4, s[0:3], 0 offen
	buffer_load_dword v2, v4, s[0:3], 0 offen offset:4
	buffer_load_dword v3, v4, s[0:3], 0 offen offset:8
	;; [unrolled: 1-line block ×3, first 2 shown]
	s_waitcnt vmcnt(0)
	ds_write_b128 v38, v[1:4]
	s_waitcnt lgkmcnt(0)
	s_waitcnt_vscnt null, 0x0
	s_barrier
	buffer_gl0_inv
	s_and_saveexec_b32 s6, s5
	s_cbranch_execz .LBB79_35
; %bb.28:
	ds_read_b128 v[1:4], v38
	s_andn2_b32 vcc_lo, exec_lo, s23
	s_cbranch_vccnz .LBB79_30
; %bb.29:
	s_clause 0x3
	buffer_load_dword v39, v37, s[0:3], 0 offen offset:8
	buffer_load_dword v40, v37, s[0:3], 0 offen offset:12
	buffer_load_dword v41, v37, s[0:3], 0 offen
	buffer_load_dword v42, v37, s[0:3], 0 offen offset:4
	s_waitcnt vmcnt(2) lgkmcnt(0)
	v_mul_f64 v[44:45], v[3:4], v[39:40]
	v_mul_f64 v[39:40], v[1:2], v[39:40]
	s_waitcnt vmcnt(0)
	v_fma_f64 v[1:2], v[1:2], v[41:42], -v[44:45]
	v_fma_f64 v[3:4], v[3:4], v[41:42], v[39:40]
.LBB79_30:
	s_and_saveexec_b32 s8, s4
	s_cbranch_execz .LBB79_34
; %bb.31:
	v_add_nc_u32_e32 v39, -12, v0
	s_movk_i32 s24, 0x1c0
	s_mov_b32 s4, 0
	s_mov_b32 s25, s11
	.p2align	6
.LBB79_32:                              ; =>This Inner Loop Header: Depth=1
	v_mov_b32_e32 v42, s25
	v_add_nc_u32_e32 v39, -1, v39
	s_add_i32 s25, s25, 16
	s_clause 0x3
	buffer_load_dword v40, v42, s[0:3], 0 offen offset:8
	buffer_load_dword v41, v42, s[0:3], 0 offen offset:12
	buffer_load_dword v48, v42, s[0:3], 0 offen
	buffer_load_dword v49, v42, s[0:3], 0 offen offset:4
	v_mov_b32_e32 v42, s24
	v_cmp_eq_u32_e32 vcc_lo, 0, v39
	s_add_i32 s24, s24, 16
	ds_read_b128 v[44:47], v42
	s_or_b32 s4, vcc_lo, s4
	s_waitcnt vmcnt(2) lgkmcnt(0)
	v_mul_f64 v[50:51], v[46:47], v[40:41]
	v_mul_f64 v[40:41], v[44:45], v[40:41]
	s_waitcnt vmcnt(0)
	v_fma_f64 v[44:45], v[44:45], v[48:49], -v[50:51]
	v_fma_f64 v[40:41], v[46:47], v[48:49], v[40:41]
	v_add_f64 v[1:2], v[1:2], v[44:45]
	v_add_f64 v[3:4], v[3:4], v[40:41]
	s_andn2_b32 exec_lo, exec_lo, s4
	s_cbranch_execnz .LBB79_32
; %bb.33:
	s_or_b32 exec_lo, exec_lo, s4
.LBB79_34:
	s_or_b32 exec_lo, exec_lo, s8
	v_mov_b32_e32 v39, 0
	ds_read_b128 v[39:42], v39 offset:176
	s_waitcnt lgkmcnt(0)
	v_mul_f64 v[44:45], v[3:4], v[41:42]
	v_mul_f64 v[41:42], v[1:2], v[41:42]
	v_fma_f64 v[1:2], v[1:2], v[39:40], -v[44:45]
	v_fma_f64 v[3:4], v[3:4], v[39:40], v[41:42]
	buffer_store_dword v2, off, s[0:3], 0 offset:180
	buffer_store_dword v1, off, s[0:3], 0 offset:176
	;; [unrolled: 1-line block ×4, first 2 shown]
.LBB79_35:
	s_or_b32 exec_lo, exec_lo, s6
	v_mov_b32_e32 v4, s13
	v_cmp_lt_u32_e64 s4, 10, v0
	s_clause 0x3
	buffer_load_dword v1, v4, s[0:3], 0 offen
	buffer_load_dword v2, v4, s[0:3], 0 offen offset:4
	buffer_load_dword v3, v4, s[0:3], 0 offen offset:8
	;; [unrolled: 1-line block ×3, first 2 shown]
	s_waitcnt vmcnt(0)
	ds_write_b128 v38, v[1:4]
	s_waitcnt lgkmcnt(0)
	s_waitcnt_vscnt null, 0x0
	s_barrier
	buffer_gl0_inv
	s_and_saveexec_b32 s6, s4
	s_cbranch_execz .LBB79_43
; %bb.36:
	ds_read_b128 v[1:4], v38
	s_andn2_b32 vcc_lo, exec_lo, s23
	s_cbranch_vccnz .LBB79_38
; %bb.37:
	s_clause 0x3
	buffer_load_dword v39, v37, s[0:3], 0 offen offset:8
	buffer_load_dword v40, v37, s[0:3], 0 offen offset:12
	buffer_load_dword v41, v37, s[0:3], 0 offen
	buffer_load_dword v42, v37, s[0:3], 0 offen offset:4
	s_waitcnt vmcnt(2) lgkmcnt(0)
	v_mul_f64 v[44:45], v[3:4], v[39:40]
	v_mul_f64 v[39:40], v[1:2], v[39:40]
	s_waitcnt vmcnt(0)
	v_fma_f64 v[1:2], v[1:2], v[41:42], -v[44:45]
	v_fma_f64 v[3:4], v[3:4], v[41:42], v[39:40]
.LBB79_38:
	s_and_saveexec_b32 s8, s5
	s_cbranch_execz .LBB79_42
; %bb.39:
	v_add_nc_u32_e32 v39, -11, v0
	s_movk_i32 s24, 0x1b0
	s_mov_b32 s5, 0
	s_mov_b32 s25, s12
	.p2align	6
.LBB79_40:                              ; =>This Inner Loop Header: Depth=1
	v_mov_b32_e32 v42, s25
	v_add_nc_u32_e32 v39, -1, v39
	s_add_i32 s25, s25, 16
	s_clause 0x3
	buffer_load_dword v40, v42, s[0:3], 0 offen offset:8
	buffer_load_dword v41, v42, s[0:3], 0 offen offset:12
	buffer_load_dword v48, v42, s[0:3], 0 offen
	buffer_load_dword v49, v42, s[0:3], 0 offen offset:4
	v_mov_b32_e32 v42, s24
	v_cmp_eq_u32_e32 vcc_lo, 0, v39
	s_add_i32 s24, s24, 16
	ds_read_b128 v[44:47], v42
	s_or_b32 s5, vcc_lo, s5
	s_waitcnt vmcnt(2) lgkmcnt(0)
	v_mul_f64 v[50:51], v[46:47], v[40:41]
	v_mul_f64 v[40:41], v[44:45], v[40:41]
	s_waitcnt vmcnt(0)
	v_fma_f64 v[44:45], v[44:45], v[48:49], -v[50:51]
	v_fma_f64 v[40:41], v[46:47], v[48:49], v[40:41]
	v_add_f64 v[1:2], v[1:2], v[44:45]
	v_add_f64 v[3:4], v[3:4], v[40:41]
	s_andn2_b32 exec_lo, exec_lo, s5
	s_cbranch_execnz .LBB79_40
; %bb.41:
	s_or_b32 exec_lo, exec_lo, s5
.LBB79_42:
	s_or_b32 exec_lo, exec_lo, s8
	v_mov_b32_e32 v39, 0
	ds_read_b128 v[39:42], v39 offset:160
	s_waitcnt lgkmcnt(0)
	v_mul_f64 v[44:45], v[3:4], v[41:42]
	v_mul_f64 v[41:42], v[1:2], v[41:42]
	v_fma_f64 v[1:2], v[1:2], v[39:40], -v[44:45]
	v_fma_f64 v[3:4], v[3:4], v[39:40], v[41:42]
	buffer_store_dword v2, off, s[0:3], 0 offset:164
	buffer_store_dword v1, off, s[0:3], 0 offset:160
	buffer_store_dword v4, off, s[0:3], 0 offset:172
	buffer_store_dword v3, off, s[0:3], 0 offset:168
.LBB79_43:
	s_or_b32 exec_lo, exec_lo, s6
	v_mov_b32_e32 v4, s14
	v_cmp_lt_u32_e64 s5, 9, v0
	s_clause 0x3
	buffer_load_dword v1, v4, s[0:3], 0 offen
	buffer_load_dword v2, v4, s[0:3], 0 offen offset:4
	buffer_load_dword v3, v4, s[0:3], 0 offen offset:8
	;; [unrolled: 1-line block ×3, first 2 shown]
	s_waitcnt vmcnt(0)
	ds_write_b128 v38, v[1:4]
	s_waitcnt lgkmcnt(0)
	s_waitcnt_vscnt null, 0x0
	s_barrier
	buffer_gl0_inv
	s_and_saveexec_b32 s6, s5
	s_cbranch_execz .LBB79_51
; %bb.44:
	ds_read_b128 v[1:4], v38
	s_andn2_b32 vcc_lo, exec_lo, s23
	s_cbranch_vccnz .LBB79_46
; %bb.45:
	s_clause 0x3
	buffer_load_dword v39, v37, s[0:3], 0 offen offset:8
	buffer_load_dword v40, v37, s[0:3], 0 offen offset:12
	buffer_load_dword v41, v37, s[0:3], 0 offen
	buffer_load_dword v42, v37, s[0:3], 0 offen offset:4
	s_waitcnt vmcnt(2) lgkmcnt(0)
	v_mul_f64 v[44:45], v[3:4], v[39:40]
	v_mul_f64 v[39:40], v[1:2], v[39:40]
	s_waitcnt vmcnt(0)
	v_fma_f64 v[1:2], v[1:2], v[41:42], -v[44:45]
	v_fma_f64 v[3:4], v[3:4], v[41:42], v[39:40]
.LBB79_46:
	s_and_saveexec_b32 s8, s4
	s_cbranch_execz .LBB79_50
; %bb.47:
	v_add_nc_u32_e32 v39, -10, v0
	s_movk_i32 s24, 0x1a0
	s_mov_b32 s4, 0
	s_mov_b32 s25, s13
	.p2align	6
.LBB79_48:                              ; =>This Inner Loop Header: Depth=1
	v_mov_b32_e32 v42, s25
	v_add_nc_u32_e32 v39, -1, v39
	s_add_i32 s25, s25, 16
	s_clause 0x3
	buffer_load_dword v40, v42, s[0:3], 0 offen offset:8
	buffer_load_dword v41, v42, s[0:3], 0 offen offset:12
	buffer_load_dword v48, v42, s[0:3], 0 offen
	buffer_load_dword v49, v42, s[0:3], 0 offen offset:4
	v_mov_b32_e32 v42, s24
	v_cmp_eq_u32_e32 vcc_lo, 0, v39
	s_add_i32 s24, s24, 16
	ds_read_b128 v[44:47], v42
	s_or_b32 s4, vcc_lo, s4
	s_waitcnt vmcnt(2) lgkmcnt(0)
	v_mul_f64 v[50:51], v[46:47], v[40:41]
	v_mul_f64 v[40:41], v[44:45], v[40:41]
	s_waitcnt vmcnt(0)
	v_fma_f64 v[44:45], v[44:45], v[48:49], -v[50:51]
	v_fma_f64 v[40:41], v[46:47], v[48:49], v[40:41]
	v_add_f64 v[1:2], v[1:2], v[44:45]
	v_add_f64 v[3:4], v[3:4], v[40:41]
	s_andn2_b32 exec_lo, exec_lo, s4
	s_cbranch_execnz .LBB79_48
; %bb.49:
	s_or_b32 exec_lo, exec_lo, s4
.LBB79_50:
	s_or_b32 exec_lo, exec_lo, s8
	v_mov_b32_e32 v39, 0
	ds_read_b128 v[39:42], v39 offset:144
	s_waitcnt lgkmcnt(0)
	v_mul_f64 v[44:45], v[3:4], v[41:42]
	v_mul_f64 v[41:42], v[1:2], v[41:42]
	v_fma_f64 v[1:2], v[1:2], v[39:40], -v[44:45]
	v_fma_f64 v[3:4], v[3:4], v[39:40], v[41:42]
	buffer_store_dword v2, off, s[0:3], 0 offset:148
	buffer_store_dword v1, off, s[0:3], 0 offset:144
	;; [unrolled: 1-line block ×4, first 2 shown]
.LBB79_51:
	s_or_b32 exec_lo, exec_lo, s6
	v_mov_b32_e32 v4, s15
	v_cmp_lt_u32_e64 s4, 8, v0
	s_clause 0x3
	buffer_load_dword v1, v4, s[0:3], 0 offen
	buffer_load_dword v2, v4, s[0:3], 0 offen offset:4
	buffer_load_dword v3, v4, s[0:3], 0 offen offset:8
	;; [unrolled: 1-line block ×3, first 2 shown]
	s_waitcnt vmcnt(0)
	ds_write_b128 v38, v[1:4]
	s_waitcnt lgkmcnt(0)
	s_waitcnt_vscnt null, 0x0
	s_barrier
	buffer_gl0_inv
	s_and_saveexec_b32 s6, s4
	s_cbranch_execz .LBB79_59
; %bb.52:
	ds_read_b128 v[1:4], v38
	s_andn2_b32 vcc_lo, exec_lo, s23
	s_cbranch_vccnz .LBB79_54
; %bb.53:
	s_clause 0x3
	buffer_load_dword v39, v37, s[0:3], 0 offen offset:8
	buffer_load_dword v40, v37, s[0:3], 0 offen offset:12
	buffer_load_dword v41, v37, s[0:3], 0 offen
	buffer_load_dword v42, v37, s[0:3], 0 offen offset:4
	s_waitcnt vmcnt(2) lgkmcnt(0)
	v_mul_f64 v[44:45], v[3:4], v[39:40]
	v_mul_f64 v[39:40], v[1:2], v[39:40]
	s_waitcnt vmcnt(0)
	v_fma_f64 v[1:2], v[1:2], v[41:42], -v[44:45]
	v_fma_f64 v[3:4], v[3:4], v[41:42], v[39:40]
.LBB79_54:
	s_and_saveexec_b32 s8, s5
	s_cbranch_execz .LBB79_58
; %bb.55:
	v_add_nc_u32_e32 v39, -9, v0
	s_movk_i32 s24, 0x190
	s_mov_b32 s5, 0
	s_mov_b32 s25, s14
	.p2align	6
.LBB79_56:                              ; =>This Inner Loop Header: Depth=1
	v_mov_b32_e32 v42, s25
	v_add_nc_u32_e32 v39, -1, v39
	s_add_i32 s25, s25, 16
	s_clause 0x3
	buffer_load_dword v40, v42, s[0:3], 0 offen offset:8
	buffer_load_dword v41, v42, s[0:3], 0 offen offset:12
	buffer_load_dword v48, v42, s[0:3], 0 offen
	buffer_load_dword v49, v42, s[0:3], 0 offen offset:4
	v_mov_b32_e32 v42, s24
	v_cmp_eq_u32_e32 vcc_lo, 0, v39
	s_add_i32 s24, s24, 16
	ds_read_b128 v[44:47], v42
	s_or_b32 s5, vcc_lo, s5
	s_waitcnt vmcnt(2) lgkmcnt(0)
	v_mul_f64 v[50:51], v[46:47], v[40:41]
	v_mul_f64 v[40:41], v[44:45], v[40:41]
	s_waitcnt vmcnt(0)
	v_fma_f64 v[44:45], v[44:45], v[48:49], -v[50:51]
	v_fma_f64 v[40:41], v[46:47], v[48:49], v[40:41]
	v_add_f64 v[1:2], v[1:2], v[44:45]
	v_add_f64 v[3:4], v[3:4], v[40:41]
	s_andn2_b32 exec_lo, exec_lo, s5
	s_cbranch_execnz .LBB79_56
; %bb.57:
	s_or_b32 exec_lo, exec_lo, s5
.LBB79_58:
	s_or_b32 exec_lo, exec_lo, s8
	v_mov_b32_e32 v39, 0
	ds_read_b128 v[39:42], v39 offset:128
	s_waitcnt lgkmcnt(0)
	v_mul_f64 v[44:45], v[3:4], v[41:42]
	v_mul_f64 v[41:42], v[1:2], v[41:42]
	v_fma_f64 v[1:2], v[1:2], v[39:40], -v[44:45]
	v_fma_f64 v[3:4], v[3:4], v[39:40], v[41:42]
	buffer_store_dword v2, off, s[0:3], 0 offset:132
	buffer_store_dword v1, off, s[0:3], 0 offset:128
	;; [unrolled: 1-line block ×4, first 2 shown]
.LBB79_59:
	s_or_b32 exec_lo, exec_lo, s6
	v_mov_b32_e32 v4, s16
	v_cmp_lt_u32_e64 s5, 7, v0
	s_clause 0x3
	buffer_load_dword v1, v4, s[0:3], 0 offen
	buffer_load_dword v2, v4, s[0:3], 0 offen offset:4
	buffer_load_dword v3, v4, s[0:3], 0 offen offset:8
	;; [unrolled: 1-line block ×3, first 2 shown]
	s_waitcnt vmcnt(0)
	ds_write_b128 v38, v[1:4]
	s_waitcnt lgkmcnt(0)
	s_waitcnt_vscnt null, 0x0
	s_barrier
	buffer_gl0_inv
	s_and_saveexec_b32 s6, s5
	s_cbranch_execz .LBB79_67
; %bb.60:
	ds_read_b128 v[1:4], v38
	s_andn2_b32 vcc_lo, exec_lo, s23
	s_cbranch_vccnz .LBB79_62
; %bb.61:
	s_clause 0x3
	buffer_load_dword v39, v37, s[0:3], 0 offen offset:8
	buffer_load_dword v40, v37, s[0:3], 0 offen offset:12
	buffer_load_dword v41, v37, s[0:3], 0 offen
	buffer_load_dword v42, v37, s[0:3], 0 offen offset:4
	s_waitcnt vmcnt(2) lgkmcnt(0)
	v_mul_f64 v[44:45], v[3:4], v[39:40]
	v_mul_f64 v[39:40], v[1:2], v[39:40]
	s_waitcnt vmcnt(0)
	v_fma_f64 v[1:2], v[1:2], v[41:42], -v[44:45]
	v_fma_f64 v[3:4], v[3:4], v[41:42], v[39:40]
.LBB79_62:
	s_and_saveexec_b32 s8, s4
	s_cbranch_execz .LBB79_66
; %bb.63:
	v_add_nc_u32_e32 v39, -8, v0
	s_movk_i32 s24, 0x180
	s_mov_b32 s4, 0
	s_mov_b32 s25, s15
	.p2align	6
.LBB79_64:                              ; =>This Inner Loop Header: Depth=1
	v_mov_b32_e32 v42, s25
	v_add_nc_u32_e32 v39, -1, v39
	s_add_i32 s25, s25, 16
	s_clause 0x3
	buffer_load_dword v40, v42, s[0:3], 0 offen offset:8
	buffer_load_dword v41, v42, s[0:3], 0 offen offset:12
	buffer_load_dword v48, v42, s[0:3], 0 offen
	buffer_load_dword v49, v42, s[0:3], 0 offen offset:4
	v_mov_b32_e32 v42, s24
	v_cmp_eq_u32_e32 vcc_lo, 0, v39
	s_add_i32 s24, s24, 16
	ds_read_b128 v[44:47], v42
	s_or_b32 s4, vcc_lo, s4
	s_waitcnt vmcnt(2) lgkmcnt(0)
	v_mul_f64 v[50:51], v[46:47], v[40:41]
	v_mul_f64 v[40:41], v[44:45], v[40:41]
	s_waitcnt vmcnt(0)
	v_fma_f64 v[44:45], v[44:45], v[48:49], -v[50:51]
	v_fma_f64 v[40:41], v[46:47], v[48:49], v[40:41]
	v_add_f64 v[1:2], v[1:2], v[44:45]
	v_add_f64 v[3:4], v[3:4], v[40:41]
	s_andn2_b32 exec_lo, exec_lo, s4
	s_cbranch_execnz .LBB79_64
; %bb.65:
	s_or_b32 exec_lo, exec_lo, s4
.LBB79_66:
	s_or_b32 exec_lo, exec_lo, s8
	v_mov_b32_e32 v39, 0
	ds_read_b128 v[39:42], v39 offset:112
	s_waitcnt lgkmcnt(0)
	v_mul_f64 v[44:45], v[3:4], v[41:42]
	v_mul_f64 v[41:42], v[1:2], v[41:42]
	v_fma_f64 v[1:2], v[1:2], v[39:40], -v[44:45]
	v_fma_f64 v[3:4], v[3:4], v[39:40], v[41:42]
	buffer_store_dword v2, off, s[0:3], 0 offset:116
	buffer_store_dword v1, off, s[0:3], 0 offset:112
	;; [unrolled: 1-line block ×4, first 2 shown]
.LBB79_67:
	s_or_b32 exec_lo, exec_lo, s6
	v_mov_b32_e32 v4, s17
	v_cmp_lt_u32_e64 s4, 6, v0
	s_clause 0x3
	buffer_load_dword v1, v4, s[0:3], 0 offen
	buffer_load_dword v2, v4, s[0:3], 0 offen offset:4
	buffer_load_dword v3, v4, s[0:3], 0 offen offset:8
	;; [unrolled: 1-line block ×3, first 2 shown]
	s_waitcnt vmcnt(0)
	ds_write_b128 v38, v[1:4]
	s_waitcnt lgkmcnt(0)
	s_waitcnt_vscnt null, 0x0
	s_barrier
	buffer_gl0_inv
	s_and_saveexec_b32 s6, s4
	s_cbranch_execz .LBB79_75
; %bb.68:
	ds_read_b128 v[1:4], v38
	s_andn2_b32 vcc_lo, exec_lo, s23
	s_cbranch_vccnz .LBB79_70
; %bb.69:
	s_clause 0x3
	buffer_load_dword v39, v37, s[0:3], 0 offen offset:8
	buffer_load_dword v40, v37, s[0:3], 0 offen offset:12
	buffer_load_dword v41, v37, s[0:3], 0 offen
	buffer_load_dword v42, v37, s[0:3], 0 offen offset:4
	s_waitcnt vmcnt(2) lgkmcnt(0)
	v_mul_f64 v[44:45], v[3:4], v[39:40]
	v_mul_f64 v[39:40], v[1:2], v[39:40]
	s_waitcnt vmcnt(0)
	v_fma_f64 v[1:2], v[1:2], v[41:42], -v[44:45]
	v_fma_f64 v[3:4], v[3:4], v[41:42], v[39:40]
.LBB79_70:
	s_and_saveexec_b32 s8, s5
	s_cbranch_execz .LBB79_74
; %bb.71:
	v_add_nc_u32_e32 v39, -7, v0
	s_movk_i32 s24, 0x170
	s_mov_b32 s5, 0
	s_mov_b32 s25, s16
	.p2align	6
.LBB79_72:                              ; =>This Inner Loop Header: Depth=1
	v_mov_b32_e32 v42, s25
	v_add_nc_u32_e32 v39, -1, v39
	s_add_i32 s25, s25, 16
	s_clause 0x3
	buffer_load_dword v40, v42, s[0:3], 0 offen offset:8
	buffer_load_dword v41, v42, s[0:3], 0 offen offset:12
	buffer_load_dword v48, v42, s[0:3], 0 offen
	buffer_load_dword v49, v42, s[0:3], 0 offen offset:4
	v_mov_b32_e32 v42, s24
	v_cmp_eq_u32_e32 vcc_lo, 0, v39
	s_add_i32 s24, s24, 16
	ds_read_b128 v[44:47], v42
	s_or_b32 s5, vcc_lo, s5
	s_waitcnt vmcnt(2) lgkmcnt(0)
	v_mul_f64 v[50:51], v[46:47], v[40:41]
	v_mul_f64 v[40:41], v[44:45], v[40:41]
	s_waitcnt vmcnt(0)
	v_fma_f64 v[44:45], v[44:45], v[48:49], -v[50:51]
	v_fma_f64 v[40:41], v[46:47], v[48:49], v[40:41]
	v_add_f64 v[1:2], v[1:2], v[44:45]
	v_add_f64 v[3:4], v[3:4], v[40:41]
	s_andn2_b32 exec_lo, exec_lo, s5
	s_cbranch_execnz .LBB79_72
; %bb.73:
	s_or_b32 exec_lo, exec_lo, s5
.LBB79_74:
	s_or_b32 exec_lo, exec_lo, s8
	v_mov_b32_e32 v39, 0
	ds_read_b128 v[39:42], v39 offset:96
	s_waitcnt lgkmcnt(0)
	v_mul_f64 v[44:45], v[3:4], v[41:42]
	v_mul_f64 v[41:42], v[1:2], v[41:42]
	v_fma_f64 v[1:2], v[1:2], v[39:40], -v[44:45]
	v_fma_f64 v[3:4], v[3:4], v[39:40], v[41:42]
	buffer_store_dword v2, off, s[0:3], 0 offset:100
	buffer_store_dword v1, off, s[0:3], 0 offset:96
	;; [unrolled: 1-line block ×4, first 2 shown]
.LBB79_75:
	s_or_b32 exec_lo, exec_lo, s6
	v_mov_b32_e32 v4, s18
	v_cmp_lt_u32_e64 s5, 5, v0
	s_clause 0x3
	buffer_load_dword v1, v4, s[0:3], 0 offen
	buffer_load_dword v2, v4, s[0:3], 0 offen offset:4
	buffer_load_dword v3, v4, s[0:3], 0 offen offset:8
	;; [unrolled: 1-line block ×3, first 2 shown]
	s_waitcnt vmcnt(0)
	ds_write_b128 v38, v[1:4]
	s_waitcnt lgkmcnt(0)
	s_waitcnt_vscnt null, 0x0
	s_barrier
	buffer_gl0_inv
	s_and_saveexec_b32 s6, s5
	s_cbranch_execz .LBB79_83
; %bb.76:
	ds_read_b128 v[1:4], v38
	s_andn2_b32 vcc_lo, exec_lo, s23
	s_cbranch_vccnz .LBB79_78
; %bb.77:
	s_clause 0x3
	buffer_load_dword v39, v37, s[0:3], 0 offen offset:8
	buffer_load_dword v40, v37, s[0:3], 0 offen offset:12
	buffer_load_dword v41, v37, s[0:3], 0 offen
	buffer_load_dword v42, v37, s[0:3], 0 offen offset:4
	s_waitcnt vmcnt(2) lgkmcnt(0)
	v_mul_f64 v[44:45], v[3:4], v[39:40]
	v_mul_f64 v[39:40], v[1:2], v[39:40]
	s_waitcnt vmcnt(0)
	v_fma_f64 v[1:2], v[1:2], v[41:42], -v[44:45]
	v_fma_f64 v[3:4], v[3:4], v[41:42], v[39:40]
.LBB79_78:
	s_and_saveexec_b32 s8, s4
	s_cbranch_execz .LBB79_82
; %bb.79:
	v_add_nc_u32_e32 v39, -6, v0
	s_movk_i32 s24, 0x160
	s_mov_b32 s4, 0
	s_mov_b32 s25, s17
	.p2align	6
.LBB79_80:                              ; =>This Inner Loop Header: Depth=1
	v_mov_b32_e32 v42, s25
	v_add_nc_u32_e32 v39, -1, v39
	s_add_i32 s25, s25, 16
	s_clause 0x3
	buffer_load_dword v40, v42, s[0:3], 0 offen offset:8
	buffer_load_dword v41, v42, s[0:3], 0 offen offset:12
	buffer_load_dword v48, v42, s[0:3], 0 offen
	buffer_load_dword v49, v42, s[0:3], 0 offen offset:4
	v_mov_b32_e32 v42, s24
	v_cmp_eq_u32_e32 vcc_lo, 0, v39
	s_add_i32 s24, s24, 16
	ds_read_b128 v[44:47], v42
	s_or_b32 s4, vcc_lo, s4
	s_waitcnt vmcnt(2) lgkmcnt(0)
	v_mul_f64 v[50:51], v[46:47], v[40:41]
	v_mul_f64 v[40:41], v[44:45], v[40:41]
	s_waitcnt vmcnt(0)
	v_fma_f64 v[44:45], v[44:45], v[48:49], -v[50:51]
	v_fma_f64 v[40:41], v[46:47], v[48:49], v[40:41]
	v_add_f64 v[1:2], v[1:2], v[44:45]
	v_add_f64 v[3:4], v[3:4], v[40:41]
	s_andn2_b32 exec_lo, exec_lo, s4
	s_cbranch_execnz .LBB79_80
; %bb.81:
	s_or_b32 exec_lo, exec_lo, s4
.LBB79_82:
	s_or_b32 exec_lo, exec_lo, s8
	v_mov_b32_e32 v39, 0
	ds_read_b128 v[39:42], v39 offset:80
	s_waitcnt lgkmcnt(0)
	v_mul_f64 v[44:45], v[3:4], v[41:42]
	v_mul_f64 v[41:42], v[1:2], v[41:42]
	v_fma_f64 v[1:2], v[1:2], v[39:40], -v[44:45]
	v_fma_f64 v[3:4], v[3:4], v[39:40], v[41:42]
	buffer_store_dword v2, off, s[0:3], 0 offset:84
	buffer_store_dword v1, off, s[0:3], 0 offset:80
	;; [unrolled: 1-line block ×4, first 2 shown]
.LBB79_83:
	s_or_b32 exec_lo, exec_lo, s6
	v_mov_b32_e32 v4, s19
	v_cmp_lt_u32_e64 s4, 4, v0
	s_clause 0x3
	buffer_load_dword v1, v4, s[0:3], 0 offen
	buffer_load_dword v2, v4, s[0:3], 0 offen offset:4
	buffer_load_dword v3, v4, s[0:3], 0 offen offset:8
	;; [unrolled: 1-line block ×3, first 2 shown]
	s_waitcnt vmcnt(0)
	ds_write_b128 v38, v[1:4]
	s_waitcnt lgkmcnt(0)
	s_waitcnt_vscnt null, 0x0
	s_barrier
	buffer_gl0_inv
	s_and_saveexec_b32 s6, s4
	s_cbranch_execz .LBB79_91
; %bb.84:
	ds_read_b128 v[1:4], v38
	s_andn2_b32 vcc_lo, exec_lo, s23
	s_cbranch_vccnz .LBB79_86
; %bb.85:
	s_clause 0x3
	buffer_load_dword v39, v37, s[0:3], 0 offen offset:8
	buffer_load_dword v40, v37, s[0:3], 0 offen offset:12
	buffer_load_dword v41, v37, s[0:3], 0 offen
	buffer_load_dword v42, v37, s[0:3], 0 offen offset:4
	s_waitcnt vmcnt(2) lgkmcnt(0)
	v_mul_f64 v[44:45], v[3:4], v[39:40]
	v_mul_f64 v[39:40], v[1:2], v[39:40]
	s_waitcnt vmcnt(0)
	v_fma_f64 v[1:2], v[1:2], v[41:42], -v[44:45]
	v_fma_f64 v[3:4], v[3:4], v[41:42], v[39:40]
.LBB79_86:
	s_and_saveexec_b32 s8, s5
	s_cbranch_execz .LBB79_90
; %bb.87:
	v_add_nc_u32_e32 v39, -5, v0
	s_movk_i32 s24, 0x150
	s_mov_b32 s5, 0
	s_mov_b32 s25, s18
	.p2align	6
.LBB79_88:                              ; =>This Inner Loop Header: Depth=1
	v_mov_b32_e32 v42, s25
	v_add_nc_u32_e32 v39, -1, v39
	s_add_i32 s25, s25, 16
	s_clause 0x3
	buffer_load_dword v40, v42, s[0:3], 0 offen offset:8
	buffer_load_dword v41, v42, s[0:3], 0 offen offset:12
	buffer_load_dword v48, v42, s[0:3], 0 offen
	buffer_load_dword v49, v42, s[0:3], 0 offen offset:4
	v_mov_b32_e32 v42, s24
	v_cmp_eq_u32_e32 vcc_lo, 0, v39
	s_add_i32 s24, s24, 16
	ds_read_b128 v[44:47], v42
	s_or_b32 s5, vcc_lo, s5
	s_waitcnt vmcnt(2) lgkmcnt(0)
	v_mul_f64 v[50:51], v[46:47], v[40:41]
	v_mul_f64 v[40:41], v[44:45], v[40:41]
	s_waitcnt vmcnt(0)
	v_fma_f64 v[44:45], v[44:45], v[48:49], -v[50:51]
	v_fma_f64 v[40:41], v[46:47], v[48:49], v[40:41]
	v_add_f64 v[1:2], v[1:2], v[44:45]
	v_add_f64 v[3:4], v[3:4], v[40:41]
	s_andn2_b32 exec_lo, exec_lo, s5
	s_cbranch_execnz .LBB79_88
; %bb.89:
	s_or_b32 exec_lo, exec_lo, s5
.LBB79_90:
	s_or_b32 exec_lo, exec_lo, s8
	v_mov_b32_e32 v39, 0
	ds_read_b128 v[39:42], v39 offset:64
	s_waitcnt lgkmcnt(0)
	v_mul_f64 v[44:45], v[3:4], v[41:42]
	v_mul_f64 v[41:42], v[1:2], v[41:42]
	v_fma_f64 v[1:2], v[1:2], v[39:40], -v[44:45]
	v_fma_f64 v[3:4], v[3:4], v[39:40], v[41:42]
	buffer_store_dword v2, off, s[0:3], 0 offset:68
	buffer_store_dword v1, off, s[0:3], 0 offset:64
	;; [unrolled: 1-line block ×4, first 2 shown]
.LBB79_91:
	s_or_b32 exec_lo, exec_lo, s6
	v_mov_b32_e32 v4, s20
	v_cmp_lt_u32_e64 s5, 3, v0
	s_clause 0x3
	buffer_load_dword v1, v4, s[0:3], 0 offen
	buffer_load_dword v2, v4, s[0:3], 0 offen offset:4
	buffer_load_dword v3, v4, s[0:3], 0 offen offset:8
	;; [unrolled: 1-line block ×3, first 2 shown]
	s_waitcnt vmcnt(0)
	ds_write_b128 v38, v[1:4]
	s_waitcnt lgkmcnt(0)
	s_waitcnt_vscnt null, 0x0
	s_barrier
	buffer_gl0_inv
	s_and_saveexec_b32 s6, s5
	s_cbranch_execz .LBB79_99
; %bb.92:
	ds_read_b128 v[1:4], v38
	s_andn2_b32 vcc_lo, exec_lo, s23
	s_cbranch_vccnz .LBB79_94
; %bb.93:
	s_clause 0x3
	buffer_load_dword v39, v37, s[0:3], 0 offen offset:8
	buffer_load_dword v40, v37, s[0:3], 0 offen offset:12
	buffer_load_dword v41, v37, s[0:3], 0 offen
	buffer_load_dword v42, v37, s[0:3], 0 offen offset:4
	s_waitcnt vmcnt(2) lgkmcnt(0)
	v_mul_f64 v[44:45], v[3:4], v[39:40]
	v_mul_f64 v[39:40], v[1:2], v[39:40]
	s_waitcnt vmcnt(0)
	v_fma_f64 v[1:2], v[1:2], v[41:42], -v[44:45]
	v_fma_f64 v[3:4], v[3:4], v[41:42], v[39:40]
.LBB79_94:
	s_and_saveexec_b32 s8, s4
	s_cbranch_execz .LBB79_98
; %bb.95:
	v_add_nc_u32_e32 v39, -4, v0
	s_movk_i32 s24, 0x140
	s_mov_b32 s4, 0
	s_mov_b32 s25, s19
	.p2align	6
.LBB79_96:                              ; =>This Inner Loop Header: Depth=1
	v_mov_b32_e32 v42, s25
	v_add_nc_u32_e32 v39, -1, v39
	s_add_i32 s25, s25, 16
	s_clause 0x3
	buffer_load_dword v40, v42, s[0:3], 0 offen offset:8
	buffer_load_dword v41, v42, s[0:3], 0 offen offset:12
	buffer_load_dword v48, v42, s[0:3], 0 offen
	buffer_load_dword v49, v42, s[0:3], 0 offen offset:4
	v_mov_b32_e32 v42, s24
	v_cmp_eq_u32_e32 vcc_lo, 0, v39
	s_add_i32 s24, s24, 16
	ds_read_b128 v[44:47], v42
	s_or_b32 s4, vcc_lo, s4
	s_waitcnt vmcnt(2) lgkmcnt(0)
	v_mul_f64 v[50:51], v[46:47], v[40:41]
	v_mul_f64 v[40:41], v[44:45], v[40:41]
	s_waitcnt vmcnt(0)
	v_fma_f64 v[44:45], v[44:45], v[48:49], -v[50:51]
	v_fma_f64 v[40:41], v[46:47], v[48:49], v[40:41]
	v_add_f64 v[1:2], v[1:2], v[44:45]
	v_add_f64 v[3:4], v[3:4], v[40:41]
	s_andn2_b32 exec_lo, exec_lo, s4
	s_cbranch_execnz .LBB79_96
; %bb.97:
	s_or_b32 exec_lo, exec_lo, s4
.LBB79_98:
	s_or_b32 exec_lo, exec_lo, s8
	v_mov_b32_e32 v39, 0
	ds_read_b128 v[39:42], v39 offset:48
	s_waitcnt lgkmcnt(0)
	v_mul_f64 v[44:45], v[3:4], v[41:42]
	v_mul_f64 v[41:42], v[1:2], v[41:42]
	v_fma_f64 v[1:2], v[1:2], v[39:40], -v[44:45]
	v_fma_f64 v[3:4], v[3:4], v[39:40], v[41:42]
	buffer_store_dword v2, off, s[0:3], 0 offset:52
	buffer_store_dword v1, off, s[0:3], 0 offset:48
	;; [unrolled: 1-line block ×4, first 2 shown]
.LBB79_99:
	s_or_b32 exec_lo, exec_lo, s6
	v_mov_b32_e32 v4, s21
	v_cmp_lt_u32_e64 s6, 2, v0
	s_clause 0x3
	buffer_load_dword v1, v4, s[0:3], 0 offen
	buffer_load_dword v2, v4, s[0:3], 0 offen offset:4
	buffer_load_dword v3, v4, s[0:3], 0 offen offset:8
	;; [unrolled: 1-line block ×3, first 2 shown]
	s_waitcnt vmcnt(0)
	ds_write_b128 v38, v[1:4]
	s_waitcnt lgkmcnt(0)
	s_waitcnt_vscnt null, 0x0
	s_barrier
	buffer_gl0_inv
	s_and_saveexec_b32 s4, s6
	s_cbranch_execz .LBB79_107
; %bb.100:
	ds_read_b128 v[1:4], v38
	s_andn2_b32 vcc_lo, exec_lo, s23
	s_cbranch_vccnz .LBB79_102
; %bb.101:
	s_clause 0x3
	buffer_load_dword v39, v37, s[0:3], 0 offen offset:8
	buffer_load_dword v40, v37, s[0:3], 0 offen offset:12
	buffer_load_dword v41, v37, s[0:3], 0 offen
	buffer_load_dword v42, v37, s[0:3], 0 offen offset:4
	s_waitcnt vmcnt(2) lgkmcnt(0)
	v_mul_f64 v[44:45], v[3:4], v[39:40]
	v_mul_f64 v[39:40], v[1:2], v[39:40]
	s_waitcnt vmcnt(0)
	v_fma_f64 v[1:2], v[1:2], v[41:42], -v[44:45]
	v_fma_f64 v[3:4], v[3:4], v[41:42], v[39:40]
.LBB79_102:
	s_and_saveexec_b32 s8, s5
	s_cbranch_execz .LBB79_106
; %bb.103:
	v_add_nc_u32_e32 v39, -3, v0
	s_movk_i32 s24, 0x130
	s_mov_b32 s5, 0
	s_mov_b32 s25, s20
	.p2align	6
.LBB79_104:                             ; =>This Inner Loop Header: Depth=1
	v_mov_b32_e32 v42, s25
	v_add_nc_u32_e32 v39, -1, v39
	s_add_i32 s25, s25, 16
	s_clause 0x3
	buffer_load_dword v40, v42, s[0:3], 0 offen offset:8
	buffer_load_dword v41, v42, s[0:3], 0 offen offset:12
	buffer_load_dword v48, v42, s[0:3], 0 offen
	buffer_load_dword v49, v42, s[0:3], 0 offen offset:4
	v_mov_b32_e32 v42, s24
	v_cmp_eq_u32_e32 vcc_lo, 0, v39
	s_add_i32 s24, s24, 16
	ds_read_b128 v[44:47], v42
	s_or_b32 s5, vcc_lo, s5
	s_waitcnt vmcnt(2) lgkmcnt(0)
	v_mul_f64 v[50:51], v[46:47], v[40:41]
	v_mul_f64 v[40:41], v[44:45], v[40:41]
	s_waitcnt vmcnt(0)
	v_fma_f64 v[44:45], v[44:45], v[48:49], -v[50:51]
	v_fma_f64 v[40:41], v[46:47], v[48:49], v[40:41]
	v_add_f64 v[1:2], v[1:2], v[44:45]
	v_add_f64 v[3:4], v[3:4], v[40:41]
	s_andn2_b32 exec_lo, exec_lo, s5
	s_cbranch_execnz .LBB79_104
; %bb.105:
	s_or_b32 exec_lo, exec_lo, s5
.LBB79_106:
	s_or_b32 exec_lo, exec_lo, s8
	v_mov_b32_e32 v39, 0
	ds_read_b128 v[39:42], v39 offset:32
	s_waitcnt lgkmcnt(0)
	v_mul_f64 v[44:45], v[3:4], v[41:42]
	v_mul_f64 v[41:42], v[1:2], v[41:42]
	v_fma_f64 v[1:2], v[1:2], v[39:40], -v[44:45]
	v_fma_f64 v[3:4], v[3:4], v[39:40], v[41:42]
	buffer_store_dword v2, off, s[0:3], 0 offset:36
	buffer_store_dword v1, off, s[0:3], 0 offset:32
	;; [unrolled: 1-line block ×4, first 2 shown]
.LBB79_107:
	s_or_b32 exec_lo, exec_lo, s4
	v_mov_b32_e32 v4, s22
	v_cmp_lt_u32_e64 s4, 1, v0
	s_clause 0x3
	buffer_load_dword v1, v4, s[0:3], 0 offen
	buffer_load_dword v2, v4, s[0:3], 0 offen offset:4
	buffer_load_dword v3, v4, s[0:3], 0 offen offset:8
	;; [unrolled: 1-line block ×3, first 2 shown]
	s_waitcnt vmcnt(0)
	ds_write_b128 v38, v[1:4]
	s_waitcnt lgkmcnt(0)
	s_waitcnt_vscnt null, 0x0
	s_barrier
	buffer_gl0_inv
	s_and_saveexec_b32 s5, s4
	s_cbranch_execz .LBB79_115
; %bb.108:
	ds_read_b128 v[1:4], v38
	s_andn2_b32 vcc_lo, exec_lo, s23
	s_cbranch_vccnz .LBB79_110
; %bb.109:
	s_clause 0x3
	buffer_load_dword v39, v37, s[0:3], 0 offen offset:8
	buffer_load_dword v40, v37, s[0:3], 0 offen offset:12
	buffer_load_dword v41, v37, s[0:3], 0 offen
	buffer_load_dword v42, v37, s[0:3], 0 offen offset:4
	s_waitcnt vmcnt(2) lgkmcnt(0)
	v_mul_f64 v[44:45], v[3:4], v[39:40]
	v_mul_f64 v[39:40], v[1:2], v[39:40]
	s_waitcnt vmcnt(0)
	v_fma_f64 v[1:2], v[1:2], v[41:42], -v[44:45]
	v_fma_f64 v[3:4], v[3:4], v[41:42], v[39:40]
.LBB79_110:
	s_and_saveexec_b32 s8, s6
	s_cbranch_execz .LBB79_114
; %bb.111:
	v_add_nc_u32_e32 v39, -2, v0
	s_movk_i32 s24, 0x120
	s_mov_b32 s6, 0
	s_mov_b32 s25, s21
	.p2align	6
.LBB79_112:                             ; =>This Inner Loop Header: Depth=1
	v_mov_b32_e32 v42, s25
	v_add_nc_u32_e32 v39, -1, v39
	s_add_i32 s25, s25, 16
	s_clause 0x3
	buffer_load_dword v40, v42, s[0:3], 0 offen offset:8
	buffer_load_dword v41, v42, s[0:3], 0 offen offset:12
	buffer_load_dword v48, v42, s[0:3], 0 offen
	buffer_load_dword v49, v42, s[0:3], 0 offen offset:4
	v_mov_b32_e32 v42, s24
	v_cmp_eq_u32_e32 vcc_lo, 0, v39
	s_add_i32 s24, s24, 16
	ds_read_b128 v[44:47], v42
	s_or_b32 s6, vcc_lo, s6
	s_waitcnt vmcnt(2) lgkmcnt(0)
	v_mul_f64 v[50:51], v[46:47], v[40:41]
	v_mul_f64 v[40:41], v[44:45], v[40:41]
	s_waitcnt vmcnt(0)
	v_fma_f64 v[44:45], v[44:45], v[48:49], -v[50:51]
	v_fma_f64 v[40:41], v[46:47], v[48:49], v[40:41]
	v_add_f64 v[1:2], v[1:2], v[44:45]
	v_add_f64 v[3:4], v[3:4], v[40:41]
	s_andn2_b32 exec_lo, exec_lo, s6
	s_cbranch_execnz .LBB79_112
; %bb.113:
	s_or_b32 exec_lo, exec_lo, s6
.LBB79_114:
	s_or_b32 exec_lo, exec_lo, s8
	v_mov_b32_e32 v39, 0
	ds_read_b128 v[39:42], v39 offset:16
	s_waitcnt lgkmcnt(0)
	v_mul_f64 v[44:45], v[3:4], v[41:42]
	v_mul_f64 v[41:42], v[1:2], v[41:42]
	v_fma_f64 v[1:2], v[1:2], v[39:40], -v[44:45]
	v_fma_f64 v[3:4], v[3:4], v[39:40], v[41:42]
	buffer_store_dword v2, off, s[0:3], 0 offset:20
	buffer_store_dword v1, off, s[0:3], 0 offset:16
	;; [unrolled: 1-line block ×4, first 2 shown]
.LBB79_115:
	s_or_b32 exec_lo, exec_lo, s5
	s_clause 0x3
	buffer_load_dword v1, off, s[0:3], 0
	buffer_load_dword v2, off, s[0:3], 0 offset:4
	buffer_load_dword v3, off, s[0:3], 0 offset:8
	;; [unrolled: 1-line block ×3, first 2 shown]
	s_mov_b32 s6, 0
	s_mov_b32 s5, 0
	s_mov_b32 s8, exec_lo
                                        ; implicit-def: $sgpr24
	s_waitcnt vmcnt(0)
	ds_write_b128 v38, v[1:4]
	s_waitcnt lgkmcnt(0)
	s_waitcnt_vscnt null, 0x0
	s_barrier
	buffer_gl0_inv
                                        ; implicit-def: $vgpr1_vgpr2
	v_cmpx_ne_u32_e32 0, v0
	s_cbranch_execz .LBB79_123
; %bb.116:
	ds_read_b128 v[1:4], v38
	s_andn2_b32 vcc_lo, exec_lo, s23
	s_cbranch_vccnz .LBB79_118
; %bb.117:
	s_clause 0x3
	buffer_load_dword v39, v37, s[0:3], 0 offen offset:8
	buffer_load_dword v40, v37, s[0:3], 0 offen offset:12
	buffer_load_dword v41, v37, s[0:3], 0 offen
	buffer_load_dword v42, v37, s[0:3], 0 offen offset:4
	s_waitcnt vmcnt(2) lgkmcnt(0)
	v_mul_f64 v[44:45], v[3:4], v[39:40]
	v_mul_f64 v[39:40], v[1:2], v[39:40]
	s_waitcnt vmcnt(0)
	v_fma_f64 v[1:2], v[1:2], v[41:42], -v[44:45]
	v_fma_f64 v[3:4], v[3:4], v[41:42], v[39:40]
.LBB79_118:
	s_and_saveexec_b32 s5, s4
	s_cbranch_execz .LBB79_122
; %bb.119:
	v_add_nc_u32_e32 v39, -1, v0
	s_movk_i32 s24, 0x110
	s_mov_b32 s4, 0
	s_mov_b32 s25, s22
	.p2align	6
.LBB79_120:                             ; =>This Inner Loop Header: Depth=1
	v_mov_b32_e32 v42, s25
	v_add_nc_u32_e32 v39, -1, v39
	s_add_i32 s25, s25, 16
	s_clause 0x3
	buffer_load_dword v40, v42, s[0:3], 0 offen offset:8
	buffer_load_dword v41, v42, s[0:3], 0 offen offset:12
	buffer_load_dword v48, v42, s[0:3], 0 offen
	buffer_load_dword v49, v42, s[0:3], 0 offen offset:4
	v_mov_b32_e32 v42, s24
	v_cmp_eq_u32_e32 vcc_lo, 0, v39
	s_add_i32 s24, s24, 16
	ds_read_b128 v[44:47], v42
	s_or_b32 s4, vcc_lo, s4
	s_waitcnt vmcnt(2) lgkmcnt(0)
	v_mul_f64 v[50:51], v[46:47], v[40:41]
	v_mul_f64 v[40:41], v[44:45], v[40:41]
	s_waitcnt vmcnt(0)
	v_fma_f64 v[44:45], v[44:45], v[48:49], -v[50:51]
	v_fma_f64 v[40:41], v[46:47], v[48:49], v[40:41]
	v_add_f64 v[1:2], v[1:2], v[44:45]
	v_add_f64 v[3:4], v[3:4], v[40:41]
	s_andn2_b32 exec_lo, exec_lo, s4
	s_cbranch_execnz .LBB79_120
; %bb.121:
	s_or_b32 exec_lo, exec_lo, s4
.LBB79_122:
	s_or_b32 exec_lo, exec_lo, s5
	v_mov_b32_e32 v39, 0
	s_mov_b32 s5, exec_lo
	s_or_b32 s24, 0, 8
	ds_read_b128 v[39:42], v39
	s_waitcnt lgkmcnt(0)
	v_mul_f64 v[44:45], v[3:4], v[41:42]
	v_mul_f64 v[41:42], v[1:2], v[41:42]
	v_fma_f64 v[44:45], v[1:2], v[39:40], -v[44:45]
	v_fma_f64 v[1:2], v[3:4], v[39:40], v[41:42]
	buffer_store_dword v45, off, s[0:3], 0 offset:4
	buffer_store_dword v44, off, s[0:3], 0
.LBB79_123:
	s_or_b32 exec_lo, exec_lo, s8
	s_and_b32 vcc_lo, exec_lo, s6
	s_cbranch_vccnz .LBB79_125
	s_branch .LBB79_240
.LBB79_124:
	s_mov_b32 s5, 0
                                        ; implicit-def: $vgpr1_vgpr2
                                        ; implicit-def: $sgpr24
	s_cbranch_execz .LBB79_240
.LBB79_125:
	v_mov_b32_e32 v4, s22
	v_cmp_eq_u32_e64 s4, 0, v0
	v_cndmask_b32_e64 v39, 0, 1, s23
	s_clause 0x3
	buffer_load_dword v1, v4, s[0:3], 0 offen
	buffer_load_dword v2, v4, s[0:3], 0 offen offset:4
	buffer_load_dword v3, v4, s[0:3], 0 offen offset:8
	;; [unrolled: 1-line block ×3, first 2 shown]
	s_waitcnt vmcnt(0)
	ds_write_b128 v38, v[1:4]
	s_waitcnt lgkmcnt(0)
	s_waitcnt_vscnt null, 0x0
	s_barrier
	buffer_gl0_inv
	s_and_saveexec_b32 s6, s4
	s_cbranch_execz .LBB79_129
; %bb.126:
	ds_read_b128 v[1:4], v38
	s_andn2_b32 vcc_lo, exec_lo, s23
	s_cbranch_vccnz .LBB79_128
; %bb.127:
	s_clause 0x3
	buffer_load_dword v40, v37, s[0:3], 0 offen offset:8
	buffer_load_dword v41, v37, s[0:3], 0 offen offset:12
	buffer_load_dword v44, v37, s[0:3], 0 offen
	buffer_load_dword v45, v37, s[0:3], 0 offen offset:4
	s_waitcnt vmcnt(2) lgkmcnt(0)
	v_mul_f64 v[46:47], v[3:4], v[40:41]
	v_mul_f64 v[40:41], v[1:2], v[40:41]
	s_waitcnt vmcnt(0)
	v_fma_f64 v[1:2], v[1:2], v[44:45], -v[46:47]
	v_fma_f64 v[3:4], v[3:4], v[44:45], v[40:41]
.LBB79_128:
	v_mov_b32_e32 v40, 0
	ds_read_b128 v[44:47], v40 offset:16
	s_waitcnt lgkmcnt(0)
	v_mul_f64 v[40:41], v[3:4], v[46:47]
	v_mul_f64 v[46:47], v[1:2], v[46:47]
	v_fma_f64 v[1:2], v[1:2], v[44:45], -v[40:41]
	v_fma_f64 v[3:4], v[3:4], v[44:45], v[46:47]
	buffer_store_dword v2, off, s[0:3], 0 offset:20
	buffer_store_dword v1, off, s[0:3], 0 offset:16
	;; [unrolled: 1-line block ×4, first 2 shown]
.LBB79_129:
	s_or_b32 exec_lo, exec_lo, s6
	v_mov_b32_e32 v4, s21
	s_mov_b32 s6, exec_lo
	s_clause 0x3
	buffer_load_dword v1, v4, s[0:3], 0 offen
	buffer_load_dword v2, v4, s[0:3], 0 offen offset:4
	buffer_load_dword v3, v4, s[0:3], 0 offen offset:8
	;; [unrolled: 1-line block ×3, first 2 shown]
	s_waitcnt vmcnt(0)
	ds_write_b128 v38, v[1:4]
	s_waitcnt lgkmcnt(0)
	s_waitcnt_vscnt null, 0x0
	s_barrier
	buffer_gl0_inv
	v_cmpx_gt_u32_e32 2, v0
	s_cbranch_execz .LBB79_135
; %bb.130:
	ds_read_b128 v[1:4], v38
	v_cmp_ne_u32_e32 vcc_lo, 1, v39
	s_cbranch_vccnz .LBB79_132
; %bb.131:
	s_clause 0x3
	buffer_load_dword v40, v37, s[0:3], 0 offen offset:8
	buffer_load_dword v41, v37, s[0:3], 0 offen offset:12
	buffer_load_dword v44, v37, s[0:3], 0 offen
	buffer_load_dword v45, v37, s[0:3], 0 offen offset:4
	s_waitcnt vmcnt(2) lgkmcnt(0)
	v_mul_f64 v[46:47], v[3:4], v[40:41]
	v_mul_f64 v[40:41], v[1:2], v[40:41]
	s_waitcnt vmcnt(0)
	v_fma_f64 v[1:2], v[1:2], v[44:45], -v[46:47]
	v_fma_f64 v[3:4], v[3:4], v[44:45], v[40:41]
.LBB79_132:
	s_and_saveexec_b32 s8, s4
	s_cbranch_execz .LBB79_134
; %bb.133:
	s_clause 0x3
	buffer_load_dword v40, off, s[0:3], 0 offset:24
	buffer_load_dword v41, off, s[0:3], 0 offset:28
	;; [unrolled: 1-line block ×4, first 2 shown]
	v_mov_b32_e32 v42, 0
	ds_read_b128 v[44:47], v42 offset:272
	s_waitcnt vmcnt(2) lgkmcnt(0)
	v_mul_f64 v[50:51], v[46:47], v[40:41]
	v_mul_f64 v[40:41], v[44:45], v[40:41]
	s_waitcnt vmcnt(0)
	v_fma_f64 v[44:45], v[44:45], v[48:49], -v[50:51]
	v_fma_f64 v[40:41], v[46:47], v[48:49], v[40:41]
	v_add_f64 v[1:2], v[1:2], v[44:45]
	v_add_f64 v[3:4], v[3:4], v[40:41]
.LBB79_134:
	s_or_b32 exec_lo, exec_lo, s8
	v_mov_b32_e32 v40, 0
	ds_read_b128 v[44:47], v40 offset:32
	s_waitcnt lgkmcnt(0)
	v_mul_f64 v[40:41], v[3:4], v[46:47]
	v_mul_f64 v[46:47], v[1:2], v[46:47]
	v_fma_f64 v[1:2], v[1:2], v[44:45], -v[40:41]
	v_fma_f64 v[3:4], v[3:4], v[44:45], v[46:47]
	buffer_store_dword v2, off, s[0:3], 0 offset:36
	buffer_store_dword v1, off, s[0:3], 0 offset:32
	;; [unrolled: 1-line block ×4, first 2 shown]
.LBB79_135:
	s_or_b32 exec_lo, exec_lo, s6
	v_mov_b32_e32 v4, s20
	s_mov_b32 s6, exec_lo
	s_clause 0x3
	buffer_load_dword v1, v4, s[0:3], 0 offen
	buffer_load_dword v2, v4, s[0:3], 0 offen offset:4
	buffer_load_dword v3, v4, s[0:3], 0 offen offset:8
	;; [unrolled: 1-line block ×3, first 2 shown]
	s_waitcnt vmcnt(0)
	ds_write_b128 v38, v[1:4]
	s_waitcnt lgkmcnt(0)
	s_waitcnt_vscnt null, 0x0
	s_barrier
	buffer_gl0_inv
	v_cmpx_gt_u32_e32 3, v0
	s_cbranch_execz .LBB79_143
; %bb.136:
	ds_read_b128 v[1:4], v38
	v_cmp_ne_u32_e32 vcc_lo, 1, v39
	s_cbranch_vccnz .LBB79_138
; %bb.137:
	s_clause 0x3
	buffer_load_dword v40, v37, s[0:3], 0 offen offset:8
	buffer_load_dword v41, v37, s[0:3], 0 offen offset:12
	buffer_load_dword v44, v37, s[0:3], 0 offen
	buffer_load_dword v45, v37, s[0:3], 0 offen offset:4
	s_waitcnt vmcnt(2) lgkmcnt(0)
	v_mul_f64 v[46:47], v[3:4], v[40:41]
	v_mul_f64 v[40:41], v[1:2], v[40:41]
	s_waitcnt vmcnt(0)
	v_fma_f64 v[1:2], v[1:2], v[44:45], -v[46:47]
	v_fma_f64 v[3:4], v[3:4], v[44:45], v[40:41]
.LBB79_138:
	s_mov_b32 s8, exec_lo
	v_cmpx_ne_u32_e32 2, v0
	s_cbranch_execz .LBB79_142
; %bb.139:
	s_clause 0x3
	buffer_load_dword v40, v37, s[0:3], 0 offen offset:24
	buffer_load_dword v41, v37, s[0:3], 0 offen offset:28
	;; [unrolled: 1-line block ×4, first 2 shown]
	ds_read_b128 v[44:47], v38 offset:16
	s_waitcnt vmcnt(2) lgkmcnt(0)
	v_mul_f64 v[50:51], v[46:47], v[40:41]
	v_mul_f64 v[40:41], v[44:45], v[40:41]
	s_waitcnt vmcnt(0)
	v_fma_f64 v[44:45], v[44:45], v[48:49], -v[50:51]
	v_fma_f64 v[40:41], v[46:47], v[48:49], v[40:41]
	v_add_f64 v[1:2], v[1:2], v[44:45]
	v_add_f64 v[3:4], v[3:4], v[40:41]
	s_and_saveexec_b32 s23, s4
	s_cbranch_execz .LBB79_141
; %bb.140:
	s_clause 0x3
	buffer_load_dword v40, off, s[0:3], 0 offset:40
	buffer_load_dword v41, off, s[0:3], 0 offset:44
	;; [unrolled: 1-line block ×4, first 2 shown]
	v_mov_b32_e32 v42, 0
	ds_read_b128 v[44:47], v42 offset:288
	s_waitcnt vmcnt(2) lgkmcnt(0)
	v_mul_f64 v[50:51], v[44:45], v[40:41]
	v_mul_f64 v[40:41], v[46:47], v[40:41]
	s_waitcnt vmcnt(0)
	v_fma_f64 v[46:47], v[46:47], v[48:49], v[50:51]
	v_fma_f64 v[40:41], v[44:45], v[48:49], -v[40:41]
	v_add_f64 v[3:4], v[3:4], v[46:47]
	v_add_f64 v[1:2], v[1:2], v[40:41]
.LBB79_141:
	s_or_b32 exec_lo, exec_lo, s23
.LBB79_142:
	s_or_b32 exec_lo, exec_lo, s8
	v_mov_b32_e32 v40, 0
	ds_read_b128 v[44:47], v40 offset:48
	s_waitcnt lgkmcnt(0)
	v_mul_f64 v[40:41], v[3:4], v[46:47]
	v_mul_f64 v[46:47], v[1:2], v[46:47]
	v_fma_f64 v[1:2], v[1:2], v[44:45], -v[40:41]
	v_fma_f64 v[3:4], v[3:4], v[44:45], v[46:47]
	buffer_store_dword v2, off, s[0:3], 0 offset:52
	buffer_store_dword v1, off, s[0:3], 0 offset:48
	;; [unrolled: 1-line block ×4, first 2 shown]
.LBB79_143:
	s_or_b32 exec_lo, exec_lo, s6
	v_mov_b32_e32 v4, s19
	s_mov_b32 s4, exec_lo
	s_clause 0x3
	buffer_load_dword v1, v4, s[0:3], 0 offen
	buffer_load_dword v2, v4, s[0:3], 0 offen offset:4
	buffer_load_dword v3, v4, s[0:3], 0 offen offset:8
	;; [unrolled: 1-line block ×3, first 2 shown]
	s_waitcnt vmcnt(0)
	ds_write_b128 v38, v[1:4]
	s_waitcnt lgkmcnt(0)
	s_waitcnt_vscnt null, 0x0
	s_barrier
	buffer_gl0_inv
	v_cmpx_gt_u32_e32 4, v0
	s_cbranch_execz .LBB79_151
; %bb.144:
	ds_read_b128 v[1:4], v38
	v_cmp_ne_u32_e32 vcc_lo, 1, v39
	s_cbranch_vccnz .LBB79_146
; %bb.145:
	s_clause 0x3
	buffer_load_dword v40, v37, s[0:3], 0 offen offset:8
	buffer_load_dword v41, v37, s[0:3], 0 offen offset:12
	buffer_load_dword v44, v37, s[0:3], 0 offen
	buffer_load_dword v45, v37, s[0:3], 0 offen offset:4
	s_waitcnt vmcnt(2) lgkmcnt(0)
	v_mul_f64 v[46:47], v[3:4], v[40:41]
	v_mul_f64 v[40:41], v[1:2], v[40:41]
	s_waitcnt vmcnt(0)
	v_fma_f64 v[1:2], v[1:2], v[44:45], -v[46:47]
	v_fma_f64 v[3:4], v[3:4], v[44:45], v[40:41]
.LBB79_146:
	s_mov_b32 s6, exec_lo
	v_cmpx_ne_u32_e32 3, v0
	s_cbranch_execz .LBB79_150
; %bb.147:
	v_add_nc_u32_e32 v40, 0x110, v43
	v_add3_u32 v41, 0, v43, 16
	v_mov_b32_e32 v42, v0
	s_mov_b32 s8, 0
	.p2align	6
.LBB79_148:                             ; =>This Inner Loop Header: Depth=1
	s_clause 0x3
	buffer_load_dword v48, v41, s[0:3], 0 offen offset:8
	buffer_load_dword v49, v41, s[0:3], 0 offen offset:12
	buffer_load_dword v50, v41, s[0:3], 0 offen
	buffer_load_dword v51, v41, s[0:3], 0 offen offset:4
	ds_read_b128 v[44:47], v40
	v_add_nc_u32_e32 v42, 1, v42
	v_add_nc_u32_e32 v40, 16, v40
	v_add_nc_u32_e32 v41, 16, v41
	v_cmp_lt_u32_e32 vcc_lo, 2, v42
	s_or_b32 s8, vcc_lo, s8
	s_waitcnt vmcnt(2) lgkmcnt(0)
	v_mul_f64 v[52:53], v[46:47], v[48:49]
	v_mul_f64 v[48:49], v[44:45], v[48:49]
	s_waitcnt vmcnt(0)
	v_fma_f64 v[44:45], v[44:45], v[50:51], -v[52:53]
	v_fma_f64 v[46:47], v[46:47], v[50:51], v[48:49]
	v_add_f64 v[1:2], v[1:2], v[44:45]
	v_add_f64 v[3:4], v[3:4], v[46:47]
	s_andn2_b32 exec_lo, exec_lo, s8
	s_cbranch_execnz .LBB79_148
; %bb.149:
	s_or_b32 exec_lo, exec_lo, s8
.LBB79_150:
	s_or_b32 exec_lo, exec_lo, s6
	v_mov_b32_e32 v40, 0
	ds_read_b128 v[44:47], v40 offset:64
	s_waitcnt lgkmcnt(0)
	v_mul_f64 v[40:41], v[3:4], v[46:47]
	v_mul_f64 v[46:47], v[1:2], v[46:47]
	v_fma_f64 v[1:2], v[1:2], v[44:45], -v[40:41]
	v_fma_f64 v[3:4], v[3:4], v[44:45], v[46:47]
	buffer_store_dword v2, off, s[0:3], 0 offset:68
	buffer_store_dword v1, off, s[0:3], 0 offset:64
	;; [unrolled: 1-line block ×4, first 2 shown]
.LBB79_151:
	s_or_b32 exec_lo, exec_lo, s4
	v_mov_b32_e32 v4, s18
	s_mov_b32 s4, exec_lo
	s_clause 0x3
	buffer_load_dword v1, v4, s[0:3], 0 offen
	buffer_load_dword v2, v4, s[0:3], 0 offen offset:4
	buffer_load_dword v3, v4, s[0:3], 0 offen offset:8
	;; [unrolled: 1-line block ×3, first 2 shown]
	s_waitcnt vmcnt(0)
	ds_write_b128 v38, v[1:4]
	s_waitcnt lgkmcnt(0)
	s_waitcnt_vscnt null, 0x0
	s_barrier
	buffer_gl0_inv
	v_cmpx_gt_u32_e32 5, v0
	s_cbranch_execz .LBB79_159
; %bb.152:
	ds_read_b128 v[1:4], v38
	v_cmp_ne_u32_e32 vcc_lo, 1, v39
	s_cbranch_vccnz .LBB79_154
; %bb.153:
	s_clause 0x3
	buffer_load_dword v40, v37, s[0:3], 0 offen offset:8
	buffer_load_dword v41, v37, s[0:3], 0 offen offset:12
	buffer_load_dword v44, v37, s[0:3], 0 offen
	buffer_load_dword v45, v37, s[0:3], 0 offen offset:4
	s_waitcnt vmcnt(2) lgkmcnt(0)
	v_mul_f64 v[46:47], v[3:4], v[40:41]
	v_mul_f64 v[40:41], v[1:2], v[40:41]
	s_waitcnt vmcnt(0)
	v_fma_f64 v[1:2], v[1:2], v[44:45], -v[46:47]
	v_fma_f64 v[3:4], v[3:4], v[44:45], v[40:41]
.LBB79_154:
	s_mov_b32 s6, exec_lo
	v_cmpx_ne_u32_e32 4, v0
	s_cbranch_execz .LBB79_158
; %bb.155:
	v_add_nc_u32_e32 v40, 0x110, v43
	v_add3_u32 v41, 0, v43, 16
	v_mov_b32_e32 v42, v0
	s_mov_b32 s8, 0
	.p2align	6
.LBB79_156:                             ; =>This Inner Loop Header: Depth=1
	s_clause 0x3
	buffer_load_dword v48, v41, s[0:3], 0 offen offset:8
	buffer_load_dword v49, v41, s[0:3], 0 offen offset:12
	buffer_load_dword v50, v41, s[0:3], 0 offen
	buffer_load_dword v51, v41, s[0:3], 0 offen offset:4
	ds_read_b128 v[44:47], v40
	v_add_nc_u32_e32 v42, 1, v42
	v_add_nc_u32_e32 v40, 16, v40
	;; [unrolled: 1-line block ×3, first 2 shown]
	v_cmp_lt_u32_e32 vcc_lo, 3, v42
	s_or_b32 s8, vcc_lo, s8
	s_waitcnt vmcnt(2) lgkmcnt(0)
	v_mul_f64 v[52:53], v[46:47], v[48:49]
	v_mul_f64 v[48:49], v[44:45], v[48:49]
	s_waitcnt vmcnt(0)
	v_fma_f64 v[44:45], v[44:45], v[50:51], -v[52:53]
	v_fma_f64 v[46:47], v[46:47], v[50:51], v[48:49]
	v_add_f64 v[1:2], v[1:2], v[44:45]
	v_add_f64 v[3:4], v[3:4], v[46:47]
	s_andn2_b32 exec_lo, exec_lo, s8
	s_cbranch_execnz .LBB79_156
; %bb.157:
	s_or_b32 exec_lo, exec_lo, s8
.LBB79_158:
	s_or_b32 exec_lo, exec_lo, s6
	v_mov_b32_e32 v40, 0
	ds_read_b128 v[44:47], v40 offset:80
	s_waitcnt lgkmcnt(0)
	v_mul_f64 v[40:41], v[3:4], v[46:47]
	v_mul_f64 v[46:47], v[1:2], v[46:47]
	v_fma_f64 v[1:2], v[1:2], v[44:45], -v[40:41]
	v_fma_f64 v[3:4], v[3:4], v[44:45], v[46:47]
	buffer_store_dword v2, off, s[0:3], 0 offset:84
	buffer_store_dword v1, off, s[0:3], 0 offset:80
	;; [unrolled: 1-line block ×4, first 2 shown]
.LBB79_159:
	s_or_b32 exec_lo, exec_lo, s4
	v_mov_b32_e32 v4, s17
	s_mov_b32 s4, exec_lo
	s_clause 0x3
	buffer_load_dword v1, v4, s[0:3], 0 offen
	buffer_load_dword v2, v4, s[0:3], 0 offen offset:4
	buffer_load_dword v3, v4, s[0:3], 0 offen offset:8
	;; [unrolled: 1-line block ×3, first 2 shown]
	s_waitcnt vmcnt(0)
	ds_write_b128 v38, v[1:4]
	s_waitcnt lgkmcnt(0)
	s_waitcnt_vscnt null, 0x0
	s_barrier
	buffer_gl0_inv
	v_cmpx_gt_u32_e32 6, v0
	s_cbranch_execz .LBB79_167
; %bb.160:
	ds_read_b128 v[1:4], v38
	v_cmp_ne_u32_e32 vcc_lo, 1, v39
	s_cbranch_vccnz .LBB79_162
; %bb.161:
	s_clause 0x3
	buffer_load_dword v40, v37, s[0:3], 0 offen offset:8
	buffer_load_dword v41, v37, s[0:3], 0 offen offset:12
	buffer_load_dword v44, v37, s[0:3], 0 offen
	buffer_load_dword v45, v37, s[0:3], 0 offen offset:4
	s_waitcnt vmcnt(2) lgkmcnt(0)
	v_mul_f64 v[46:47], v[3:4], v[40:41]
	v_mul_f64 v[40:41], v[1:2], v[40:41]
	s_waitcnt vmcnt(0)
	v_fma_f64 v[1:2], v[1:2], v[44:45], -v[46:47]
	v_fma_f64 v[3:4], v[3:4], v[44:45], v[40:41]
.LBB79_162:
	s_mov_b32 s6, exec_lo
	v_cmpx_ne_u32_e32 5, v0
	s_cbranch_execz .LBB79_166
; %bb.163:
	v_add_nc_u32_e32 v40, 0x110, v43
	v_add3_u32 v41, 0, v43, 16
	v_mov_b32_e32 v42, v0
	s_mov_b32 s8, 0
	.p2align	6
.LBB79_164:                             ; =>This Inner Loop Header: Depth=1
	s_clause 0x3
	buffer_load_dword v48, v41, s[0:3], 0 offen offset:8
	buffer_load_dword v49, v41, s[0:3], 0 offen offset:12
	buffer_load_dword v50, v41, s[0:3], 0 offen
	buffer_load_dword v51, v41, s[0:3], 0 offen offset:4
	ds_read_b128 v[44:47], v40
	v_add_nc_u32_e32 v42, 1, v42
	v_add_nc_u32_e32 v40, 16, v40
	;; [unrolled: 1-line block ×3, first 2 shown]
	v_cmp_lt_u32_e32 vcc_lo, 4, v42
	s_or_b32 s8, vcc_lo, s8
	s_waitcnt vmcnt(2) lgkmcnt(0)
	v_mul_f64 v[52:53], v[46:47], v[48:49]
	v_mul_f64 v[48:49], v[44:45], v[48:49]
	s_waitcnt vmcnt(0)
	v_fma_f64 v[44:45], v[44:45], v[50:51], -v[52:53]
	v_fma_f64 v[46:47], v[46:47], v[50:51], v[48:49]
	v_add_f64 v[1:2], v[1:2], v[44:45]
	v_add_f64 v[3:4], v[3:4], v[46:47]
	s_andn2_b32 exec_lo, exec_lo, s8
	s_cbranch_execnz .LBB79_164
; %bb.165:
	s_or_b32 exec_lo, exec_lo, s8
.LBB79_166:
	s_or_b32 exec_lo, exec_lo, s6
	v_mov_b32_e32 v40, 0
	ds_read_b128 v[44:47], v40 offset:96
	s_waitcnt lgkmcnt(0)
	v_mul_f64 v[40:41], v[3:4], v[46:47]
	v_mul_f64 v[46:47], v[1:2], v[46:47]
	v_fma_f64 v[1:2], v[1:2], v[44:45], -v[40:41]
	v_fma_f64 v[3:4], v[3:4], v[44:45], v[46:47]
	buffer_store_dword v2, off, s[0:3], 0 offset:100
	buffer_store_dword v1, off, s[0:3], 0 offset:96
	;; [unrolled: 1-line block ×4, first 2 shown]
.LBB79_167:
	s_or_b32 exec_lo, exec_lo, s4
	v_mov_b32_e32 v4, s16
	s_mov_b32 s4, exec_lo
	s_clause 0x3
	buffer_load_dword v1, v4, s[0:3], 0 offen
	buffer_load_dword v2, v4, s[0:3], 0 offen offset:4
	buffer_load_dword v3, v4, s[0:3], 0 offen offset:8
	;; [unrolled: 1-line block ×3, first 2 shown]
	s_waitcnt vmcnt(0)
	ds_write_b128 v38, v[1:4]
	s_waitcnt lgkmcnt(0)
	s_waitcnt_vscnt null, 0x0
	s_barrier
	buffer_gl0_inv
	v_cmpx_gt_u32_e32 7, v0
	s_cbranch_execz .LBB79_175
; %bb.168:
	ds_read_b128 v[1:4], v38
	v_cmp_ne_u32_e32 vcc_lo, 1, v39
	s_cbranch_vccnz .LBB79_170
; %bb.169:
	s_clause 0x3
	buffer_load_dword v40, v37, s[0:3], 0 offen offset:8
	buffer_load_dword v41, v37, s[0:3], 0 offen offset:12
	buffer_load_dword v44, v37, s[0:3], 0 offen
	buffer_load_dword v45, v37, s[0:3], 0 offen offset:4
	s_waitcnt vmcnt(2) lgkmcnt(0)
	v_mul_f64 v[46:47], v[3:4], v[40:41]
	v_mul_f64 v[40:41], v[1:2], v[40:41]
	s_waitcnt vmcnt(0)
	v_fma_f64 v[1:2], v[1:2], v[44:45], -v[46:47]
	v_fma_f64 v[3:4], v[3:4], v[44:45], v[40:41]
.LBB79_170:
	s_mov_b32 s6, exec_lo
	v_cmpx_ne_u32_e32 6, v0
	s_cbranch_execz .LBB79_174
; %bb.171:
	v_add_nc_u32_e32 v40, 0x110, v43
	v_add3_u32 v41, 0, v43, 16
	v_mov_b32_e32 v42, v0
	s_mov_b32 s8, 0
	.p2align	6
.LBB79_172:                             ; =>This Inner Loop Header: Depth=1
	s_clause 0x3
	buffer_load_dword v48, v41, s[0:3], 0 offen offset:8
	buffer_load_dword v49, v41, s[0:3], 0 offen offset:12
	buffer_load_dword v50, v41, s[0:3], 0 offen
	buffer_load_dword v51, v41, s[0:3], 0 offen offset:4
	ds_read_b128 v[44:47], v40
	v_add_nc_u32_e32 v42, 1, v42
	v_add_nc_u32_e32 v40, 16, v40
	;; [unrolled: 1-line block ×3, first 2 shown]
	v_cmp_lt_u32_e32 vcc_lo, 5, v42
	s_or_b32 s8, vcc_lo, s8
	s_waitcnt vmcnt(2) lgkmcnt(0)
	v_mul_f64 v[52:53], v[46:47], v[48:49]
	v_mul_f64 v[48:49], v[44:45], v[48:49]
	s_waitcnt vmcnt(0)
	v_fma_f64 v[44:45], v[44:45], v[50:51], -v[52:53]
	v_fma_f64 v[46:47], v[46:47], v[50:51], v[48:49]
	v_add_f64 v[1:2], v[1:2], v[44:45]
	v_add_f64 v[3:4], v[3:4], v[46:47]
	s_andn2_b32 exec_lo, exec_lo, s8
	s_cbranch_execnz .LBB79_172
; %bb.173:
	s_or_b32 exec_lo, exec_lo, s8
.LBB79_174:
	s_or_b32 exec_lo, exec_lo, s6
	v_mov_b32_e32 v40, 0
	ds_read_b128 v[44:47], v40 offset:112
	s_waitcnt lgkmcnt(0)
	v_mul_f64 v[40:41], v[3:4], v[46:47]
	v_mul_f64 v[46:47], v[1:2], v[46:47]
	v_fma_f64 v[1:2], v[1:2], v[44:45], -v[40:41]
	v_fma_f64 v[3:4], v[3:4], v[44:45], v[46:47]
	buffer_store_dword v2, off, s[0:3], 0 offset:116
	buffer_store_dword v1, off, s[0:3], 0 offset:112
	;; [unrolled: 1-line block ×4, first 2 shown]
.LBB79_175:
	s_or_b32 exec_lo, exec_lo, s4
	v_mov_b32_e32 v4, s15
	s_mov_b32 s4, exec_lo
	s_clause 0x3
	buffer_load_dword v1, v4, s[0:3], 0 offen
	buffer_load_dword v2, v4, s[0:3], 0 offen offset:4
	buffer_load_dword v3, v4, s[0:3], 0 offen offset:8
	;; [unrolled: 1-line block ×3, first 2 shown]
	s_waitcnt vmcnt(0)
	ds_write_b128 v38, v[1:4]
	s_waitcnt lgkmcnt(0)
	s_waitcnt_vscnt null, 0x0
	s_barrier
	buffer_gl0_inv
	v_cmpx_gt_u32_e32 8, v0
	s_cbranch_execz .LBB79_183
; %bb.176:
	ds_read_b128 v[1:4], v38
	v_cmp_ne_u32_e32 vcc_lo, 1, v39
	s_cbranch_vccnz .LBB79_178
; %bb.177:
	s_clause 0x3
	buffer_load_dword v40, v37, s[0:3], 0 offen offset:8
	buffer_load_dword v41, v37, s[0:3], 0 offen offset:12
	buffer_load_dword v44, v37, s[0:3], 0 offen
	buffer_load_dword v45, v37, s[0:3], 0 offen offset:4
	s_waitcnt vmcnt(2) lgkmcnt(0)
	v_mul_f64 v[46:47], v[3:4], v[40:41]
	v_mul_f64 v[40:41], v[1:2], v[40:41]
	s_waitcnt vmcnt(0)
	v_fma_f64 v[1:2], v[1:2], v[44:45], -v[46:47]
	v_fma_f64 v[3:4], v[3:4], v[44:45], v[40:41]
.LBB79_178:
	s_mov_b32 s6, exec_lo
	v_cmpx_ne_u32_e32 7, v0
	s_cbranch_execz .LBB79_182
; %bb.179:
	v_add_nc_u32_e32 v40, 0x110, v43
	v_add3_u32 v41, 0, v43, 16
	v_mov_b32_e32 v42, v0
	s_mov_b32 s8, 0
	.p2align	6
.LBB79_180:                             ; =>This Inner Loop Header: Depth=1
	s_clause 0x3
	buffer_load_dword v48, v41, s[0:3], 0 offen offset:8
	buffer_load_dword v49, v41, s[0:3], 0 offen offset:12
	buffer_load_dword v50, v41, s[0:3], 0 offen
	buffer_load_dword v51, v41, s[0:3], 0 offen offset:4
	ds_read_b128 v[44:47], v40
	v_add_nc_u32_e32 v42, 1, v42
	v_add_nc_u32_e32 v40, 16, v40
	;; [unrolled: 1-line block ×3, first 2 shown]
	v_cmp_lt_u32_e32 vcc_lo, 6, v42
	s_or_b32 s8, vcc_lo, s8
	s_waitcnt vmcnt(2) lgkmcnt(0)
	v_mul_f64 v[52:53], v[46:47], v[48:49]
	v_mul_f64 v[48:49], v[44:45], v[48:49]
	s_waitcnt vmcnt(0)
	v_fma_f64 v[44:45], v[44:45], v[50:51], -v[52:53]
	v_fma_f64 v[46:47], v[46:47], v[50:51], v[48:49]
	v_add_f64 v[1:2], v[1:2], v[44:45]
	v_add_f64 v[3:4], v[3:4], v[46:47]
	s_andn2_b32 exec_lo, exec_lo, s8
	s_cbranch_execnz .LBB79_180
; %bb.181:
	s_or_b32 exec_lo, exec_lo, s8
.LBB79_182:
	s_or_b32 exec_lo, exec_lo, s6
	v_mov_b32_e32 v40, 0
	ds_read_b128 v[44:47], v40 offset:128
	s_waitcnt lgkmcnt(0)
	v_mul_f64 v[40:41], v[3:4], v[46:47]
	v_mul_f64 v[46:47], v[1:2], v[46:47]
	v_fma_f64 v[1:2], v[1:2], v[44:45], -v[40:41]
	v_fma_f64 v[3:4], v[3:4], v[44:45], v[46:47]
	buffer_store_dword v2, off, s[0:3], 0 offset:132
	buffer_store_dword v1, off, s[0:3], 0 offset:128
	;; [unrolled: 1-line block ×4, first 2 shown]
.LBB79_183:
	s_or_b32 exec_lo, exec_lo, s4
	v_mov_b32_e32 v4, s14
	s_mov_b32 s4, exec_lo
	s_clause 0x3
	buffer_load_dword v1, v4, s[0:3], 0 offen
	buffer_load_dword v2, v4, s[0:3], 0 offen offset:4
	buffer_load_dword v3, v4, s[0:3], 0 offen offset:8
	;; [unrolled: 1-line block ×3, first 2 shown]
	s_waitcnt vmcnt(0)
	ds_write_b128 v38, v[1:4]
	s_waitcnt lgkmcnt(0)
	s_waitcnt_vscnt null, 0x0
	s_barrier
	buffer_gl0_inv
	v_cmpx_gt_u32_e32 9, v0
	s_cbranch_execz .LBB79_191
; %bb.184:
	ds_read_b128 v[1:4], v38
	v_cmp_ne_u32_e32 vcc_lo, 1, v39
	s_cbranch_vccnz .LBB79_186
; %bb.185:
	s_clause 0x3
	buffer_load_dword v40, v37, s[0:3], 0 offen offset:8
	buffer_load_dword v41, v37, s[0:3], 0 offen offset:12
	buffer_load_dword v44, v37, s[0:3], 0 offen
	buffer_load_dword v45, v37, s[0:3], 0 offen offset:4
	s_waitcnt vmcnt(2) lgkmcnt(0)
	v_mul_f64 v[46:47], v[3:4], v[40:41]
	v_mul_f64 v[40:41], v[1:2], v[40:41]
	s_waitcnt vmcnt(0)
	v_fma_f64 v[1:2], v[1:2], v[44:45], -v[46:47]
	v_fma_f64 v[3:4], v[3:4], v[44:45], v[40:41]
.LBB79_186:
	s_mov_b32 s6, exec_lo
	v_cmpx_ne_u32_e32 8, v0
	s_cbranch_execz .LBB79_190
; %bb.187:
	v_add_nc_u32_e32 v40, 0x110, v43
	v_add3_u32 v41, 0, v43, 16
	v_mov_b32_e32 v42, v0
	s_mov_b32 s8, 0
	.p2align	6
.LBB79_188:                             ; =>This Inner Loop Header: Depth=1
	s_clause 0x3
	buffer_load_dword v48, v41, s[0:3], 0 offen offset:8
	buffer_load_dword v49, v41, s[0:3], 0 offen offset:12
	buffer_load_dword v50, v41, s[0:3], 0 offen
	buffer_load_dword v51, v41, s[0:3], 0 offen offset:4
	ds_read_b128 v[44:47], v40
	v_add_nc_u32_e32 v42, 1, v42
	v_add_nc_u32_e32 v40, 16, v40
	;; [unrolled: 1-line block ×3, first 2 shown]
	v_cmp_lt_u32_e32 vcc_lo, 7, v42
	s_or_b32 s8, vcc_lo, s8
	s_waitcnt vmcnt(2) lgkmcnt(0)
	v_mul_f64 v[52:53], v[46:47], v[48:49]
	v_mul_f64 v[48:49], v[44:45], v[48:49]
	s_waitcnt vmcnt(0)
	v_fma_f64 v[44:45], v[44:45], v[50:51], -v[52:53]
	v_fma_f64 v[46:47], v[46:47], v[50:51], v[48:49]
	v_add_f64 v[1:2], v[1:2], v[44:45]
	v_add_f64 v[3:4], v[3:4], v[46:47]
	s_andn2_b32 exec_lo, exec_lo, s8
	s_cbranch_execnz .LBB79_188
; %bb.189:
	s_or_b32 exec_lo, exec_lo, s8
.LBB79_190:
	s_or_b32 exec_lo, exec_lo, s6
	v_mov_b32_e32 v40, 0
	ds_read_b128 v[44:47], v40 offset:144
	s_waitcnt lgkmcnt(0)
	v_mul_f64 v[40:41], v[3:4], v[46:47]
	v_mul_f64 v[46:47], v[1:2], v[46:47]
	v_fma_f64 v[1:2], v[1:2], v[44:45], -v[40:41]
	v_fma_f64 v[3:4], v[3:4], v[44:45], v[46:47]
	buffer_store_dword v2, off, s[0:3], 0 offset:148
	buffer_store_dword v1, off, s[0:3], 0 offset:144
	;; [unrolled: 1-line block ×4, first 2 shown]
.LBB79_191:
	s_or_b32 exec_lo, exec_lo, s4
	v_mov_b32_e32 v4, s13
	s_mov_b32 s4, exec_lo
	s_clause 0x3
	buffer_load_dword v1, v4, s[0:3], 0 offen
	buffer_load_dword v2, v4, s[0:3], 0 offen offset:4
	buffer_load_dword v3, v4, s[0:3], 0 offen offset:8
	;; [unrolled: 1-line block ×3, first 2 shown]
	s_waitcnt vmcnt(0)
	ds_write_b128 v38, v[1:4]
	s_waitcnt lgkmcnt(0)
	s_waitcnt_vscnt null, 0x0
	s_barrier
	buffer_gl0_inv
	v_cmpx_gt_u32_e32 10, v0
	s_cbranch_execz .LBB79_199
; %bb.192:
	ds_read_b128 v[1:4], v38
	v_cmp_ne_u32_e32 vcc_lo, 1, v39
	s_cbranch_vccnz .LBB79_194
; %bb.193:
	s_clause 0x3
	buffer_load_dword v40, v37, s[0:3], 0 offen offset:8
	buffer_load_dword v41, v37, s[0:3], 0 offen offset:12
	buffer_load_dword v44, v37, s[0:3], 0 offen
	buffer_load_dword v45, v37, s[0:3], 0 offen offset:4
	s_waitcnt vmcnt(2) lgkmcnt(0)
	v_mul_f64 v[46:47], v[3:4], v[40:41]
	v_mul_f64 v[40:41], v[1:2], v[40:41]
	s_waitcnt vmcnt(0)
	v_fma_f64 v[1:2], v[1:2], v[44:45], -v[46:47]
	v_fma_f64 v[3:4], v[3:4], v[44:45], v[40:41]
.LBB79_194:
	s_mov_b32 s6, exec_lo
	v_cmpx_ne_u32_e32 9, v0
	s_cbranch_execz .LBB79_198
; %bb.195:
	v_add_nc_u32_e32 v40, 0x110, v43
	v_add3_u32 v41, 0, v43, 16
	v_mov_b32_e32 v42, v0
	s_mov_b32 s8, 0
	.p2align	6
.LBB79_196:                             ; =>This Inner Loop Header: Depth=1
	s_clause 0x3
	buffer_load_dword v48, v41, s[0:3], 0 offen offset:8
	buffer_load_dword v49, v41, s[0:3], 0 offen offset:12
	buffer_load_dword v50, v41, s[0:3], 0 offen
	buffer_load_dword v51, v41, s[0:3], 0 offen offset:4
	ds_read_b128 v[44:47], v40
	v_add_nc_u32_e32 v42, 1, v42
	v_add_nc_u32_e32 v40, 16, v40
	;; [unrolled: 1-line block ×3, first 2 shown]
	v_cmp_lt_u32_e32 vcc_lo, 8, v42
	s_or_b32 s8, vcc_lo, s8
	s_waitcnt vmcnt(2) lgkmcnt(0)
	v_mul_f64 v[52:53], v[46:47], v[48:49]
	v_mul_f64 v[48:49], v[44:45], v[48:49]
	s_waitcnt vmcnt(0)
	v_fma_f64 v[44:45], v[44:45], v[50:51], -v[52:53]
	v_fma_f64 v[46:47], v[46:47], v[50:51], v[48:49]
	v_add_f64 v[1:2], v[1:2], v[44:45]
	v_add_f64 v[3:4], v[3:4], v[46:47]
	s_andn2_b32 exec_lo, exec_lo, s8
	s_cbranch_execnz .LBB79_196
; %bb.197:
	s_or_b32 exec_lo, exec_lo, s8
.LBB79_198:
	s_or_b32 exec_lo, exec_lo, s6
	v_mov_b32_e32 v40, 0
	ds_read_b128 v[44:47], v40 offset:160
	s_waitcnt lgkmcnt(0)
	v_mul_f64 v[40:41], v[3:4], v[46:47]
	v_mul_f64 v[46:47], v[1:2], v[46:47]
	v_fma_f64 v[1:2], v[1:2], v[44:45], -v[40:41]
	v_fma_f64 v[3:4], v[3:4], v[44:45], v[46:47]
	buffer_store_dword v2, off, s[0:3], 0 offset:164
	buffer_store_dword v1, off, s[0:3], 0 offset:160
	;; [unrolled: 1-line block ×4, first 2 shown]
.LBB79_199:
	s_or_b32 exec_lo, exec_lo, s4
	v_mov_b32_e32 v4, s12
	s_mov_b32 s4, exec_lo
	s_clause 0x3
	buffer_load_dword v1, v4, s[0:3], 0 offen
	buffer_load_dword v2, v4, s[0:3], 0 offen offset:4
	buffer_load_dword v3, v4, s[0:3], 0 offen offset:8
	buffer_load_dword v4, v4, s[0:3], 0 offen offset:12
	s_waitcnt vmcnt(0)
	ds_write_b128 v38, v[1:4]
	s_waitcnt lgkmcnt(0)
	s_waitcnt_vscnt null, 0x0
	s_barrier
	buffer_gl0_inv
	v_cmpx_gt_u32_e32 11, v0
	s_cbranch_execz .LBB79_207
; %bb.200:
	ds_read_b128 v[1:4], v38
	v_cmp_ne_u32_e32 vcc_lo, 1, v39
	s_cbranch_vccnz .LBB79_202
; %bb.201:
	s_clause 0x3
	buffer_load_dword v40, v37, s[0:3], 0 offen offset:8
	buffer_load_dword v41, v37, s[0:3], 0 offen offset:12
	buffer_load_dword v44, v37, s[0:3], 0 offen
	buffer_load_dword v45, v37, s[0:3], 0 offen offset:4
	s_waitcnt vmcnt(2) lgkmcnt(0)
	v_mul_f64 v[46:47], v[3:4], v[40:41]
	v_mul_f64 v[40:41], v[1:2], v[40:41]
	s_waitcnt vmcnt(0)
	v_fma_f64 v[1:2], v[1:2], v[44:45], -v[46:47]
	v_fma_f64 v[3:4], v[3:4], v[44:45], v[40:41]
.LBB79_202:
	s_mov_b32 s6, exec_lo
	v_cmpx_ne_u32_e32 10, v0
	s_cbranch_execz .LBB79_206
; %bb.203:
	v_add_nc_u32_e32 v40, 0x110, v43
	v_add3_u32 v41, 0, v43, 16
	v_mov_b32_e32 v42, v0
	s_mov_b32 s8, 0
	.p2align	6
.LBB79_204:                             ; =>This Inner Loop Header: Depth=1
	s_clause 0x3
	buffer_load_dword v48, v41, s[0:3], 0 offen offset:8
	buffer_load_dword v49, v41, s[0:3], 0 offen offset:12
	buffer_load_dword v50, v41, s[0:3], 0 offen
	buffer_load_dword v51, v41, s[0:3], 0 offen offset:4
	ds_read_b128 v[44:47], v40
	v_add_nc_u32_e32 v42, 1, v42
	v_add_nc_u32_e32 v40, 16, v40
	;; [unrolled: 1-line block ×3, first 2 shown]
	v_cmp_lt_u32_e32 vcc_lo, 9, v42
	s_or_b32 s8, vcc_lo, s8
	s_waitcnt vmcnt(2) lgkmcnt(0)
	v_mul_f64 v[52:53], v[46:47], v[48:49]
	v_mul_f64 v[48:49], v[44:45], v[48:49]
	s_waitcnt vmcnt(0)
	v_fma_f64 v[44:45], v[44:45], v[50:51], -v[52:53]
	v_fma_f64 v[46:47], v[46:47], v[50:51], v[48:49]
	v_add_f64 v[1:2], v[1:2], v[44:45]
	v_add_f64 v[3:4], v[3:4], v[46:47]
	s_andn2_b32 exec_lo, exec_lo, s8
	s_cbranch_execnz .LBB79_204
; %bb.205:
	s_or_b32 exec_lo, exec_lo, s8
.LBB79_206:
	s_or_b32 exec_lo, exec_lo, s6
	v_mov_b32_e32 v40, 0
	ds_read_b128 v[44:47], v40 offset:176
	s_waitcnt lgkmcnt(0)
	v_mul_f64 v[40:41], v[3:4], v[46:47]
	v_mul_f64 v[46:47], v[1:2], v[46:47]
	v_fma_f64 v[1:2], v[1:2], v[44:45], -v[40:41]
	v_fma_f64 v[3:4], v[3:4], v[44:45], v[46:47]
	buffer_store_dword v2, off, s[0:3], 0 offset:180
	buffer_store_dword v1, off, s[0:3], 0 offset:176
	;; [unrolled: 1-line block ×4, first 2 shown]
.LBB79_207:
	s_or_b32 exec_lo, exec_lo, s4
	v_mov_b32_e32 v4, s11
	s_mov_b32 s4, exec_lo
	s_clause 0x3
	buffer_load_dword v1, v4, s[0:3], 0 offen
	buffer_load_dword v2, v4, s[0:3], 0 offen offset:4
	buffer_load_dword v3, v4, s[0:3], 0 offen offset:8
	;; [unrolled: 1-line block ×3, first 2 shown]
	s_waitcnt vmcnt(0)
	ds_write_b128 v38, v[1:4]
	s_waitcnt lgkmcnt(0)
	s_waitcnt_vscnt null, 0x0
	s_barrier
	buffer_gl0_inv
	v_cmpx_gt_u32_e32 12, v0
	s_cbranch_execz .LBB79_215
; %bb.208:
	ds_read_b128 v[1:4], v38
	v_cmp_ne_u32_e32 vcc_lo, 1, v39
	s_cbranch_vccnz .LBB79_210
; %bb.209:
	s_clause 0x3
	buffer_load_dword v40, v37, s[0:3], 0 offen offset:8
	buffer_load_dword v41, v37, s[0:3], 0 offen offset:12
	buffer_load_dword v44, v37, s[0:3], 0 offen
	buffer_load_dword v45, v37, s[0:3], 0 offen offset:4
	s_waitcnt vmcnt(2) lgkmcnt(0)
	v_mul_f64 v[46:47], v[3:4], v[40:41]
	v_mul_f64 v[40:41], v[1:2], v[40:41]
	s_waitcnt vmcnt(0)
	v_fma_f64 v[1:2], v[1:2], v[44:45], -v[46:47]
	v_fma_f64 v[3:4], v[3:4], v[44:45], v[40:41]
.LBB79_210:
	s_mov_b32 s6, exec_lo
	v_cmpx_ne_u32_e32 11, v0
	s_cbranch_execz .LBB79_214
; %bb.211:
	v_add_nc_u32_e32 v40, 0x110, v43
	v_add3_u32 v41, 0, v43, 16
	v_mov_b32_e32 v42, v0
	s_mov_b32 s8, 0
	.p2align	6
.LBB79_212:                             ; =>This Inner Loop Header: Depth=1
	s_clause 0x3
	buffer_load_dword v48, v41, s[0:3], 0 offen offset:8
	buffer_load_dword v49, v41, s[0:3], 0 offen offset:12
	buffer_load_dword v50, v41, s[0:3], 0 offen
	buffer_load_dword v51, v41, s[0:3], 0 offen offset:4
	ds_read_b128 v[44:47], v40
	v_add_nc_u32_e32 v42, 1, v42
	v_add_nc_u32_e32 v40, 16, v40
	;; [unrolled: 1-line block ×3, first 2 shown]
	v_cmp_lt_u32_e32 vcc_lo, 10, v42
	s_or_b32 s8, vcc_lo, s8
	s_waitcnt vmcnt(2) lgkmcnt(0)
	v_mul_f64 v[52:53], v[46:47], v[48:49]
	v_mul_f64 v[48:49], v[44:45], v[48:49]
	s_waitcnt vmcnt(0)
	v_fma_f64 v[44:45], v[44:45], v[50:51], -v[52:53]
	v_fma_f64 v[46:47], v[46:47], v[50:51], v[48:49]
	v_add_f64 v[1:2], v[1:2], v[44:45]
	v_add_f64 v[3:4], v[3:4], v[46:47]
	s_andn2_b32 exec_lo, exec_lo, s8
	s_cbranch_execnz .LBB79_212
; %bb.213:
	s_or_b32 exec_lo, exec_lo, s8
.LBB79_214:
	s_or_b32 exec_lo, exec_lo, s6
	v_mov_b32_e32 v40, 0
	ds_read_b128 v[44:47], v40 offset:192
	s_waitcnt lgkmcnt(0)
	v_mul_f64 v[40:41], v[3:4], v[46:47]
	v_mul_f64 v[46:47], v[1:2], v[46:47]
	v_fma_f64 v[1:2], v[1:2], v[44:45], -v[40:41]
	v_fma_f64 v[3:4], v[3:4], v[44:45], v[46:47]
	buffer_store_dword v2, off, s[0:3], 0 offset:196
	buffer_store_dword v1, off, s[0:3], 0 offset:192
	;; [unrolled: 1-line block ×4, first 2 shown]
.LBB79_215:
	s_or_b32 exec_lo, exec_lo, s4
	v_mov_b32_e32 v4, s10
	s_mov_b32 s4, exec_lo
	s_clause 0x3
	buffer_load_dword v1, v4, s[0:3], 0 offen
	buffer_load_dword v2, v4, s[0:3], 0 offen offset:4
	buffer_load_dword v3, v4, s[0:3], 0 offen offset:8
	;; [unrolled: 1-line block ×3, first 2 shown]
	s_waitcnt vmcnt(0)
	ds_write_b128 v38, v[1:4]
	s_waitcnt lgkmcnt(0)
	s_waitcnt_vscnt null, 0x0
	s_barrier
	buffer_gl0_inv
	v_cmpx_gt_u32_e32 13, v0
	s_cbranch_execz .LBB79_223
; %bb.216:
	ds_read_b128 v[1:4], v38
	v_cmp_ne_u32_e32 vcc_lo, 1, v39
	s_cbranch_vccnz .LBB79_218
; %bb.217:
	s_clause 0x3
	buffer_load_dword v40, v37, s[0:3], 0 offen offset:8
	buffer_load_dword v41, v37, s[0:3], 0 offen offset:12
	buffer_load_dword v44, v37, s[0:3], 0 offen
	buffer_load_dword v45, v37, s[0:3], 0 offen offset:4
	s_waitcnt vmcnt(2) lgkmcnt(0)
	v_mul_f64 v[46:47], v[3:4], v[40:41]
	v_mul_f64 v[40:41], v[1:2], v[40:41]
	s_waitcnt vmcnt(0)
	v_fma_f64 v[1:2], v[1:2], v[44:45], -v[46:47]
	v_fma_f64 v[3:4], v[3:4], v[44:45], v[40:41]
.LBB79_218:
	s_mov_b32 s6, exec_lo
	v_cmpx_ne_u32_e32 12, v0
	s_cbranch_execz .LBB79_222
; %bb.219:
	v_add_nc_u32_e32 v40, 0x110, v43
	v_add3_u32 v41, 0, v43, 16
	v_mov_b32_e32 v42, v0
	s_mov_b32 s8, 0
	.p2align	6
.LBB79_220:                             ; =>This Inner Loop Header: Depth=1
	s_clause 0x3
	buffer_load_dword v48, v41, s[0:3], 0 offen offset:8
	buffer_load_dword v49, v41, s[0:3], 0 offen offset:12
	buffer_load_dword v50, v41, s[0:3], 0 offen
	buffer_load_dword v51, v41, s[0:3], 0 offen offset:4
	ds_read_b128 v[44:47], v40
	v_add_nc_u32_e32 v42, 1, v42
	v_add_nc_u32_e32 v40, 16, v40
	;; [unrolled: 1-line block ×3, first 2 shown]
	v_cmp_lt_u32_e32 vcc_lo, 11, v42
	s_or_b32 s8, vcc_lo, s8
	s_waitcnt vmcnt(2) lgkmcnt(0)
	v_mul_f64 v[52:53], v[46:47], v[48:49]
	v_mul_f64 v[48:49], v[44:45], v[48:49]
	s_waitcnt vmcnt(0)
	v_fma_f64 v[44:45], v[44:45], v[50:51], -v[52:53]
	v_fma_f64 v[46:47], v[46:47], v[50:51], v[48:49]
	v_add_f64 v[1:2], v[1:2], v[44:45]
	v_add_f64 v[3:4], v[3:4], v[46:47]
	s_andn2_b32 exec_lo, exec_lo, s8
	s_cbranch_execnz .LBB79_220
; %bb.221:
	s_or_b32 exec_lo, exec_lo, s8
.LBB79_222:
	s_or_b32 exec_lo, exec_lo, s6
	v_mov_b32_e32 v40, 0
	ds_read_b128 v[44:47], v40 offset:208
	s_waitcnt lgkmcnt(0)
	v_mul_f64 v[40:41], v[3:4], v[46:47]
	v_mul_f64 v[46:47], v[1:2], v[46:47]
	v_fma_f64 v[1:2], v[1:2], v[44:45], -v[40:41]
	v_fma_f64 v[3:4], v[3:4], v[44:45], v[46:47]
	buffer_store_dword v2, off, s[0:3], 0 offset:212
	buffer_store_dword v1, off, s[0:3], 0 offset:208
	;; [unrolled: 1-line block ×4, first 2 shown]
.LBB79_223:
	s_or_b32 exec_lo, exec_lo, s4
	v_mov_b32_e32 v4, s9
	v_cmp_gt_u32_e64 s4, 14, v0
	s_clause 0x3
	buffer_load_dword v1, v4, s[0:3], 0 offen
	buffer_load_dword v2, v4, s[0:3], 0 offen offset:4
	buffer_load_dword v3, v4, s[0:3], 0 offen offset:8
	;; [unrolled: 1-line block ×3, first 2 shown]
	s_waitcnt vmcnt(0)
	ds_write_b128 v38, v[1:4]
	s_waitcnt lgkmcnt(0)
	s_waitcnt_vscnt null, 0x0
	s_barrier
	buffer_gl0_inv
	s_and_saveexec_b32 s6, s4
	s_cbranch_execz .LBB79_231
; %bb.224:
	ds_read_b128 v[1:4], v38
	v_cmp_ne_u32_e32 vcc_lo, 1, v39
	s_cbranch_vccnz .LBB79_226
; %bb.225:
	s_clause 0x3
	buffer_load_dword v40, v37, s[0:3], 0 offen offset:8
	buffer_load_dword v41, v37, s[0:3], 0 offen offset:12
	buffer_load_dword v44, v37, s[0:3], 0 offen
	buffer_load_dword v45, v37, s[0:3], 0 offen offset:4
	s_waitcnt vmcnt(2) lgkmcnt(0)
	v_mul_f64 v[46:47], v[3:4], v[40:41]
	v_mul_f64 v[40:41], v[1:2], v[40:41]
	s_waitcnt vmcnt(0)
	v_fma_f64 v[1:2], v[1:2], v[44:45], -v[46:47]
	v_fma_f64 v[3:4], v[3:4], v[44:45], v[40:41]
.LBB79_226:
	s_mov_b32 s8, exec_lo
	v_cmpx_ne_u32_e32 13, v0
	s_cbranch_execz .LBB79_230
; %bb.227:
	v_add_nc_u32_e32 v40, 0x110, v43
	v_add3_u32 v41, 0, v43, 16
	v_mov_b32_e32 v42, v0
	s_mov_b32 s23, 0
	.p2align	6
.LBB79_228:                             ; =>This Inner Loop Header: Depth=1
	s_clause 0x3
	buffer_load_dword v48, v41, s[0:3], 0 offen offset:8
	buffer_load_dword v49, v41, s[0:3], 0 offen offset:12
	buffer_load_dword v50, v41, s[0:3], 0 offen
	buffer_load_dword v51, v41, s[0:3], 0 offen offset:4
	ds_read_b128 v[44:47], v40
	v_add_nc_u32_e32 v42, 1, v42
	v_add_nc_u32_e32 v40, 16, v40
	;; [unrolled: 1-line block ×3, first 2 shown]
	v_cmp_lt_u32_e32 vcc_lo, 12, v42
	s_or_b32 s23, vcc_lo, s23
	s_waitcnt vmcnt(2) lgkmcnt(0)
	v_mul_f64 v[52:53], v[46:47], v[48:49]
	v_mul_f64 v[48:49], v[44:45], v[48:49]
	s_waitcnt vmcnt(0)
	v_fma_f64 v[44:45], v[44:45], v[50:51], -v[52:53]
	v_fma_f64 v[46:47], v[46:47], v[50:51], v[48:49]
	v_add_f64 v[1:2], v[1:2], v[44:45]
	v_add_f64 v[3:4], v[3:4], v[46:47]
	s_andn2_b32 exec_lo, exec_lo, s23
	s_cbranch_execnz .LBB79_228
; %bb.229:
	s_or_b32 exec_lo, exec_lo, s23
.LBB79_230:
	s_or_b32 exec_lo, exec_lo, s8
	v_mov_b32_e32 v40, 0
	ds_read_b128 v[44:47], v40 offset:224
	s_waitcnt lgkmcnt(0)
	v_mul_f64 v[40:41], v[3:4], v[46:47]
	v_mul_f64 v[46:47], v[1:2], v[46:47]
	v_fma_f64 v[1:2], v[1:2], v[44:45], -v[40:41]
	v_fma_f64 v[3:4], v[3:4], v[44:45], v[46:47]
	buffer_store_dword v2, off, s[0:3], 0 offset:228
	buffer_store_dword v1, off, s[0:3], 0 offset:224
	;; [unrolled: 1-line block ×4, first 2 shown]
.LBB79_231:
	s_or_b32 exec_lo, exec_lo, s6
	v_mov_b32_e32 v4, s7
	s_mov_b32 s6, exec_lo
                                        ; implicit-def: $sgpr24
	s_clause 0x3
	buffer_load_dword v1, v4, s[0:3], 0 offen
	buffer_load_dword v2, v4, s[0:3], 0 offen offset:4
	buffer_load_dword v3, v4, s[0:3], 0 offen offset:8
	;; [unrolled: 1-line block ×3, first 2 shown]
	s_waitcnt vmcnt(0)
	ds_write_b128 v38, v[1:4]
	s_waitcnt lgkmcnt(0)
	s_waitcnt_vscnt null, 0x0
	s_barrier
	buffer_gl0_inv
                                        ; implicit-def: $vgpr1_vgpr2
	v_cmpx_ne_u32_e32 15, v0
	s_cbranch_execz .LBB79_239
; %bb.232:
	ds_read_b128 v[1:4], v38
	v_cmp_ne_u32_e32 vcc_lo, 1, v39
	s_cbranch_vccnz .LBB79_234
; %bb.233:
	s_clause 0x3
	buffer_load_dword v38, v37, s[0:3], 0 offen offset:8
	buffer_load_dword v39, v37, s[0:3], 0 offen offset:12
	buffer_load_dword v40, v37, s[0:3], 0 offen
	buffer_load_dword v41, v37, s[0:3], 0 offen offset:4
	s_waitcnt vmcnt(2) lgkmcnt(0)
	v_mul_f64 v[44:45], v[3:4], v[38:39]
	v_mul_f64 v[37:38], v[1:2], v[38:39]
	s_waitcnt vmcnt(0)
	v_fma_f64 v[1:2], v[1:2], v[40:41], -v[44:45]
	v_fma_f64 v[3:4], v[3:4], v[40:41], v[37:38]
.LBB79_234:
	s_and_saveexec_b32 s8, s4
	s_cbranch_execz .LBB79_238
; %bb.235:
	v_add_nc_u32_e32 v37, 0x110, v43
	v_add3_u32 v38, 0, v43, 16
	s_mov_b32 s4, 0
	.p2align	6
.LBB79_236:                             ; =>This Inner Loop Header: Depth=1
	s_clause 0x3
	buffer_load_dword v43, v38, s[0:3], 0 offen offset:8
	buffer_load_dword v44, v38, s[0:3], 0 offen offset:12
	buffer_load_dword v45, v38, s[0:3], 0 offen
	buffer_load_dword v46, v38, s[0:3], 0 offen offset:4
	ds_read_b128 v[39:42], v37
	v_add_nc_u32_e32 v0, 1, v0
	v_add_nc_u32_e32 v37, 16, v37
	;; [unrolled: 1-line block ×3, first 2 shown]
	v_cmp_lt_u32_e32 vcc_lo, 13, v0
	s_or_b32 s4, vcc_lo, s4
	s_waitcnt vmcnt(2) lgkmcnt(0)
	v_mul_f64 v[47:48], v[41:42], v[43:44]
	v_mul_f64 v[43:44], v[39:40], v[43:44]
	s_waitcnt vmcnt(0)
	v_fma_f64 v[39:40], v[39:40], v[45:46], -v[47:48]
	v_fma_f64 v[41:42], v[41:42], v[45:46], v[43:44]
	v_add_f64 v[1:2], v[1:2], v[39:40]
	v_add_f64 v[3:4], v[3:4], v[41:42]
	s_andn2_b32 exec_lo, exec_lo, s4
	s_cbranch_execnz .LBB79_236
; %bb.237:
	s_or_b32 exec_lo, exec_lo, s4
.LBB79_238:
	s_or_b32 exec_lo, exec_lo, s8
	v_mov_b32_e32 v0, 0
	s_movk_i32 s24, 0xf8
	s_or_b32 s5, s5, exec_lo
	ds_read_b128 v[37:40], v0 offset:240
	s_waitcnt lgkmcnt(0)
	v_mul_f64 v[41:42], v[3:4], v[39:40]
	v_mul_f64 v[39:40], v[1:2], v[39:40]
	v_fma_f64 v[41:42], v[1:2], v[37:38], -v[41:42]
	v_fma_f64 v[1:2], v[3:4], v[37:38], v[39:40]
	buffer_store_dword v42, off, s[0:3], 0 offset:244
	buffer_store_dword v41, off, s[0:3], 0 offset:240
.LBB79_239:
	s_or_b32 exec_lo, exec_lo, s6
.LBB79_240:
	s_and_saveexec_b32 s4, s5
	s_cbranch_execz .LBB79_242
; %bb.241:
	v_mov_b32_e32 v0, s24
	buffer_store_dword v2, v0, s[0:3], 0 offen offset:4
	buffer_store_dword v1, v0, s[0:3], 0 offen
.LBB79_242:
	s_or_b32 exec_lo, exec_lo, s4
	s_clause 0x3
	buffer_load_dword v0, off, s[0:3], 0
	buffer_load_dword v1, off, s[0:3], 0 offset:4
	buffer_load_dword v2, off, s[0:3], 0 offset:8
	;; [unrolled: 1-line block ×3, first 2 shown]
	v_mov_b32_e32 v4, s22
	s_waitcnt vmcnt(0)
	flat_store_dwordx4 v[5:6], v[0:3]
	s_clause 0x3
	buffer_load_dword v0, v4, s[0:3], 0 offen
	buffer_load_dword v1, v4, s[0:3], 0 offen offset:4
	buffer_load_dword v2, v4, s[0:3], 0 offen offset:8
	buffer_load_dword v3, v4, s[0:3], 0 offen offset:12
	v_mov_b32_e32 v4, s21
	s_waitcnt vmcnt(0)
	flat_store_dwordx4 v[7:8], v[0:3]
	s_clause 0x3
	buffer_load_dword v0, v4, s[0:3], 0 offen
	buffer_load_dword v1, v4, s[0:3], 0 offen offset:4
	buffer_load_dword v2, v4, s[0:3], 0 offen offset:8
	buffer_load_dword v3, v4, s[0:3], 0 offen offset:12
	;; [unrolled: 8-line block ×15, first 2 shown]
	s_waitcnt vmcnt(0)
	flat_store_dwordx4 v[35:36], v[0:3]
.LBB79_243:
	s_endpgm
	.section	.rodata,"a",@progbits
	.p2align	6, 0x0
	.amdhsa_kernel _ZN9rocsolver6v33100L18trti2_kernel_smallILi16E19rocblas_complex_numIdEPKPS3_EEv13rocblas_fill_17rocblas_diagonal_T1_iil
		.amdhsa_group_segment_fixed_size 512
		.amdhsa_private_segment_fixed_size 272
		.amdhsa_kernarg_size 32
		.amdhsa_user_sgpr_count 6
		.amdhsa_user_sgpr_private_segment_buffer 1
		.amdhsa_user_sgpr_dispatch_ptr 0
		.amdhsa_user_sgpr_queue_ptr 0
		.amdhsa_user_sgpr_kernarg_segment_ptr 1
		.amdhsa_user_sgpr_dispatch_id 0
		.amdhsa_user_sgpr_flat_scratch_init 0
		.amdhsa_user_sgpr_private_segment_size 0
		.amdhsa_wavefront_size32 1
		.amdhsa_uses_dynamic_stack 0
		.amdhsa_system_sgpr_private_segment_wavefront_offset 1
		.amdhsa_system_sgpr_workgroup_id_x 1
		.amdhsa_system_sgpr_workgroup_id_y 0
		.amdhsa_system_sgpr_workgroup_id_z 0
		.amdhsa_system_sgpr_workgroup_info 0
		.amdhsa_system_vgpr_workitem_id 0
		.amdhsa_next_free_vgpr 54
		.amdhsa_next_free_sgpr 28
		.amdhsa_reserve_vcc 1
		.amdhsa_reserve_flat_scratch 0
		.amdhsa_float_round_mode_32 0
		.amdhsa_float_round_mode_16_64 0
		.amdhsa_float_denorm_mode_32 3
		.amdhsa_float_denorm_mode_16_64 3
		.amdhsa_dx10_clamp 1
		.amdhsa_ieee_mode 1
		.amdhsa_fp16_overflow 0
		.amdhsa_workgroup_processor_mode 1
		.amdhsa_memory_ordered 1
		.amdhsa_forward_progress 1
		.amdhsa_shared_vgpr_count 0
		.amdhsa_exception_fp_ieee_invalid_op 0
		.amdhsa_exception_fp_denorm_src 0
		.amdhsa_exception_fp_ieee_div_zero 0
		.amdhsa_exception_fp_ieee_overflow 0
		.amdhsa_exception_fp_ieee_underflow 0
		.amdhsa_exception_fp_ieee_inexact 0
		.amdhsa_exception_int_div_zero 0
	.end_amdhsa_kernel
	.section	.text._ZN9rocsolver6v33100L18trti2_kernel_smallILi16E19rocblas_complex_numIdEPKPS3_EEv13rocblas_fill_17rocblas_diagonal_T1_iil,"axG",@progbits,_ZN9rocsolver6v33100L18trti2_kernel_smallILi16E19rocblas_complex_numIdEPKPS3_EEv13rocblas_fill_17rocblas_diagonal_T1_iil,comdat
.Lfunc_end79:
	.size	_ZN9rocsolver6v33100L18trti2_kernel_smallILi16E19rocblas_complex_numIdEPKPS3_EEv13rocblas_fill_17rocblas_diagonal_T1_iil, .Lfunc_end79-_ZN9rocsolver6v33100L18trti2_kernel_smallILi16E19rocblas_complex_numIdEPKPS3_EEv13rocblas_fill_17rocblas_diagonal_T1_iil
                                        ; -- End function
	.set _ZN9rocsolver6v33100L18trti2_kernel_smallILi16E19rocblas_complex_numIdEPKPS3_EEv13rocblas_fill_17rocblas_diagonal_T1_iil.num_vgpr, 54
	.set _ZN9rocsolver6v33100L18trti2_kernel_smallILi16E19rocblas_complex_numIdEPKPS3_EEv13rocblas_fill_17rocblas_diagonal_T1_iil.num_agpr, 0
	.set _ZN9rocsolver6v33100L18trti2_kernel_smallILi16E19rocblas_complex_numIdEPKPS3_EEv13rocblas_fill_17rocblas_diagonal_T1_iil.numbered_sgpr, 28
	.set _ZN9rocsolver6v33100L18trti2_kernel_smallILi16E19rocblas_complex_numIdEPKPS3_EEv13rocblas_fill_17rocblas_diagonal_T1_iil.num_named_barrier, 0
	.set _ZN9rocsolver6v33100L18trti2_kernel_smallILi16E19rocblas_complex_numIdEPKPS3_EEv13rocblas_fill_17rocblas_diagonal_T1_iil.private_seg_size, 272
	.set _ZN9rocsolver6v33100L18trti2_kernel_smallILi16E19rocblas_complex_numIdEPKPS3_EEv13rocblas_fill_17rocblas_diagonal_T1_iil.uses_vcc, 1
	.set _ZN9rocsolver6v33100L18trti2_kernel_smallILi16E19rocblas_complex_numIdEPKPS3_EEv13rocblas_fill_17rocblas_diagonal_T1_iil.uses_flat_scratch, 0
	.set _ZN9rocsolver6v33100L18trti2_kernel_smallILi16E19rocblas_complex_numIdEPKPS3_EEv13rocblas_fill_17rocblas_diagonal_T1_iil.has_dyn_sized_stack, 0
	.set _ZN9rocsolver6v33100L18trti2_kernel_smallILi16E19rocblas_complex_numIdEPKPS3_EEv13rocblas_fill_17rocblas_diagonal_T1_iil.has_recursion, 0
	.set _ZN9rocsolver6v33100L18trti2_kernel_smallILi16E19rocblas_complex_numIdEPKPS3_EEv13rocblas_fill_17rocblas_diagonal_T1_iil.has_indirect_call, 0
	.section	.AMDGPU.csdata,"",@progbits
; Kernel info:
; codeLenInByte = 15860
; TotalNumSgprs: 30
; NumVgprs: 54
; ScratchSize: 272
; MemoryBound: 0
; FloatMode: 240
; IeeeMode: 1
; LDSByteSize: 512 bytes/workgroup (compile time only)
; SGPRBlocks: 0
; VGPRBlocks: 6
; NumSGPRsForWavesPerEU: 30
; NumVGPRsForWavesPerEU: 54
; Occupancy: 16
; WaveLimiterHint : 1
; COMPUTE_PGM_RSRC2:SCRATCH_EN: 1
; COMPUTE_PGM_RSRC2:USER_SGPR: 6
; COMPUTE_PGM_RSRC2:TRAP_HANDLER: 0
; COMPUTE_PGM_RSRC2:TGID_X_EN: 1
; COMPUTE_PGM_RSRC2:TGID_Y_EN: 0
; COMPUTE_PGM_RSRC2:TGID_Z_EN: 0
; COMPUTE_PGM_RSRC2:TIDIG_COMP_CNT: 0
	.section	.text._ZN9rocsolver6v33100L18trti2_kernel_smallILi17E19rocblas_complex_numIdEPKPS3_EEv13rocblas_fill_17rocblas_diagonal_T1_iil,"axG",@progbits,_ZN9rocsolver6v33100L18trti2_kernel_smallILi17E19rocblas_complex_numIdEPKPS3_EEv13rocblas_fill_17rocblas_diagonal_T1_iil,comdat
	.globl	_ZN9rocsolver6v33100L18trti2_kernel_smallILi17E19rocblas_complex_numIdEPKPS3_EEv13rocblas_fill_17rocblas_diagonal_T1_iil ; -- Begin function _ZN9rocsolver6v33100L18trti2_kernel_smallILi17E19rocblas_complex_numIdEPKPS3_EEv13rocblas_fill_17rocblas_diagonal_T1_iil
	.p2align	8
	.type	_ZN9rocsolver6v33100L18trti2_kernel_smallILi17E19rocblas_complex_numIdEPKPS3_EEv13rocblas_fill_17rocblas_diagonal_T1_iil,@function
_ZN9rocsolver6v33100L18trti2_kernel_smallILi17E19rocblas_complex_numIdEPKPS3_EEv13rocblas_fill_17rocblas_diagonal_T1_iil: ; @_ZN9rocsolver6v33100L18trti2_kernel_smallILi17E19rocblas_complex_numIdEPKPS3_EEv13rocblas_fill_17rocblas_diagonal_T1_iil
; %bb.0:
	s_add_u32 s0, s0, s7
	s_addc_u32 s1, s1, 0
	s_mov_b32 s7, exec_lo
	v_cmpx_gt_u32_e32 17, v0
	s_cbranch_execz .LBB80_259
; %bb.1:
	s_clause 0x1
	s_load_dwordx2 s[12:13], s[4:5], 0x10
	s_load_dwordx4 s[8:11], s[4:5], 0x0
	s_ashr_i32 s7, s6, 31
	v_lshlrev_b32_e32 v45, 4, v0
	s_lshl_b64 s[4:5], s[6:7], 3
	s_movk_i32 s24, 0xc0
	s_movk_i32 s25, 0xd0
	;; [unrolled: 1-line block ×5, first 2 shown]
	s_waitcnt lgkmcnt(0)
	s_ashr_i32 s7, s12, 31
	s_add_u32 s4, s10, s4
	s_addc_u32 s5, s11, s5
	s_mov_b32 s6, s12
	s_load_dwordx2 s[4:5], s[4:5], 0x0
	s_lshl_b64 s[6:7], s[6:7], 4
	v_add3_u32 v11, s13, s13, v0
	s_movk_i32 s10, 0x90
	s_movk_i32 s11, 0xa0
	;; [unrolled: 1-line block ×3, first 2 shown]
	v_ashrrev_i32_e32 v12, 31, v11
	v_add_nc_u32_e32 v13, s13, v11
	v_lshlrev_b64 v[9:10], 4, v[11:12]
	v_ashrrev_i32_e32 v14, 31, v13
	v_add_nc_u32_e32 v15, s13, v13
	v_lshlrev_b64 v[11:12], 4, v[13:14]
	v_ashrrev_i32_e32 v16, 31, v15
	s_waitcnt lgkmcnt(0)
	s_add_u32 s4, s4, s6
	s_addc_u32 s5, s5, s7
	v_add_co_u32 v5, s6, s4, v45
	v_add_co_ci_u32_e64 v6, null, s5, 0, s6
	s_mov_b32 s6, s13
	s_ashr_i32 s7, s13, 31
	v_lshlrev_b64 v[13:14], 4, v[15:16]
	flat_load_dwordx4 v[1:4], v[5:6]
	s_lshl_b64 s[6:7], s[6:7], 4
	v_add_nc_u32_e32 v17, s13, v15
	v_add_co_u32 v7, vcc_lo, v5, s6
	v_add_co_ci_u32_e64 v8, null, s7, v6, vcc_lo
	v_add_co_u32 v9, vcc_lo, s4, v9
	v_add_co_ci_u32_e64 v10, null, s5, v10, vcc_lo
	;; [unrolled: 2-line block ×4, first 2 shown]
	v_ashrrev_i32_e32 v18, 31, v17
	v_add_nc_u32_e32 v19, s13, v17
	s_cmpk_lg_i32 s9, 0x84
	s_movk_i32 s6, 0x70
	s_movk_i32 s7, 0x80
	v_lshlrev_b64 v[15:16], 4, v[17:18]
	v_ashrrev_i32_e32 v20, 31, v19
	v_add_nc_u32_e32 v21, s13, v19
	s_cselect_b32 s23, -1, 0
	s_cmpk_eq_i32 s9, 0x84
	s_waitcnt vmcnt(0) lgkmcnt(0)
	buffer_store_dword v4, off, s[0:3], 0 offset:12
	buffer_store_dword v3, off, s[0:3], 0 offset:8
	;; [unrolled: 1-line block ×3, first 2 shown]
	buffer_store_dword v1, off, s[0:3], 0
	flat_load_dwordx4 v[1:4], v[7:8]
	v_add_co_u32 v15, vcc_lo, s4, v15
	v_add_co_ci_u32_e64 v16, null, s5, v16, vcc_lo
	v_lshlrev_b64 v[17:18], 4, v[19:20]
	v_ashrrev_i32_e32 v22, 31, v21
	v_add_nc_u32_e32 v23, s13, v21
	s_waitcnt vmcnt(0) lgkmcnt(0)
	buffer_store_dword v4, off, s[0:3], 0 offset:28
	buffer_store_dword v3, off, s[0:3], 0 offset:24
	buffer_store_dword v2, off, s[0:3], 0 offset:20
	buffer_store_dword v1, off, s[0:3], 0 offset:16
	flat_load_dwordx4 v[1:4], v[9:10]
	v_add_co_u32 v17, vcc_lo, s4, v17
	v_add_co_ci_u32_e64 v18, null, s5, v18, vcc_lo
	v_lshlrev_b64 v[19:20], 4, v[21:22]
	v_ashrrev_i32_e32 v24, 31, v23
	v_add_nc_u32_e32 v25, s13, v23
	s_waitcnt vmcnt(0) lgkmcnt(0)
	buffer_store_dword v4, off, s[0:3], 0 offset:44
	buffer_store_dword v3, off, s[0:3], 0 offset:40
	buffer_store_dword v2, off, s[0:3], 0 offset:36
	buffer_store_dword v1, off, s[0:3], 0 offset:32
	;; [unrolled: 11-line block ×8, first 2 shown]
	flat_load_dwordx4 v[1:4], v[23:24]
	v_add_co_u32 v31, vcc_lo, s4, v31
	v_add_co_ci_u32_e64 v32, null, s5, v32, vcc_lo
	v_lshlrev_b64 v[33:34], 4, v[35:36]
	v_ashrrev_i32_e32 v38, 31, v37
	s_waitcnt vmcnt(0) lgkmcnt(0)
	buffer_store_dword v4, off, s[0:3], 0 offset:156
	buffer_store_dword v3, off, s[0:3], 0 offset:152
	;; [unrolled: 1-line block ×4, first 2 shown]
	flat_load_dwordx4 v[1:4], v[25:26]
	v_add_co_u32 v33, vcc_lo, s4, v33
	v_add_co_ci_u32_e64 v34, null, s5, v34, vcc_lo
	v_lshlrev_b64 v[35:36], 4, v[37:38]
	v_add_nc_u32_e32 v37, s13, v37
	s_waitcnt vmcnt(0) lgkmcnt(0)
	buffer_store_dword v4, off, s[0:3], 0 offset:172
	buffer_store_dword v3, off, s[0:3], 0 offset:168
	;; [unrolled: 1-line block ×4, first 2 shown]
	flat_load_dwordx4 v[1:4], v[27:28]
	v_add_co_u32 v35, vcc_lo, s4, v35
	v_add_co_ci_u32_e64 v36, null, s5, v36, vcc_lo
	v_ashrrev_i32_e32 v38, 31, v37
	s_waitcnt vmcnt(0) lgkmcnt(0)
	buffer_store_dword v4, off, s[0:3], 0 offset:188
	buffer_store_dword v3, off, s[0:3], 0 offset:184
	;; [unrolled: 1-line block ×4, first 2 shown]
	flat_load_dwordx4 v[1:4], v[29:30]
	v_lshlrev_b64 v[37:38], 4, v[37:38]
	s_waitcnt vmcnt(0) lgkmcnt(0)
	buffer_store_dword v4, off, s[0:3], 0 offset:204
	buffer_store_dword v3, off, s[0:3], 0 offset:200
	;; [unrolled: 1-line block ×4, first 2 shown]
	flat_load_dwordx4 v[1:4], v[31:32]
	v_add_co_u32 v37, vcc_lo, s4, v37
	v_add_co_ci_u32_e64 v38, null, s5, v38, vcc_lo
	s_movk_i32 s4, 0x50
	s_movk_i32 s5, 0x60
	s_waitcnt vmcnt(0) lgkmcnt(0)
	buffer_store_dword v4, off, s[0:3], 0 offset:220
	buffer_store_dword v3, off, s[0:3], 0 offset:216
	buffer_store_dword v2, off, s[0:3], 0 offset:212
	buffer_store_dword v1, off, s[0:3], 0 offset:208
	flat_load_dwordx4 v[1:4], v[33:34]
	s_waitcnt vmcnt(0) lgkmcnt(0)
	buffer_store_dword v4, off, s[0:3], 0 offset:236
	buffer_store_dword v3, off, s[0:3], 0 offset:232
	buffer_store_dword v2, off, s[0:3], 0 offset:228
	buffer_store_dword v1, off, s[0:3], 0 offset:224
	flat_load_dwordx4 v[1:4], v[35:36]
	;; [unrolled: 6-line block ×3, first 2 shown]
	s_waitcnt vmcnt(0) lgkmcnt(0)
	buffer_store_dword v4, off, s[0:3], 0 offset:268
	buffer_store_dword v3, off, s[0:3], 0 offset:264
	;; [unrolled: 1-line block ×4, first 2 shown]
	s_cbranch_scc1 .LBB80_7
; %bb.2:
	v_lshl_add_u32 v46, v0, 4, 0
                                        ; implicit-def: $vgpr41_vgpr42
                                        ; implicit-def: $vgpr3_vgpr4
	s_clause 0x3
	buffer_load_dword v39, v46, s[0:3], 0 offen
	buffer_load_dword v40, v46, s[0:3], 0 offen offset:4
	buffer_load_dword v43, v46, s[0:3], 0 offen offset:8
	buffer_load_dword v44, v46, s[0:3], 0 offen offset:12
	s_waitcnt vmcnt(0)
	v_cmp_ngt_f64_e64 s9, |v[39:40]|, |v[43:44]|
	s_and_saveexec_b32 s13, s9
	s_xor_b32 s9, exec_lo, s13
	s_cbranch_execz .LBB80_4
; %bb.3:
	v_div_scale_f64 v[1:2], null, v[43:44], v[43:44], v[39:40]
	v_div_scale_f64 v[47:48], vcc_lo, v[39:40], v[43:44], v[39:40]
	v_rcp_f64_e32 v[3:4], v[1:2]
	v_fma_f64 v[41:42], -v[1:2], v[3:4], 1.0
	v_fma_f64 v[3:4], v[3:4], v[41:42], v[3:4]
	v_fma_f64 v[41:42], -v[1:2], v[3:4], 1.0
	v_fma_f64 v[3:4], v[3:4], v[41:42], v[3:4]
	v_mul_f64 v[41:42], v[47:48], v[3:4]
	v_fma_f64 v[1:2], -v[1:2], v[41:42], v[47:48]
	v_div_fmas_f64 v[1:2], v[1:2], v[3:4], v[41:42]
	v_div_fixup_f64 v[1:2], v[1:2], v[43:44], v[39:40]
	v_fma_f64 v[3:4], v[39:40], v[1:2], v[43:44]
	v_div_scale_f64 v[39:40], null, v[3:4], v[3:4], 1.0
	v_div_scale_f64 v[47:48], vcc_lo, 1.0, v[3:4], 1.0
	v_rcp_f64_e32 v[41:42], v[39:40]
	v_fma_f64 v[43:44], -v[39:40], v[41:42], 1.0
	v_fma_f64 v[41:42], v[41:42], v[43:44], v[41:42]
	v_fma_f64 v[43:44], -v[39:40], v[41:42], 1.0
	v_fma_f64 v[41:42], v[41:42], v[43:44], v[41:42]
	v_mul_f64 v[43:44], v[47:48], v[41:42]
	v_fma_f64 v[39:40], -v[39:40], v[43:44], v[47:48]
	v_div_fmas_f64 v[39:40], v[39:40], v[41:42], v[43:44]
                                        ; implicit-def: $vgpr43_vgpr44
	v_div_fixup_f64 v[3:4], v[39:40], v[3:4], 1.0
                                        ; implicit-def: $vgpr39_vgpr40
	v_mul_f64 v[41:42], v[1:2], v[3:4]
	v_xor_b32_e32 v4, 0x80000000, v4
	v_xor_b32_e32 v2, 0x80000000, v42
	v_mov_b32_e32 v1, v41
.LBB80_4:
	s_andn2_saveexec_b32 s9, s9
	s_cbranch_execz .LBB80_6
; %bb.5:
	v_div_scale_f64 v[1:2], null, v[39:40], v[39:40], v[43:44]
	v_div_scale_f64 v[47:48], vcc_lo, v[43:44], v[39:40], v[43:44]
	v_rcp_f64_e32 v[3:4], v[1:2]
	v_fma_f64 v[41:42], -v[1:2], v[3:4], 1.0
	v_fma_f64 v[3:4], v[3:4], v[41:42], v[3:4]
	v_fma_f64 v[41:42], -v[1:2], v[3:4], 1.0
	v_fma_f64 v[3:4], v[3:4], v[41:42], v[3:4]
	v_mul_f64 v[41:42], v[47:48], v[3:4]
	v_fma_f64 v[1:2], -v[1:2], v[41:42], v[47:48]
	v_div_fmas_f64 v[1:2], v[1:2], v[3:4], v[41:42]
	v_div_fixup_f64 v[1:2], v[1:2], v[39:40], v[43:44]
	v_fma_f64 v[3:4], v[43:44], v[1:2], v[39:40]
	v_div_scale_f64 v[39:40], null, v[3:4], v[3:4], 1.0
	v_rcp_f64_e32 v[41:42], v[39:40]
	v_fma_f64 v[43:44], -v[39:40], v[41:42], 1.0
	v_fma_f64 v[41:42], v[41:42], v[43:44], v[41:42]
	v_fma_f64 v[43:44], -v[39:40], v[41:42], 1.0
	v_fma_f64 v[41:42], v[41:42], v[43:44], v[41:42]
	v_div_scale_f64 v[43:44], vcc_lo, 1.0, v[3:4], 1.0
	v_mul_f64 v[47:48], v[43:44], v[41:42]
	v_fma_f64 v[39:40], -v[39:40], v[47:48], v[43:44]
	v_div_fmas_f64 v[39:40], v[39:40], v[41:42], v[47:48]
	v_div_fixup_f64 v[41:42], v[39:40], v[3:4], 1.0
	v_mul_f64 v[3:4], v[1:2], -v[41:42]
	v_xor_b32_e32 v2, 0x80000000, v42
	v_mov_b32_e32 v1, v41
.LBB80_6:
	s_or_b32 exec_lo, exec_lo, s9
	buffer_store_dword v4, v46, s[0:3], 0 offen offset:12
	v_xor_b32_e32 v4, 0x80000000, v4
	buffer_store_dword v42, v46, s[0:3], 0 offen offset:4
	buffer_store_dword v41, v46, s[0:3], 0 offen
	buffer_store_dword v3, v46, s[0:3], 0 offen offset:8
	s_branch .LBB80_8
.LBB80_7:
	v_mov_b32_e32 v1, 0
	v_mov_b32_e32 v3, 0
	;; [unrolled: 1-line block ×4, first 2 shown]
.LBB80_8:
	v_add_nc_u32_e32 v40, 0x110, v45
	v_mov_b32_e32 v39, v45
	s_mov_b32 s22, 16
	s_mov_b32 s21, 32
	;; [unrolled: 1-line block ×15, first 2 shown]
	s_cmpk_eq_i32 s8, 0x79
	ds_write_b128 v45, v[1:4]
	s_cbranch_scc1 .LBB80_132
; %bb.9:
	v_mov_b32_e32 v4, s7
	v_cmp_eq_u32_e64 s4, 16, v0
	s_clause 0x3
	buffer_load_dword v1, v4, s[0:3], 0 offen
	buffer_load_dword v2, v4, s[0:3], 0 offen offset:4
	buffer_load_dword v3, v4, s[0:3], 0 offen offset:8
	buffer_load_dword v4, v4, s[0:3], 0 offen offset:12
	s_waitcnt vmcnt(0)
	ds_write_b128 v40, v[1:4]
	s_waitcnt lgkmcnt(0)
	s_waitcnt_vscnt null, 0x0
	s_barrier
	buffer_gl0_inv
	s_and_saveexec_b32 s5, s4
	s_cbranch_execz .LBB80_13
; %bb.10:
	ds_read_b128 v[1:4], v40
	s_andn2_b32 vcc_lo, exec_lo, s23
	s_cbranch_vccnz .LBB80_12
; %bb.11:
	s_clause 0x3
	buffer_load_dword v41, v39, s[0:3], 0 offen offset:8
	buffer_load_dword v42, v39, s[0:3], 0 offen offset:12
	buffer_load_dword v43, v39, s[0:3], 0 offen
	buffer_load_dword v44, v39, s[0:3], 0 offen offset:4
	s_waitcnt vmcnt(2) lgkmcnt(0)
	v_mul_f64 v[46:47], v[3:4], v[41:42]
	v_mul_f64 v[41:42], v[1:2], v[41:42]
	s_waitcnt vmcnt(0)
	v_fma_f64 v[1:2], v[1:2], v[43:44], -v[46:47]
	v_fma_f64 v[3:4], v[3:4], v[43:44], v[41:42]
.LBB80_12:
	v_mov_b32_e32 v41, 0
	ds_read_b128 v[41:44], v41 offset:240
	s_waitcnt lgkmcnt(0)
	v_mul_f64 v[46:47], v[3:4], v[43:44]
	v_mul_f64 v[43:44], v[1:2], v[43:44]
	v_fma_f64 v[1:2], v[1:2], v[41:42], -v[46:47]
	v_fma_f64 v[3:4], v[3:4], v[41:42], v[43:44]
	buffer_store_dword v2, off, s[0:3], 0 offset:244
	buffer_store_dword v1, off, s[0:3], 0 offset:240
	;; [unrolled: 1-line block ×4, first 2 shown]
.LBB80_13:
	s_or_b32 exec_lo, exec_lo, s5
	v_mov_b32_e32 v4, s9
	v_cmp_lt_u32_e64 s5, 14, v0
	s_clause 0x3
	buffer_load_dword v1, v4, s[0:3], 0 offen
	buffer_load_dword v2, v4, s[0:3], 0 offen offset:4
	buffer_load_dword v3, v4, s[0:3], 0 offen offset:8
	;; [unrolled: 1-line block ×3, first 2 shown]
	s_waitcnt vmcnt(0)
	ds_write_b128 v40, v[1:4]
	s_waitcnt lgkmcnt(0)
	s_waitcnt_vscnt null, 0x0
	s_barrier
	buffer_gl0_inv
	s_and_saveexec_b32 s8, s5
	s_cbranch_execz .LBB80_19
; %bb.14:
	ds_read_b128 v[1:4], v40
	s_andn2_b32 vcc_lo, exec_lo, s23
	s_cbranch_vccnz .LBB80_16
; %bb.15:
	s_clause 0x3
	buffer_load_dword v41, v39, s[0:3], 0 offen offset:8
	buffer_load_dword v42, v39, s[0:3], 0 offen offset:12
	buffer_load_dword v43, v39, s[0:3], 0 offen
	buffer_load_dword v44, v39, s[0:3], 0 offen offset:4
	s_waitcnt vmcnt(2) lgkmcnt(0)
	v_mul_f64 v[46:47], v[3:4], v[41:42]
	v_mul_f64 v[41:42], v[1:2], v[41:42]
	s_waitcnt vmcnt(0)
	v_fma_f64 v[1:2], v[1:2], v[43:44], -v[46:47]
	v_fma_f64 v[3:4], v[3:4], v[43:44], v[41:42]
.LBB80_16:
	s_and_saveexec_b32 s24, s4
	s_cbranch_execz .LBB80_18
; %bb.17:
	s_clause 0x3
	buffer_load_dword v46, off, s[0:3], 0 offset:248
	buffer_load_dword v47, off, s[0:3], 0 offset:252
	;; [unrolled: 1-line block ×4, first 2 shown]
	v_mov_b32_e32 v41, 0
	ds_read_b128 v[41:44], v41 offset:512
	s_waitcnt vmcnt(2) lgkmcnt(0)
	v_mul_f64 v[50:51], v[41:42], v[46:47]
	v_mul_f64 v[46:47], v[43:44], v[46:47]
	s_waitcnt vmcnt(0)
	v_fma_f64 v[43:44], v[43:44], v[48:49], v[50:51]
	v_fma_f64 v[41:42], v[41:42], v[48:49], -v[46:47]
	v_add_f64 v[3:4], v[3:4], v[43:44]
	v_add_f64 v[1:2], v[1:2], v[41:42]
.LBB80_18:
	s_or_b32 exec_lo, exec_lo, s24
	v_mov_b32_e32 v41, 0
	ds_read_b128 v[41:44], v41 offset:224
	s_waitcnt lgkmcnt(0)
	v_mul_f64 v[46:47], v[3:4], v[43:44]
	v_mul_f64 v[43:44], v[1:2], v[43:44]
	v_fma_f64 v[1:2], v[1:2], v[41:42], -v[46:47]
	v_fma_f64 v[3:4], v[3:4], v[41:42], v[43:44]
	buffer_store_dword v2, off, s[0:3], 0 offset:228
	buffer_store_dword v1, off, s[0:3], 0 offset:224
	;; [unrolled: 1-line block ×4, first 2 shown]
.LBB80_19:
	s_or_b32 exec_lo, exec_lo, s8
	v_mov_b32_e32 v4, s10
	v_cmp_lt_u32_e64 s4, 13, v0
	s_clause 0x3
	buffer_load_dword v1, v4, s[0:3], 0 offen
	buffer_load_dword v2, v4, s[0:3], 0 offen offset:4
	buffer_load_dword v3, v4, s[0:3], 0 offen offset:8
	;; [unrolled: 1-line block ×3, first 2 shown]
	s_waitcnt vmcnt(0)
	ds_write_b128 v40, v[1:4]
	s_waitcnt lgkmcnt(0)
	s_waitcnt_vscnt null, 0x0
	s_barrier
	buffer_gl0_inv
	s_and_saveexec_b32 s8, s4
	s_cbranch_execz .LBB80_27
; %bb.20:
	ds_read_b128 v[1:4], v40
	s_andn2_b32 vcc_lo, exec_lo, s23
	s_cbranch_vccnz .LBB80_22
; %bb.21:
	s_clause 0x3
	buffer_load_dword v41, v39, s[0:3], 0 offen offset:8
	buffer_load_dword v42, v39, s[0:3], 0 offen offset:12
	buffer_load_dword v43, v39, s[0:3], 0 offen
	buffer_load_dword v44, v39, s[0:3], 0 offen offset:4
	s_waitcnt vmcnt(2) lgkmcnt(0)
	v_mul_f64 v[46:47], v[3:4], v[41:42]
	v_mul_f64 v[41:42], v[1:2], v[41:42]
	s_waitcnt vmcnt(0)
	v_fma_f64 v[1:2], v[1:2], v[43:44], -v[46:47]
	v_fma_f64 v[3:4], v[3:4], v[43:44], v[41:42]
.LBB80_22:
	s_and_saveexec_b32 s24, s5
	s_cbranch_execz .LBB80_26
; %bb.23:
	v_add_nc_u32_e32 v41, -14, v0
	s_movk_i32 s25, 0x1f0
	s_mov_b32 s5, 0
	s_mov_b32 s26, s9
	.p2align	6
.LBB80_24:                              ; =>This Inner Loop Header: Depth=1
	v_mov_b32_e32 v44, s26
	v_add_nc_u32_e32 v41, -1, v41
	s_add_i32 s26, s26, 16
	s_clause 0x3
	buffer_load_dword v42, v44, s[0:3], 0 offen offset:8
	buffer_load_dword v43, v44, s[0:3], 0 offen offset:12
	buffer_load_dword v50, v44, s[0:3], 0 offen
	buffer_load_dword v51, v44, s[0:3], 0 offen offset:4
	v_mov_b32_e32 v44, s25
	v_cmp_eq_u32_e32 vcc_lo, 0, v41
	s_add_i32 s25, s25, 16
	ds_read_b128 v[46:49], v44
	s_or_b32 s5, vcc_lo, s5
	s_waitcnt vmcnt(2) lgkmcnt(0)
	v_mul_f64 v[52:53], v[48:49], v[42:43]
	v_mul_f64 v[42:43], v[46:47], v[42:43]
	s_waitcnt vmcnt(0)
	v_fma_f64 v[46:47], v[46:47], v[50:51], -v[52:53]
	v_fma_f64 v[42:43], v[48:49], v[50:51], v[42:43]
	v_add_f64 v[1:2], v[1:2], v[46:47]
	v_add_f64 v[3:4], v[3:4], v[42:43]
	s_andn2_b32 exec_lo, exec_lo, s5
	s_cbranch_execnz .LBB80_24
; %bb.25:
	s_or_b32 exec_lo, exec_lo, s5
.LBB80_26:
	s_or_b32 exec_lo, exec_lo, s24
	v_mov_b32_e32 v41, 0
	ds_read_b128 v[41:44], v41 offset:208
	s_waitcnt lgkmcnt(0)
	v_mul_f64 v[46:47], v[3:4], v[43:44]
	v_mul_f64 v[43:44], v[1:2], v[43:44]
	v_fma_f64 v[1:2], v[1:2], v[41:42], -v[46:47]
	v_fma_f64 v[3:4], v[3:4], v[41:42], v[43:44]
	buffer_store_dword v2, off, s[0:3], 0 offset:212
	buffer_store_dword v1, off, s[0:3], 0 offset:208
	;; [unrolled: 1-line block ×4, first 2 shown]
.LBB80_27:
	s_or_b32 exec_lo, exec_lo, s8
	v_mov_b32_e32 v4, s11
	v_cmp_lt_u32_e64 s5, 12, v0
	s_clause 0x3
	buffer_load_dword v1, v4, s[0:3], 0 offen
	buffer_load_dword v2, v4, s[0:3], 0 offen offset:4
	buffer_load_dword v3, v4, s[0:3], 0 offen offset:8
	buffer_load_dword v4, v4, s[0:3], 0 offen offset:12
	s_waitcnt vmcnt(0)
	ds_write_b128 v40, v[1:4]
	s_waitcnt lgkmcnt(0)
	s_waitcnt_vscnt null, 0x0
	s_barrier
	buffer_gl0_inv
	s_and_saveexec_b32 s8, s5
	s_cbranch_execz .LBB80_35
; %bb.28:
	ds_read_b128 v[1:4], v40
	s_andn2_b32 vcc_lo, exec_lo, s23
	s_cbranch_vccnz .LBB80_30
; %bb.29:
	s_clause 0x3
	buffer_load_dword v41, v39, s[0:3], 0 offen offset:8
	buffer_load_dword v42, v39, s[0:3], 0 offen offset:12
	buffer_load_dword v43, v39, s[0:3], 0 offen
	buffer_load_dword v44, v39, s[0:3], 0 offen offset:4
	s_waitcnt vmcnt(2) lgkmcnt(0)
	v_mul_f64 v[46:47], v[3:4], v[41:42]
	v_mul_f64 v[41:42], v[1:2], v[41:42]
	s_waitcnt vmcnt(0)
	v_fma_f64 v[1:2], v[1:2], v[43:44], -v[46:47]
	v_fma_f64 v[3:4], v[3:4], v[43:44], v[41:42]
.LBB80_30:
	s_and_saveexec_b32 s24, s4
	s_cbranch_execz .LBB80_34
; %bb.31:
	v_add_nc_u32_e32 v41, -13, v0
	s_movk_i32 s25, 0x1e0
	s_mov_b32 s4, 0
	s_mov_b32 s26, s10
	.p2align	6
.LBB80_32:                              ; =>This Inner Loop Header: Depth=1
	v_mov_b32_e32 v44, s26
	v_add_nc_u32_e32 v41, -1, v41
	s_add_i32 s26, s26, 16
	s_clause 0x3
	buffer_load_dword v42, v44, s[0:3], 0 offen offset:8
	buffer_load_dword v43, v44, s[0:3], 0 offen offset:12
	buffer_load_dword v50, v44, s[0:3], 0 offen
	buffer_load_dword v51, v44, s[0:3], 0 offen offset:4
	v_mov_b32_e32 v44, s25
	v_cmp_eq_u32_e32 vcc_lo, 0, v41
	s_add_i32 s25, s25, 16
	ds_read_b128 v[46:49], v44
	s_or_b32 s4, vcc_lo, s4
	s_waitcnt vmcnt(2) lgkmcnt(0)
	v_mul_f64 v[52:53], v[48:49], v[42:43]
	v_mul_f64 v[42:43], v[46:47], v[42:43]
	s_waitcnt vmcnt(0)
	v_fma_f64 v[46:47], v[46:47], v[50:51], -v[52:53]
	v_fma_f64 v[42:43], v[48:49], v[50:51], v[42:43]
	v_add_f64 v[1:2], v[1:2], v[46:47]
	v_add_f64 v[3:4], v[3:4], v[42:43]
	s_andn2_b32 exec_lo, exec_lo, s4
	s_cbranch_execnz .LBB80_32
; %bb.33:
	s_or_b32 exec_lo, exec_lo, s4
.LBB80_34:
	s_or_b32 exec_lo, exec_lo, s24
	v_mov_b32_e32 v41, 0
	ds_read_b128 v[41:44], v41 offset:192
	s_waitcnt lgkmcnt(0)
	v_mul_f64 v[46:47], v[3:4], v[43:44]
	v_mul_f64 v[43:44], v[1:2], v[43:44]
	v_fma_f64 v[1:2], v[1:2], v[41:42], -v[46:47]
	v_fma_f64 v[3:4], v[3:4], v[41:42], v[43:44]
	buffer_store_dword v2, off, s[0:3], 0 offset:196
	buffer_store_dword v1, off, s[0:3], 0 offset:192
	;; [unrolled: 1-line block ×4, first 2 shown]
.LBB80_35:
	s_or_b32 exec_lo, exec_lo, s8
	v_mov_b32_e32 v4, s12
	v_cmp_lt_u32_e64 s4, 11, v0
	s_clause 0x3
	buffer_load_dword v1, v4, s[0:3], 0 offen
	buffer_load_dword v2, v4, s[0:3], 0 offen offset:4
	buffer_load_dword v3, v4, s[0:3], 0 offen offset:8
	buffer_load_dword v4, v4, s[0:3], 0 offen offset:12
	s_waitcnt vmcnt(0)
	ds_write_b128 v40, v[1:4]
	s_waitcnt lgkmcnt(0)
	s_waitcnt_vscnt null, 0x0
	s_barrier
	buffer_gl0_inv
	s_and_saveexec_b32 s8, s4
	s_cbranch_execz .LBB80_43
; %bb.36:
	ds_read_b128 v[1:4], v40
	s_andn2_b32 vcc_lo, exec_lo, s23
	s_cbranch_vccnz .LBB80_38
; %bb.37:
	s_clause 0x3
	buffer_load_dword v41, v39, s[0:3], 0 offen offset:8
	buffer_load_dword v42, v39, s[0:3], 0 offen offset:12
	buffer_load_dword v43, v39, s[0:3], 0 offen
	buffer_load_dword v44, v39, s[0:3], 0 offen offset:4
	s_waitcnt vmcnt(2) lgkmcnt(0)
	v_mul_f64 v[46:47], v[3:4], v[41:42]
	v_mul_f64 v[41:42], v[1:2], v[41:42]
	s_waitcnt vmcnt(0)
	v_fma_f64 v[1:2], v[1:2], v[43:44], -v[46:47]
	v_fma_f64 v[3:4], v[3:4], v[43:44], v[41:42]
.LBB80_38:
	s_and_saveexec_b32 s24, s5
	s_cbranch_execz .LBB80_42
; %bb.39:
	v_add_nc_u32_e32 v41, -12, v0
	s_movk_i32 s25, 0x1d0
	s_mov_b32 s5, 0
	s_mov_b32 s26, s11
	.p2align	6
.LBB80_40:                              ; =>This Inner Loop Header: Depth=1
	v_mov_b32_e32 v44, s26
	v_add_nc_u32_e32 v41, -1, v41
	s_add_i32 s26, s26, 16
	s_clause 0x3
	buffer_load_dword v42, v44, s[0:3], 0 offen offset:8
	buffer_load_dword v43, v44, s[0:3], 0 offen offset:12
	buffer_load_dword v50, v44, s[0:3], 0 offen
	buffer_load_dword v51, v44, s[0:3], 0 offen offset:4
	v_mov_b32_e32 v44, s25
	v_cmp_eq_u32_e32 vcc_lo, 0, v41
	s_add_i32 s25, s25, 16
	ds_read_b128 v[46:49], v44
	s_or_b32 s5, vcc_lo, s5
	s_waitcnt vmcnt(2) lgkmcnt(0)
	v_mul_f64 v[52:53], v[48:49], v[42:43]
	v_mul_f64 v[42:43], v[46:47], v[42:43]
	s_waitcnt vmcnt(0)
	v_fma_f64 v[46:47], v[46:47], v[50:51], -v[52:53]
	v_fma_f64 v[42:43], v[48:49], v[50:51], v[42:43]
	v_add_f64 v[1:2], v[1:2], v[46:47]
	v_add_f64 v[3:4], v[3:4], v[42:43]
	s_andn2_b32 exec_lo, exec_lo, s5
	s_cbranch_execnz .LBB80_40
; %bb.41:
	s_or_b32 exec_lo, exec_lo, s5
.LBB80_42:
	s_or_b32 exec_lo, exec_lo, s24
	v_mov_b32_e32 v41, 0
	ds_read_b128 v[41:44], v41 offset:176
	s_waitcnt lgkmcnt(0)
	v_mul_f64 v[46:47], v[3:4], v[43:44]
	v_mul_f64 v[43:44], v[1:2], v[43:44]
	v_fma_f64 v[1:2], v[1:2], v[41:42], -v[46:47]
	v_fma_f64 v[3:4], v[3:4], v[41:42], v[43:44]
	buffer_store_dword v2, off, s[0:3], 0 offset:180
	buffer_store_dword v1, off, s[0:3], 0 offset:176
	;; [unrolled: 1-line block ×4, first 2 shown]
.LBB80_43:
	s_or_b32 exec_lo, exec_lo, s8
	v_mov_b32_e32 v4, s13
	v_cmp_lt_u32_e64 s5, 10, v0
	s_clause 0x3
	buffer_load_dword v1, v4, s[0:3], 0 offen
	buffer_load_dword v2, v4, s[0:3], 0 offen offset:4
	buffer_load_dword v3, v4, s[0:3], 0 offen offset:8
	;; [unrolled: 1-line block ×3, first 2 shown]
	s_waitcnt vmcnt(0)
	ds_write_b128 v40, v[1:4]
	s_waitcnt lgkmcnt(0)
	s_waitcnt_vscnt null, 0x0
	s_barrier
	buffer_gl0_inv
	s_and_saveexec_b32 s8, s5
	s_cbranch_execz .LBB80_51
; %bb.44:
	ds_read_b128 v[1:4], v40
	s_andn2_b32 vcc_lo, exec_lo, s23
	s_cbranch_vccnz .LBB80_46
; %bb.45:
	s_clause 0x3
	buffer_load_dword v41, v39, s[0:3], 0 offen offset:8
	buffer_load_dword v42, v39, s[0:3], 0 offen offset:12
	buffer_load_dword v43, v39, s[0:3], 0 offen
	buffer_load_dword v44, v39, s[0:3], 0 offen offset:4
	s_waitcnt vmcnt(2) lgkmcnt(0)
	v_mul_f64 v[46:47], v[3:4], v[41:42]
	v_mul_f64 v[41:42], v[1:2], v[41:42]
	s_waitcnt vmcnt(0)
	v_fma_f64 v[1:2], v[1:2], v[43:44], -v[46:47]
	v_fma_f64 v[3:4], v[3:4], v[43:44], v[41:42]
.LBB80_46:
	s_and_saveexec_b32 s24, s4
	s_cbranch_execz .LBB80_50
; %bb.47:
	v_add_nc_u32_e32 v41, -11, v0
	s_movk_i32 s25, 0x1c0
	s_mov_b32 s4, 0
	s_mov_b32 s26, s12
	.p2align	6
.LBB80_48:                              ; =>This Inner Loop Header: Depth=1
	v_mov_b32_e32 v44, s26
	v_add_nc_u32_e32 v41, -1, v41
	s_add_i32 s26, s26, 16
	s_clause 0x3
	buffer_load_dword v42, v44, s[0:3], 0 offen offset:8
	buffer_load_dword v43, v44, s[0:3], 0 offen offset:12
	buffer_load_dword v50, v44, s[0:3], 0 offen
	buffer_load_dword v51, v44, s[0:3], 0 offen offset:4
	v_mov_b32_e32 v44, s25
	v_cmp_eq_u32_e32 vcc_lo, 0, v41
	s_add_i32 s25, s25, 16
	ds_read_b128 v[46:49], v44
	s_or_b32 s4, vcc_lo, s4
	s_waitcnt vmcnt(2) lgkmcnt(0)
	v_mul_f64 v[52:53], v[48:49], v[42:43]
	v_mul_f64 v[42:43], v[46:47], v[42:43]
	s_waitcnt vmcnt(0)
	v_fma_f64 v[46:47], v[46:47], v[50:51], -v[52:53]
	v_fma_f64 v[42:43], v[48:49], v[50:51], v[42:43]
	v_add_f64 v[1:2], v[1:2], v[46:47]
	v_add_f64 v[3:4], v[3:4], v[42:43]
	s_andn2_b32 exec_lo, exec_lo, s4
	s_cbranch_execnz .LBB80_48
; %bb.49:
	s_or_b32 exec_lo, exec_lo, s4
.LBB80_50:
	s_or_b32 exec_lo, exec_lo, s24
	v_mov_b32_e32 v41, 0
	ds_read_b128 v[41:44], v41 offset:160
	s_waitcnt lgkmcnt(0)
	v_mul_f64 v[46:47], v[3:4], v[43:44]
	v_mul_f64 v[43:44], v[1:2], v[43:44]
	v_fma_f64 v[1:2], v[1:2], v[41:42], -v[46:47]
	v_fma_f64 v[3:4], v[3:4], v[41:42], v[43:44]
	buffer_store_dword v2, off, s[0:3], 0 offset:164
	buffer_store_dword v1, off, s[0:3], 0 offset:160
	;; [unrolled: 1-line block ×4, first 2 shown]
.LBB80_51:
	s_or_b32 exec_lo, exec_lo, s8
	v_mov_b32_e32 v4, s14
	v_cmp_lt_u32_e64 s4, 9, v0
	s_clause 0x3
	buffer_load_dword v1, v4, s[0:3], 0 offen
	buffer_load_dword v2, v4, s[0:3], 0 offen offset:4
	buffer_load_dword v3, v4, s[0:3], 0 offen offset:8
	;; [unrolled: 1-line block ×3, first 2 shown]
	s_waitcnt vmcnt(0)
	ds_write_b128 v40, v[1:4]
	s_waitcnt lgkmcnt(0)
	s_waitcnt_vscnt null, 0x0
	s_barrier
	buffer_gl0_inv
	s_and_saveexec_b32 s8, s4
	s_cbranch_execz .LBB80_59
; %bb.52:
	ds_read_b128 v[1:4], v40
	s_andn2_b32 vcc_lo, exec_lo, s23
	s_cbranch_vccnz .LBB80_54
; %bb.53:
	s_clause 0x3
	buffer_load_dword v41, v39, s[0:3], 0 offen offset:8
	buffer_load_dword v42, v39, s[0:3], 0 offen offset:12
	buffer_load_dword v43, v39, s[0:3], 0 offen
	buffer_load_dword v44, v39, s[0:3], 0 offen offset:4
	s_waitcnt vmcnt(2) lgkmcnt(0)
	v_mul_f64 v[46:47], v[3:4], v[41:42]
	v_mul_f64 v[41:42], v[1:2], v[41:42]
	s_waitcnt vmcnt(0)
	v_fma_f64 v[1:2], v[1:2], v[43:44], -v[46:47]
	v_fma_f64 v[3:4], v[3:4], v[43:44], v[41:42]
.LBB80_54:
	s_and_saveexec_b32 s24, s5
	s_cbranch_execz .LBB80_58
; %bb.55:
	v_add_nc_u32_e32 v41, -10, v0
	s_movk_i32 s25, 0x1b0
	s_mov_b32 s5, 0
	s_mov_b32 s26, s13
	.p2align	6
.LBB80_56:                              ; =>This Inner Loop Header: Depth=1
	v_mov_b32_e32 v44, s26
	v_add_nc_u32_e32 v41, -1, v41
	s_add_i32 s26, s26, 16
	s_clause 0x3
	buffer_load_dword v42, v44, s[0:3], 0 offen offset:8
	buffer_load_dword v43, v44, s[0:3], 0 offen offset:12
	buffer_load_dword v50, v44, s[0:3], 0 offen
	buffer_load_dword v51, v44, s[0:3], 0 offen offset:4
	v_mov_b32_e32 v44, s25
	v_cmp_eq_u32_e32 vcc_lo, 0, v41
	s_add_i32 s25, s25, 16
	ds_read_b128 v[46:49], v44
	s_or_b32 s5, vcc_lo, s5
	s_waitcnt vmcnt(2) lgkmcnt(0)
	v_mul_f64 v[52:53], v[48:49], v[42:43]
	v_mul_f64 v[42:43], v[46:47], v[42:43]
	s_waitcnt vmcnt(0)
	v_fma_f64 v[46:47], v[46:47], v[50:51], -v[52:53]
	v_fma_f64 v[42:43], v[48:49], v[50:51], v[42:43]
	v_add_f64 v[1:2], v[1:2], v[46:47]
	v_add_f64 v[3:4], v[3:4], v[42:43]
	s_andn2_b32 exec_lo, exec_lo, s5
	s_cbranch_execnz .LBB80_56
; %bb.57:
	s_or_b32 exec_lo, exec_lo, s5
.LBB80_58:
	s_or_b32 exec_lo, exec_lo, s24
	v_mov_b32_e32 v41, 0
	ds_read_b128 v[41:44], v41 offset:144
	s_waitcnt lgkmcnt(0)
	v_mul_f64 v[46:47], v[3:4], v[43:44]
	v_mul_f64 v[43:44], v[1:2], v[43:44]
	v_fma_f64 v[1:2], v[1:2], v[41:42], -v[46:47]
	v_fma_f64 v[3:4], v[3:4], v[41:42], v[43:44]
	buffer_store_dword v2, off, s[0:3], 0 offset:148
	buffer_store_dword v1, off, s[0:3], 0 offset:144
	;; [unrolled: 1-line block ×4, first 2 shown]
.LBB80_59:
	s_or_b32 exec_lo, exec_lo, s8
	v_mov_b32_e32 v4, s15
	v_cmp_lt_u32_e64 s5, 8, v0
	s_clause 0x3
	buffer_load_dword v1, v4, s[0:3], 0 offen
	buffer_load_dword v2, v4, s[0:3], 0 offen offset:4
	buffer_load_dword v3, v4, s[0:3], 0 offen offset:8
	;; [unrolled: 1-line block ×3, first 2 shown]
	s_waitcnt vmcnt(0)
	ds_write_b128 v40, v[1:4]
	s_waitcnt lgkmcnt(0)
	s_waitcnt_vscnt null, 0x0
	s_barrier
	buffer_gl0_inv
	s_and_saveexec_b32 s8, s5
	s_cbranch_execz .LBB80_67
; %bb.60:
	ds_read_b128 v[1:4], v40
	s_andn2_b32 vcc_lo, exec_lo, s23
	s_cbranch_vccnz .LBB80_62
; %bb.61:
	s_clause 0x3
	buffer_load_dword v41, v39, s[0:3], 0 offen offset:8
	buffer_load_dword v42, v39, s[0:3], 0 offen offset:12
	buffer_load_dword v43, v39, s[0:3], 0 offen
	buffer_load_dword v44, v39, s[0:3], 0 offen offset:4
	s_waitcnt vmcnt(2) lgkmcnt(0)
	v_mul_f64 v[46:47], v[3:4], v[41:42]
	v_mul_f64 v[41:42], v[1:2], v[41:42]
	s_waitcnt vmcnt(0)
	v_fma_f64 v[1:2], v[1:2], v[43:44], -v[46:47]
	v_fma_f64 v[3:4], v[3:4], v[43:44], v[41:42]
.LBB80_62:
	s_and_saveexec_b32 s24, s4
	s_cbranch_execz .LBB80_66
; %bb.63:
	v_add_nc_u32_e32 v41, -9, v0
	s_movk_i32 s25, 0x1a0
	s_mov_b32 s4, 0
	s_mov_b32 s26, s14
	.p2align	6
.LBB80_64:                              ; =>This Inner Loop Header: Depth=1
	v_mov_b32_e32 v44, s26
	v_add_nc_u32_e32 v41, -1, v41
	s_add_i32 s26, s26, 16
	s_clause 0x3
	buffer_load_dword v42, v44, s[0:3], 0 offen offset:8
	buffer_load_dword v43, v44, s[0:3], 0 offen offset:12
	buffer_load_dword v50, v44, s[0:3], 0 offen
	buffer_load_dword v51, v44, s[0:3], 0 offen offset:4
	v_mov_b32_e32 v44, s25
	v_cmp_eq_u32_e32 vcc_lo, 0, v41
	s_add_i32 s25, s25, 16
	ds_read_b128 v[46:49], v44
	s_or_b32 s4, vcc_lo, s4
	s_waitcnt vmcnt(2) lgkmcnt(0)
	v_mul_f64 v[52:53], v[48:49], v[42:43]
	v_mul_f64 v[42:43], v[46:47], v[42:43]
	s_waitcnt vmcnt(0)
	v_fma_f64 v[46:47], v[46:47], v[50:51], -v[52:53]
	v_fma_f64 v[42:43], v[48:49], v[50:51], v[42:43]
	v_add_f64 v[1:2], v[1:2], v[46:47]
	v_add_f64 v[3:4], v[3:4], v[42:43]
	s_andn2_b32 exec_lo, exec_lo, s4
	s_cbranch_execnz .LBB80_64
; %bb.65:
	s_or_b32 exec_lo, exec_lo, s4
.LBB80_66:
	s_or_b32 exec_lo, exec_lo, s24
	v_mov_b32_e32 v41, 0
	ds_read_b128 v[41:44], v41 offset:128
	s_waitcnt lgkmcnt(0)
	v_mul_f64 v[46:47], v[3:4], v[43:44]
	v_mul_f64 v[43:44], v[1:2], v[43:44]
	v_fma_f64 v[1:2], v[1:2], v[41:42], -v[46:47]
	v_fma_f64 v[3:4], v[3:4], v[41:42], v[43:44]
	buffer_store_dword v2, off, s[0:3], 0 offset:132
	buffer_store_dword v1, off, s[0:3], 0 offset:128
	;; [unrolled: 1-line block ×4, first 2 shown]
.LBB80_67:
	s_or_b32 exec_lo, exec_lo, s8
	v_mov_b32_e32 v4, s16
	v_cmp_lt_u32_e64 s4, 7, v0
	s_clause 0x3
	buffer_load_dword v1, v4, s[0:3], 0 offen
	buffer_load_dword v2, v4, s[0:3], 0 offen offset:4
	buffer_load_dword v3, v4, s[0:3], 0 offen offset:8
	;; [unrolled: 1-line block ×3, first 2 shown]
	s_waitcnt vmcnt(0)
	ds_write_b128 v40, v[1:4]
	s_waitcnt lgkmcnt(0)
	s_waitcnt_vscnt null, 0x0
	s_barrier
	buffer_gl0_inv
	s_and_saveexec_b32 s8, s4
	s_cbranch_execz .LBB80_75
; %bb.68:
	ds_read_b128 v[1:4], v40
	s_andn2_b32 vcc_lo, exec_lo, s23
	s_cbranch_vccnz .LBB80_70
; %bb.69:
	s_clause 0x3
	buffer_load_dword v41, v39, s[0:3], 0 offen offset:8
	buffer_load_dword v42, v39, s[0:3], 0 offen offset:12
	buffer_load_dword v43, v39, s[0:3], 0 offen
	buffer_load_dword v44, v39, s[0:3], 0 offen offset:4
	s_waitcnt vmcnt(2) lgkmcnt(0)
	v_mul_f64 v[46:47], v[3:4], v[41:42]
	v_mul_f64 v[41:42], v[1:2], v[41:42]
	s_waitcnt vmcnt(0)
	v_fma_f64 v[1:2], v[1:2], v[43:44], -v[46:47]
	v_fma_f64 v[3:4], v[3:4], v[43:44], v[41:42]
.LBB80_70:
	s_and_saveexec_b32 s24, s5
	s_cbranch_execz .LBB80_74
; %bb.71:
	v_add_nc_u32_e32 v41, -8, v0
	s_movk_i32 s25, 0x190
	s_mov_b32 s5, 0
	s_mov_b32 s26, s15
	.p2align	6
.LBB80_72:                              ; =>This Inner Loop Header: Depth=1
	v_mov_b32_e32 v44, s26
	v_add_nc_u32_e32 v41, -1, v41
	s_add_i32 s26, s26, 16
	s_clause 0x3
	buffer_load_dword v42, v44, s[0:3], 0 offen offset:8
	buffer_load_dword v43, v44, s[0:3], 0 offen offset:12
	buffer_load_dword v50, v44, s[0:3], 0 offen
	buffer_load_dword v51, v44, s[0:3], 0 offen offset:4
	v_mov_b32_e32 v44, s25
	v_cmp_eq_u32_e32 vcc_lo, 0, v41
	s_add_i32 s25, s25, 16
	ds_read_b128 v[46:49], v44
	s_or_b32 s5, vcc_lo, s5
	s_waitcnt vmcnt(2) lgkmcnt(0)
	v_mul_f64 v[52:53], v[48:49], v[42:43]
	v_mul_f64 v[42:43], v[46:47], v[42:43]
	s_waitcnt vmcnt(0)
	v_fma_f64 v[46:47], v[46:47], v[50:51], -v[52:53]
	v_fma_f64 v[42:43], v[48:49], v[50:51], v[42:43]
	v_add_f64 v[1:2], v[1:2], v[46:47]
	v_add_f64 v[3:4], v[3:4], v[42:43]
	s_andn2_b32 exec_lo, exec_lo, s5
	s_cbranch_execnz .LBB80_72
; %bb.73:
	s_or_b32 exec_lo, exec_lo, s5
.LBB80_74:
	s_or_b32 exec_lo, exec_lo, s24
	v_mov_b32_e32 v41, 0
	ds_read_b128 v[41:44], v41 offset:112
	s_waitcnt lgkmcnt(0)
	v_mul_f64 v[46:47], v[3:4], v[43:44]
	v_mul_f64 v[43:44], v[1:2], v[43:44]
	v_fma_f64 v[1:2], v[1:2], v[41:42], -v[46:47]
	v_fma_f64 v[3:4], v[3:4], v[41:42], v[43:44]
	buffer_store_dword v2, off, s[0:3], 0 offset:116
	buffer_store_dword v1, off, s[0:3], 0 offset:112
	;; [unrolled: 1-line block ×4, first 2 shown]
.LBB80_75:
	s_or_b32 exec_lo, exec_lo, s8
	v_mov_b32_e32 v4, s17
	v_cmp_lt_u32_e64 s5, 6, v0
	s_clause 0x3
	buffer_load_dword v1, v4, s[0:3], 0 offen
	buffer_load_dword v2, v4, s[0:3], 0 offen offset:4
	buffer_load_dword v3, v4, s[0:3], 0 offen offset:8
	;; [unrolled: 1-line block ×3, first 2 shown]
	s_waitcnt vmcnt(0)
	ds_write_b128 v40, v[1:4]
	s_waitcnt lgkmcnt(0)
	s_waitcnt_vscnt null, 0x0
	s_barrier
	buffer_gl0_inv
	s_and_saveexec_b32 s8, s5
	s_cbranch_execz .LBB80_83
; %bb.76:
	ds_read_b128 v[1:4], v40
	s_andn2_b32 vcc_lo, exec_lo, s23
	s_cbranch_vccnz .LBB80_78
; %bb.77:
	s_clause 0x3
	buffer_load_dword v41, v39, s[0:3], 0 offen offset:8
	buffer_load_dword v42, v39, s[0:3], 0 offen offset:12
	buffer_load_dword v43, v39, s[0:3], 0 offen
	buffer_load_dword v44, v39, s[0:3], 0 offen offset:4
	s_waitcnt vmcnt(2) lgkmcnt(0)
	v_mul_f64 v[46:47], v[3:4], v[41:42]
	v_mul_f64 v[41:42], v[1:2], v[41:42]
	s_waitcnt vmcnt(0)
	v_fma_f64 v[1:2], v[1:2], v[43:44], -v[46:47]
	v_fma_f64 v[3:4], v[3:4], v[43:44], v[41:42]
.LBB80_78:
	s_and_saveexec_b32 s24, s4
	s_cbranch_execz .LBB80_82
; %bb.79:
	v_add_nc_u32_e32 v41, -7, v0
	s_movk_i32 s25, 0x180
	s_mov_b32 s4, 0
	s_mov_b32 s26, s16
	.p2align	6
.LBB80_80:                              ; =>This Inner Loop Header: Depth=1
	v_mov_b32_e32 v44, s26
	v_add_nc_u32_e32 v41, -1, v41
	s_add_i32 s26, s26, 16
	s_clause 0x3
	buffer_load_dword v42, v44, s[0:3], 0 offen offset:8
	buffer_load_dword v43, v44, s[0:3], 0 offen offset:12
	buffer_load_dword v50, v44, s[0:3], 0 offen
	buffer_load_dword v51, v44, s[0:3], 0 offen offset:4
	v_mov_b32_e32 v44, s25
	v_cmp_eq_u32_e32 vcc_lo, 0, v41
	s_add_i32 s25, s25, 16
	ds_read_b128 v[46:49], v44
	s_or_b32 s4, vcc_lo, s4
	s_waitcnt vmcnt(2) lgkmcnt(0)
	v_mul_f64 v[52:53], v[48:49], v[42:43]
	v_mul_f64 v[42:43], v[46:47], v[42:43]
	s_waitcnt vmcnt(0)
	v_fma_f64 v[46:47], v[46:47], v[50:51], -v[52:53]
	v_fma_f64 v[42:43], v[48:49], v[50:51], v[42:43]
	v_add_f64 v[1:2], v[1:2], v[46:47]
	v_add_f64 v[3:4], v[3:4], v[42:43]
	s_andn2_b32 exec_lo, exec_lo, s4
	s_cbranch_execnz .LBB80_80
; %bb.81:
	s_or_b32 exec_lo, exec_lo, s4
.LBB80_82:
	s_or_b32 exec_lo, exec_lo, s24
	v_mov_b32_e32 v41, 0
	ds_read_b128 v[41:44], v41 offset:96
	s_waitcnt lgkmcnt(0)
	v_mul_f64 v[46:47], v[3:4], v[43:44]
	v_mul_f64 v[43:44], v[1:2], v[43:44]
	v_fma_f64 v[1:2], v[1:2], v[41:42], -v[46:47]
	v_fma_f64 v[3:4], v[3:4], v[41:42], v[43:44]
	buffer_store_dword v2, off, s[0:3], 0 offset:100
	buffer_store_dword v1, off, s[0:3], 0 offset:96
	;; [unrolled: 1-line block ×4, first 2 shown]
.LBB80_83:
	s_or_b32 exec_lo, exec_lo, s8
	v_mov_b32_e32 v4, s18
	v_cmp_lt_u32_e64 s4, 5, v0
	s_clause 0x3
	buffer_load_dword v1, v4, s[0:3], 0 offen
	buffer_load_dword v2, v4, s[0:3], 0 offen offset:4
	buffer_load_dword v3, v4, s[0:3], 0 offen offset:8
	;; [unrolled: 1-line block ×3, first 2 shown]
	s_waitcnt vmcnt(0)
	ds_write_b128 v40, v[1:4]
	s_waitcnt lgkmcnt(0)
	s_waitcnt_vscnt null, 0x0
	s_barrier
	buffer_gl0_inv
	s_and_saveexec_b32 s8, s4
	s_cbranch_execz .LBB80_91
; %bb.84:
	ds_read_b128 v[1:4], v40
	s_andn2_b32 vcc_lo, exec_lo, s23
	s_cbranch_vccnz .LBB80_86
; %bb.85:
	s_clause 0x3
	buffer_load_dword v41, v39, s[0:3], 0 offen offset:8
	buffer_load_dword v42, v39, s[0:3], 0 offen offset:12
	buffer_load_dword v43, v39, s[0:3], 0 offen
	buffer_load_dword v44, v39, s[0:3], 0 offen offset:4
	s_waitcnt vmcnt(2) lgkmcnt(0)
	v_mul_f64 v[46:47], v[3:4], v[41:42]
	v_mul_f64 v[41:42], v[1:2], v[41:42]
	s_waitcnt vmcnt(0)
	v_fma_f64 v[1:2], v[1:2], v[43:44], -v[46:47]
	v_fma_f64 v[3:4], v[3:4], v[43:44], v[41:42]
.LBB80_86:
	s_and_saveexec_b32 s24, s5
	s_cbranch_execz .LBB80_90
; %bb.87:
	v_add_nc_u32_e32 v41, -6, v0
	s_movk_i32 s25, 0x170
	s_mov_b32 s5, 0
	s_mov_b32 s26, s17
	.p2align	6
.LBB80_88:                              ; =>This Inner Loop Header: Depth=1
	v_mov_b32_e32 v44, s26
	v_add_nc_u32_e32 v41, -1, v41
	s_add_i32 s26, s26, 16
	s_clause 0x3
	buffer_load_dword v42, v44, s[0:3], 0 offen offset:8
	buffer_load_dword v43, v44, s[0:3], 0 offen offset:12
	buffer_load_dword v50, v44, s[0:3], 0 offen
	buffer_load_dword v51, v44, s[0:3], 0 offen offset:4
	v_mov_b32_e32 v44, s25
	v_cmp_eq_u32_e32 vcc_lo, 0, v41
	s_add_i32 s25, s25, 16
	ds_read_b128 v[46:49], v44
	s_or_b32 s5, vcc_lo, s5
	s_waitcnt vmcnt(2) lgkmcnt(0)
	v_mul_f64 v[52:53], v[48:49], v[42:43]
	v_mul_f64 v[42:43], v[46:47], v[42:43]
	s_waitcnt vmcnt(0)
	v_fma_f64 v[46:47], v[46:47], v[50:51], -v[52:53]
	v_fma_f64 v[42:43], v[48:49], v[50:51], v[42:43]
	v_add_f64 v[1:2], v[1:2], v[46:47]
	v_add_f64 v[3:4], v[3:4], v[42:43]
	s_andn2_b32 exec_lo, exec_lo, s5
	s_cbranch_execnz .LBB80_88
; %bb.89:
	s_or_b32 exec_lo, exec_lo, s5
.LBB80_90:
	s_or_b32 exec_lo, exec_lo, s24
	v_mov_b32_e32 v41, 0
	ds_read_b128 v[41:44], v41 offset:80
	s_waitcnt lgkmcnt(0)
	v_mul_f64 v[46:47], v[3:4], v[43:44]
	v_mul_f64 v[43:44], v[1:2], v[43:44]
	v_fma_f64 v[1:2], v[1:2], v[41:42], -v[46:47]
	v_fma_f64 v[3:4], v[3:4], v[41:42], v[43:44]
	buffer_store_dword v2, off, s[0:3], 0 offset:84
	buffer_store_dword v1, off, s[0:3], 0 offset:80
	;; [unrolled: 1-line block ×4, first 2 shown]
.LBB80_91:
	s_or_b32 exec_lo, exec_lo, s8
	v_mov_b32_e32 v4, s19
	v_cmp_lt_u32_e64 s5, 4, v0
	s_clause 0x3
	buffer_load_dword v1, v4, s[0:3], 0 offen
	buffer_load_dword v2, v4, s[0:3], 0 offen offset:4
	buffer_load_dword v3, v4, s[0:3], 0 offen offset:8
	;; [unrolled: 1-line block ×3, first 2 shown]
	s_waitcnt vmcnt(0)
	ds_write_b128 v40, v[1:4]
	s_waitcnt lgkmcnt(0)
	s_waitcnt_vscnt null, 0x0
	s_barrier
	buffer_gl0_inv
	s_and_saveexec_b32 s8, s5
	s_cbranch_execz .LBB80_99
; %bb.92:
	ds_read_b128 v[1:4], v40
	s_andn2_b32 vcc_lo, exec_lo, s23
	s_cbranch_vccnz .LBB80_94
; %bb.93:
	s_clause 0x3
	buffer_load_dword v41, v39, s[0:3], 0 offen offset:8
	buffer_load_dword v42, v39, s[0:3], 0 offen offset:12
	buffer_load_dword v43, v39, s[0:3], 0 offen
	buffer_load_dword v44, v39, s[0:3], 0 offen offset:4
	s_waitcnt vmcnt(2) lgkmcnt(0)
	v_mul_f64 v[46:47], v[3:4], v[41:42]
	v_mul_f64 v[41:42], v[1:2], v[41:42]
	s_waitcnt vmcnt(0)
	v_fma_f64 v[1:2], v[1:2], v[43:44], -v[46:47]
	v_fma_f64 v[3:4], v[3:4], v[43:44], v[41:42]
.LBB80_94:
	s_and_saveexec_b32 s24, s4
	s_cbranch_execz .LBB80_98
; %bb.95:
	v_add_nc_u32_e32 v41, -5, v0
	s_movk_i32 s25, 0x160
	s_mov_b32 s4, 0
	s_mov_b32 s26, s18
	.p2align	6
.LBB80_96:                              ; =>This Inner Loop Header: Depth=1
	v_mov_b32_e32 v44, s26
	v_add_nc_u32_e32 v41, -1, v41
	s_add_i32 s26, s26, 16
	s_clause 0x3
	buffer_load_dword v42, v44, s[0:3], 0 offen offset:8
	buffer_load_dword v43, v44, s[0:3], 0 offen offset:12
	buffer_load_dword v50, v44, s[0:3], 0 offen
	buffer_load_dword v51, v44, s[0:3], 0 offen offset:4
	v_mov_b32_e32 v44, s25
	v_cmp_eq_u32_e32 vcc_lo, 0, v41
	s_add_i32 s25, s25, 16
	ds_read_b128 v[46:49], v44
	s_or_b32 s4, vcc_lo, s4
	s_waitcnt vmcnt(2) lgkmcnt(0)
	v_mul_f64 v[52:53], v[48:49], v[42:43]
	v_mul_f64 v[42:43], v[46:47], v[42:43]
	s_waitcnt vmcnt(0)
	v_fma_f64 v[46:47], v[46:47], v[50:51], -v[52:53]
	v_fma_f64 v[42:43], v[48:49], v[50:51], v[42:43]
	v_add_f64 v[1:2], v[1:2], v[46:47]
	v_add_f64 v[3:4], v[3:4], v[42:43]
	s_andn2_b32 exec_lo, exec_lo, s4
	s_cbranch_execnz .LBB80_96
; %bb.97:
	s_or_b32 exec_lo, exec_lo, s4
.LBB80_98:
	s_or_b32 exec_lo, exec_lo, s24
	v_mov_b32_e32 v41, 0
	ds_read_b128 v[41:44], v41 offset:64
	s_waitcnt lgkmcnt(0)
	v_mul_f64 v[46:47], v[3:4], v[43:44]
	v_mul_f64 v[43:44], v[1:2], v[43:44]
	v_fma_f64 v[1:2], v[1:2], v[41:42], -v[46:47]
	v_fma_f64 v[3:4], v[3:4], v[41:42], v[43:44]
	buffer_store_dword v2, off, s[0:3], 0 offset:68
	buffer_store_dword v1, off, s[0:3], 0 offset:64
	;; [unrolled: 1-line block ×4, first 2 shown]
.LBB80_99:
	s_or_b32 exec_lo, exec_lo, s8
	v_mov_b32_e32 v4, s20
	v_cmp_lt_u32_e64 s4, 3, v0
	s_clause 0x3
	buffer_load_dword v1, v4, s[0:3], 0 offen
	buffer_load_dword v2, v4, s[0:3], 0 offen offset:4
	buffer_load_dword v3, v4, s[0:3], 0 offen offset:8
	;; [unrolled: 1-line block ×3, first 2 shown]
	s_waitcnt vmcnt(0)
	ds_write_b128 v40, v[1:4]
	s_waitcnt lgkmcnt(0)
	s_waitcnt_vscnt null, 0x0
	s_barrier
	buffer_gl0_inv
	s_and_saveexec_b32 s8, s4
	s_cbranch_execz .LBB80_107
; %bb.100:
	ds_read_b128 v[1:4], v40
	s_andn2_b32 vcc_lo, exec_lo, s23
	s_cbranch_vccnz .LBB80_102
; %bb.101:
	s_clause 0x3
	buffer_load_dword v41, v39, s[0:3], 0 offen offset:8
	buffer_load_dword v42, v39, s[0:3], 0 offen offset:12
	buffer_load_dword v43, v39, s[0:3], 0 offen
	buffer_load_dword v44, v39, s[0:3], 0 offen offset:4
	s_waitcnt vmcnt(2) lgkmcnt(0)
	v_mul_f64 v[46:47], v[3:4], v[41:42]
	v_mul_f64 v[41:42], v[1:2], v[41:42]
	s_waitcnt vmcnt(0)
	v_fma_f64 v[1:2], v[1:2], v[43:44], -v[46:47]
	v_fma_f64 v[3:4], v[3:4], v[43:44], v[41:42]
.LBB80_102:
	s_and_saveexec_b32 s24, s5
	s_cbranch_execz .LBB80_106
; %bb.103:
	v_add_nc_u32_e32 v41, -4, v0
	s_movk_i32 s25, 0x150
	s_mov_b32 s5, 0
	s_mov_b32 s26, s19
	.p2align	6
.LBB80_104:                             ; =>This Inner Loop Header: Depth=1
	v_mov_b32_e32 v44, s26
	v_add_nc_u32_e32 v41, -1, v41
	s_add_i32 s26, s26, 16
	s_clause 0x3
	buffer_load_dword v42, v44, s[0:3], 0 offen offset:8
	buffer_load_dword v43, v44, s[0:3], 0 offen offset:12
	buffer_load_dword v50, v44, s[0:3], 0 offen
	buffer_load_dword v51, v44, s[0:3], 0 offen offset:4
	v_mov_b32_e32 v44, s25
	v_cmp_eq_u32_e32 vcc_lo, 0, v41
	s_add_i32 s25, s25, 16
	ds_read_b128 v[46:49], v44
	s_or_b32 s5, vcc_lo, s5
	s_waitcnt vmcnt(2) lgkmcnt(0)
	v_mul_f64 v[52:53], v[48:49], v[42:43]
	v_mul_f64 v[42:43], v[46:47], v[42:43]
	s_waitcnt vmcnt(0)
	v_fma_f64 v[46:47], v[46:47], v[50:51], -v[52:53]
	v_fma_f64 v[42:43], v[48:49], v[50:51], v[42:43]
	v_add_f64 v[1:2], v[1:2], v[46:47]
	v_add_f64 v[3:4], v[3:4], v[42:43]
	s_andn2_b32 exec_lo, exec_lo, s5
	s_cbranch_execnz .LBB80_104
; %bb.105:
	s_or_b32 exec_lo, exec_lo, s5
.LBB80_106:
	s_or_b32 exec_lo, exec_lo, s24
	v_mov_b32_e32 v41, 0
	ds_read_b128 v[41:44], v41 offset:48
	s_waitcnt lgkmcnt(0)
	v_mul_f64 v[46:47], v[3:4], v[43:44]
	v_mul_f64 v[43:44], v[1:2], v[43:44]
	v_fma_f64 v[1:2], v[1:2], v[41:42], -v[46:47]
	v_fma_f64 v[3:4], v[3:4], v[41:42], v[43:44]
	buffer_store_dword v2, off, s[0:3], 0 offset:52
	buffer_store_dword v1, off, s[0:3], 0 offset:48
	;; [unrolled: 1-line block ×4, first 2 shown]
.LBB80_107:
	s_or_b32 exec_lo, exec_lo, s8
	v_mov_b32_e32 v4, s21
	v_cmp_lt_u32_e64 s5, 2, v0
	s_clause 0x3
	buffer_load_dword v1, v4, s[0:3], 0 offen
	buffer_load_dword v2, v4, s[0:3], 0 offen offset:4
	buffer_load_dword v3, v4, s[0:3], 0 offen offset:8
	;; [unrolled: 1-line block ×3, first 2 shown]
	s_waitcnt vmcnt(0)
	ds_write_b128 v40, v[1:4]
	s_waitcnt lgkmcnt(0)
	s_waitcnt_vscnt null, 0x0
	s_barrier
	buffer_gl0_inv
	s_and_saveexec_b32 s8, s5
	s_cbranch_execz .LBB80_115
; %bb.108:
	ds_read_b128 v[1:4], v40
	s_andn2_b32 vcc_lo, exec_lo, s23
	s_cbranch_vccnz .LBB80_110
; %bb.109:
	s_clause 0x3
	buffer_load_dword v41, v39, s[0:3], 0 offen offset:8
	buffer_load_dword v42, v39, s[0:3], 0 offen offset:12
	buffer_load_dword v43, v39, s[0:3], 0 offen
	buffer_load_dword v44, v39, s[0:3], 0 offen offset:4
	s_waitcnt vmcnt(2) lgkmcnt(0)
	v_mul_f64 v[46:47], v[3:4], v[41:42]
	v_mul_f64 v[41:42], v[1:2], v[41:42]
	s_waitcnt vmcnt(0)
	v_fma_f64 v[1:2], v[1:2], v[43:44], -v[46:47]
	v_fma_f64 v[3:4], v[3:4], v[43:44], v[41:42]
.LBB80_110:
	s_and_saveexec_b32 s24, s4
	s_cbranch_execz .LBB80_114
; %bb.111:
	v_add_nc_u32_e32 v41, -3, v0
	s_movk_i32 s25, 0x140
	s_mov_b32 s4, 0
	s_mov_b32 s26, s20
	.p2align	6
.LBB80_112:                             ; =>This Inner Loop Header: Depth=1
	v_mov_b32_e32 v44, s26
	v_add_nc_u32_e32 v41, -1, v41
	s_add_i32 s26, s26, 16
	s_clause 0x3
	buffer_load_dword v42, v44, s[0:3], 0 offen offset:8
	buffer_load_dword v43, v44, s[0:3], 0 offen offset:12
	buffer_load_dword v50, v44, s[0:3], 0 offen
	buffer_load_dword v51, v44, s[0:3], 0 offen offset:4
	v_mov_b32_e32 v44, s25
	v_cmp_eq_u32_e32 vcc_lo, 0, v41
	s_add_i32 s25, s25, 16
	ds_read_b128 v[46:49], v44
	s_or_b32 s4, vcc_lo, s4
	s_waitcnt vmcnt(2) lgkmcnt(0)
	v_mul_f64 v[52:53], v[48:49], v[42:43]
	v_mul_f64 v[42:43], v[46:47], v[42:43]
	s_waitcnt vmcnt(0)
	v_fma_f64 v[46:47], v[46:47], v[50:51], -v[52:53]
	v_fma_f64 v[42:43], v[48:49], v[50:51], v[42:43]
	v_add_f64 v[1:2], v[1:2], v[46:47]
	v_add_f64 v[3:4], v[3:4], v[42:43]
	s_andn2_b32 exec_lo, exec_lo, s4
	s_cbranch_execnz .LBB80_112
; %bb.113:
	s_or_b32 exec_lo, exec_lo, s4
.LBB80_114:
	s_or_b32 exec_lo, exec_lo, s24
	v_mov_b32_e32 v41, 0
	ds_read_b128 v[41:44], v41 offset:32
	s_waitcnt lgkmcnt(0)
	v_mul_f64 v[46:47], v[3:4], v[43:44]
	v_mul_f64 v[43:44], v[1:2], v[43:44]
	v_fma_f64 v[1:2], v[1:2], v[41:42], -v[46:47]
	v_fma_f64 v[3:4], v[3:4], v[41:42], v[43:44]
	buffer_store_dword v2, off, s[0:3], 0 offset:36
	buffer_store_dword v1, off, s[0:3], 0 offset:32
	;; [unrolled: 1-line block ×4, first 2 shown]
.LBB80_115:
	s_or_b32 exec_lo, exec_lo, s8
	v_mov_b32_e32 v4, s22
	v_cmp_lt_u32_e64 s4, 1, v0
	s_clause 0x3
	buffer_load_dword v1, v4, s[0:3], 0 offen
	buffer_load_dword v2, v4, s[0:3], 0 offen offset:4
	buffer_load_dword v3, v4, s[0:3], 0 offen offset:8
	;; [unrolled: 1-line block ×3, first 2 shown]
	s_waitcnt vmcnt(0)
	ds_write_b128 v40, v[1:4]
	s_waitcnt lgkmcnt(0)
	s_waitcnt_vscnt null, 0x0
	s_barrier
	buffer_gl0_inv
	s_and_saveexec_b32 s8, s4
	s_cbranch_execz .LBB80_123
; %bb.116:
	ds_read_b128 v[1:4], v40
	s_andn2_b32 vcc_lo, exec_lo, s23
	s_cbranch_vccnz .LBB80_118
; %bb.117:
	s_clause 0x3
	buffer_load_dword v41, v39, s[0:3], 0 offen offset:8
	buffer_load_dword v42, v39, s[0:3], 0 offen offset:12
	buffer_load_dword v43, v39, s[0:3], 0 offen
	buffer_load_dword v44, v39, s[0:3], 0 offen offset:4
	s_waitcnt vmcnt(2) lgkmcnt(0)
	v_mul_f64 v[46:47], v[3:4], v[41:42]
	v_mul_f64 v[41:42], v[1:2], v[41:42]
	s_waitcnt vmcnt(0)
	v_fma_f64 v[1:2], v[1:2], v[43:44], -v[46:47]
	v_fma_f64 v[3:4], v[3:4], v[43:44], v[41:42]
.LBB80_118:
	s_and_saveexec_b32 s24, s5
	s_cbranch_execz .LBB80_122
; %bb.119:
	v_add_nc_u32_e32 v41, -2, v0
	s_movk_i32 s25, 0x130
	s_mov_b32 s5, 0
	s_mov_b32 s26, s21
	.p2align	6
.LBB80_120:                             ; =>This Inner Loop Header: Depth=1
	v_mov_b32_e32 v44, s26
	v_add_nc_u32_e32 v41, -1, v41
	s_add_i32 s26, s26, 16
	s_clause 0x3
	buffer_load_dword v42, v44, s[0:3], 0 offen offset:8
	buffer_load_dword v43, v44, s[0:3], 0 offen offset:12
	buffer_load_dword v50, v44, s[0:3], 0 offen
	buffer_load_dword v51, v44, s[0:3], 0 offen offset:4
	v_mov_b32_e32 v44, s25
	v_cmp_eq_u32_e32 vcc_lo, 0, v41
	s_add_i32 s25, s25, 16
	ds_read_b128 v[46:49], v44
	s_or_b32 s5, vcc_lo, s5
	s_waitcnt vmcnt(2) lgkmcnt(0)
	v_mul_f64 v[52:53], v[48:49], v[42:43]
	v_mul_f64 v[42:43], v[46:47], v[42:43]
	s_waitcnt vmcnt(0)
	v_fma_f64 v[46:47], v[46:47], v[50:51], -v[52:53]
	v_fma_f64 v[42:43], v[48:49], v[50:51], v[42:43]
	v_add_f64 v[1:2], v[1:2], v[46:47]
	v_add_f64 v[3:4], v[3:4], v[42:43]
	s_andn2_b32 exec_lo, exec_lo, s5
	s_cbranch_execnz .LBB80_120
; %bb.121:
	s_or_b32 exec_lo, exec_lo, s5
.LBB80_122:
	s_or_b32 exec_lo, exec_lo, s24
	v_mov_b32_e32 v41, 0
	ds_read_b128 v[41:44], v41 offset:16
	s_waitcnt lgkmcnt(0)
	v_mul_f64 v[46:47], v[3:4], v[43:44]
	v_mul_f64 v[43:44], v[1:2], v[43:44]
	v_fma_f64 v[1:2], v[1:2], v[41:42], -v[46:47]
	v_fma_f64 v[3:4], v[3:4], v[41:42], v[43:44]
	buffer_store_dword v2, off, s[0:3], 0 offset:20
	buffer_store_dword v1, off, s[0:3], 0 offset:16
	;; [unrolled: 1-line block ×4, first 2 shown]
.LBB80_123:
	s_or_b32 exec_lo, exec_lo, s8
	s_clause 0x3
	buffer_load_dword v1, off, s[0:3], 0
	buffer_load_dword v2, off, s[0:3], 0 offset:4
	buffer_load_dword v3, off, s[0:3], 0 offset:8
	;; [unrolled: 1-line block ×3, first 2 shown]
	s_mov_b32 s8, 0
	s_mov_b32 s5, 0
	s_mov_b32 s24, exec_lo
                                        ; implicit-def: $sgpr25
	s_waitcnt vmcnt(0)
	ds_write_b128 v40, v[1:4]
	s_waitcnt lgkmcnt(0)
	s_waitcnt_vscnt null, 0x0
	s_barrier
	buffer_gl0_inv
                                        ; implicit-def: $vgpr1_vgpr2
	v_cmpx_ne_u32_e32 0, v0
	s_cbranch_execz .LBB80_131
; %bb.124:
	ds_read_b128 v[1:4], v40
	s_andn2_b32 vcc_lo, exec_lo, s23
	s_cbranch_vccnz .LBB80_126
; %bb.125:
	s_clause 0x3
	buffer_load_dword v41, v39, s[0:3], 0 offen offset:8
	buffer_load_dword v42, v39, s[0:3], 0 offen offset:12
	buffer_load_dword v43, v39, s[0:3], 0 offen
	buffer_load_dword v44, v39, s[0:3], 0 offen offset:4
	s_waitcnt vmcnt(2) lgkmcnt(0)
	v_mul_f64 v[46:47], v[3:4], v[41:42]
	v_mul_f64 v[41:42], v[1:2], v[41:42]
	s_waitcnt vmcnt(0)
	v_fma_f64 v[1:2], v[1:2], v[43:44], -v[46:47]
	v_fma_f64 v[3:4], v[3:4], v[43:44], v[41:42]
.LBB80_126:
	s_and_saveexec_b32 s5, s4
	s_cbranch_execz .LBB80_130
; %bb.127:
	v_add_nc_u32_e32 v41, -1, v0
	s_movk_i32 s25, 0x120
	s_mov_b32 s4, 0
	s_mov_b32 s26, s22
	.p2align	6
.LBB80_128:                             ; =>This Inner Loop Header: Depth=1
	v_mov_b32_e32 v44, s26
	v_add_nc_u32_e32 v41, -1, v41
	s_add_i32 s26, s26, 16
	s_clause 0x3
	buffer_load_dword v42, v44, s[0:3], 0 offen offset:8
	buffer_load_dword v43, v44, s[0:3], 0 offen offset:12
	buffer_load_dword v50, v44, s[0:3], 0 offen
	buffer_load_dword v51, v44, s[0:3], 0 offen offset:4
	v_mov_b32_e32 v44, s25
	v_cmp_eq_u32_e32 vcc_lo, 0, v41
	s_add_i32 s25, s25, 16
	ds_read_b128 v[46:49], v44
	s_or_b32 s4, vcc_lo, s4
	s_waitcnt vmcnt(2) lgkmcnt(0)
	v_mul_f64 v[52:53], v[48:49], v[42:43]
	v_mul_f64 v[42:43], v[46:47], v[42:43]
	s_waitcnt vmcnt(0)
	v_fma_f64 v[46:47], v[46:47], v[50:51], -v[52:53]
	v_fma_f64 v[42:43], v[48:49], v[50:51], v[42:43]
	v_add_f64 v[1:2], v[1:2], v[46:47]
	v_add_f64 v[3:4], v[3:4], v[42:43]
	s_andn2_b32 exec_lo, exec_lo, s4
	s_cbranch_execnz .LBB80_128
; %bb.129:
	s_or_b32 exec_lo, exec_lo, s4
.LBB80_130:
	s_or_b32 exec_lo, exec_lo, s5
	v_mov_b32_e32 v41, 0
	s_mov_b32 s5, exec_lo
	s_or_b32 s25, 0, 8
	ds_read_b128 v[41:44], v41
	s_waitcnt lgkmcnt(0)
	v_mul_f64 v[46:47], v[3:4], v[43:44]
	v_mul_f64 v[43:44], v[1:2], v[43:44]
	v_fma_f64 v[46:47], v[1:2], v[41:42], -v[46:47]
	v_fma_f64 v[1:2], v[3:4], v[41:42], v[43:44]
	buffer_store_dword v47, off, s[0:3], 0 offset:4
	buffer_store_dword v46, off, s[0:3], 0
.LBB80_131:
	s_or_b32 exec_lo, exec_lo, s24
	s_and_b32 vcc_lo, exec_lo, s8
	s_cbranch_vccnz .LBB80_133
	s_branch .LBB80_256
.LBB80_132:
	s_mov_b32 s5, 0
                                        ; implicit-def: $vgpr1_vgpr2
                                        ; implicit-def: $sgpr25
	s_cbranch_execz .LBB80_256
.LBB80_133:
	v_mov_b32_e32 v4, s22
	v_cmp_eq_u32_e64 s4, 0, v0
	v_cndmask_b32_e64 v41, 0, 1, s23
	s_clause 0x3
	buffer_load_dword v1, v4, s[0:3], 0 offen
	buffer_load_dword v2, v4, s[0:3], 0 offen offset:4
	buffer_load_dword v3, v4, s[0:3], 0 offen offset:8
	;; [unrolled: 1-line block ×3, first 2 shown]
	s_waitcnt vmcnt(0)
	ds_write_b128 v40, v[1:4]
	s_waitcnt lgkmcnt(0)
	s_waitcnt_vscnt null, 0x0
	s_barrier
	buffer_gl0_inv
	s_and_saveexec_b32 s8, s4
	s_cbranch_execz .LBB80_137
; %bb.134:
	ds_read_b128 v[1:4], v40
	s_andn2_b32 vcc_lo, exec_lo, s23
	s_cbranch_vccnz .LBB80_136
; %bb.135:
	s_clause 0x3
	buffer_load_dword v42, v39, s[0:3], 0 offen offset:8
	buffer_load_dword v43, v39, s[0:3], 0 offen offset:12
	buffer_load_dword v46, v39, s[0:3], 0 offen
	buffer_load_dword v47, v39, s[0:3], 0 offen offset:4
	s_waitcnt vmcnt(2) lgkmcnt(0)
	v_mul_f64 v[48:49], v[3:4], v[42:43]
	v_mul_f64 v[42:43], v[1:2], v[42:43]
	s_waitcnt vmcnt(0)
	v_fma_f64 v[1:2], v[1:2], v[46:47], -v[48:49]
	v_fma_f64 v[3:4], v[3:4], v[46:47], v[42:43]
.LBB80_136:
	v_mov_b32_e32 v42, 0
	ds_read_b128 v[46:49], v42 offset:16
	s_waitcnt lgkmcnt(0)
	v_mul_f64 v[42:43], v[3:4], v[48:49]
	v_mul_f64 v[48:49], v[1:2], v[48:49]
	v_fma_f64 v[1:2], v[1:2], v[46:47], -v[42:43]
	v_fma_f64 v[3:4], v[3:4], v[46:47], v[48:49]
	buffer_store_dword v2, off, s[0:3], 0 offset:20
	buffer_store_dword v1, off, s[0:3], 0 offset:16
	;; [unrolled: 1-line block ×4, first 2 shown]
.LBB80_137:
	s_or_b32 exec_lo, exec_lo, s8
	v_mov_b32_e32 v4, s21
	s_mov_b32 s8, exec_lo
	s_clause 0x3
	buffer_load_dword v1, v4, s[0:3], 0 offen
	buffer_load_dword v2, v4, s[0:3], 0 offen offset:4
	buffer_load_dword v3, v4, s[0:3], 0 offen offset:8
	buffer_load_dword v4, v4, s[0:3], 0 offen offset:12
	s_waitcnt vmcnt(0)
	ds_write_b128 v40, v[1:4]
	s_waitcnt lgkmcnt(0)
	s_waitcnt_vscnt null, 0x0
	s_barrier
	buffer_gl0_inv
	v_cmpx_gt_u32_e32 2, v0
	s_cbranch_execz .LBB80_143
; %bb.138:
	ds_read_b128 v[1:4], v40
	v_cmp_ne_u32_e32 vcc_lo, 1, v41
	s_cbranch_vccnz .LBB80_140
; %bb.139:
	s_clause 0x3
	buffer_load_dword v42, v39, s[0:3], 0 offen offset:8
	buffer_load_dword v43, v39, s[0:3], 0 offen offset:12
	buffer_load_dword v46, v39, s[0:3], 0 offen
	buffer_load_dword v47, v39, s[0:3], 0 offen offset:4
	s_waitcnt vmcnt(2) lgkmcnt(0)
	v_mul_f64 v[48:49], v[3:4], v[42:43]
	v_mul_f64 v[42:43], v[1:2], v[42:43]
	s_waitcnt vmcnt(0)
	v_fma_f64 v[1:2], v[1:2], v[46:47], -v[48:49]
	v_fma_f64 v[3:4], v[3:4], v[46:47], v[42:43]
.LBB80_140:
	s_and_saveexec_b32 s23, s4
	s_cbranch_execz .LBB80_142
; %bb.141:
	s_clause 0x3
	buffer_load_dword v42, off, s[0:3], 0 offset:24
	buffer_load_dword v43, off, s[0:3], 0 offset:28
	;; [unrolled: 1-line block ×4, first 2 shown]
	v_mov_b32_e32 v44, 0
	ds_read_b128 v[46:49], v44 offset:288
	s_waitcnt vmcnt(2) lgkmcnt(0)
	v_mul_f64 v[52:53], v[48:49], v[42:43]
	v_mul_f64 v[42:43], v[46:47], v[42:43]
	s_waitcnt vmcnt(0)
	v_fma_f64 v[46:47], v[46:47], v[50:51], -v[52:53]
	v_fma_f64 v[42:43], v[48:49], v[50:51], v[42:43]
	v_add_f64 v[1:2], v[1:2], v[46:47]
	v_add_f64 v[3:4], v[3:4], v[42:43]
.LBB80_142:
	s_or_b32 exec_lo, exec_lo, s23
	v_mov_b32_e32 v42, 0
	ds_read_b128 v[46:49], v42 offset:32
	s_waitcnt lgkmcnt(0)
	v_mul_f64 v[42:43], v[3:4], v[48:49]
	v_mul_f64 v[48:49], v[1:2], v[48:49]
	v_fma_f64 v[1:2], v[1:2], v[46:47], -v[42:43]
	v_fma_f64 v[3:4], v[3:4], v[46:47], v[48:49]
	buffer_store_dword v2, off, s[0:3], 0 offset:36
	buffer_store_dword v1, off, s[0:3], 0 offset:32
	;; [unrolled: 1-line block ×4, first 2 shown]
.LBB80_143:
	s_or_b32 exec_lo, exec_lo, s8
	v_mov_b32_e32 v4, s20
	s_mov_b32 s8, exec_lo
	s_clause 0x3
	buffer_load_dword v1, v4, s[0:3], 0 offen
	buffer_load_dword v2, v4, s[0:3], 0 offen offset:4
	buffer_load_dword v3, v4, s[0:3], 0 offen offset:8
	;; [unrolled: 1-line block ×3, first 2 shown]
	s_waitcnt vmcnt(0)
	ds_write_b128 v40, v[1:4]
	s_waitcnt lgkmcnt(0)
	s_waitcnt_vscnt null, 0x0
	s_barrier
	buffer_gl0_inv
	v_cmpx_gt_u32_e32 3, v0
	s_cbranch_execz .LBB80_151
; %bb.144:
	ds_read_b128 v[1:4], v40
	v_cmp_ne_u32_e32 vcc_lo, 1, v41
	s_cbranch_vccnz .LBB80_146
; %bb.145:
	s_clause 0x3
	buffer_load_dword v42, v39, s[0:3], 0 offen offset:8
	buffer_load_dword v43, v39, s[0:3], 0 offen offset:12
	buffer_load_dword v46, v39, s[0:3], 0 offen
	buffer_load_dword v47, v39, s[0:3], 0 offen offset:4
	s_waitcnt vmcnt(2) lgkmcnt(0)
	v_mul_f64 v[48:49], v[3:4], v[42:43]
	v_mul_f64 v[42:43], v[1:2], v[42:43]
	s_waitcnt vmcnt(0)
	v_fma_f64 v[1:2], v[1:2], v[46:47], -v[48:49]
	v_fma_f64 v[3:4], v[3:4], v[46:47], v[42:43]
.LBB80_146:
	s_mov_b32 s23, exec_lo
	v_cmpx_ne_u32_e32 2, v0
	s_cbranch_execz .LBB80_150
; %bb.147:
	s_clause 0x3
	buffer_load_dword v42, v39, s[0:3], 0 offen offset:24
	buffer_load_dword v43, v39, s[0:3], 0 offen offset:28
	;; [unrolled: 1-line block ×4, first 2 shown]
	ds_read_b128 v[46:49], v40 offset:16
	s_waitcnt vmcnt(2) lgkmcnt(0)
	v_mul_f64 v[52:53], v[48:49], v[42:43]
	v_mul_f64 v[42:43], v[46:47], v[42:43]
	s_waitcnt vmcnt(0)
	v_fma_f64 v[46:47], v[46:47], v[50:51], -v[52:53]
	v_fma_f64 v[42:43], v[48:49], v[50:51], v[42:43]
	v_add_f64 v[1:2], v[1:2], v[46:47]
	v_add_f64 v[3:4], v[3:4], v[42:43]
	s_and_saveexec_b32 s24, s4
	s_cbranch_execz .LBB80_149
; %bb.148:
	s_clause 0x3
	buffer_load_dword v42, off, s[0:3], 0 offset:40
	buffer_load_dword v43, off, s[0:3], 0 offset:44
	;; [unrolled: 1-line block ×4, first 2 shown]
	v_mov_b32_e32 v44, 0
	ds_read_b128 v[46:49], v44 offset:304
	s_waitcnt vmcnt(2) lgkmcnt(0)
	v_mul_f64 v[52:53], v[46:47], v[42:43]
	v_mul_f64 v[42:43], v[48:49], v[42:43]
	s_waitcnt vmcnt(0)
	v_fma_f64 v[48:49], v[48:49], v[50:51], v[52:53]
	v_fma_f64 v[42:43], v[46:47], v[50:51], -v[42:43]
	v_add_f64 v[3:4], v[3:4], v[48:49]
	v_add_f64 v[1:2], v[1:2], v[42:43]
.LBB80_149:
	s_or_b32 exec_lo, exec_lo, s24
.LBB80_150:
	s_or_b32 exec_lo, exec_lo, s23
	v_mov_b32_e32 v42, 0
	ds_read_b128 v[46:49], v42 offset:48
	s_waitcnt lgkmcnt(0)
	v_mul_f64 v[42:43], v[3:4], v[48:49]
	v_mul_f64 v[48:49], v[1:2], v[48:49]
	v_fma_f64 v[1:2], v[1:2], v[46:47], -v[42:43]
	v_fma_f64 v[3:4], v[3:4], v[46:47], v[48:49]
	buffer_store_dword v2, off, s[0:3], 0 offset:52
	buffer_store_dword v1, off, s[0:3], 0 offset:48
	;; [unrolled: 1-line block ×4, first 2 shown]
.LBB80_151:
	s_or_b32 exec_lo, exec_lo, s8
	v_mov_b32_e32 v4, s19
	s_mov_b32 s4, exec_lo
	s_clause 0x3
	buffer_load_dword v1, v4, s[0:3], 0 offen
	buffer_load_dword v2, v4, s[0:3], 0 offen offset:4
	buffer_load_dword v3, v4, s[0:3], 0 offen offset:8
	;; [unrolled: 1-line block ×3, first 2 shown]
	s_waitcnt vmcnt(0)
	ds_write_b128 v40, v[1:4]
	s_waitcnt lgkmcnt(0)
	s_waitcnt_vscnt null, 0x0
	s_barrier
	buffer_gl0_inv
	v_cmpx_gt_u32_e32 4, v0
	s_cbranch_execz .LBB80_159
; %bb.152:
	ds_read_b128 v[1:4], v40
	v_cmp_ne_u32_e32 vcc_lo, 1, v41
	s_cbranch_vccnz .LBB80_154
; %bb.153:
	s_clause 0x3
	buffer_load_dword v42, v39, s[0:3], 0 offen offset:8
	buffer_load_dword v43, v39, s[0:3], 0 offen offset:12
	buffer_load_dword v46, v39, s[0:3], 0 offen
	buffer_load_dword v47, v39, s[0:3], 0 offen offset:4
	s_waitcnt vmcnt(2) lgkmcnt(0)
	v_mul_f64 v[48:49], v[3:4], v[42:43]
	v_mul_f64 v[42:43], v[1:2], v[42:43]
	s_waitcnt vmcnt(0)
	v_fma_f64 v[1:2], v[1:2], v[46:47], -v[48:49]
	v_fma_f64 v[3:4], v[3:4], v[46:47], v[42:43]
.LBB80_154:
	s_mov_b32 s8, exec_lo
	v_cmpx_ne_u32_e32 3, v0
	s_cbranch_execz .LBB80_158
; %bb.155:
	v_add_nc_u32_e32 v42, 0x120, v45
	v_add3_u32 v43, 0, v45, 16
	v_mov_b32_e32 v44, v0
	s_mov_b32 s23, 0
	.p2align	6
.LBB80_156:                             ; =>This Inner Loop Header: Depth=1
	s_clause 0x3
	buffer_load_dword v50, v43, s[0:3], 0 offen offset:8
	buffer_load_dword v51, v43, s[0:3], 0 offen offset:12
	buffer_load_dword v52, v43, s[0:3], 0 offen
	buffer_load_dword v53, v43, s[0:3], 0 offen offset:4
	ds_read_b128 v[46:49], v42
	v_add_nc_u32_e32 v44, 1, v44
	v_add_nc_u32_e32 v42, 16, v42
	;; [unrolled: 1-line block ×3, first 2 shown]
	v_cmp_lt_u32_e32 vcc_lo, 2, v44
	s_or_b32 s23, vcc_lo, s23
	s_waitcnt vmcnt(2) lgkmcnt(0)
	v_mul_f64 v[54:55], v[48:49], v[50:51]
	v_mul_f64 v[50:51], v[46:47], v[50:51]
	s_waitcnt vmcnt(0)
	v_fma_f64 v[46:47], v[46:47], v[52:53], -v[54:55]
	v_fma_f64 v[48:49], v[48:49], v[52:53], v[50:51]
	v_add_f64 v[1:2], v[1:2], v[46:47]
	v_add_f64 v[3:4], v[3:4], v[48:49]
	s_andn2_b32 exec_lo, exec_lo, s23
	s_cbranch_execnz .LBB80_156
; %bb.157:
	s_or_b32 exec_lo, exec_lo, s23
.LBB80_158:
	s_or_b32 exec_lo, exec_lo, s8
	v_mov_b32_e32 v42, 0
	ds_read_b128 v[46:49], v42 offset:64
	s_waitcnt lgkmcnt(0)
	v_mul_f64 v[42:43], v[3:4], v[48:49]
	v_mul_f64 v[48:49], v[1:2], v[48:49]
	v_fma_f64 v[1:2], v[1:2], v[46:47], -v[42:43]
	v_fma_f64 v[3:4], v[3:4], v[46:47], v[48:49]
	buffer_store_dword v2, off, s[0:3], 0 offset:68
	buffer_store_dword v1, off, s[0:3], 0 offset:64
	;; [unrolled: 1-line block ×4, first 2 shown]
.LBB80_159:
	s_or_b32 exec_lo, exec_lo, s4
	v_mov_b32_e32 v4, s18
	s_mov_b32 s4, exec_lo
	s_clause 0x3
	buffer_load_dword v1, v4, s[0:3], 0 offen
	buffer_load_dword v2, v4, s[0:3], 0 offen offset:4
	buffer_load_dword v3, v4, s[0:3], 0 offen offset:8
	buffer_load_dword v4, v4, s[0:3], 0 offen offset:12
	s_waitcnt vmcnt(0)
	ds_write_b128 v40, v[1:4]
	s_waitcnt lgkmcnt(0)
	s_waitcnt_vscnt null, 0x0
	s_barrier
	buffer_gl0_inv
	v_cmpx_gt_u32_e32 5, v0
	s_cbranch_execz .LBB80_167
; %bb.160:
	ds_read_b128 v[1:4], v40
	v_cmp_ne_u32_e32 vcc_lo, 1, v41
	s_cbranch_vccnz .LBB80_162
; %bb.161:
	s_clause 0x3
	buffer_load_dword v42, v39, s[0:3], 0 offen offset:8
	buffer_load_dword v43, v39, s[0:3], 0 offen offset:12
	buffer_load_dword v46, v39, s[0:3], 0 offen
	buffer_load_dword v47, v39, s[0:3], 0 offen offset:4
	s_waitcnt vmcnt(2) lgkmcnt(0)
	v_mul_f64 v[48:49], v[3:4], v[42:43]
	v_mul_f64 v[42:43], v[1:2], v[42:43]
	s_waitcnt vmcnt(0)
	v_fma_f64 v[1:2], v[1:2], v[46:47], -v[48:49]
	v_fma_f64 v[3:4], v[3:4], v[46:47], v[42:43]
.LBB80_162:
	s_mov_b32 s8, exec_lo
	v_cmpx_ne_u32_e32 4, v0
	s_cbranch_execz .LBB80_166
; %bb.163:
	v_add_nc_u32_e32 v42, 0x120, v45
	v_add3_u32 v43, 0, v45, 16
	v_mov_b32_e32 v44, v0
	s_mov_b32 s23, 0
	.p2align	6
.LBB80_164:                             ; =>This Inner Loop Header: Depth=1
	s_clause 0x3
	buffer_load_dword v50, v43, s[0:3], 0 offen offset:8
	buffer_load_dword v51, v43, s[0:3], 0 offen offset:12
	buffer_load_dword v52, v43, s[0:3], 0 offen
	buffer_load_dword v53, v43, s[0:3], 0 offen offset:4
	ds_read_b128 v[46:49], v42
	v_add_nc_u32_e32 v44, 1, v44
	v_add_nc_u32_e32 v42, 16, v42
	;; [unrolled: 1-line block ×3, first 2 shown]
	v_cmp_lt_u32_e32 vcc_lo, 3, v44
	s_or_b32 s23, vcc_lo, s23
	s_waitcnt vmcnt(2) lgkmcnt(0)
	v_mul_f64 v[54:55], v[48:49], v[50:51]
	v_mul_f64 v[50:51], v[46:47], v[50:51]
	s_waitcnt vmcnt(0)
	v_fma_f64 v[46:47], v[46:47], v[52:53], -v[54:55]
	v_fma_f64 v[48:49], v[48:49], v[52:53], v[50:51]
	v_add_f64 v[1:2], v[1:2], v[46:47]
	v_add_f64 v[3:4], v[3:4], v[48:49]
	s_andn2_b32 exec_lo, exec_lo, s23
	s_cbranch_execnz .LBB80_164
; %bb.165:
	s_or_b32 exec_lo, exec_lo, s23
.LBB80_166:
	s_or_b32 exec_lo, exec_lo, s8
	v_mov_b32_e32 v42, 0
	ds_read_b128 v[46:49], v42 offset:80
	s_waitcnt lgkmcnt(0)
	v_mul_f64 v[42:43], v[3:4], v[48:49]
	v_mul_f64 v[48:49], v[1:2], v[48:49]
	v_fma_f64 v[1:2], v[1:2], v[46:47], -v[42:43]
	v_fma_f64 v[3:4], v[3:4], v[46:47], v[48:49]
	buffer_store_dword v2, off, s[0:3], 0 offset:84
	buffer_store_dword v1, off, s[0:3], 0 offset:80
	;; [unrolled: 1-line block ×4, first 2 shown]
.LBB80_167:
	s_or_b32 exec_lo, exec_lo, s4
	v_mov_b32_e32 v4, s17
	s_mov_b32 s4, exec_lo
	s_clause 0x3
	buffer_load_dword v1, v4, s[0:3], 0 offen
	buffer_load_dword v2, v4, s[0:3], 0 offen offset:4
	buffer_load_dword v3, v4, s[0:3], 0 offen offset:8
	;; [unrolled: 1-line block ×3, first 2 shown]
	s_waitcnt vmcnt(0)
	ds_write_b128 v40, v[1:4]
	s_waitcnt lgkmcnt(0)
	s_waitcnt_vscnt null, 0x0
	s_barrier
	buffer_gl0_inv
	v_cmpx_gt_u32_e32 6, v0
	s_cbranch_execz .LBB80_175
; %bb.168:
	ds_read_b128 v[1:4], v40
	v_cmp_ne_u32_e32 vcc_lo, 1, v41
	s_cbranch_vccnz .LBB80_170
; %bb.169:
	s_clause 0x3
	buffer_load_dword v42, v39, s[0:3], 0 offen offset:8
	buffer_load_dword v43, v39, s[0:3], 0 offen offset:12
	buffer_load_dword v46, v39, s[0:3], 0 offen
	buffer_load_dword v47, v39, s[0:3], 0 offen offset:4
	s_waitcnt vmcnt(2) lgkmcnt(0)
	v_mul_f64 v[48:49], v[3:4], v[42:43]
	v_mul_f64 v[42:43], v[1:2], v[42:43]
	s_waitcnt vmcnt(0)
	v_fma_f64 v[1:2], v[1:2], v[46:47], -v[48:49]
	v_fma_f64 v[3:4], v[3:4], v[46:47], v[42:43]
.LBB80_170:
	s_mov_b32 s8, exec_lo
	v_cmpx_ne_u32_e32 5, v0
	s_cbranch_execz .LBB80_174
; %bb.171:
	v_add_nc_u32_e32 v42, 0x120, v45
	v_add3_u32 v43, 0, v45, 16
	v_mov_b32_e32 v44, v0
	s_mov_b32 s23, 0
	.p2align	6
.LBB80_172:                             ; =>This Inner Loop Header: Depth=1
	s_clause 0x3
	buffer_load_dword v50, v43, s[0:3], 0 offen offset:8
	buffer_load_dword v51, v43, s[0:3], 0 offen offset:12
	buffer_load_dword v52, v43, s[0:3], 0 offen
	buffer_load_dword v53, v43, s[0:3], 0 offen offset:4
	ds_read_b128 v[46:49], v42
	v_add_nc_u32_e32 v44, 1, v44
	v_add_nc_u32_e32 v42, 16, v42
	v_add_nc_u32_e32 v43, 16, v43
	v_cmp_lt_u32_e32 vcc_lo, 4, v44
	s_or_b32 s23, vcc_lo, s23
	s_waitcnt vmcnt(2) lgkmcnt(0)
	v_mul_f64 v[54:55], v[48:49], v[50:51]
	v_mul_f64 v[50:51], v[46:47], v[50:51]
	s_waitcnt vmcnt(0)
	v_fma_f64 v[46:47], v[46:47], v[52:53], -v[54:55]
	v_fma_f64 v[48:49], v[48:49], v[52:53], v[50:51]
	v_add_f64 v[1:2], v[1:2], v[46:47]
	v_add_f64 v[3:4], v[3:4], v[48:49]
	s_andn2_b32 exec_lo, exec_lo, s23
	s_cbranch_execnz .LBB80_172
; %bb.173:
	s_or_b32 exec_lo, exec_lo, s23
.LBB80_174:
	s_or_b32 exec_lo, exec_lo, s8
	v_mov_b32_e32 v42, 0
	ds_read_b128 v[46:49], v42 offset:96
	s_waitcnt lgkmcnt(0)
	v_mul_f64 v[42:43], v[3:4], v[48:49]
	v_mul_f64 v[48:49], v[1:2], v[48:49]
	v_fma_f64 v[1:2], v[1:2], v[46:47], -v[42:43]
	v_fma_f64 v[3:4], v[3:4], v[46:47], v[48:49]
	buffer_store_dword v2, off, s[0:3], 0 offset:100
	buffer_store_dword v1, off, s[0:3], 0 offset:96
	;; [unrolled: 1-line block ×4, first 2 shown]
.LBB80_175:
	s_or_b32 exec_lo, exec_lo, s4
	v_mov_b32_e32 v4, s16
	s_mov_b32 s4, exec_lo
	s_clause 0x3
	buffer_load_dword v1, v4, s[0:3], 0 offen
	buffer_load_dword v2, v4, s[0:3], 0 offen offset:4
	buffer_load_dword v3, v4, s[0:3], 0 offen offset:8
	;; [unrolled: 1-line block ×3, first 2 shown]
	s_waitcnt vmcnt(0)
	ds_write_b128 v40, v[1:4]
	s_waitcnt lgkmcnt(0)
	s_waitcnt_vscnt null, 0x0
	s_barrier
	buffer_gl0_inv
	v_cmpx_gt_u32_e32 7, v0
	s_cbranch_execz .LBB80_183
; %bb.176:
	ds_read_b128 v[1:4], v40
	v_cmp_ne_u32_e32 vcc_lo, 1, v41
	s_cbranch_vccnz .LBB80_178
; %bb.177:
	s_clause 0x3
	buffer_load_dword v42, v39, s[0:3], 0 offen offset:8
	buffer_load_dword v43, v39, s[0:3], 0 offen offset:12
	buffer_load_dword v46, v39, s[0:3], 0 offen
	buffer_load_dword v47, v39, s[0:3], 0 offen offset:4
	s_waitcnt vmcnt(2) lgkmcnt(0)
	v_mul_f64 v[48:49], v[3:4], v[42:43]
	v_mul_f64 v[42:43], v[1:2], v[42:43]
	s_waitcnt vmcnt(0)
	v_fma_f64 v[1:2], v[1:2], v[46:47], -v[48:49]
	v_fma_f64 v[3:4], v[3:4], v[46:47], v[42:43]
.LBB80_178:
	s_mov_b32 s8, exec_lo
	v_cmpx_ne_u32_e32 6, v0
	s_cbranch_execz .LBB80_182
; %bb.179:
	v_add_nc_u32_e32 v42, 0x120, v45
	v_add3_u32 v43, 0, v45, 16
	v_mov_b32_e32 v44, v0
	s_mov_b32 s23, 0
	.p2align	6
.LBB80_180:                             ; =>This Inner Loop Header: Depth=1
	s_clause 0x3
	buffer_load_dword v50, v43, s[0:3], 0 offen offset:8
	buffer_load_dword v51, v43, s[0:3], 0 offen offset:12
	buffer_load_dword v52, v43, s[0:3], 0 offen
	buffer_load_dword v53, v43, s[0:3], 0 offen offset:4
	ds_read_b128 v[46:49], v42
	v_add_nc_u32_e32 v44, 1, v44
	v_add_nc_u32_e32 v42, 16, v42
	;; [unrolled: 1-line block ×3, first 2 shown]
	v_cmp_lt_u32_e32 vcc_lo, 5, v44
	s_or_b32 s23, vcc_lo, s23
	s_waitcnt vmcnt(2) lgkmcnt(0)
	v_mul_f64 v[54:55], v[48:49], v[50:51]
	v_mul_f64 v[50:51], v[46:47], v[50:51]
	s_waitcnt vmcnt(0)
	v_fma_f64 v[46:47], v[46:47], v[52:53], -v[54:55]
	v_fma_f64 v[48:49], v[48:49], v[52:53], v[50:51]
	v_add_f64 v[1:2], v[1:2], v[46:47]
	v_add_f64 v[3:4], v[3:4], v[48:49]
	s_andn2_b32 exec_lo, exec_lo, s23
	s_cbranch_execnz .LBB80_180
; %bb.181:
	s_or_b32 exec_lo, exec_lo, s23
.LBB80_182:
	s_or_b32 exec_lo, exec_lo, s8
	v_mov_b32_e32 v42, 0
	ds_read_b128 v[46:49], v42 offset:112
	s_waitcnt lgkmcnt(0)
	v_mul_f64 v[42:43], v[3:4], v[48:49]
	v_mul_f64 v[48:49], v[1:2], v[48:49]
	v_fma_f64 v[1:2], v[1:2], v[46:47], -v[42:43]
	v_fma_f64 v[3:4], v[3:4], v[46:47], v[48:49]
	buffer_store_dword v2, off, s[0:3], 0 offset:116
	buffer_store_dword v1, off, s[0:3], 0 offset:112
	;; [unrolled: 1-line block ×4, first 2 shown]
.LBB80_183:
	s_or_b32 exec_lo, exec_lo, s4
	v_mov_b32_e32 v4, s15
	s_mov_b32 s4, exec_lo
	s_clause 0x3
	buffer_load_dword v1, v4, s[0:3], 0 offen
	buffer_load_dword v2, v4, s[0:3], 0 offen offset:4
	buffer_load_dword v3, v4, s[0:3], 0 offen offset:8
	;; [unrolled: 1-line block ×3, first 2 shown]
	s_waitcnt vmcnt(0)
	ds_write_b128 v40, v[1:4]
	s_waitcnt lgkmcnt(0)
	s_waitcnt_vscnt null, 0x0
	s_barrier
	buffer_gl0_inv
	v_cmpx_gt_u32_e32 8, v0
	s_cbranch_execz .LBB80_191
; %bb.184:
	ds_read_b128 v[1:4], v40
	v_cmp_ne_u32_e32 vcc_lo, 1, v41
	s_cbranch_vccnz .LBB80_186
; %bb.185:
	s_clause 0x3
	buffer_load_dword v42, v39, s[0:3], 0 offen offset:8
	buffer_load_dword v43, v39, s[0:3], 0 offen offset:12
	buffer_load_dword v46, v39, s[0:3], 0 offen
	buffer_load_dword v47, v39, s[0:3], 0 offen offset:4
	s_waitcnt vmcnt(2) lgkmcnt(0)
	v_mul_f64 v[48:49], v[3:4], v[42:43]
	v_mul_f64 v[42:43], v[1:2], v[42:43]
	s_waitcnt vmcnt(0)
	v_fma_f64 v[1:2], v[1:2], v[46:47], -v[48:49]
	v_fma_f64 v[3:4], v[3:4], v[46:47], v[42:43]
.LBB80_186:
	s_mov_b32 s8, exec_lo
	v_cmpx_ne_u32_e32 7, v0
	s_cbranch_execz .LBB80_190
; %bb.187:
	v_add_nc_u32_e32 v42, 0x120, v45
	v_add3_u32 v43, 0, v45, 16
	v_mov_b32_e32 v44, v0
	s_mov_b32 s23, 0
	.p2align	6
.LBB80_188:                             ; =>This Inner Loop Header: Depth=1
	s_clause 0x3
	buffer_load_dword v50, v43, s[0:3], 0 offen offset:8
	buffer_load_dword v51, v43, s[0:3], 0 offen offset:12
	buffer_load_dword v52, v43, s[0:3], 0 offen
	buffer_load_dword v53, v43, s[0:3], 0 offen offset:4
	ds_read_b128 v[46:49], v42
	v_add_nc_u32_e32 v44, 1, v44
	v_add_nc_u32_e32 v42, 16, v42
	;; [unrolled: 1-line block ×3, first 2 shown]
	v_cmp_lt_u32_e32 vcc_lo, 6, v44
	s_or_b32 s23, vcc_lo, s23
	s_waitcnt vmcnt(2) lgkmcnt(0)
	v_mul_f64 v[54:55], v[48:49], v[50:51]
	v_mul_f64 v[50:51], v[46:47], v[50:51]
	s_waitcnt vmcnt(0)
	v_fma_f64 v[46:47], v[46:47], v[52:53], -v[54:55]
	v_fma_f64 v[48:49], v[48:49], v[52:53], v[50:51]
	v_add_f64 v[1:2], v[1:2], v[46:47]
	v_add_f64 v[3:4], v[3:4], v[48:49]
	s_andn2_b32 exec_lo, exec_lo, s23
	s_cbranch_execnz .LBB80_188
; %bb.189:
	s_or_b32 exec_lo, exec_lo, s23
.LBB80_190:
	s_or_b32 exec_lo, exec_lo, s8
	v_mov_b32_e32 v42, 0
	ds_read_b128 v[46:49], v42 offset:128
	s_waitcnt lgkmcnt(0)
	v_mul_f64 v[42:43], v[3:4], v[48:49]
	v_mul_f64 v[48:49], v[1:2], v[48:49]
	v_fma_f64 v[1:2], v[1:2], v[46:47], -v[42:43]
	v_fma_f64 v[3:4], v[3:4], v[46:47], v[48:49]
	buffer_store_dword v2, off, s[0:3], 0 offset:132
	buffer_store_dword v1, off, s[0:3], 0 offset:128
	;; [unrolled: 1-line block ×4, first 2 shown]
.LBB80_191:
	s_or_b32 exec_lo, exec_lo, s4
	v_mov_b32_e32 v4, s14
	s_mov_b32 s4, exec_lo
	s_clause 0x3
	buffer_load_dword v1, v4, s[0:3], 0 offen
	buffer_load_dword v2, v4, s[0:3], 0 offen offset:4
	buffer_load_dword v3, v4, s[0:3], 0 offen offset:8
	;; [unrolled: 1-line block ×3, first 2 shown]
	s_waitcnt vmcnt(0)
	ds_write_b128 v40, v[1:4]
	s_waitcnt lgkmcnt(0)
	s_waitcnt_vscnt null, 0x0
	s_barrier
	buffer_gl0_inv
	v_cmpx_gt_u32_e32 9, v0
	s_cbranch_execz .LBB80_199
; %bb.192:
	ds_read_b128 v[1:4], v40
	v_cmp_ne_u32_e32 vcc_lo, 1, v41
	s_cbranch_vccnz .LBB80_194
; %bb.193:
	s_clause 0x3
	buffer_load_dword v42, v39, s[0:3], 0 offen offset:8
	buffer_load_dword v43, v39, s[0:3], 0 offen offset:12
	buffer_load_dword v46, v39, s[0:3], 0 offen
	buffer_load_dword v47, v39, s[0:3], 0 offen offset:4
	s_waitcnt vmcnt(2) lgkmcnt(0)
	v_mul_f64 v[48:49], v[3:4], v[42:43]
	v_mul_f64 v[42:43], v[1:2], v[42:43]
	s_waitcnt vmcnt(0)
	v_fma_f64 v[1:2], v[1:2], v[46:47], -v[48:49]
	v_fma_f64 v[3:4], v[3:4], v[46:47], v[42:43]
.LBB80_194:
	s_mov_b32 s8, exec_lo
	v_cmpx_ne_u32_e32 8, v0
	s_cbranch_execz .LBB80_198
; %bb.195:
	v_add_nc_u32_e32 v42, 0x120, v45
	v_add3_u32 v43, 0, v45, 16
	v_mov_b32_e32 v44, v0
	s_mov_b32 s23, 0
	.p2align	6
.LBB80_196:                             ; =>This Inner Loop Header: Depth=1
	s_clause 0x3
	buffer_load_dword v50, v43, s[0:3], 0 offen offset:8
	buffer_load_dword v51, v43, s[0:3], 0 offen offset:12
	buffer_load_dword v52, v43, s[0:3], 0 offen
	buffer_load_dword v53, v43, s[0:3], 0 offen offset:4
	ds_read_b128 v[46:49], v42
	v_add_nc_u32_e32 v44, 1, v44
	v_add_nc_u32_e32 v42, 16, v42
	;; [unrolled: 1-line block ×3, first 2 shown]
	v_cmp_lt_u32_e32 vcc_lo, 7, v44
	s_or_b32 s23, vcc_lo, s23
	s_waitcnt vmcnt(2) lgkmcnt(0)
	v_mul_f64 v[54:55], v[48:49], v[50:51]
	v_mul_f64 v[50:51], v[46:47], v[50:51]
	s_waitcnt vmcnt(0)
	v_fma_f64 v[46:47], v[46:47], v[52:53], -v[54:55]
	v_fma_f64 v[48:49], v[48:49], v[52:53], v[50:51]
	v_add_f64 v[1:2], v[1:2], v[46:47]
	v_add_f64 v[3:4], v[3:4], v[48:49]
	s_andn2_b32 exec_lo, exec_lo, s23
	s_cbranch_execnz .LBB80_196
; %bb.197:
	s_or_b32 exec_lo, exec_lo, s23
.LBB80_198:
	s_or_b32 exec_lo, exec_lo, s8
	v_mov_b32_e32 v42, 0
	ds_read_b128 v[46:49], v42 offset:144
	s_waitcnt lgkmcnt(0)
	v_mul_f64 v[42:43], v[3:4], v[48:49]
	v_mul_f64 v[48:49], v[1:2], v[48:49]
	v_fma_f64 v[1:2], v[1:2], v[46:47], -v[42:43]
	v_fma_f64 v[3:4], v[3:4], v[46:47], v[48:49]
	buffer_store_dword v2, off, s[0:3], 0 offset:148
	buffer_store_dword v1, off, s[0:3], 0 offset:144
	;; [unrolled: 1-line block ×4, first 2 shown]
.LBB80_199:
	s_or_b32 exec_lo, exec_lo, s4
	v_mov_b32_e32 v4, s13
	s_mov_b32 s4, exec_lo
	s_clause 0x3
	buffer_load_dword v1, v4, s[0:3], 0 offen
	buffer_load_dword v2, v4, s[0:3], 0 offen offset:4
	buffer_load_dword v3, v4, s[0:3], 0 offen offset:8
	;; [unrolled: 1-line block ×3, first 2 shown]
	s_waitcnt vmcnt(0)
	ds_write_b128 v40, v[1:4]
	s_waitcnt lgkmcnt(0)
	s_waitcnt_vscnt null, 0x0
	s_barrier
	buffer_gl0_inv
	v_cmpx_gt_u32_e32 10, v0
	s_cbranch_execz .LBB80_207
; %bb.200:
	ds_read_b128 v[1:4], v40
	v_cmp_ne_u32_e32 vcc_lo, 1, v41
	s_cbranch_vccnz .LBB80_202
; %bb.201:
	s_clause 0x3
	buffer_load_dword v42, v39, s[0:3], 0 offen offset:8
	buffer_load_dword v43, v39, s[0:3], 0 offen offset:12
	buffer_load_dword v46, v39, s[0:3], 0 offen
	buffer_load_dword v47, v39, s[0:3], 0 offen offset:4
	s_waitcnt vmcnt(2) lgkmcnt(0)
	v_mul_f64 v[48:49], v[3:4], v[42:43]
	v_mul_f64 v[42:43], v[1:2], v[42:43]
	s_waitcnt vmcnt(0)
	v_fma_f64 v[1:2], v[1:2], v[46:47], -v[48:49]
	v_fma_f64 v[3:4], v[3:4], v[46:47], v[42:43]
.LBB80_202:
	s_mov_b32 s8, exec_lo
	v_cmpx_ne_u32_e32 9, v0
	s_cbranch_execz .LBB80_206
; %bb.203:
	v_add_nc_u32_e32 v42, 0x120, v45
	v_add3_u32 v43, 0, v45, 16
	v_mov_b32_e32 v44, v0
	s_mov_b32 s23, 0
	.p2align	6
.LBB80_204:                             ; =>This Inner Loop Header: Depth=1
	s_clause 0x3
	buffer_load_dword v50, v43, s[0:3], 0 offen offset:8
	buffer_load_dword v51, v43, s[0:3], 0 offen offset:12
	buffer_load_dword v52, v43, s[0:3], 0 offen
	buffer_load_dword v53, v43, s[0:3], 0 offen offset:4
	ds_read_b128 v[46:49], v42
	v_add_nc_u32_e32 v44, 1, v44
	v_add_nc_u32_e32 v42, 16, v42
	;; [unrolled: 1-line block ×3, first 2 shown]
	v_cmp_lt_u32_e32 vcc_lo, 8, v44
	s_or_b32 s23, vcc_lo, s23
	s_waitcnt vmcnt(2) lgkmcnt(0)
	v_mul_f64 v[54:55], v[48:49], v[50:51]
	v_mul_f64 v[50:51], v[46:47], v[50:51]
	s_waitcnt vmcnt(0)
	v_fma_f64 v[46:47], v[46:47], v[52:53], -v[54:55]
	v_fma_f64 v[48:49], v[48:49], v[52:53], v[50:51]
	v_add_f64 v[1:2], v[1:2], v[46:47]
	v_add_f64 v[3:4], v[3:4], v[48:49]
	s_andn2_b32 exec_lo, exec_lo, s23
	s_cbranch_execnz .LBB80_204
; %bb.205:
	s_or_b32 exec_lo, exec_lo, s23
.LBB80_206:
	s_or_b32 exec_lo, exec_lo, s8
	v_mov_b32_e32 v42, 0
	ds_read_b128 v[46:49], v42 offset:160
	s_waitcnt lgkmcnt(0)
	v_mul_f64 v[42:43], v[3:4], v[48:49]
	v_mul_f64 v[48:49], v[1:2], v[48:49]
	v_fma_f64 v[1:2], v[1:2], v[46:47], -v[42:43]
	v_fma_f64 v[3:4], v[3:4], v[46:47], v[48:49]
	buffer_store_dword v2, off, s[0:3], 0 offset:164
	buffer_store_dword v1, off, s[0:3], 0 offset:160
	;; [unrolled: 1-line block ×4, first 2 shown]
.LBB80_207:
	s_or_b32 exec_lo, exec_lo, s4
	v_mov_b32_e32 v4, s12
	s_mov_b32 s4, exec_lo
	s_clause 0x3
	buffer_load_dword v1, v4, s[0:3], 0 offen
	buffer_load_dword v2, v4, s[0:3], 0 offen offset:4
	buffer_load_dword v3, v4, s[0:3], 0 offen offset:8
	;; [unrolled: 1-line block ×3, first 2 shown]
	s_waitcnt vmcnt(0)
	ds_write_b128 v40, v[1:4]
	s_waitcnt lgkmcnt(0)
	s_waitcnt_vscnt null, 0x0
	s_barrier
	buffer_gl0_inv
	v_cmpx_gt_u32_e32 11, v0
	s_cbranch_execz .LBB80_215
; %bb.208:
	ds_read_b128 v[1:4], v40
	v_cmp_ne_u32_e32 vcc_lo, 1, v41
	s_cbranch_vccnz .LBB80_210
; %bb.209:
	s_clause 0x3
	buffer_load_dword v42, v39, s[0:3], 0 offen offset:8
	buffer_load_dword v43, v39, s[0:3], 0 offen offset:12
	buffer_load_dword v46, v39, s[0:3], 0 offen
	buffer_load_dword v47, v39, s[0:3], 0 offen offset:4
	s_waitcnt vmcnt(2) lgkmcnt(0)
	v_mul_f64 v[48:49], v[3:4], v[42:43]
	v_mul_f64 v[42:43], v[1:2], v[42:43]
	s_waitcnt vmcnt(0)
	v_fma_f64 v[1:2], v[1:2], v[46:47], -v[48:49]
	v_fma_f64 v[3:4], v[3:4], v[46:47], v[42:43]
.LBB80_210:
	s_mov_b32 s8, exec_lo
	v_cmpx_ne_u32_e32 10, v0
	s_cbranch_execz .LBB80_214
; %bb.211:
	v_add_nc_u32_e32 v42, 0x120, v45
	v_add3_u32 v43, 0, v45, 16
	v_mov_b32_e32 v44, v0
	s_mov_b32 s23, 0
	.p2align	6
.LBB80_212:                             ; =>This Inner Loop Header: Depth=1
	s_clause 0x3
	buffer_load_dword v50, v43, s[0:3], 0 offen offset:8
	buffer_load_dword v51, v43, s[0:3], 0 offen offset:12
	buffer_load_dword v52, v43, s[0:3], 0 offen
	buffer_load_dword v53, v43, s[0:3], 0 offen offset:4
	ds_read_b128 v[46:49], v42
	v_add_nc_u32_e32 v44, 1, v44
	v_add_nc_u32_e32 v42, 16, v42
	;; [unrolled: 1-line block ×3, first 2 shown]
	v_cmp_lt_u32_e32 vcc_lo, 9, v44
	s_or_b32 s23, vcc_lo, s23
	s_waitcnt vmcnt(2) lgkmcnt(0)
	v_mul_f64 v[54:55], v[48:49], v[50:51]
	v_mul_f64 v[50:51], v[46:47], v[50:51]
	s_waitcnt vmcnt(0)
	v_fma_f64 v[46:47], v[46:47], v[52:53], -v[54:55]
	v_fma_f64 v[48:49], v[48:49], v[52:53], v[50:51]
	v_add_f64 v[1:2], v[1:2], v[46:47]
	v_add_f64 v[3:4], v[3:4], v[48:49]
	s_andn2_b32 exec_lo, exec_lo, s23
	s_cbranch_execnz .LBB80_212
; %bb.213:
	s_or_b32 exec_lo, exec_lo, s23
.LBB80_214:
	s_or_b32 exec_lo, exec_lo, s8
	v_mov_b32_e32 v42, 0
	ds_read_b128 v[46:49], v42 offset:176
	s_waitcnt lgkmcnt(0)
	v_mul_f64 v[42:43], v[3:4], v[48:49]
	v_mul_f64 v[48:49], v[1:2], v[48:49]
	v_fma_f64 v[1:2], v[1:2], v[46:47], -v[42:43]
	v_fma_f64 v[3:4], v[3:4], v[46:47], v[48:49]
	buffer_store_dword v2, off, s[0:3], 0 offset:180
	buffer_store_dword v1, off, s[0:3], 0 offset:176
	buffer_store_dword v4, off, s[0:3], 0 offset:188
	buffer_store_dword v3, off, s[0:3], 0 offset:184
.LBB80_215:
	s_or_b32 exec_lo, exec_lo, s4
	v_mov_b32_e32 v4, s11
	s_mov_b32 s4, exec_lo
	s_clause 0x3
	buffer_load_dword v1, v4, s[0:3], 0 offen
	buffer_load_dword v2, v4, s[0:3], 0 offen offset:4
	buffer_load_dword v3, v4, s[0:3], 0 offen offset:8
	;; [unrolled: 1-line block ×3, first 2 shown]
	s_waitcnt vmcnt(0)
	ds_write_b128 v40, v[1:4]
	s_waitcnt lgkmcnt(0)
	s_waitcnt_vscnt null, 0x0
	s_barrier
	buffer_gl0_inv
	v_cmpx_gt_u32_e32 12, v0
	s_cbranch_execz .LBB80_223
; %bb.216:
	ds_read_b128 v[1:4], v40
	v_cmp_ne_u32_e32 vcc_lo, 1, v41
	s_cbranch_vccnz .LBB80_218
; %bb.217:
	s_clause 0x3
	buffer_load_dword v42, v39, s[0:3], 0 offen offset:8
	buffer_load_dword v43, v39, s[0:3], 0 offen offset:12
	buffer_load_dword v46, v39, s[0:3], 0 offen
	buffer_load_dword v47, v39, s[0:3], 0 offen offset:4
	s_waitcnt vmcnt(2) lgkmcnt(0)
	v_mul_f64 v[48:49], v[3:4], v[42:43]
	v_mul_f64 v[42:43], v[1:2], v[42:43]
	s_waitcnt vmcnt(0)
	v_fma_f64 v[1:2], v[1:2], v[46:47], -v[48:49]
	v_fma_f64 v[3:4], v[3:4], v[46:47], v[42:43]
.LBB80_218:
	s_mov_b32 s8, exec_lo
	v_cmpx_ne_u32_e32 11, v0
	s_cbranch_execz .LBB80_222
; %bb.219:
	v_add_nc_u32_e32 v42, 0x120, v45
	v_add3_u32 v43, 0, v45, 16
	v_mov_b32_e32 v44, v0
	s_mov_b32 s23, 0
	.p2align	6
.LBB80_220:                             ; =>This Inner Loop Header: Depth=1
	s_clause 0x3
	buffer_load_dword v50, v43, s[0:3], 0 offen offset:8
	buffer_load_dword v51, v43, s[0:3], 0 offen offset:12
	buffer_load_dword v52, v43, s[0:3], 0 offen
	buffer_load_dword v53, v43, s[0:3], 0 offen offset:4
	ds_read_b128 v[46:49], v42
	v_add_nc_u32_e32 v44, 1, v44
	v_add_nc_u32_e32 v42, 16, v42
	;; [unrolled: 1-line block ×3, first 2 shown]
	v_cmp_lt_u32_e32 vcc_lo, 10, v44
	s_or_b32 s23, vcc_lo, s23
	s_waitcnt vmcnt(2) lgkmcnt(0)
	v_mul_f64 v[54:55], v[48:49], v[50:51]
	v_mul_f64 v[50:51], v[46:47], v[50:51]
	s_waitcnt vmcnt(0)
	v_fma_f64 v[46:47], v[46:47], v[52:53], -v[54:55]
	v_fma_f64 v[48:49], v[48:49], v[52:53], v[50:51]
	v_add_f64 v[1:2], v[1:2], v[46:47]
	v_add_f64 v[3:4], v[3:4], v[48:49]
	s_andn2_b32 exec_lo, exec_lo, s23
	s_cbranch_execnz .LBB80_220
; %bb.221:
	s_or_b32 exec_lo, exec_lo, s23
.LBB80_222:
	s_or_b32 exec_lo, exec_lo, s8
	v_mov_b32_e32 v42, 0
	ds_read_b128 v[46:49], v42 offset:192
	s_waitcnt lgkmcnt(0)
	v_mul_f64 v[42:43], v[3:4], v[48:49]
	v_mul_f64 v[48:49], v[1:2], v[48:49]
	v_fma_f64 v[1:2], v[1:2], v[46:47], -v[42:43]
	v_fma_f64 v[3:4], v[3:4], v[46:47], v[48:49]
	buffer_store_dword v2, off, s[0:3], 0 offset:196
	buffer_store_dword v1, off, s[0:3], 0 offset:192
	;; [unrolled: 1-line block ×4, first 2 shown]
.LBB80_223:
	s_or_b32 exec_lo, exec_lo, s4
	v_mov_b32_e32 v4, s10
	s_mov_b32 s4, exec_lo
	s_clause 0x3
	buffer_load_dword v1, v4, s[0:3], 0 offen
	buffer_load_dword v2, v4, s[0:3], 0 offen offset:4
	buffer_load_dword v3, v4, s[0:3], 0 offen offset:8
	buffer_load_dword v4, v4, s[0:3], 0 offen offset:12
	s_waitcnt vmcnt(0)
	ds_write_b128 v40, v[1:4]
	s_waitcnt lgkmcnt(0)
	s_waitcnt_vscnt null, 0x0
	s_barrier
	buffer_gl0_inv
	v_cmpx_gt_u32_e32 13, v0
	s_cbranch_execz .LBB80_231
; %bb.224:
	ds_read_b128 v[1:4], v40
	v_cmp_ne_u32_e32 vcc_lo, 1, v41
	s_cbranch_vccnz .LBB80_226
; %bb.225:
	s_clause 0x3
	buffer_load_dword v42, v39, s[0:3], 0 offen offset:8
	buffer_load_dword v43, v39, s[0:3], 0 offen offset:12
	buffer_load_dword v46, v39, s[0:3], 0 offen
	buffer_load_dword v47, v39, s[0:3], 0 offen offset:4
	s_waitcnt vmcnt(2) lgkmcnt(0)
	v_mul_f64 v[48:49], v[3:4], v[42:43]
	v_mul_f64 v[42:43], v[1:2], v[42:43]
	s_waitcnt vmcnt(0)
	v_fma_f64 v[1:2], v[1:2], v[46:47], -v[48:49]
	v_fma_f64 v[3:4], v[3:4], v[46:47], v[42:43]
.LBB80_226:
	s_mov_b32 s8, exec_lo
	v_cmpx_ne_u32_e32 12, v0
	s_cbranch_execz .LBB80_230
; %bb.227:
	v_add_nc_u32_e32 v42, 0x120, v45
	v_add3_u32 v43, 0, v45, 16
	v_mov_b32_e32 v44, v0
	s_mov_b32 s23, 0
	.p2align	6
.LBB80_228:                             ; =>This Inner Loop Header: Depth=1
	s_clause 0x3
	buffer_load_dword v50, v43, s[0:3], 0 offen offset:8
	buffer_load_dword v51, v43, s[0:3], 0 offen offset:12
	buffer_load_dword v52, v43, s[0:3], 0 offen
	buffer_load_dword v53, v43, s[0:3], 0 offen offset:4
	ds_read_b128 v[46:49], v42
	v_add_nc_u32_e32 v44, 1, v44
	v_add_nc_u32_e32 v42, 16, v42
	;; [unrolled: 1-line block ×3, first 2 shown]
	v_cmp_lt_u32_e32 vcc_lo, 11, v44
	s_or_b32 s23, vcc_lo, s23
	s_waitcnt vmcnt(2) lgkmcnt(0)
	v_mul_f64 v[54:55], v[48:49], v[50:51]
	v_mul_f64 v[50:51], v[46:47], v[50:51]
	s_waitcnt vmcnt(0)
	v_fma_f64 v[46:47], v[46:47], v[52:53], -v[54:55]
	v_fma_f64 v[48:49], v[48:49], v[52:53], v[50:51]
	v_add_f64 v[1:2], v[1:2], v[46:47]
	v_add_f64 v[3:4], v[3:4], v[48:49]
	s_andn2_b32 exec_lo, exec_lo, s23
	s_cbranch_execnz .LBB80_228
; %bb.229:
	s_or_b32 exec_lo, exec_lo, s23
.LBB80_230:
	s_or_b32 exec_lo, exec_lo, s8
	v_mov_b32_e32 v42, 0
	ds_read_b128 v[46:49], v42 offset:208
	s_waitcnt lgkmcnt(0)
	v_mul_f64 v[42:43], v[3:4], v[48:49]
	v_mul_f64 v[48:49], v[1:2], v[48:49]
	v_fma_f64 v[1:2], v[1:2], v[46:47], -v[42:43]
	v_fma_f64 v[3:4], v[3:4], v[46:47], v[48:49]
	buffer_store_dword v2, off, s[0:3], 0 offset:212
	buffer_store_dword v1, off, s[0:3], 0 offset:208
	;; [unrolled: 1-line block ×4, first 2 shown]
.LBB80_231:
	s_or_b32 exec_lo, exec_lo, s4
	v_mov_b32_e32 v4, s9
	s_mov_b32 s4, exec_lo
	s_clause 0x3
	buffer_load_dword v1, v4, s[0:3], 0 offen
	buffer_load_dword v2, v4, s[0:3], 0 offen offset:4
	buffer_load_dword v3, v4, s[0:3], 0 offen offset:8
	;; [unrolled: 1-line block ×3, first 2 shown]
	s_waitcnt vmcnt(0)
	ds_write_b128 v40, v[1:4]
	s_waitcnt lgkmcnt(0)
	s_waitcnt_vscnt null, 0x0
	s_barrier
	buffer_gl0_inv
	v_cmpx_gt_u32_e32 14, v0
	s_cbranch_execz .LBB80_239
; %bb.232:
	ds_read_b128 v[1:4], v40
	v_cmp_ne_u32_e32 vcc_lo, 1, v41
	s_cbranch_vccnz .LBB80_234
; %bb.233:
	s_clause 0x3
	buffer_load_dword v42, v39, s[0:3], 0 offen offset:8
	buffer_load_dword v43, v39, s[0:3], 0 offen offset:12
	buffer_load_dword v46, v39, s[0:3], 0 offen
	buffer_load_dword v47, v39, s[0:3], 0 offen offset:4
	s_waitcnt vmcnt(2) lgkmcnt(0)
	v_mul_f64 v[48:49], v[3:4], v[42:43]
	v_mul_f64 v[42:43], v[1:2], v[42:43]
	s_waitcnt vmcnt(0)
	v_fma_f64 v[1:2], v[1:2], v[46:47], -v[48:49]
	v_fma_f64 v[3:4], v[3:4], v[46:47], v[42:43]
.LBB80_234:
	s_mov_b32 s8, exec_lo
	v_cmpx_ne_u32_e32 13, v0
	s_cbranch_execz .LBB80_238
; %bb.235:
	v_add_nc_u32_e32 v42, 0x120, v45
	v_add3_u32 v43, 0, v45, 16
	v_mov_b32_e32 v44, v0
	s_mov_b32 s23, 0
	.p2align	6
.LBB80_236:                             ; =>This Inner Loop Header: Depth=1
	s_clause 0x3
	buffer_load_dword v50, v43, s[0:3], 0 offen offset:8
	buffer_load_dword v51, v43, s[0:3], 0 offen offset:12
	buffer_load_dword v52, v43, s[0:3], 0 offen
	buffer_load_dword v53, v43, s[0:3], 0 offen offset:4
	ds_read_b128 v[46:49], v42
	v_add_nc_u32_e32 v44, 1, v44
	v_add_nc_u32_e32 v42, 16, v42
	v_add_nc_u32_e32 v43, 16, v43
	v_cmp_lt_u32_e32 vcc_lo, 12, v44
	s_or_b32 s23, vcc_lo, s23
	s_waitcnt vmcnt(2) lgkmcnt(0)
	v_mul_f64 v[54:55], v[48:49], v[50:51]
	v_mul_f64 v[50:51], v[46:47], v[50:51]
	s_waitcnt vmcnt(0)
	v_fma_f64 v[46:47], v[46:47], v[52:53], -v[54:55]
	v_fma_f64 v[48:49], v[48:49], v[52:53], v[50:51]
	v_add_f64 v[1:2], v[1:2], v[46:47]
	v_add_f64 v[3:4], v[3:4], v[48:49]
	s_andn2_b32 exec_lo, exec_lo, s23
	s_cbranch_execnz .LBB80_236
; %bb.237:
	s_or_b32 exec_lo, exec_lo, s23
.LBB80_238:
	s_or_b32 exec_lo, exec_lo, s8
	v_mov_b32_e32 v42, 0
	ds_read_b128 v[46:49], v42 offset:224
	s_waitcnt lgkmcnt(0)
	v_mul_f64 v[42:43], v[3:4], v[48:49]
	v_mul_f64 v[48:49], v[1:2], v[48:49]
	v_fma_f64 v[1:2], v[1:2], v[46:47], -v[42:43]
	v_fma_f64 v[3:4], v[3:4], v[46:47], v[48:49]
	buffer_store_dword v2, off, s[0:3], 0 offset:228
	buffer_store_dword v1, off, s[0:3], 0 offset:224
	;; [unrolled: 1-line block ×4, first 2 shown]
.LBB80_239:
	s_or_b32 exec_lo, exec_lo, s4
	v_mov_b32_e32 v4, s7
	v_cmp_gt_u32_e64 s4, 15, v0
	s_clause 0x3
	buffer_load_dword v1, v4, s[0:3], 0 offen
	buffer_load_dword v2, v4, s[0:3], 0 offen offset:4
	buffer_load_dword v3, v4, s[0:3], 0 offen offset:8
	;; [unrolled: 1-line block ×3, first 2 shown]
	s_waitcnt vmcnt(0)
	ds_write_b128 v40, v[1:4]
	s_waitcnt lgkmcnt(0)
	s_waitcnt_vscnt null, 0x0
	s_barrier
	buffer_gl0_inv
	s_and_saveexec_b32 s8, s4
	s_cbranch_execz .LBB80_247
; %bb.240:
	ds_read_b128 v[1:4], v40
	v_cmp_ne_u32_e32 vcc_lo, 1, v41
	s_cbranch_vccnz .LBB80_242
; %bb.241:
	s_clause 0x3
	buffer_load_dword v42, v39, s[0:3], 0 offen offset:8
	buffer_load_dword v43, v39, s[0:3], 0 offen offset:12
	buffer_load_dword v46, v39, s[0:3], 0 offen
	buffer_load_dword v47, v39, s[0:3], 0 offen offset:4
	s_waitcnt vmcnt(2) lgkmcnt(0)
	v_mul_f64 v[48:49], v[3:4], v[42:43]
	v_mul_f64 v[42:43], v[1:2], v[42:43]
	s_waitcnt vmcnt(0)
	v_fma_f64 v[1:2], v[1:2], v[46:47], -v[48:49]
	v_fma_f64 v[3:4], v[3:4], v[46:47], v[42:43]
.LBB80_242:
	s_mov_b32 s23, exec_lo
	v_cmpx_ne_u32_e32 14, v0
	s_cbranch_execz .LBB80_246
; %bb.243:
	v_add_nc_u32_e32 v42, 0x120, v45
	v_add3_u32 v43, 0, v45, 16
	v_mov_b32_e32 v44, v0
	s_mov_b32 s24, 0
	.p2align	6
.LBB80_244:                             ; =>This Inner Loop Header: Depth=1
	s_clause 0x3
	buffer_load_dword v50, v43, s[0:3], 0 offen offset:8
	buffer_load_dword v51, v43, s[0:3], 0 offen offset:12
	buffer_load_dword v52, v43, s[0:3], 0 offen
	buffer_load_dword v53, v43, s[0:3], 0 offen offset:4
	ds_read_b128 v[46:49], v42
	v_add_nc_u32_e32 v44, 1, v44
	v_add_nc_u32_e32 v42, 16, v42
	;; [unrolled: 1-line block ×3, first 2 shown]
	v_cmp_lt_u32_e32 vcc_lo, 13, v44
	s_or_b32 s24, vcc_lo, s24
	s_waitcnt vmcnt(2) lgkmcnt(0)
	v_mul_f64 v[54:55], v[48:49], v[50:51]
	v_mul_f64 v[50:51], v[46:47], v[50:51]
	s_waitcnt vmcnt(0)
	v_fma_f64 v[46:47], v[46:47], v[52:53], -v[54:55]
	v_fma_f64 v[48:49], v[48:49], v[52:53], v[50:51]
	v_add_f64 v[1:2], v[1:2], v[46:47]
	v_add_f64 v[3:4], v[3:4], v[48:49]
	s_andn2_b32 exec_lo, exec_lo, s24
	s_cbranch_execnz .LBB80_244
; %bb.245:
	s_or_b32 exec_lo, exec_lo, s24
.LBB80_246:
	s_or_b32 exec_lo, exec_lo, s23
	v_mov_b32_e32 v42, 0
	ds_read_b128 v[46:49], v42 offset:240
	s_waitcnt lgkmcnt(0)
	v_mul_f64 v[42:43], v[3:4], v[48:49]
	v_mul_f64 v[48:49], v[1:2], v[48:49]
	v_fma_f64 v[1:2], v[1:2], v[46:47], -v[42:43]
	v_fma_f64 v[3:4], v[3:4], v[46:47], v[48:49]
	buffer_store_dword v2, off, s[0:3], 0 offset:244
	buffer_store_dword v1, off, s[0:3], 0 offset:240
	buffer_store_dword v4, off, s[0:3], 0 offset:252
	buffer_store_dword v3, off, s[0:3], 0 offset:248
.LBB80_247:
	s_or_b32 exec_lo, exec_lo, s8
	v_mov_b32_e32 v4, s6
	s_mov_b32 s8, exec_lo
                                        ; implicit-def: $sgpr25
	s_clause 0x3
	buffer_load_dword v1, v4, s[0:3], 0 offen
	buffer_load_dword v2, v4, s[0:3], 0 offen offset:4
	buffer_load_dword v3, v4, s[0:3], 0 offen offset:8
	;; [unrolled: 1-line block ×3, first 2 shown]
	s_waitcnt vmcnt(0)
	ds_write_b128 v40, v[1:4]
	s_waitcnt lgkmcnt(0)
	s_waitcnt_vscnt null, 0x0
	s_barrier
	buffer_gl0_inv
                                        ; implicit-def: $vgpr1_vgpr2
	v_cmpx_ne_u32_e32 16, v0
	s_cbranch_execz .LBB80_255
; %bb.248:
	ds_read_b128 v[1:4], v40
	v_cmp_ne_u32_e32 vcc_lo, 1, v41
	s_cbranch_vccnz .LBB80_250
; %bb.249:
	s_clause 0x3
	buffer_load_dword v40, v39, s[0:3], 0 offen offset:8
	buffer_load_dword v41, v39, s[0:3], 0 offen offset:12
	buffer_load_dword v42, v39, s[0:3], 0 offen
	buffer_load_dword v43, v39, s[0:3], 0 offen offset:4
	s_waitcnt vmcnt(2) lgkmcnt(0)
	v_mul_f64 v[46:47], v[3:4], v[40:41]
	v_mul_f64 v[39:40], v[1:2], v[40:41]
	s_waitcnt vmcnt(0)
	v_fma_f64 v[1:2], v[1:2], v[42:43], -v[46:47]
	v_fma_f64 v[3:4], v[3:4], v[42:43], v[39:40]
.LBB80_250:
	s_and_saveexec_b32 s23, s4
	s_cbranch_execz .LBB80_254
; %bb.251:
	v_add_nc_u32_e32 v39, 0x120, v45
	v_add3_u32 v40, 0, v45, 16
	s_mov_b32 s4, 0
	.p2align	6
.LBB80_252:                             ; =>This Inner Loop Header: Depth=1
	s_clause 0x3
	buffer_load_dword v45, v40, s[0:3], 0 offen offset:8
	buffer_load_dword v46, v40, s[0:3], 0 offen offset:12
	buffer_load_dword v47, v40, s[0:3], 0 offen
	buffer_load_dword v48, v40, s[0:3], 0 offen offset:4
	ds_read_b128 v[41:44], v39
	v_add_nc_u32_e32 v0, 1, v0
	v_add_nc_u32_e32 v39, 16, v39
	;; [unrolled: 1-line block ×3, first 2 shown]
	v_cmp_lt_u32_e32 vcc_lo, 14, v0
	s_or_b32 s4, vcc_lo, s4
	s_waitcnt vmcnt(2) lgkmcnt(0)
	v_mul_f64 v[49:50], v[43:44], v[45:46]
	v_mul_f64 v[45:46], v[41:42], v[45:46]
	s_waitcnt vmcnt(0)
	v_fma_f64 v[41:42], v[41:42], v[47:48], -v[49:50]
	v_fma_f64 v[43:44], v[43:44], v[47:48], v[45:46]
	v_add_f64 v[1:2], v[1:2], v[41:42]
	v_add_f64 v[3:4], v[3:4], v[43:44]
	s_andn2_b32 exec_lo, exec_lo, s4
	s_cbranch_execnz .LBB80_252
; %bb.253:
	s_or_b32 exec_lo, exec_lo, s4
.LBB80_254:
	s_or_b32 exec_lo, exec_lo, s23
	v_mov_b32_e32 v0, 0
	s_movk_i32 s25, 0x108
	s_or_b32 s5, s5, exec_lo
	ds_read_b128 v[39:42], v0 offset:256
	s_waitcnt lgkmcnt(0)
	v_mul_f64 v[43:44], v[3:4], v[41:42]
	v_mul_f64 v[41:42], v[1:2], v[41:42]
	v_fma_f64 v[43:44], v[1:2], v[39:40], -v[43:44]
	v_fma_f64 v[1:2], v[3:4], v[39:40], v[41:42]
	buffer_store_dword v44, off, s[0:3], 0 offset:260
	buffer_store_dword v43, off, s[0:3], 0 offset:256
.LBB80_255:
	s_or_b32 exec_lo, exec_lo, s8
.LBB80_256:
	s_and_saveexec_b32 s4, s5
	s_cbranch_execz .LBB80_258
; %bb.257:
	v_mov_b32_e32 v0, s25
	buffer_store_dword v2, v0, s[0:3], 0 offen offset:4
	buffer_store_dword v1, v0, s[0:3], 0 offen
.LBB80_258:
	s_or_b32 exec_lo, exec_lo, s4
	s_clause 0x3
	buffer_load_dword v0, off, s[0:3], 0
	buffer_load_dword v1, off, s[0:3], 0 offset:4
	buffer_load_dword v2, off, s[0:3], 0 offset:8
	;; [unrolled: 1-line block ×3, first 2 shown]
	v_mov_b32_e32 v4, s22
	s_waitcnt vmcnt(0)
	flat_store_dwordx4 v[5:6], v[0:3]
	s_clause 0x3
	buffer_load_dword v0, v4, s[0:3], 0 offen
	buffer_load_dword v1, v4, s[0:3], 0 offen offset:4
	buffer_load_dword v2, v4, s[0:3], 0 offen offset:8
	buffer_load_dword v3, v4, s[0:3], 0 offen offset:12
	v_mov_b32_e32 v4, s21
	s_waitcnt vmcnt(0)
	flat_store_dwordx4 v[7:8], v[0:3]
	s_clause 0x3
	buffer_load_dword v0, v4, s[0:3], 0 offen
	buffer_load_dword v1, v4, s[0:3], 0 offen offset:4
	buffer_load_dword v2, v4, s[0:3], 0 offen offset:8
	buffer_load_dword v3, v4, s[0:3], 0 offen offset:12
	;; [unrolled: 8-line block ×16, first 2 shown]
	s_waitcnt vmcnt(0)
	flat_store_dwordx4 v[37:38], v[0:3]
.LBB80_259:
	s_endpgm
	.section	.rodata,"a",@progbits
	.p2align	6, 0x0
	.amdhsa_kernel _ZN9rocsolver6v33100L18trti2_kernel_smallILi17E19rocblas_complex_numIdEPKPS3_EEv13rocblas_fill_17rocblas_diagonal_T1_iil
		.amdhsa_group_segment_fixed_size 544
		.amdhsa_private_segment_fixed_size 288
		.amdhsa_kernarg_size 32
		.amdhsa_user_sgpr_count 6
		.amdhsa_user_sgpr_private_segment_buffer 1
		.amdhsa_user_sgpr_dispatch_ptr 0
		.amdhsa_user_sgpr_queue_ptr 0
		.amdhsa_user_sgpr_kernarg_segment_ptr 1
		.amdhsa_user_sgpr_dispatch_id 0
		.amdhsa_user_sgpr_flat_scratch_init 0
		.amdhsa_user_sgpr_private_segment_size 0
		.amdhsa_wavefront_size32 1
		.amdhsa_uses_dynamic_stack 0
		.amdhsa_system_sgpr_private_segment_wavefront_offset 1
		.amdhsa_system_sgpr_workgroup_id_x 1
		.amdhsa_system_sgpr_workgroup_id_y 0
		.amdhsa_system_sgpr_workgroup_id_z 0
		.amdhsa_system_sgpr_workgroup_info 0
		.amdhsa_system_vgpr_workitem_id 0
		.amdhsa_next_free_vgpr 56
		.amdhsa_next_free_sgpr 29
		.amdhsa_reserve_vcc 1
		.amdhsa_reserve_flat_scratch 0
		.amdhsa_float_round_mode_32 0
		.amdhsa_float_round_mode_16_64 0
		.amdhsa_float_denorm_mode_32 3
		.amdhsa_float_denorm_mode_16_64 3
		.amdhsa_dx10_clamp 1
		.amdhsa_ieee_mode 1
		.amdhsa_fp16_overflow 0
		.amdhsa_workgroup_processor_mode 1
		.amdhsa_memory_ordered 1
		.amdhsa_forward_progress 1
		.amdhsa_shared_vgpr_count 0
		.amdhsa_exception_fp_ieee_invalid_op 0
		.amdhsa_exception_fp_denorm_src 0
		.amdhsa_exception_fp_ieee_div_zero 0
		.amdhsa_exception_fp_ieee_overflow 0
		.amdhsa_exception_fp_ieee_underflow 0
		.amdhsa_exception_fp_ieee_inexact 0
		.amdhsa_exception_int_div_zero 0
	.end_amdhsa_kernel
	.section	.text._ZN9rocsolver6v33100L18trti2_kernel_smallILi17E19rocblas_complex_numIdEPKPS3_EEv13rocblas_fill_17rocblas_diagonal_T1_iil,"axG",@progbits,_ZN9rocsolver6v33100L18trti2_kernel_smallILi17E19rocblas_complex_numIdEPKPS3_EEv13rocblas_fill_17rocblas_diagonal_T1_iil,comdat
.Lfunc_end80:
	.size	_ZN9rocsolver6v33100L18trti2_kernel_smallILi17E19rocblas_complex_numIdEPKPS3_EEv13rocblas_fill_17rocblas_diagonal_T1_iil, .Lfunc_end80-_ZN9rocsolver6v33100L18trti2_kernel_smallILi17E19rocblas_complex_numIdEPKPS3_EEv13rocblas_fill_17rocblas_diagonal_T1_iil
                                        ; -- End function
	.set _ZN9rocsolver6v33100L18trti2_kernel_smallILi17E19rocblas_complex_numIdEPKPS3_EEv13rocblas_fill_17rocblas_diagonal_T1_iil.num_vgpr, 56
	.set _ZN9rocsolver6v33100L18trti2_kernel_smallILi17E19rocblas_complex_numIdEPKPS3_EEv13rocblas_fill_17rocblas_diagonal_T1_iil.num_agpr, 0
	.set _ZN9rocsolver6v33100L18trti2_kernel_smallILi17E19rocblas_complex_numIdEPKPS3_EEv13rocblas_fill_17rocblas_diagonal_T1_iil.numbered_sgpr, 29
	.set _ZN9rocsolver6v33100L18trti2_kernel_smallILi17E19rocblas_complex_numIdEPKPS3_EEv13rocblas_fill_17rocblas_diagonal_T1_iil.num_named_barrier, 0
	.set _ZN9rocsolver6v33100L18trti2_kernel_smallILi17E19rocblas_complex_numIdEPKPS3_EEv13rocblas_fill_17rocblas_diagonal_T1_iil.private_seg_size, 288
	.set _ZN9rocsolver6v33100L18trti2_kernel_smallILi17E19rocblas_complex_numIdEPKPS3_EEv13rocblas_fill_17rocblas_diagonal_T1_iil.uses_vcc, 1
	.set _ZN9rocsolver6v33100L18trti2_kernel_smallILi17E19rocblas_complex_numIdEPKPS3_EEv13rocblas_fill_17rocblas_diagonal_T1_iil.uses_flat_scratch, 0
	.set _ZN9rocsolver6v33100L18trti2_kernel_smallILi17E19rocblas_complex_numIdEPKPS3_EEv13rocblas_fill_17rocblas_diagonal_T1_iil.has_dyn_sized_stack, 0
	.set _ZN9rocsolver6v33100L18trti2_kernel_smallILi17E19rocblas_complex_numIdEPKPS3_EEv13rocblas_fill_17rocblas_diagonal_T1_iil.has_recursion, 0
	.set _ZN9rocsolver6v33100L18trti2_kernel_smallILi17E19rocblas_complex_numIdEPKPS3_EEv13rocblas_fill_17rocblas_diagonal_T1_iil.has_indirect_call, 0
	.section	.AMDGPU.csdata,"",@progbits
; Kernel info:
; codeLenInByte = 16872
; TotalNumSgprs: 31
; NumVgprs: 56
; ScratchSize: 288
; MemoryBound: 0
; FloatMode: 240
; IeeeMode: 1
; LDSByteSize: 544 bytes/workgroup (compile time only)
; SGPRBlocks: 0
; VGPRBlocks: 6
; NumSGPRsForWavesPerEU: 31
; NumVGPRsForWavesPerEU: 56
; Occupancy: 16
; WaveLimiterHint : 1
; COMPUTE_PGM_RSRC2:SCRATCH_EN: 1
; COMPUTE_PGM_RSRC2:USER_SGPR: 6
; COMPUTE_PGM_RSRC2:TRAP_HANDLER: 0
; COMPUTE_PGM_RSRC2:TGID_X_EN: 1
; COMPUTE_PGM_RSRC2:TGID_Y_EN: 0
; COMPUTE_PGM_RSRC2:TGID_Z_EN: 0
; COMPUTE_PGM_RSRC2:TIDIG_COMP_CNT: 0
	.section	.text._ZN9rocsolver6v33100L18trti2_kernel_smallILi18E19rocblas_complex_numIdEPKPS3_EEv13rocblas_fill_17rocblas_diagonal_T1_iil,"axG",@progbits,_ZN9rocsolver6v33100L18trti2_kernel_smallILi18E19rocblas_complex_numIdEPKPS3_EEv13rocblas_fill_17rocblas_diagonal_T1_iil,comdat
	.globl	_ZN9rocsolver6v33100L18trti2_kernel_smallILi18E19rocblas_complex_numIdEPKPS3_EEv13rocblas_fill_17rocblas_diagonal_T1_iil ; -- Begin function _ZN9rocsolver6v33100L18trti2_kernel_smallILi18E19rocblas_complex_numIdEPKPS3_EEv13rocblas_fill_17rocblas_diagonal_T1_iil
	.p2align	8
	.type	_ZN9rocsolver6v33100L18trti2_kernel_smallILi18E19rocblas_complex_numIdEPKPS3_EEv13rocblas_fill_17rocblas_diagonal_T1_iil,@function
_ZN9rocsolver6v33100L18trti2_kernel_smallILi18E19rocblas_complex_numIdEPKPS3_EEv13rocblas_fill_17rocblas_diagonal_T1_iil: ; @_ZN9rocsolver6v33100L18trti2_kernel_smallILi18E19rocblas_complex_numIdEPKPS3_EEv13rocblas_fill_17rocblas_diagonal_T1_iil
; %bb.0:
	s_add_u32 s0, s0, s7
	s_addc_u32 s1, s1, 0
	s_mov_b32 s7, exec_lo
	v_cmpx_gt_u32_e32 18, v0
	s_cbranch_execz .LBB81_275
; %bb.1:
	s_clause 0x1
	s_load_dwordx2 s[12:13], s[4:5], 0x10
	s_load_dwordx4 s[8:11], s[4:5], 0x0
	s_ashr_i32 s7, s6, 31
	v_lshlrev_b32_e32 v47, 4, v0
	s_lshl_b64 s[4:5], s[6:7], 3
	s_movk_i32 s26, 0xd0
	s_movk_i32 s27, 0xe0
	s_movk_i32 s28, 0xf0
	s_movk_i32 s29, 0x100
	s_movk_i32 s30, 0x110
	s_waitcnt lgkmcnt(0)
	s_ashr_i32 s7, s12, 31
	s_add_u32 s4, s10, s4
	s_addc_u32 s5, s11, s5
	s_mov_b32 s6, s12
	s_load_dwordx2 s[4:5], s[4:5], 0x0
	s_lshl_b64 s[6:7], s[6:7], 4
	v_add3_u32 v11, s13, s13, v0
	s_movk_i32 s10, 0x90
	s_movk_i32 s11, 0xa0
	;; [unrolled: 1-line block ×3, first 2 shown]
	v_ashrrev_i32_e32 v12, 31, v11
	v_add_nc_u32_e32 v13, s13, v11
	v_lshlrev_b64 v[9:10], 4, v[11:12]
	v_ashrrev_i32_e32 v14, 31, v13
	v_add_nc_u32_e32 v15, s13, v13
	v_lshlrev_b64 v[11:12], 4, v[13:14]
	v_ashrrev_i32_e32 v16, 31, v15
	s_waitcnt lgkmcnt(0)
	s_add_u32 s4, s4, s6
	s_addc_u32 s5, s5, s7
	v_add_co_u32 v5, s6, s4, v47
	v_add_co_ci_u32_e64 v6, null, s5, 0, s6
	s_mov_b32 s6, s13
	s_ashr_i32 s7, s13, 31
	v_lshlrev_b64 v[13:14], 4, v[15:16]
	flat_load_dwordx4 v[1:4], v[5:6]
	s_lshl_b64 s[6:7], s[6:7], 4
	v_add_nc_u32_e32 v17, s13, v15
	v_add_co_u32 v7, vcc_lo, v5, s6
	v_add_co_ci_u32_e64 v8, null, s7, v6, vcc_lo
	v_add_co_u32 v9, vcc_lo, s4, v9
	v_add_co_ci_u32_e64 v10, null, s5, v10, vcc_lo
	;; [unrolled: 2-line block ×4, first 2 shown]
	v_ashrrev_i32_e32 v18, 31, v17
	v_add_nc_u32_e32 v19, s13, v17
	s_cmpk_lg_i32 s9, 0x84
	s_movk_i32 s6, 0x70
	s_movk_i32 s7, 0x80
	v_lshlrev_b64 v[15:16], 4, v[17:18]
	v_ashrrev_i32_e32 v20, 31, v19
	v_add_nc_u32_e32 v21, s13, v19
	s_cselect_b32 s25, -1, 0
	s_cmpk_eq_i32 s9, 0x84
	s_waitcnt vmcnt(0) lgkmcnt(0)
	buffer_store_dword v4, off, s[0:3], 0 offset:12
	buffer_store_dword v3, off, s[0:3], 0 offset:8
	buffer_store_dword v2, off, s[0:3], 0 offset:4
	buffer_store_dword v1, off, s[0:3], 0
	flat_load_dwordx4 v[1:4], v[7:8]
	v_add_co_u32 v15, vcc_lo, s4, v15
	v_add_co_ci_u32_e64 v16, null, s5, v16, vcc_lo
	v_lshlrev_b64 v[17:18], 4, v[19:20]
	v_ashrrev_i32_e32 v22, 31, v21
	v_add_nc_u32_e32 v23, s13, v21
	s_waitcnt vmcnt(0) lgkmcnt(0)
	buffer_store_dword v4, off, s[0:3], 0 offset:28
	buffer_store_dword v3, off, s[0:3], 0 offset:24
	buffer_store_dword v2, off, s[0:3], 0 offset:20
	buffer_store_dword v1, off, s[0:3], 0 offset:16
	flat_load_dwordx4 v[1:4], v[9:10]
	v_add_co_u32 v17, vcc_lo, s4, v17
	v_add_co_ci_u32_e64 v18, null, s5, v18, vcc_lo
	v_lshlrev_b64 v[19:20], 4, v[21:22]
	v_ashrrev_i32_e32 v24, 31, v23
	v_add_nc_u32_e32 v25, s13, v23
	s_waitcnt vmcnt(0) lgkmcnt(0)
	buffer_store_dword v4, off, s[0:3], 0 offset:44
	buffer_store_dword v3, off, s[0:3], 0 offset:40
	buffer_store_dword v2, off, s[0:3], 0 offset:36
	buffer_store_dword v1, off, s[0:3], 0 offset:32
	;; [unrolled: 11-line block ×9, first 2 shown]
	flat_load_dwordx4 v[1:4], v[25:26]
	v_add_co_u32 v33, vcc_lo, s4, v33
	v_add_co_ci_u32_e64 v34, null, s5, v34, vcc_lo
	v_lshlrev_b64 v[35:36], 4, v[37:38]
	v_ashrrev_i32_e32 v40, 31, v39
	s_waitcnt vmcnt(0) lgkmcnt(0)
	buffer_store_dword v4, off, s[0:3], 0 offset:172
	buffer_store_dword v3, off, s[0:3], 0 offset:168
	buffer_store_dword v2, off, s[0:3], 0 offset:164
	buffer_store_dword v1, off, s[0:3], 0 offset:160
	flat_load_dwordx4 v[1:4], v[27:28]
	v_add_co_u32 v35, vcc_lo, s4, v35
	v_add_co_ci_u32_e64 v36, null, s5, v36, vcc_lo
	v_lshlrev_b64 v[37:38], 4, v[39:40]
	v_add_nc_u32_e32 v39, s13, v39
	s_movk_i32 s13, 0xc0
	s_waitcnt vmcnt(0) lgkmcnt(0)
	buffer_store_dword v4, off, s[0:3], 0 offset:188
	buffer_store_dword v3, off, s[0:3], 0 offset:184
	;; [unrolled: 1-line block ×4, first 2 shown]
	flat_load_dwordx4 v[1:4], v[29:30]
	v_add_co_u32 v37, vcc_lo, s4, v37
	v_add_co_ci_u32_e64 v38, null, s5, v38, vcc_lo
	v_ashrrev_i32_e32 v40, 31, v39
	s_waitcnt vmcnt(0) lgkmcnt(0)
	buffer_store_dword v4, off, s[0:3], 0 offset:204
	buffer_store_dword v3, off, s[0:3], 0 offset:200
	;; [unrolled: 1-line block ×4, first 2 shown]
	flat_load_dwordx4 v[1:4], v[31:32]
	v_lshlrev_b64 v[39:40], 4, v[39:40]
	s_waitcnt vmcnt(0) lgkmcnt(0)
	buffer_store_dword v4, off, s[0:3], 0 offset:220
	buffer_store_dword v3, off, s[0:3], 0 offset:216
	;; [unrolled: 1-line block ×4, first 2 shown]
	flat_load_dwordx4 v[1:4], v[33:34]
	v_add_co_u32 v39, vcc_lo, s4, v39
	v_add_co_ci_u32_e64 v40, null, s5, v40, vcc_lo
	s_movk_i32 s4, 0x50
	s_movk_i32 s5, 0x60
	s_waitcnt vmcnt(0) lgkmcnt(0)
	buffer_store_dword v4, off, s[0:3], 0 offset:236
	buffer_store_dword v3, off, s[0:3], 0 offset:232
	buffer_store_dword v2, off, s[0:3], 0 offset:228
	buffer_store_dword v1, off, s[0:3], 0 offset:224
	flat_load_dwordx4 v[1:4], v[35:36]
	s_waitcnt vmcnt(0) lgkmcnt(0)
	buffer_store_dword v4, off, s[0:3], 0 offset:252
	buffer_store_dword v3, off, s[0:3], 0 offset:248
	buffer_store_dword v2, off, s[0:3], 0 offset:244
	buffer_store_dword v1, off, s[0:3], 0 offset:240
	flat_load_dwordx4 v[1:4], v[37:38]
	s_waitcnt vmcnt(0) lgkmcnt(0)
	buffer_store_dword v4, off, s[0:3], 0 offset:268
	buffer_store_dword v3, off, s[0:3], 0 offset:264
	buffer_store_dword v2, off, s[0:3], 0 offset:260
	buffer_store_dword v1, off, s[0:3], 0 offset:256
	flat_load_dwordx4 v[1:4], v[39:40]
	s_waitcnt vmcnt(0) lgkmcnt(0)
	buffer_store_dword v4, off, s[0:3], 0 offset:284
	buffer_store_dword v3, off, s[0:3], 0 offset:280
	;; [unrolled: 1-line block ×4, first 2 shown]
	s_cbranch_scc1 .LBB81_7
; %bb.2:
	v_lshl_add_u32 v48, v0, 4, 0
                                        ; implicit-def: $vgpr43_vgpr44
                                        ; implicit-def: $vgpr3_vgpr4
	s_clause 0x3
	buffer_load_dword v41, v48, s[0:3], 0 offen
	buffer_load_dword v42, v48, s[0:3], 0 offen offset:4
	buffer_load_dword v45, v48, s[0:3], 0 offen offset:8
	;; [unrolled: 1-line block ×3, first 2 shown]
	s_waitcnt vmcnt(0)
	v_cmp_ngt_f64_e64 s9, |v[41:42]|, |v[45:46]|
	s_and_saveexec_b32 s14, s9
	s_xor_b32 s9, exec_lo, s14
	s_cbranch_execz .LBB81_4
; %bb.3:
	v_div_scale_f64 v[1:2], null, v[45:46], v[45:46], v[41:42]
	v_div_scale_f64 v[49:50], vcc_lo, v[41:42], v[45:46], v[41:42]
	v_rcp_f64_e32 v[3:4], v[1:2]
	v_fma_f64 v[43:44], -v[1:2], v[3:4], 1.0
	v_fma_f64 v[3:4], v[3:4], v[43:44], v[3:4]
	v_fma_f64 v[43:44], -v[1:2], v[3:4], 1.0
	v_fma_f64 v[3:4], v[3:4], v[43:44], v[3:4]
	v_mul_f64 v[43:44], v[49:50], v[3:4]
	v_fma_f64 v[1:2], -v[1:2], v[43:44], v[49:50]
	v_div_fmas_f64 v[1:2], v[1:2], v[3:4], v[43:44]
	v_div_fixup_f64 v[1:2], v[1:2], v[45:46], v[41:42]
	v_fma_f64 v[3:4], v[41:42], v[1:2], v[45:46]
	v_div_scale_f64 v[41:42], null, v[3:4], v[3:4], 1.0
	v_div_scale_f64 v[49:50], vcc_lo, 1.0, v[3:4], 1.0
	v_rcp_f64_e32 v[43:44], v[41:42]
	v_fma_f64 v[45:46], -v[41:42], v[43:44], 1.0
	v_fma_f64 v[43:44], v[43:44], v[45:46], v[43:44]
	v_fma_f64 v[45:46], -v[41:42], v[43:44], 1.0
	v_fma_f64 v[43:44], v[43:44], v[45:46], v[43:44]
	v_mul_f64 v[45:46], v[49:50], v[43:44]
	v_fma_f64 v[41:42], -v[41:42], v[45:46], v[49:50]
	v_div_fmas_f64 v[41:42], v[41:42], v[43:44], v[45:46]
                                        ; implicit-def: $vgpr45_vgpr46
	v_div_fixup_f64 v[3:4], v[41:42], v[3:4], 1.0
                                        ; implicit-def: $vgpr41_vgpr42
	v_mul_f64 v[43:44], v[1:2], v[3:4]
	v_xor_b32_e32 v4, 0x80000000, v4
	v_xor_b32_e32 v2, 0x80000000, v44
	v_mov_b32_e32 v1, v43
.LBB81_4:
	s_andn2_saveexec_b32 s9, s9
	s_cbranch_execz .LBB81_6
; %bb.5:
	v_div_scale_f64 v[1:2], null, v[41:42], v[41:42], v[45:46]
	v_div_scale_f64 v[49:50], vcc_lo, v[45:46], v[41:42], v[45:46]
	v_rcp_f64_e32 v[3:4], v[1:2]
	v_fma_f64 v[43:44], -v[1:2], v[3:4], 1.0
	v_fma_f64 v[3:4], v[3:4], v[43:44], v[3:4]
	v_fma_f64 v[43:44], -v[1:2], v[3:4], 1.0
	v_fma_f64 v[3:4], v[3:4], v[43:44], v[3:4]
	v_mul_f64 v[43:44], v[49:50], v[3:4]
	v_fma_f64 v[1:2], -v[1:2], v[43:44], v[49:50]
	v_div_fmas_f64 v[1:2], v[1:2], v[3:4], v[43:44]
	v_div_fixup_f64 v[1:2], v[1:2], v[41:42], v[45:46]
	v_fma_f64 v[3:4], v[45:46], v[1:2], v[41:42]
	v_div_scale_f64 v[41:42], null, v[3:4], v[3:4], 1.0
	v_rcp_f64_e32 v[43:44], v[41:42]
	v_fma_f64 v[45:46], -v[41:42], v[43:44], 1.0
	v_fma_f64 v[43:44], v[43:44], v[45:46], v[43:44]
	v_fma_f64 v[45:46], -v[41:42], v[43:44], 1.0
	v_fma_f64 v[43:44], v[43:44], v[45:46], v[43:44]
	v_div_scale_f64 v[45:46], vcc_lo, 1.0, v[3:4], 1.0
	v_mul_f64 v[49:50], v[45:46], v[43:44]
	v_fma_f64 v[41:42], -v[41:42], v[49:50], v[45:46]
	v_div_fmas_f64 v[41:42], v[41:42], v[43:44], v[49:50]
	v_div_fixup_f64 v[43:44], v[41:42], v[3:4], 1.0
	v_mul_f64 v[3:4], v[1:2], -v[43:44]
	v_xor_b32_e32 v2, 0x80000000, v44
	v_mov_b32_e32 v1, v43
.LBB81_6:
	s_or_b32 exec_lo, exec_lo, s9
	buffer_store_dword v4, v48, s[0:3], 0 offen offset:12
	v_xor_b32_e32 v4, 0x80000000, v4
	buffer_store_dword v44, v48, s[0:3], 0 offen offset:4
	buffer_store_dword v43, v48, s[0:3], 0 offen
	buffer_store_dword v3, v48, s[0:3], 0 offen offset:8
	s_branch .LBB81_8
.LBB81_7:
	v_mov_b32_e32 v1, 0
	v_mov_b32_e32 v3, 0
	;; [unrolled: 1-line block ×4, first 2 shown]
.LBB81_8:
	v_add_nc_u32_e32 v42, 0x120, v47
	v_mov_b32_e32 v41, v47
	s_mov_b32 s24, 16
	s_mov_b32 s23, 32
	;; [unrolled: 1-line block ×16, first 2 shown]
	s_cmpk_eq_i32 s8, 0x79
	ds_write_b128 v47, v[1:4]
	s_cbranch_scc1 .LBB81_140
; %bb.9:
	v_mov_b32_e32 v4, s9
	v_cmp_eq_u32_e64 s4, 17, v0
	s_clause 0x3
	buffer_load_dword v1, v4, s[0:3], 0 offen
	buffer_load_dword v2, v4, s[0:3], 0 offen offset:4
	buffer_load_dword v3, v4, s[0:3], 0 offen offset:8
	;; [unrolled: 1-line block ×3, first 2 shown]
	s_waitcnt vmcnt(0)
	ds_write_b128 v42, v[1:4]
	s_waitcnt lgkmcnt(0)
	s_waitcnt_vscnt null, 0x0
	s_barrier
	buffer_gl0_inv
	s_and_saveexec_b32 s5, s4
	s_cbranch_execz .LBB81_13
; %bb.10:
	ds_read_b128 v[1:4], v42
	s_andn2_b32 vcc_lo, exec_lo, s25
	s_cbranch_vccnz .LBB81_12
; %bb.11:
	s_clause 0x3
	buffer_load_dword v43, v41, s[0:3], 0 offen offset:8
	buffer_load_dword v44, v41, s[0:3], 0 offen offset:12
	buffer_load_dword v45, v41, s[0:3], 0 offen
	buffer_load_dword v46, v41, s[0:3], 0 offen offset:4
	s_waitcnt vmcnt(2) lgkmcnt(0)
	v_mul_f64 v[48:49], v[3:4], v[43:44]
	v_mul_f64 v[43:44], v[1:2], v[43:44]
	s_waitcnt vmcnt(0)
	v_fma_f64 v[1:2], v[1:2], v[45:46], -v[48:49]
	v_fma_f64 v[3:4], v[3:4], v[45:46], v[43:44]
.LBB81_12:
	v_mov_b32_e32 v43, 0
	ds_read_b128 v[43:46], v43 offset:256
	s_waitcnt lgkmcnt(0)
	v_mul_f64 v[48:49], v[3:4], v[45:46]
	v_mul_f64 v[45:46], v[1:2], v[45:46]
	v_fma_f64 v[1:2], v[1:2], v[43:44], -v[48:49]
	v_fma_f64 v[3:4], v[3:4], v[43:44], v[45:46]
	buffer_store_dword v2, off, s[0:3], 0 offset:260
	buffer_store_dword v1, off, s[0:3], 0 offset:256
	;; [unrolled: 1-line block ×4, first 2 shown]
.LBB81_13:
	s_or_b32 exec_lo, exec_lo, s5
	v_mov_b32_e32 v4, s10
	v_cmp_lt_u32_e64 s5, 15, v0
	s_clause 0x3
	buffer_load_dword v1, v4, s[0:3], 0 offen
	buffer_load_dword v2, v4, s[0:3], 0 offen offset:4
	buffer_load_dword v3, v4, s[0:3], 0 offen offset:8
	;; [unrolled: 1-line block ×3, first 2 shown]
	s_waitcnt vmcnt(0)
	ds_write_b128 v42, v[1:4]
	s_waitcnt lgkmcnt(0)
	s_waitcnt_vscnt null, 0x0
	s_barrier
	buffer_gl0_inv
	s_and_saveexec_b32 s6, s5
	s_cbranch_execz .LBB81_19
; %bb.14:
	ds_read_b128 v[1:4], v42
	s_andn2_b32 vcc_lo, exec_lo, s25
	s_cbranch_vccnz .LBB81_16
; %bb.15:
	s_clause 0x3
	buffer_load_dword v43, v41, s[0:3], 0 offen offset:8
	buffer_load_dword v44, v41, s[0:3], 0 offen offset:12
	buffer_load_dword v45, v41, s[0:3], 0 offen
	buffer_load_dword v46, v41, s[0:3], 0 offen offset:4
	s_waitcnt vmcnt(2) lgkmcnt(0)
	v_mul_f64 v[48:49], v[3:4], v[43:44]
	v_mul_f64 v[43:44], v[1:2], v[43:44]
	s_waitcnt vmcnt(0)
	v_fma_f64 v[1:2], v[1:2], v[45:46], -v[48:49]
	v_fma_f64 v[3:4], v[3:4], v[45:46], v[43:44]
.LBB81_16:
	s_and_saveexec_b32 s8, s4
	s_cbranch_execz .LBB81_18
; %bb.17:
	s_clause 0x3
	buffer_load_dword v48, off, s[0:3], 0 offset:264
	buffer_load_dword v49, off, s[0:3], 0 offset:268
	;; [unrolled: 1-line block ×4, first 2 shown]
	v_mov_b32_e32 v43, 0
	ds_read_b128 v[43:46], v43 offset:544
	s_waitcnt vmcnt(2) lgkmcnt(0)
	v_mul_f64 v[52:53], v[43:44], v[48:49]
	v_mul_f64 v[48:49], v[45:46], v[48:49]
	s_waitcnt vmcnt(0)
	v_fma_f64 v[45:46], v[45:46], v[50:51], v[52:53]
	v_fma_f64 v[43:44], v[43:44], v[50:51], -v[48:49]
	v_add_f64 v[3:4], v[3:4], v[45:46]
	v_add_f64 v[1:2], v[1:2], v[43:44]
.LBB81_18:
	s_or_b32 exec_lo, exec_lo, s8
	v_mov_b32_e32 v43, 0
	ds_read_b128 v[43:46], v43 offset:240
	s_waitcnt lgkmcnt(0)
	v_mul_f64 v[48:49], v[3:4], v[45:46]
	v_mul_f64 v[45:46], v[1:2], v[45:46]
	v_fma_f64 v[1:2], v[1:2], v[43:44], -v[48:49]
	v_fma_f64 v[3:4], v[3:4], v[43:44], v[45:46]
	buffer_store_dword v2, off, s[0:3], 0 offset:244
	buffer_store_dword v1, off, s[0:3], 0 offset:240
	;; [unrolled: 1-line block ×4, first 2 shown]
.LBB81_19:
	s_or_b32 exec_lo, exec_lo, s6
	v_mov_b32_e32 v4, s11
	v_cmp_lt_u32_e64 s4, 14, v0
	s_clause 0x3
	buffer_load_dword v1, v4, s[0:3], 0 offen
	buffer_load_dword v2, v4, s[0:3], 0 offen offset:4
	buffer_load_dword v3, v4, s[0:3], 0 offen offset:8
	buffer_load_dword v4, v4, s[0:3], 0 offen offset:12
	s_waitcnt vmcnt(0)
	ds_write_b128 v42, v[1:4]
	s_waitcnt lgkmcnt(0)
	s_waitcnt_vscnt null, 0x0
	s_barrier
	buffer_gl0_inv
	s_and_saveexec_b32 s6, s4
	s_cbranch_execz .LBB81_27
; %bb.20:
	ds_read_b128 v[1:4], v42
	s_andn2_b32 vcc_lo, exec_lo, s25
	s_cbranch_vccnz .LBB81_22
; %bb.21:
	s_clause 0x3
	buffer_load_dword v43, v41, s[0:3], 0 offen offset:8
	buffer_load_dword v44, v41, s[0:3], 0 offen offset:12
	buffer_load_dword v45, v41, s[0:3], 0 offen
	buffer_load_dword v46, v41, s[0:3], 0 offen offset:4
	s_waitcnt vmcnt(2) lgkmcnt(0)
	v_mul_f64 v[48:49], v[3:4], v[43:44]
	v_mul_f64 v[43:44], v[1:2], v[43:44]
	s_waitcnt vmcnt(0)
	v_fma_f64 v[1:2], v[1:2], v[45:46], -v[48:49]
	v_fma_f64 v[3:4], v[3:4], v[45:46], v[43:44]
.LBB81_22:
	s_and_saveexec_b32 s8, s5
	s_cbranch_execz .LBB81_26
; %bb.23:
	v_add_nc_u32_e32 v43, -15, v0
	s_movk_i32 s26, 0x210
	s_mov_b32 s5, 0
	s_mov_b32 s27, s10
	.p2align	6
.LBB81_24:                              ; =>This Inner Loop Header: Depth=1
	v_mov_b32_e32 v46, s27
	v_add_nc_u32_e32 v43, -1, v43
	s_add_i32 s27, s27, 16
	s_clause 0x3
	buffer_load_dword v44, v46, s[0:3], 0 offen offset:8
	buffer_load_dword v45, v46, s[0:3], 0 offen offset:12
	buffer_load_dword v52, v46, s[0:3], 0 offen
	buffer_load_dword v53, v46, s[0:3], 0 offen offset:4
	v_mov_b32_e32 v46, s26
	v_cmp_eq_u32_e32 vcc_lo, 0, v43
	s_add_i32 s26, s26, 16
	ds_read_b128 v[48:51], v46
	s_or_b32 s5, vcc_lo, s5
	s_waitcnt vmcnt(2) lgkmcnt(0)
	v_mul_f64 v[54:55], v[50:51], v[44:45]
	v_mul_f64 v[44:45], v[48:49], v[44:45]
	s_waitcnt vmcnt(0)
	v_fma_f64 v[48:49], v[48:49], v[52:53], -v[54:55]
	v_fma_f64 v[44:45], v[50:51], v[52:53], v[44:45]
	v_add_f64 v[1:2], v[1:2], v[48:49]
	v_add_f64 v[3:4], v[3:4], v[44:45]
	s_andn2_b32 exec_lo, exec_lo, s5
	s_cbranch_execnz .LBB81_24
; %bb.25:
	s_or_b32 exec_lo, exec_lo, s5
.LBB81_26:
	s_or_b32 exec_lo, exec_lo, s8
	v_mov_b32_e32 v43, 0
	ds_read_b128 v[43:46], v43 offset:224
	s_waitcnt lgkmcnt(0)
	v_mul_f64 v[48:49], v[3:4], v[45:46]
	v_mul_f64 v[45:46], v[1:2], v[45:46]
	v_fma_f64 v[1:2], v[1:2], v[43:44], -v[48:49]
	v_fma_f64 v[3:4], v[3:4], v[43:44], v[45:46]
	buffer_store_dword v2, off, s[0:3], 0 offset:228
	buffer_store_dword v1, off, s[0:3], 0 offset:224
	;; [unrolled: 1-line block ×4, first 2 shown]
.LBB81_27:
	s_or_b32 exec_lo, exec_lo, s6
	v_mov_b32_e32 v4, s12
	v_cmp_lt_u32_e64 s5, 13, v0
	s_clause 0x3
	buffer_load_dword v1, v4, s[0:3], 0 offen
	buffer_load_dword v2, v4, s[0:3], 0 offen offset:4
	buffer_load_dword v3, v4, s[0:3], 0 offen offset:8
	;; [unrolled: 1-line block ×3, first 2 shown]
	s_waitcnt vmcnt(0)
	ds_write_b128 v42, v[1:4]
	s_waitcnt lgkmcnt(0)
	s_waitcnt_vscnt null, 0x0
	s_barrier
	buffer_gl0_inv
	s_and_saveexec_b32 s6, s5
	s_cbranch_execz .LBB81_35
; %bb.28:
	ds_read_b128 v[1:4], v42
	s_andn2_b32 vcc_lo, exec_lo, s25
	s_cbranch_vccnz .LBB81_30
; %bb.29:
	s_clause 0x3
	buffer_load_dword v43, v41, s[0:3], 0 offen offset:8
	buffer_load_dword v44, v41, s[0:3], 0 offen offset:12
	buffer_load_dword v45, v41, s[0:3], 0 offen
	buffer_load_dword v46, v41, s[0:3], 0 offen offset:4
	s_waitcnt vmcnt(2) lgkmcnt(0)
	v_mul_f64 v[48:49], v[3:4], v[43:44]
	v_mul_f64 v[43:44], v[1:2], v[43:44]
	s_waitcnt vmcnt(0)
	v_fma_f64 v[1:2], v[1:2], v[45:46], -v[48:49]
	v_fma_f64 v[3:4], v[3:4], v[45:46], v[43:44]
.LBB81_30:
	s_and_saveexec_b32 s8, s4
	s_cbranch_execz .LBB81_34
; %bb.31:
	v_add_nc_u32_e32 v43, -14, v0
	s_movk_i32 s26, 0x200
	s_mov_b32 s4, 0
	s_mov_b32 s27, s11
	.p2align	6
.LBB81_32:                              ; =>This Inner Loop Header: Depth=1
	v_mov_b32_e32 v46, s27
	v_add_nc_u32_e32 v43, -1, v43
	s_add_i32 s27, s27, 16
	s_clause 0x3
	buffer_load_dword v44, v46, s[0:3], 0 offen offset:8
	buffer_load_dword v45, v46, s[0:3], 0 offen offset:12
	buffer_load_dword v52, v46, s[0:3], 0 offen
	buffer_load_dword v53, v46, s[0:3], 0 offen offset:4
	v_mov_b32_e32 v46, s26
	v_cmp_eq_u32_e32 vcc_lo, 0, v43
	s_add_i32 s26, s26, 16
	ds_read_b128 v[48:51], v46
	s_or_b32 s4, vcc_lo, s4
	s_waitcnt vmcnt(2) lgkmcnt(0)
	v_mul_f64 v[54:55], v[50:51], v[44:45]
	v_mul_f64 v[44:45], v[48:49], v[44:45]
	s_waitcnt vmcnt(0)
	v_fma_f64 v[48:49], v[48:49], v[52:53], -v[54:55]
	v_fma_f64 v[44:45], v[50:51], v[52:53], v[44:45]
	v_add_f64 v[1:2], v[1:2], v[48:49]
	v_add_f64 v[3:4], v[3:4], v[44:45]
	s_andn2_b32 exec_lo, exec_lo, s4
	s_cbranch_execnz .LBB81_32
; %bb.33:
	s_or_b32 exec_lo, exec_lo, s4
.LBB81_34:
	s_or_b32 exec_lo, exec_lo, s8
	v_mov_b32_e32 v43, 0
	ds_read_b128 v[43:46], v43 offset:208
	s_waitcnt lgkmcnt(0)
	v_mul_f64 v[48:49], v[3:4], v[45:46]
	v_mul_f64 v[45:46], v[1:2], v[45:46]
	v_fma_f64 v[1:2], v[1:2], v[43:44], -v[48:49]
	v_fma_f64 v[3:4], v[3:4], v[43:44], v[45:46]
	buffer_store_dword v2, off, s[0:3], 0 offset:212
	buffer_store_dword v1, off, s[0:3], 0 offset:208
	;; [unrolled: 1-line block ×4, first 2 shown]
.LBB81_35:
	s_or_b32 exec_lo, exec_lo, s6
	v_mov_b32_e32 v4, s13
	v_cmp_lt_u32_e64 s4, 12, v0
	s_clause 0x3
	buffer_load_dword v1, v4, s[0:3], 0 offen
	buffer_load_dword v2, v4, s[0:3], 0 offen offset:4
	buffer_load_dword v3, v4, s[0:3], 0 offen offset:8
	;; [unrolled: 1-line block ×3, first 2 shown]
	s_waitcnt vmcnt(0)
	ds_write_b128 v42, v[1:4]
	s_waitcnt lgkmcnt(0)
	s_waitcnt_vscnt null, 0x0
	s_barrier
	buffer_gl0_inv
	s_and_saveexec_b32 s6, s4
	s_cbranch_execz .LBB81_43
; %bb.36:
	ds_read_b128 v[1:4], v42
	s_andn2_b32 vcc_lo, exec_lo, s25
	s_cbranch_vccnz .LBB81_38
; %bb.37:
	s_clause 0x3
	buffer_load_dword v43, v41, s[0:3], 0 offen offset:8
	buffer_load_dword v44, v41, s[0:3], 0 offen offset:12
	buffer_load_dword v45, v41, s[0:3], 0 offen
	buffer_load_dword v46, v41, s[0:3], 0 offen offset:4
	s_waitcnt vmcnt(2) lgkmcnt(0)
	v_mul_f64 v[48:49], v[3:4], v[43:44]
	v_mul_f64 v[43:44], v[1:2], v[43:44]
	s_waitcnt vmcnt(0)
	v_fma_f64 v[1:2], v[1:2], v[45:46], -v[48:49]
	v_fma_f64 v[3:4], v[3:4], v[45:46], v[43:44]
.LBB81_38:
	s_and_saveexec_b32 s8, s5
	s_cbranch_execz .LBB81_42
; %bb.39:
	v_add_nc_u32_e32 v43, -13, v0
	s_movk_i32 s26, 0x1f0
	s_mov_b32 s5, 0
	s_mov_b32 s27, s12
	.p2align	6
.LBB81_40:                              ; =>This Inner Loop Header: Depth=1
	v_mov_b32_e32 v46, s27
	v_add_nc_u32_e32 v43, -1, v43
	s_add_i32 s27, s27, 16
	s_clause 0x3
	buffer_load_dword v44, v46, s[0:3], 0 offen offset:8
	buffer_load_dword v45, v46, s[0:3], 0 offen offset:12
	buffer_load_dword v52, v46, s[0:3], 0 offen
	buffer_load_dword v53, v46, s[0:3], 0 offen offset:4
	v_mov_b32_e32 v46, s26
	v_cmp_eq_u32_e32 vcc_lo, 0, v43
	s_add_i32 s26, s26, 16
	ds_read_b128 v[48:51], v46
	s_or_b32 s5, vcc_lo, s5
	s_waitcnt vmcnt(2) lgkmcnt(0)
	v_mul_f64 v[54:55], v[50:51], v[44:45]
	v_mul_f64 v[44:45], v[48:49], v[44:45]
	s_waitcnt vmcnt(0)
	v_fma_f64 v[48:49], v[48:49], v[52:53], -v[54:55]
	v_fma_f64 v[44:45], v[50:51], v[52:53], v[44:45]
	v_add_f64 v[1:2], v[1:2], v[48:49]
	v_add_f64 v[3:4], v[3:4], v[44:45]
	s_andn2_b32 exec_lo, exec_lo, s5
	s_cbranch_execnz .LBB81_40
; %bb.41:
	s_or_b32 exec_lo, exec_lo, s5
.LBB81_42:
	s_or_b32 exec_lo, exec_lo, s8
	v_mov_b32_e32 v43, 0
	ds_read_b128 v[43:46], v43 offset:192
	s_waitcnt lgkmcnt(0)
	v_mul_f64 v[48:49], v[3:4], v[45:46]
	v_mul_f64 v[45:46], v[1:2], v[45:46]
	v_fma_f64 v[1:2], v[1:2], v[43:44], -v[48:49]
	v_fma_f64 v[3:4], v[3:4], v[43:44], v[45:46]
	buffer_store_dword v2, off, s[0:3], 0 offset:196
	buffer_store_dword v1, off, s[0:3], 0 offset:192
	;; [unrolled: 1-line block ×4, first 2 shown]
.LBB81_43:
	s_or_b32 exec_lo, exec_lo, s6
	v_mov_b32_e32 v4, s14
	v_cmp_lt_u32_e64 s5, 11, v0
	s_clause 0x3
	buffer_load_dword v1, v4, s[0:3], 0 offen
	buffer_load_dword v2, v4, s[0:3], 0 offen offset:4
	buffer_load_dword v3, v4, s[0:3], 0 offen offset:8
	;; [unrolled: 1-line block ×3, first 2 shown]
	s_waitcnt vmcnt(0)
	ds_write_b128 v42, v[1:4]
	s_waitcnt lgkmcnt(0)
	s_waitcnt_vscnt null, 0x0
	s_barrier
	buffer_gl0_inv
	s_and_saveexec_b32 s6, s5
	s_cbranch_execz .LBB81_51
; %bb.44:
	ds_read_b128 v[1:4], v42
	s_andn2_b32 vcc_lo, exec_lo, s25
	s_cbranch_vccnz .LBB81_46
; %bb.45:
	s_clause 0x3
	buffer_load_dword v43, v41, s[0:3], 0 offen offset:8
	buffer_load_dword v44, v41, s[0:3], 0 offen offset:12
	buffer_load_dword v45, v41, s[0:3], 0 offen
	buffer_load_dword v46, v41, s[0:3], 0 offen offset:4
	s_waitcnt vmcnt(2) lgkmcnt(0)
	v_mul_f64 v[48:49], v[3:4], v[43:44]
	v_mul_f64 v[43:44], v[1:2], v[43:44]
	s_waitcnt vmcnt(0)
	v_fma_f64 v[1:2], v[1:2], v[45:46], -v[48:49]
	v_fma_f64 v[3:4], v[3:4], v[45:46], v[43:44]
.LBB81_46:
	s_and_saveexec_b32 s8, s4
	s_cbranch_execz .LBB81_50
; %bb.47:
	v_add_nc_u32_e32 v43, -12, v0
	s_movk_i32 s26, 0x1e0
	s_mov_b32 s4, 0
	s_mov_b32 s27, s13
	.p2align	6
.LBB81_48:                              ; =>This Inner Loop Header: Depth=1
	v_mov_b32_e32 v46, s27
	v_add_nc_u32_e32 v43, -1, v43
	s_add_i32 s27, s27, 16
	s_clause 0x3
	buffer_load_dword v44, v46, s[0:3], 0 offen offset:8
	buffer_load_dword v45, v46, s[0:3], 0 offen offset:12
	buffer_load_dword v52, v46, s[0:3], 0 offen
	buffer_load_dword v53, v46, s[0:3], 0 offen offset:4
	v_mov_b32_e32 v46, s26
	v_cmp_eq_u32_e32 vcc_lo, 0, v43
	s_add_i32 s26, s26, 16
	ds_read_b128 v[48:51], v46
	s_or_b32 s4, vcc_lo, s4
	s_waitcnt vmcnt(2) lgkmcnt(0)
	v_mul_f64 v[54:55], v[50:51], v[44:45]
	v_mul_f64 v[44:45], v[48:49], v[44:45]
	s_waitcnt vmcnt(0)
	v_fma_f64 v[48:49], v[48:49], v[52:53], -v[54:55]
	v_fma_f64 v[44:45], v[50:51], v[52:53], v[44:45]
	v_add_f64 v[1:2], v[1:2], v[48:49]
	v_add_f64 v[3:4], v[3:4], v[44:45]
	s_andn2_b32 exec_lo, exec_lo, s4
	s_cbranch_execnz .LBB81_48
; %bb.49:
	s_or_b32 exec_lo, exec_lo, s4
.LBB81_50:
	s_or_b32 exec_lo, exec_lo, s8
	v_mov_b32_e32 v43, 0
	ds_read_b128 v[43:46], v43 offset:176
	s_waitcnt lgkmcnt(0)
	v_mul_f64 v[48:49], v[3:4], v[45:46]
	v_mul_f64 v[45:46], v[1:2], v[45:46]
	v_fma_f64 v[1:2], v[1:2], v[43:44], -v[48:49]
	v_fma_f64 v[3:4], v[3:4], v[43:44], v[45:46]
	buffer_store_dword v2, off, s[0:3], 0 offset:180
	buffer_store_dword v1, off, s[0:3], 0 offset:176
	;; [unrolled: 1-line block ×4, first 2 shown]
.LBB81_51:
	s_or_b32 exec_lo, exec_lo, s6
	v_mov_b32_e32 v4, s15
	v_cmp_lt_u32_e64 s4, 10, v0
	s_clause 0x3
	buffer_load_dword v1, v4, s[0:3], 0 offen
	buffer_load_dword v2, v4, s[0:3], 0 offen offset:4
	buffer_load_dword v3, v4, s[0:3], 0 offen offset:8
	;; [unrolled: 1-line block ×3, first 2 shown]
	s_waitcnt vmcnt(0)
	ds_write_b128 v42, v[1:4]
	s_waitcnt lgkmcnt(0)
	s_waitcnt_vscnt null, 0x0
	s_barrier
	buffer_gl0_inv
	s_and_saveexec_b32 s6, s4
	s_cbranch_execz .LBB81_59
; %bb.52:
	ds_read_b128 v[1:4], v42
	s_andn2_b32 vcc_lo, exec_lo, s25
	s_cbranch_vccnz .LBB81_54
; %bb.53:
	s_clause 0x3
	buffer_load_dword v43, v41, s[0:3], 0 offen offset:8
	buffer_load_dword v44, v41, s[0:3], 0 offen offset:12
	buffer_load_dword v45, v41, s[0:3], 0 offen
	buffer_load_dword v46, v41, s[0:3], 0 offen offset:4
	s_waitcnt vmcnt(2) lgkmcnt(0)
	v_mul_f64 v[48:49], v[3:4], v[43:44]
	v_mul_f64 v[43:44], v[1:2], v[43:44]
	s_waitcnt vmcnt(0)
	v_fma_f64 v[1:2], v[1:2], v[45:46], -v[48:49]
	v_fma_f64 v[3:4], v[3:4], v[45:46], v[43:44]
.LBB81_54:
	s_and_saveexec_b32 s8, s5
	s_cbranch_execz .LBB81_58
; %bb.55:
	v_add_nc_u32_e32 v43, -11, v0
	s_movk_i32 s26, 0x1d0
	s_mov_b32 s5, 0
	s_mov_b32 s27, s14
	.p2align	6
.LBB81_56:                              ; =>This Inner Loop Header: Depth=1
	v_mov_b32_e32 v46, s27
	v_add_nc_u32_e32 v43, -1, v43
	s_add_i32 s27, s27, 16
	s_clause 0x3
	buffer_load_dword v44, v46, s[0:3], 0 offen offset:8
	buffer_load_dword v45, v46, s[0:3], 0 offen offset:12
	buffer_load_dword v52, v46, s[0:3], 0 offen
	buffer_load_dword v53, v46, s[0:3], 0 offen offset:4
	v_mov_b32_e32 v46, s26
	v_cmp_eq_u32_e32 vcc_lo, 0, v43
	s_add_i32 s26, s26, 16
	ds_read_b128 v[48:51], v46
	s_or_b32 s5, vcc_lo, s5
	s_waitcnt vmcnt(2) lgkmcnt(0)
	v_mul_f64 v[54:55], v[50:51], v[44:45]
	v_mul_f64 v[44:45], v[48:49], v[44:45]
	s_waitcnt vmcnt(0)
	v_fma_f64 v[48:49], v[48:49], v[52:53], -v[54:55]
	v_fma_f64 v[44:45], v[50:51], v[52:53], v[44:45]
	v_add_f64 v[1:2], v[1:2], v[48:49]
	v_add_f64 v[3:4], v[3:4], v[44:45]
	s_andn2_b32 exec_lo, exec_lo, s5
	s_cbranch_execnz .LBB81_56
; %bb.57:
	s_or_b32 exec_lo, exec_lo, s5
.LBB81_58:
	s_or_b32 exec_lo, exec_lo, s8
	v_mov_b32_e32 v43, 0
	ds_read_b128 v[43:46], v43 offset:160
	s_waitcnt lgkmcnt(0)
	v_mul_f64 v[48:49], v[3:4], v[45:46]
	v_mul_f64 v[45:46], v[1:2], v[45:46]
	v_fma_f64 v[1:2], v[1:2], v[43:44], -v[48:49]
	v_fma_f64 v[3:4], v[3:4], v[43:44], v[45:46]
	buffer_store_dword v2, off, s[0:3], 0 offset:164
	buffer_store_dword v1, off, s[0:3], 0 offset:160
	buffer_store_dword v4, off, s[0:3], 0 offset:172
	buffer_store_dword v3, off, s[0:3], 0 offset:168
.LBB81_59:
	s_or_b32 exec_lo, exec_lo, s6
	v_mov_b32_e32 v4, s16
	v_cmp_lt_u32_e64 s5, 9, v0
	s_clause 0x3
	buffer_load_dword v1, v4, s[0:3], 0 offen
	buffer_load_dword v2, v4, s[0:3], 0 offen offset:4
	buffer_load_dword v3, v4, s[0:3], 0 offen offset:8
	;; [unrolled: 1-line block ×3, first 2 shown]
	s_waitcnt vmcnt(0)
	ds_write_b128 v42, v[1:4]
	s_waitcnt lgkmcnt(0)
	s_waitcnt_vscnt null, 0x0
	s_barrier
	buffer_gl0_inv
	s_and_saveexec_b32 s6, s5
	s_cbranch_execz .LBB81_67
; %bb.60:
	ds_read_b128 v[1:4], v42
	s_andn2_b32 vcc_lo, exec_lo, s25
	s_cbranch_vccnz .LBB81_62
; %bb.61:
	s_clause 0x3
	buffer_load_dword v43, v41, s[0:3], 0 offen offset:8
	buffer_load_dword v44, v41, s[0:3], 0 offen offset:12
	buffer_load_dword v45, v41, s[0:3], 0 offen
	buffer_load_dword v46, v41, s[0:3], 0 offen offset:4
	s_waitcnt vmcnt(2) lgkmcnt(0)
	v_mul_f64 v[48:49], v[3:4], v[43:44]
	v_mul_f64 v[43:44], v[1:2], v[43:44]
	s_waitcnt vmcnt(0)
	v_fma_f64 v[1:2], v[1:2], v[45:46], -v[48:49]
	v_fma_f64 v[3:4], v[3:4], v[45:46], v[43:44]
.LBB81_62:
	s_and_saveexec_b32 s8, s4
	s_cbranch_execz .LBB81_66
; %bb.63:
	v_add_nc_u32_e32 v43, -10, v0
	s_movk_i32 s26, 0x1c0
	s_mov_b32 s4, 0
	s_mov_b32 s27, s15
	.p2align	6
.LBB81_64:                              ; =>This Inner Loop Header: Depth=1
	v_mov_b32_e32 v46, s27
	v_add_nc_u32_e32 v43, -1, v43
	s_add_i32 s27, s27, 16
	s_clause 0x3
	buffer_load_dword v44, v46, s[0:3], 0 offen offset:8
	buffer_load_dword v45, v46, s[0:3], 0 offen offset:12
	buffer_load_dword v52, v46, s[0:3], 0 offen
	buffer_load_dword v53, v46, s[0:3], 0 offen offset:4
	v_mov_b32_e32 v46, s26
	v_cmp_eq_u32_e32 vcc_lo, 0, v43
	s_add_i32 s26, s26, 16
	ds_read_b128 v[48:51], v46
	s_or_b32 s4, vcc_lo, s4
	s_waitcnt vmcnt(2) lgkmcnt(0)
	v_mul_f64 v[54:55], v[50:51], v[44:45]
	v_mul_f64 v[44:45], v[48:49], v[44:45]
	s_waitcnt vmcnt(0)
	v_fma_f64 v[48:49], v[48:49], v[52:53], -v[54:55]
	v_fma_f64 v[44:45], v[50:51], v[52:53], v[44:45]
	v_add_f64 v[1:2], v[1:2], v[48:49]
	v_add_f64 v[3:4], v[3:4], v[44:45]
	s_andn2_b32 exec_lo, exec_lo, s4
	s_cbranch_execnz .LBB81_64
; %bb.65:
	s_or_b32 exec_lo, exec_lo, s4
.LBB81_66:
	s_or_b32 exec_lo, exec_lo, s8
	v_mov_b32_e32 v43, 0
	ds_read_b128 v[43:46], v43 offset:144
	s_waitcnt lgkmcnt(0)
	v_mul_f64 v[48:49], v[3:4], v[45:46]
	v_mul_f64 v[45:46], v[1:2], v[45:46]
	v_fma_f64 v[1:2], v[1:2], v[43:44], -v[48:49]
	v_fma_f64 v[3:4], v[3:4], v[43:44], v[45:46]
	buffer_store_dword v2, off, s[0:3], 0 offset:148
	buffer_store_dword v1, off, s[0:3], 0 offset:144
	;; [unrolled: 1-line block ×4, first 2 shown]
.LBB81_67:
	s_or_b32 exec_lo, exec_lo, s6
	v_mov_b32_e32 v4, s17
	v_cmp_lt_u32_e64 s4, 8, v0
	s_clause 0x3
	buffer_load_dword v1, v4, s[0:3], 0 offen
	buffer_load_dword v2, v4, s[0:3], 0 offen offset:4
	buffer_load_dword v3, v4, s[0:3], 0 offen offset:8
	;; [unrolled: 1-line block ×3, first 2 shown]
	s_waitcnt vmcnt(0)
	ds_write_b128 v42, v[1:4]
	s_waitcnt lgkmcnt(0)
	s_waitcnt_vscnt null, 0x0
	s_barrier
	buffer_gl0_inv
	s_and_saveexec_b32 s6, s4
	s_cbranch_execz .LBB81_75
; %bb.68:
	ds_read_b128 v[1:4], v42
	s_andn2_b32 vcc_lo, exec_lo, s25
	s_cbranch_vccnz .LBB81_70
; %bb.69:
	s_clause 0x3
	buffer_load_dword v43, v41, s[0:3], 0 offen offset:8
	buffer_load_dword v44, v41, s[0:3], 0 offen offset:12
	buffer_load_dword v45, v41, s[0:3], 0 offen
	buffer_load_dword v46, v41, s[0:3], 0 offen offset:4
	s_waitcnt vmcnt(2) lgkmcnt(0)
	v_mul_f64 v[48:49], v[3:4], v[43:44]
	v_mul_f64 v[43:44], v[1:2], v[43:44]
	s_waitcnt vmcnt(0)
	v_fma_f64 v[1:2], v[1:2], v[45:46], -v[48:49]
	v_fma_f64 v[3:4], v[3:4], v[45:46], v[43:44]
.LBB81_70:
	s_and_saveexec_b32 s8, s5
	s_cbranch_execz .LBB81_74
; %bb.71:
	v_add_nc_u32_e32 v43, -9, v0
	s_movk_i32 s26, 0x1b0
	s_mov_b32 s5, 0
	s_mov_b32 s27, s16
	.p2align	6
.LBB81_72:                              ; =>This Inner Loop Header: Depth=1
	v_mov_b32_e32 v46, s27
	v_add_nc_u32_e32 v43, -1, v43
	s_add_i32 s27, s27, 16
	s_clause 0x3
	buffer_load_dword v44, v46, s[0:3], 0 offen offset:8
	buffer_load_dword v45, v46, s[0:3], 0 offen offset:12
	buffer_load_dword v52, v46, s[0:3], 0 offen
	buffer_load_dword v53, v46, s[0:3], 0 offen offset:4
	v_mov_b32_e32 v46, s26
	v_cmp_eq_u32_e32 vcc_lo, 0, v43
	s_add_i32 s26, s26, 16
	ds_read_b128 v[48:51], v46
	s_or_b32 s5, vcc_lo, s5
	s_waitcnt vmcnt(2) lgkmcnt(0)
	v_mul_f64 v[54:55], v[50:51], v[44:45]
	v_mul_f64 v[44:45], v[48:49], v[44:45]
	s_waitcnt vmcnt(0)
	v_fma_f64 v[48:49], v[48:49], v[52:53], -v[54:55]
	v_fma_f64 v[44:45], v[50:51], v[52:53], v[44:45]
	v_add_f64 v[1:2], v[1:2], v[48:49]
	v_add_f64 v[3:4], v[3:4], v[44:45]
	s_andn2_b32 exec_lo, exec_lo, s5
	s_cbranch_execnz .LBB81_72
; %bb.73:
	s_or_b32 exec_lo, exec_lo, s5
.LBB81_74:
	s_or_b32 exec_lo, exec_lo, s8
	v_mov_b32_e32 v43, 0
	ds_read_b128 v[43:46], v43 offset:128
	s_waitcnt lgkmcnt(0)
	v_mul_f64 v[48:49], v[3:4], v[45:46]
	v_mul_f64 v[45:46], v[1:2], v[45:46]
	v_fma_f64 v[1:2], v[1:2], v[43:44], -v[48:49]
	v_fma_f64 v[3:4], v[3:4], v[43:44], v[45:46]
	buffer_store_dword v2, off, s[0:3], 0 offset:132
	buffer_store_dword v1, off, s[0:3], 0 offset:128
	;; [unrolled: 1-line block ×4, first 2 shown]
.LBB81_75:
	s_or_b32 exec_lo, exec_lo, s6
	v_mov_b32_e32 v4, s18
	v_cmp_lt_u32_e64 s5, 7, v0
	s_clause 0x3
	buffer_load_dword v1, v4, s[0:3], 0 offen
	buffer_load_dword v2, v4, s[0:3], 0 offen offset:4
	buffer_load_dword v3, v4, s[0:3], 0 offen offset:8
	;; [unrolled: 1-line block ×3, first 2 shown]
	s_waitcnt vmcnt(0)
	ds_write_b128 v42, v[1:4]
	s_waitcnt lgkmcnt(0)
	s_waitcnt_vscnt null, 0x0
	s_barrier
	buffer_gl0_inv
	s_and_saveexec_b32 s6, s5
	s_cbranch_execz .LBB81_83
; %bb.76:
	ds_read_b128 v[1:4], v42
	s_andn2_b32 vcc_lo, exec_lo, s25
	s_cbranch_vccnz .LBB81_78
; %bb.77:
	s_clause 0x3
	buffer_load_dword v43, v41, s[0:3], 0 offen offset:8
	buffer_load_dword v44, v41, s[0:3], 0 offen offset:12
	buffer_load_dword v45, v41, s[0:3], 0 offen
	buffer_load_dword v46, v41, s[0:3], 0 offen offset:4
	s_waitcnt vmcnt(2) lgkmcnt(0)
	v_mul_f64 v[48:49], v[3:4], v[43:44]
	v_mul_f64 v[43:44], v[1:2], v[43:44]
	s_waitcnt vmcnt(0)
	v_fma_f64 v[1:2], v[1:2], v[45:46], -v[48:49]
	v_fma_f64 v[3:4], v[3:4], v[45:46], v[43:44]
.LBB81_78:
	s_and_saveexec_b32 s8, s4
	s_cbranch_execz .LBB81_82
; %bb.79:
	v_add_nc_u32_e32 v43, -8, v0
	s_movk_i32 s26, 0x1a0
	s_mov_b32 s4, 0
	s_mov_b32 s27, s17
	.p2align	6
.LBB81_80:                              ; =>This Inner Loop Header: Depth=1
	v_mov_b32_e32 v46, s27
	v_add_nc_u32_e32 v43, -1, v43
	s_add_i32 s27, s27, 16
	s_clause 0x3
	buffer_load_dword v44, v46, s[0:3], 0 offen offset:8
	buffer_load_dword v45, v46, s[0:3], 0 offen offset:12
	buffer_load_dword v52, v46, s[0:3], 0 offen
	buffer_load_dword v53, v46, s[0:3], 0 offen offset:4
	v_mov_b32_e32 v46, s26
	v_cmp_eq_u32_e32 vcc_lo, 0, v43
	s_add_i32 s26, s26, 16
	ds_read_b128 v[48:51], v46
	s_or_b32 s4, vcc_lo, s4
	s_waitcnt vmcnt(2) lgkmcnt(0)
	v_mul_f64 v[54:55], v[50:51], v[44:45]
	v_mul_f64 v[44:45], v[48:49], v[44:45]
	s_waitcnt vmcnt(0)
	v_fma_f64 v[48:49], v[48:49], v[52:53], -v[54:55]
	v_fma_f64 v[44:45], v[50:51], v[52:53], v[44:45]
	v_add_f64 v[1:2], v[1:2], v[48:49]
	v_add_f64 v[3:4], v[3:4], v[44:45]
	s_andn2_b32 exec_lo, exec_lo, s4
	s_cbranch_execnz .LBB81_80
; %bb.81:
	s_or_b32 exec_lo, exec_lo, s4
.LBB81_82:
	s_or_b32 exec_lo, exec_lo, s8
	v_mov_b32_e32 v43, 0
	ds_read_b128 v[43:46], v43 offset:112
	s_waitcnt lgkmcnt(0)
	v_mul_f64 v[48:49], v[3:4], v[45:46]
	v_mul_f64 v[45:46], v[1:2], v[45:46]
	v_fma_f64 v[1:2], v[1:2], v[43:44], -v[48:49]
	v_fma_f64 v[3:4], v[3:4], v[43:44], v[45:46]
	buffer_store_dword v2, off, s[0:3], 0 offset:116
	buffer_store_dword v1, off, s[0:3], 0 offset:112
	;; [unrolled: 1-line block ×4, first 2 shown]
.LBB81_83:
	s_or_b32 exec_lo, exec_lo, s6
	v_mov_b32_e32 v4, s19
	v_cmp_lt_u32_e64 s4, 6, v0
	s_clause 0x3
	buffer_load_dword v1, v4, s[0:3], 0 offen
	buffer_load_dword v2, v4, s[0:3], 0 offen offset:4
	buffer_load_dword v3, v4, s[0:3], 0 offen offset:8
	;; [unrolled: 1-line block ×3, first 2 shown]
	s_waitcnt vmcnt(0)
	ds_write_b128 v42, v[1:4]
	s_waitcnt lgkmcnt(0)
	s_waitcnt_vscnt null, 0x0
	s_barrier
	buffer_gl0_inv
	s_and_saveexec_b32 s6, s4
	s_cbranch_execz .LBB81_91
; %bb.84:
	ds_read_b128 v[1:4], v42
	s_andn2_b32 vcc_lo, exec_lo, s25
	s_cbranch_vccnz .LBB81_86
; %bb.85:
	s_clause 0x3
	buffer_load_dword v43, v41, s[0:3], 0 offen offset:8
	buffer_load_dword v44, v41, s[0:3], 0 offen offset:12
	buffer_load_dword v45, v41, s[0:3], 0 offen
	buffer_load_dword v46, v41, s[0:3], 0 offen offset:4
	s_waitcnt vmcnt(2) lgkmcnt(0)
	v_mul_f64 v[48:49], v[3:4], v[43:44]
	v_mul_f64 v[43:44], v[1:2], v[43:44]
	s_waitcnt vmcnt(0)
	v_fma_f64 v[1:2], v[1:2], v[45:46], -v[48:49]
	v_fma_f64 v[3:4], v[3:4], v[45:46], v[43:44]
.LBB81_86:
	s_and_saveexec_b32 s8, s5
	s_cbranch_execz .LBB81_90
; %bb.87:
	v_add_nc_u32_e32 v43, -7, v0
	s_movk_i32 s26, 0x190
	s_mov_b32 s5, 0
	s_mov_b32 s27, s18
	.p2align	6
.LBB81_88:                              ; =>This Inner Loop Header: Depth=1
	v_mov_b32_e32 v46, s27
	v_add_nc_u32_e32 v43, -1, v43
	s_add_i32 s27, s27, 16
	s_clause 0x3
	buffer_load_dword v44, v46, s[0:3], 0 offen offset:8
	buffer_load_dword v45, v46, s[0:3], 0 offen offset:12
	buffer_load_dword v52, v46, s[0:3], 0 offen
	buffer_load_dword v53, v46, s[0:3], 0 offen offset:4
	v_mov_b32_e32 v46, s26
	v_cmp_eq_u32_e32 vcc_lo, 0, v43
	s_add_i32 s26, s26, 16
	ds_read_b128 v[48:51], v46
	s_or_b32 s5, vcc_lo, s5
	s_waitcnt vmcnt(2) lgkmcnt(0)
	v_mul_f64 v[54:55], v[50:51], v[44:45]
	v_mul_f64 v[44:45], v[48:49], v[44:45]
	s_waitcnt vmcnt(0)
	v_fma_f64 v[48:49], v[48:49], v[52:53], -v[54:55]
	v_fma_f64 v[44:45], v[50:51], v[52:53], v[44:45]
	v_add_f64 v[1:2], v[1:2], v[48:49]
	v_add_f64 v[3:4], v[3:4], v[44:45]
	s_andn2_b32 exec_lo, exec_lo, s5
	s_cbranch_execnz .LBB81_88
; %bb.89:
	s_or_b32 exec_lo, exec_lo, s5
.LBB81_90:
	s_or_b32 exec_lo, exec_lo, s8
	v_mov_b32_e32 v43, 0
	ds_read_b128 v[43:46], v43 offset:96
	s_waitcnt lgkmcnt(0)
	v_mul_f64 v[48:49], v[3:4], v[45:46]
	v_mul_f64 v[45:46], v[1:2], v[45:46]
	v_fma_f64 v[1:2], v[1:2], v[43:44], -v[48:49]
	v_fma_f64 v[3:4], v[3:4], v[43:44], v[45:46]
	buffer_store_dword v2, off, s[0:3], 0 offset:100
	buffer_store_dword v1, off, s[0:3], 0 offset:96
	;; [unrolled: 1-line block ×4, first 2 shown]
.LBB81_91:
	s_or_b32 exec_lo, exec_lo, s6
	v_mov_b32_e32 v4, s20
	v_cmp_lt_u32_e64 s5, 5, v0
	s_clause 0x3
	buffer_load_dword v1, v4, s[0:3], 0 offen
	buffer_load_dword v2, v4, s[0:3], 0 offen offset:4
	buffer_load_dword v3, v4, s[0:3], 0 offen offset:8
	buffer_load_dword v4, v4, s[0:3], 0 offen offset:12
	s_waitcnt vmcnt(0)
	ds_write_b128 v42, v[1:4]
	s_waitcnt lgkmcnt(0)
	s_waitcnt_vscnt null, 0x0
	s_barrier
	buffer_gl0_inv
	s_and_saveexec_b32 s6, s5
	s_cbranch_execz .LBB81_99
; %bb.92:
	ds_read_b128 v[1:4], v42
	s_andn2_b32 vcc_lo, exec_lo, s25
	s_cbranch_vccnz .LBB81_94
; %bb.93:
	s_clause 0x3
	buffer_load_dword v43, v41, s[0:3], 0 offen offset:8
	buffer_load_dword v44, v41, s[0:3], 0 offen offset:12
	buffer_load_dword v45, v41, s[0:3], 0 offen
	buffer_load_dword v46, v41, s[0:3], 0 offen offset:4
	s_waitcnt vmcnt(2) lgkmcnt(0)
	v_mul_f64 v[48:49], v[3:4], v[43:44]
	v_mul_f64 v[43:44], v[1:2], v[43:44]
	s_waitcnt vmcnt(0)
	v_fma_f64 v[1:2], v[1:2], v[45:46], -v[48:49]
	v_fma_f64 v[3:4], v[3:4], v[45:46], v[43:44]
.LBB81_94:
	s_and_saveexec_b32 s8, s4
	s_cbranch_execz .LBB81_98
; %bb.95:
	v_add_nc_u32_e32 v43, -6, v0
	s_movk_i32 s26, 0x180
	s_mov_b32 s4, 0
	s_mov_b32 s27, s19
	.p2align	6
.LBB81_96:                              ; =>This Inner Loop Header: Depth=1
	v_mov_b32_e32 v46, s27
	v_add_nc_u32_e32 v43, -1, v43
	s_add_i32 s27, s27, 16
	s_clause 0x3
	buffer_load_dword v44, v46, s[0:3], 0 offen offset:8
	buffer_load_dword v45, v46, s[0:3], 0 offen offset:12
	buffer_load_dword v52, v46, s[0:3], 0 offen
	buffer_load_dword v53, v46, s[0:3], 0 offen offset:4
	v_mov_b32_e32 v46, s26
	v_cmp_eq_u32_e32 vcc_lo, 0, v43
	s_add_i32 s26, s26, 16
	ds_read_b128 v[48:51], v46
	s_or_b32 s4, vcc_lo, s4
	s_waitcnt vmcnt(2) lgkmcnt(0)
	v_mul_f64 v[54:55], v[50:51], v[44:45]
	v_mul_f64 v[44:45], v[48:49], v[44:45]
	s_waitcnt vmcnt(0)
	v_fma_f64 v[48:49], v[48:49], v[52:53], -v[54:55]
	v_fma_f64 v[44:45], v[50:51], v[52:53], v[44:45]
	v_add_f64 v[1:2], v[1:2], v[48:49]
	v_add_f64 v[3:4], v[3:4], v[44:45]
	s_andn2_b32 exec_lo, exec_lo, s4
	s_cbranch_execnz .LBB81_96
; %bb.97:
	s_or_b32 exec_lo, exec_lo, s4
.LBB81_98:
	s_or_b32 exec_lo, exec_lo, s8
	v_mov_b32_e32 v43, 0
	ds_read_b128 v[43:46], v43 offset:80
	s_waitcnt lgkmcnt(0)
	v_mul_f64 v[48:49], v[3:4], v[45:46]
	v_mul_f64 v[45:46], v[1:2], v[45:46]
	v_fma_f64 v[1:2], v[1:2], v[43:44], -v[48:49]
	v_fma_f64 v[3:4], v[3:4], v[43:44], v[45:46]
	buffer_store_dword v2, off, s[0:3], 0 offset:84
	buffer_store_dword v1, off, s[0:3], 0 offset:80
	;; [unrolled: 1-line block ×4, first 2 shown]
.LBB81_99:
	s_or_b32 exec_lo, exec_lo, s6
	v_mov_b32_e32 v4, s21
	v_cmp_lt_u32_e64 s4, 4, v0
	s_clause 0x3
	buffer_load_dword v1, v4, s[0:3], 0 offen
	buffer_load_dword v2, v4, s[0:3], 0 offen offset:4
	buffer_load_dword v3, v4, s[0:3], 0 offen offset:8
	;; [unrolled: 1-line block ×3, first 2 shown]
	s_waitcnt vmcnt(0)
	ds_write_b128 v42, v[1:4]
	s_waitcnt lgkmcnt(0)
	s_waitcnt_vscnt null, 0x0
	s_barrier
	buffer_gl0_inv
	s_and_saveexec_b32 s6, s4
	s_cbranch_execz .LBB81_107
; %bb.100:
	ds_read_b128 v[1:4], v42
	s_andn2_b32 vcc_lo, exec_lo, s25
	s_cbranch_vccnz .LBB81_102
; %bb.101:
	s_clause 0x3
	buffer_load_dword v43, v41, s[0:3], 0 offen offset:8
	buffer_load_dword v44, v41, s[0:3], 0 offen offset:12
	buffer_load_dword v45, v41, s[0:3], 0 offen
	buffer_load_dword v46, v41, s[0:3], 0 offen offset:4
	s_waitcnt vmcnt(2) lgkmcnt(0)
	v_mul_f64 v[48:49], v[3:4], v[43:44]
	v_mul_f64 v[43:44], v[1:2], v[43:44]
	s_waitcnt vmcnt(0)
	v_fma_f64 v[1:2], v[1:2], v[45:46], -v[48:49]
	v_fma_f64 v[3:4], v[3:4], v[45:46], v[43:44]
.LBB81_102:
	s_and_saveexec_b32 s8, s5
	s_cbranch_execz .LBB81_106
; %bb.103:
	v_add_nc_u32_e32 v43, -5, v0
	s_movk_i32 s26, 0x170
	s_mov_b32 s5, 0
	s_mov_b32 s27, s20
	.p2align	6
.LBB81_104:                             ; =>This Inner Loop Header: Depth=1
	v_mov_b32_e32 v46, s27
	v_add_nc_u32_e32 v43, -1, v43
	s_add_i32 s27, s27, 16
	s_clause 0x3
	buffer_load_dword v44, v46, s[0:3], 0 offen offset:8
	buffer_load_dword v45, v46, s[0:3], 0 offen offset:12
	buffer_load_dword v52, v46, s[0:3], 0 offen
	buffer_load_dword v53, v46, s[0:3], 0 offen offset:4
	v_mov_b32_e32 v46, s26
	v_cmp_eq_u32_e32 vcc_lo, 0, v43
	s_add_i32 s26, s26, 16
	ds_read_b128 v[48:51], v46
	s_or_b32 s5, vcc_lo, s5
	s_waitcnt vmcnt(2) lgkmcnt(0)
	v_mul_f64 v[54:55], v[50:51], v[44:45]
	v_mul_f64 v[44:45], v[48:49], v[44:45]
	s_waitcnt vmcnt(0)
	v_fma_f64 v[48:49], v[48:49], v[52:53], -v[54:55]
	v_fma_f64 v[44:45], v[50:51], v[52:53], v[44:45]
	v_add_f64 v[1:2], v[1:2], v[48:49]
	v_add_f64 v[3:4], v[3:4], v[44:45]
	s_andn2_b32 exec_lo, exec_lo, s5
	s_cbranch_execnz .LBB81_104
; %bb.105:
	s_or_b32 exec_lo, exec_lo, s5
.LBB81_106:
	s_or_b32 exec_lo, exec_lo, s8
	v_mov_b32_e32 v43, 0
	ds_read_b128 v[43:46], v43 offset:64
	s_waitcnt lgkmcnt(0)
	v_mul_f64 v[48:49], v[3:4], v[45:46]
	v_mul_f64 v[45:46], v[1:2], v[45:46]
	v_fma_f64 v[1:2], v[1:2], v[43:44], -v[48:49]
	v_fma_f64 v[3:4], v[3:4], v[43:44], v[45:46]
	buffer_store_dword v2, off, s[0:3], 0 offset:68
	buffer_store_dword v1, off, s[0:3], 0 offset:64
	;; [unrolled: 1-line block ×4, first 2 shown]
.LBB81_107:
	s_or_b32 exec_lo, exec_lo, s6
	v_mov_b32_e32 v4, s22
	v_cmp_lt_u32_e64 s5, 3, v0
	s_clause 0x3
	buffer_load_dword v1, v4, s[0:3], 0 offen
	buffer_load_dword v2, v4, s[0:3], 0 offen offset:4
	buffer_load_dword v3, v4, s[0:3], 0 offen offset:8
	;; [unrolled: 1-line block ×3, first 2 shown]
	s_waitcnt vmcnt(0)
	ds_write_b128 v42, v[1:4]
	s_waitcnt lgkmcnt(0)
	s_waitcnt_vscnt null, 0x0
	s_barrier
	buffer_gl0_inv
	s_and_saveexec_b32 s6, s5
	s_cbranch_execz .LBB81_115
; %bb.108:
	ds_read_b128 v[1:4], v42
	s_andn2_b32 vcc_lo, exec_lo, s25
	s_cbranch_vccnz .LBB81_110
; %bb.109:
	s_clause 0x3
	buffer_load_dword v43, v41, s[0:3], 0 offen offset:8
	buffer_load_dword v44, v41, s[0:3], 0 offen offset:12
	buffer_load_dword v45, v41, s[0:3], 0 offen
	buffer_load_dword v46, v41, s[0:3], 0 offen offset:4
	s_waitcnt vmcnt(2) lgkmcnt(0)
	v_mul_f64 v[48:49], v[3:4], v[43:44]
	v_mul_f64 v[43:44], v[1:2], v[43:44]
	s_waitcnt vmcnt(0)
	v_fma_f64 v[1:2], v[1:2], v[45:46], -v[48:49]
	v_fma_f64 v[3:4], v[3:4], v[45:46], v[43:44]
.LBB81_110:
	s_and_saveexec_b32 s8, s4
	s_cbranch_execz .LBB81_114
; %bb.111:
	v_add_nc_u32_e32 v43, -4, v0
	s_movk_i32 s26, 0x160
	s_mov_b32 s4, 0
	s_mov_b32 s27, s21
	.p2align	6
.LBB81_112:                             ; =>This Inner Loop Header: Depth=1
	v_mov_b32_e32 v46, s27
	v_add_nc_u32_e32 v43, -1, v43
	s_add_i32 s27, s27, 16
	s_clause 0x3
	buffer_load_dword v44, v46, s[0:3], 0 offen offset:8
	buffer_load_dword v45, v46, s[0:3], 0 offen offset:12
	buffer_load_dword v52, v46, s[0:3], 0 offen
	buffer_load_dword v53, v46, s[0:3], 0 offen offset:4
	v_mov_b32_e32 v46, s26
	v_cmp_eq_u32_e32 vcc_lo, 0, v43
	s_add_i32 s26, s26, 16
	ds_read_b128 v[48:51], v46
	s_or_b32 s4, vcc_lo, s4
	s_waitcnt vmcnt(2) lgkmcnt(0)
	v_mul_f64 v[54:55], v[50:51], v[44:45]
	v_mul_f64 v[44:45], v[48:49], v[44:45]
	s_waitcnt vmcnt(0)
	v_fma_f64 v[48:49], v[48:49], v[52:53], -v[54:55]
	v_fma_f64 v[44:45], v[50:51], v[52:53], v[44:45]
	v_add_f64 v[1:2], v[1:2], v[48:49]
	v_add_f64 v[3:4], v[3:4], v[44:45]
	s_andn2_b32 exec_lo, exec_lo, s4
	s_cbranch_execnz .LBB81_112
; %bb.113:
	s_or_b32 exec_lo, exec_lo, s4
.LBB81_114:
	s_or_b32 exec_lo, exec_lo, s8
	v_mov_b32_e32 v43, 0
	ds_read_b128 v[43:46], v43 offset:48
	s_waitcnt lgkmcnt(0)
	v_mul_f64 v[48:49], v[3:4], v[45:46]
	v_mul_f64 v[45:46], v[1:2], v[45:46]
	v_fma_f64 v[1:2], v[1:2], v[43:44], -v[48:49]
	v_fma_f64 v[3:4], v[3:4], v[43:44], v[45:46]
	buffer_store_dword v2, off, s[0:3], 0 offset:52
	buffer_store_dword v1, off, s[0:3], 0 offset:48
	;; [unrolled: 1-line block ×4, first 2 shown]
.LBB81_115:
	s_or_b32 exec_lo, exec_lo, s6
	v_mov_b32_e32 v4, s23
	v_cmp_lt_u32_e64 s6, 2, v0
	s_clause 0x3
	buffer_load_dword v1, v4, s[0:3], 0 offen
	buffer_load_dword v2, v4, s[0:3], 0 offen offset:4
	buffer_load_dword v3, v4, s[0:3], 0 offen offset:8
	;; [unrolled: 1-line block ×3, first 2 shown]
	s_waitcnt vmcnt(0)
	ds_write_b128 v42, v[1:4]
	s_waitcnt lgkmcnt(0)
	s_waitcnt_vscnt null, 0x0
	s_barrier
	buffer_gl0_inv
	s_and_saveexec_b32 s4, s6
	s_cbranch_execz .LBB81_123
; %bb.116:
	ds_read_b128 v[1:4], v42
	s_andn2_b32 vcc_lo, exec_lo, s25
	s_cbranch_vccnz .LBB81_118
; %bb.117:
	s_clause 0x3
	buffer_load_dword v43, v41, s[0:3], 0 offen offset:8
	buffer_load_dword v44, v41, s[0:3], 0 offen offset:12
	buffer_load_dword v45, v41, s[0:3], 0 offen
	buffer_load_dword v46, v41, s[0:3], 0 offen offset:4
	s_waitcnt vmcnt(2) lgkmcnt(0)
	v_mul_f64 v[48:49], v[3:4], v[43:44]
	v_mul_f64 v[43:44], v[1:2], v[43:44]
	s_waitcnt vmcnt(0)
	v_fma_f64 v[1:2], v[1:2], v[45:46], -v[48:49]
	v_fma_f64 v[3:4], v[3:4], v[45:46], v[43:44]
.LBB81_118:
	s_and_saveexec_b32 s8, s5
	s_cbranch_execz .LBB81_122
; %bb.119:
	v_add_nc_u32_e32 v43, -3, v0
	s_movk_i32 s26, 0x150
	s_mov_b32 s5, 0
	s_mov_b32 s27, s22
	.p2align	6
.LBB81_120:                             ; =>This Inner Loop Header: Depth=1
	v_mov_b32_e32 v46, s27
	v_add_nc_u32_e32 v43, -1, v43
	s_add_i32 s27, s27, 16
	s_clause 0x3
	buffer_load_dword v44, v46, s[0:3], 0 offen offset:8
	buffer_load_dword v45, v46, s[0:3], 0 offen offset:12
	buffer_load_dword v52, v46, s[0:3], 0 offen
	buffer_load_dword v53, v46, s[0:3], 0 offen offset:4
	v_mov_b32_e32 v46, s26
	v_cmp_eq_u32_e32 vcc_lo, 0, v43
	s_add_i32 s26, s26, 16
	ds_read_b128 v[48:51], v46
	s_or_b32 s5, vcc_lo, s5
	s_waitcnt vmcnt(2) lgkmcnt(0)
	v_mul_f64 v[54:55], v[50:51], v[44:45]
	v_mul_f64 v[44:45], v[48:49], v[44:45]
	s_waitcnt vmcnt(0)
	v_fma_f64 v[48:49], v[48:49], v[52:53], -v[54:55]
	v_fma_f64 v[44:45], v[50:51], v[52:53], v[44:45]
	v_add_f64 v[1:2], v[1:2], v[48:49]
	v_add_f64 v[3:4], v[3:4], v[44:45]
	s_andn2_b32 exec_lo, exec_lo, s5
	s_cbranch_execnz .LBB81_120
; %bb.121:
	s_or_b32 exec_lo, exec_lo, s5
.LBB81_122:
	s_or_b32 exec_lo, exec_lo, s8
	v_mov_b32_e32 v43, 0
	ds_read_b128 v[43:46], v43 offset:32
	s_waitcnt lgkmcnt(0)
	v_mul_f64 v[48:49], v[3:4], v[45:46]
	v_mul_f64 v[45:46], v[1:2], v[45:46]
	v_fma_f64 v[1:2], v[1:2], v[43:44], -v[48:49]
	v_fma_f64 v[3:4], v[3:4], v[43:44], v[45:46]
	buffer_store_dword v2, off, s[0:3], 0 offset:36
	buffer_store_dword v1, off, s[0:3], 0 offset:32
	;; [unrolled: 1-line block ×4, first 2 shown]
.LBB81_123:
	s_or_b32 exec_lo, exec_lo, s4
	v_mov_b32_e32 v4, s24
	v_cmp_lt_u32_e64 s4, 1, v0
	s_clause 0x3
	buffer_load_dword v1, v4, s[0:3], 0 offen
	buffer_load_dword v2, v4, s[0:3], 0 offen offset:4
	buffer_load_dword v3, v4, s[0:3], 0 offen offset:8
	;; [unrolled: 1-line block ×3, first 2 shown]
	s_waitcnt vmcnt(0)
	ds_write_b128 v42, v[1:4]
	s_waitcnt lgkmcnt(0)
	s_waitcnt_vscnt null, 0x0
	s_barrier
	buffer_gl0_inv
	s_and_saveexec_b32 s5, s4
	s_cbranch_execz .LBB81_131
; %bb.124:
	ds_read_b128 v[1:4], v42
	s_andn2_b32 vcc_lo, exec_lo, s25
	s_cbranch_vccnz .LBB81_126
; %bb.125:
	s_clause 0x3
	buffer_load_dword v43, v41, s[0:3], 0 offen offset:8
	buffer_load_dword v44, v41, s[0:3], 0 offen offset:12
	buffer_load_dword v45, v41, s[0:3], 0 offen
	buffer_load_dword v46, v41, s[0:3], 0 offen offset:4
	s_waitcnt vmcnt(2) lgkmcnt(0)
	v_mul_f64 v[48:49], v[3:4], v[43:44]
	v_mul_f64 v[43:44], v[1:2], v[43:44]
	s_waitcnt vmcnt(0)
	v_fma_f64 v[1:2], v[1:2], v[45:46], -v[48:49]
	v_fma_f64 v[3:4], v[3:4], v[45:46], v[43:44]
.LBB81_126:
	s_and_saveexec_b32 s8, s6
	s_cbranch_execz .LBB81_130
; %bb.127:
	v_add_nc_u32_e32 v43, -2, v0
	s_movk_i32 s26, 0x140
	s_mov_b32 s6, 0
	s_mov_b32 s27, s23
	.p2align	6
.LBB81_128:                             ; =>This Inner Loop Header: Depth=1
	v_mov_b32_e32 v46, s27
	v_add_nc_u32_e32 v43, -1, v43
	s_add_i32 s27, s27, 16
	s_clause 0x3
	buffer_load_dword v44, v46, s[0:3], 0 offen offset:8
	buffer_load_dword v45, v46, s[0:3], 0 offen offset:12
	buffer_load_dword v52, v46, s[0:3], 0 offen
	buffer_load_dword v53, v46, s[0:3], 0 offen offset:4
	v_mov_b32_e32 v46, s26
	v_cmp_eq_u32_e32 vcc_lo, 0, v43
	s_add_i32 s26, s26, 16
	ds_read_b128 v[48:51], v46
	s_or_b32 s6, vcc_lo, s6
	s_waitcnt vmcnt(2) lgkmcnt(0)
	v_mul_f64 v[54:55], v[50:51], v[44:45]
	v_mul_f64 v[44:45], v[48:49], v[44:45]
	s_waitcnt vmcnt(0)
	v_fma_f64 v[48:49], v[48:49], v[52:53], -v[54:55]
	v_fma_f64 v[44:45], v[50:51], v[52:53], v[44:45]
	v_add_f64 v[1:2], v[1:2], v[48:49]
	v_add_f64 v[3:4], v[3:4], v[44:45]
	s_andn2_b32 exec_lo, exec_lo, s6
	s_cbranch_execnz .LBB81_128
; %bb.129:
	s_or_b32 exec_lo, exec_lo, s6
.LBB81_130:
	s_or_b32 exec_lo, exec_lo, s8
	v_mov_b32_e32 v43, 0
	ds_read_b128 v[43:46], v43 offset:16
	s_waitcnt lgkmcnt(0)
	v_mul_f64 v[48:49], v[3:4], v[45:46]
	v_mul_f64 v[45:46], v[1:2], v[45:46]
	v_fma_f64 v[1:2], v[1:2], v[43:44], -v[48:49]
	v_fma_f64 v[3:4], v[3:4], v[43:44], v[45:46]
	buffer_store_dword v2, off, s[0:3], 0 offset:20
	buffer_store_dword v1, off, s[0:3], 0 offset:16
	;; [unrolled: 1-line block ×4, first 2 shown]
.LBB81_131:
	s_or_b32 exec_lo, exec_lo, s5
	s_clause 0x3
	buffer_load_dword v1, off, s[0:3], 0
	buffer_load_dword v2, off, s[0:3], 0 offset:4
	buffer_load_dword v3, off, s[0:3], 0 offset:8
	;; [unrolled: 1-line block ×3, first 2 shown]
	s_mov_b32 s6, 0
	s_mov_b32 s5, 0
	s_mov_b32 s8, exec_lo
                                        ; implicit-def: $sgpr26
	s_waitcnt vmcnt(0)
	ds_write_b128 v42, v[1:4]
	s_waitcnt lgkmcnt(0)
	s_waitcnt_vscnt null, 0x0
	s_barrier
	buffer_gl0_inv
                                        ; implicit-def: $vgpr1_vgpr2
	v_cmpx_ne_u32_e32 0, v0
	s_cbranch_execz .LBB81_139
; %bb.132:
	ds_read_b128 v[1:4], v42
	s_andn2_b32 vcc_lo, exec_lo, s25
	s_cbranch_vccnz .LBB81_134
; %bb.133:
	s_clause 0x3
	buffer_load_dword v43, v41, s[0:3], 0 offen offset:8
	buffer_load_dword v44, v41, s[0:3], 0 offen offset:12
	buffer_load_dword v45, v41, s[0:3], 0 offen
	buffer_load_dword v46, v41, s[0:3], 0 offen offset:4
	s_waitcnt vmcnt(2) lgkmcnt(0)
	v_mul_f64 v[48:49], v[3:4], v[43:44]
	v_mul_f64 v[43:44], v[1:2], v[43:44]
	s_waitcnt vmcnt(0)
	v_fma_f64 v[1:2], v[1:2], v[45:46], -v[48:49]
	v_fma_f64 v[3:4], v[3:4], v[45:46], v[43:44]
.LBB81_134:
	s_and_saveexec_b32 s5, s4
	s_cbranch_execz .LBB81_138
; %bb.135:
	v_add_nc_u32_e32 v43, -1, v0
	s_movk_i32 s26, 0x130
	s_mov_b32 s4, 0
	s_mov_b32 s27, s24
	.p2align	6
.LBB81_136:                             ; =>This Inner Loop Header: Depth=1
	v_mov_b32_e32 v46, s27
	v_add_nc_u32_e32 v43, -1, v43
	s_add_i32 s27, s27, 16
	s_clause 0x3
	buffer_load_dword v44, v46, s[0:3], 0 offen offset:8
	buffer_load_dword v45, v46, s[0:3], 0 offen offset:12
	buffer_load_dword v52, v46, s[0:3], 0 offen
	buffer_load_dword v53, v46, s[0:3], 0 offen offset:4
	v_mov_b32_e32 v46, s26
	v_cmp_eq_u32_e32 vcc_lo, 0, v43
	s_add_i32 s26, s26, 16
	ds_read_b128 v[48:51], v46
	s_or_b32 s4, vcc_lo, s4
	s_waitcnt vmcnt(2) lgkmcnt(0)
	v_mul_f64 v[54:55], v[50:51], v[44:45]
	v_mul_f64 v[44:45], v[48:49], v[44:45]
	s_waitcnt vmcnt(0)
	v_fma_f64 v[48:49], v[48:49], v[52:53], -v[54:55]
	v_fma_f64 v[44:45], v[50:51], v[52:53], v[44:45]
	v_add_f64 v[1:2], v[1:2], v[48:49]
	v_add_f64 v[3:4], v[3:4], v[44:45]
	s_andn2_b32 exec_lo, exec_lo, s4
	s_cbranch_execnz .LBB81_136
; %bb.137:
	s_or_b32 exec_lo, exec_lo, s4
.LBB81_138:
	s_or_b32 exec_lo, exec_lo, s5
	v_mov_b32_e32 v43, 0
	s_mov_b32 s5, exec_lo
	s_or_b32 s26, 0, 8
	ds_read_b128 v[43:46], v43
	s_waitcnt lgkmcnt(0)
	v_mul_f64 v[48:49], v[3:4], v[45:46]
	v_mul_f64 v[45:46], v[1:2], v[45:46]
	v_fma_f64 v[48:49], v[1:2], v[43:44], -v[48:49]
	v_fma_f64 v[1:2], v[3:4], v[43:44], v[45:46]
	buffer_store_dword v49, off, s[0:3], 0 offset:4
	buffer_store_dword v48, off, s[0:3], 0
.LBB81_139:
	s_or_b32 exec_lo, exec_lo, s8
	s_and_b32 vcc_lo, exec_lo, s6
	s_cbranch_vccnz .LBB81_141
	s_branch .LBB81_272
.LBB81_140:
	s_mov_b32 s5, 0
                                        ; implicit-def: $vgpr1_vgpr2
                                        ; implicit-def: $sgpr26
	s_cbranch_execz .LBB81_272
.LBB81_141:
	v_mov_b32_e32 v4, s24
	v_cmp_eq_u32_e64 s4, 0, v0
	v_cndmask_b32_e64 v43, 0, 1, s25
	s_clause 0x3
	buffer_load_dword v1, v4, s[0:3], 0 offen
	buffer_load_dword v2, v4, s[0:3], 0 offen offset:4
	buffer_load_dword v3, v4, s[0:3], 0 offen offset:8
	;; [unrolled: 1-line block ×3, first 2 shown]
	s_waitcnt vmcnt(0)
	ds_write_b128 v42, v[1:4]
	s_waitcnt lgkmcnt(0)
	s_waitcnt_vscnt null, 0x0
	s_barrier
	buffer_gl0_inv
	s_and_saveexec_b32 s6, s4
	s_cbranch_execz .LBB81_145
; %bb.142:
	ds_read_b128 v[1:4], v42
	s_andn2_b32 vcc_lo, exec_lo, s25
	s_cbranch_vccnz .LBB81_144
; %bb.143:
	s_clause 0x3
	buffer_load_dword v44, v41, s[0:3], 0 offen offset:8
	buffer_load_dword v45, v41, s[0:3], 0 offen offset:12
	buffer_load_dword v48, v41, s[0:3], 0 offen
	buffer_load_dword v49, v41, s[0:3], 0 offen offset:4
	s_waitcnt vmcnt(2) lgkmcnt(0)
	v_mul_f64 v[50:51], v[3:4], v[44:45]
	v_mul_f64 v[44:45], v[1:2], v[44:45]
	s_waitcnt vmcnt(0)
	v_fma_f64 v[1:2], v[1:2], v[48:49], -v[50:51]
	v_fma_f64 v[3:4], v[3:4], v[48:49], v[44:45]
.LBB81_144:
	v_mov_b32_e32 v44, 0
	ds_read_b128 v[48:51], v44 offset:16
	s_waitcnt lgkmcnt(0)
	v_mul_f64 v[44:45], v[3:4], v[50:51]
	v_mul_f64 v[50:51], v[1:2], v[50:51]
	v_fma_f64 v[1:2], v[1:2], v[48:49], -v[44:45]
	v_fma_f64 v[3:4], v[3:4], v[48:49], v[50:51]
	buffer_store_dword v2, off, s[0:3], 0 offset:20
	buffer_store_dword v1, off, s[0:3], 0 offset:16
	;; [unrolled: 1-line block ×4, first 2 shown]
.LBB81_145:
	s_or_b32 exec_lo, exec_lo, s6
	v_mov_b32_e32 v4, s23
	s_mov_b32 s6, exec_lo
	s_clause 0x3
	buffer_load_dword v1, v4, s[0:3], 0 offen
	buffer_load_dword v2, v4, s[0:3], 0 offen offset:4
	buffer_load_dword v3, v4, s[0:3], 0 offen offset:8
	;; [unrolled: 1-line block ×3, first 2 shown]
	s_waitcnt vmcnt(0)
	ds_write_b128 v42, v[1:4]
	s_waitcnt lgkmcnt(0)
	s_waitcnt_vscnt null, 0x0
	s_barrier
	buffer_gl0_inv
	v_cmpx_gt_u32_e32 2, v0
	s_cbranch_execz .LBB81_151
; %bb.146:
	ds_read_b128 v[1:4], v42
	v_cmp_ne_u32_e32 vcc_lo, 1, v43
	s_cbranch_vccnz .LBB81_148
; %bb.147:
	s_clause 0x3
	buffer_load_dword v44, v41, s[0:3], 0 offen offset:8
	buffer_load_dword v45, v41, s[0:3], 0 offen offset:12
	buffer_load_dword v48, v41, s[0:3], 0 offen
	buffer_load_dword v49, v41, s[0:3], 0 offen offset:4
	s_waitcnt vmcnt(2) lgkmcnt(0)
	v_mul_f64 v[50:51], v[3:4], v[44:45]
	v_mul_f64 v[44:45], v[1:2], v[44:45]
	s_waitcnt vmcnt(0)
	v_fma_f64 v[1:2], v[1:2], v[48:49], -v[50:51]
	v_fma_f64 v[3:4], v[3:4], v[48:49], v[44:45]
.LBB81_148:
	s_and_saveexec_b32 s8, s4
	s_cbranch_execz .LBB81_150
; %bb.149:
	s_clause 0x3
	buffer_load_dword v44, off, s[0:3], 0 offset:24
	buffer_load_dword v45, off, s[0:3], 0 offset:28
	;; [unrolled: 1-line block ×4, first 2 shown]
	v_mov_b32_e32 v46, 0
	ds_read_b128 v[48:51], v46 offset:304
	s_waitcnt vmcnt(2) lgkmcnt(0)
	v_mul_f64 v[54:55], v[50:51], v[44:45]
	v_mul_f64 v[44:45], v[48:49], v[44:45]
	s_waitcnt vmcnt(0)
	v_fma_f64 v[48:49], v[48:49], v[52:53], -v[54:55]
	v_fma_f64 v[44:45], v[50:51], v[52:53], v[44:45]
	v_add_f64 v[1:2], v[1:2], v[48:49]
	v_add_f64 v[3:4], v[3:4], v[44:45]
.LBB81_150:
	s_or_b32 exec_lo, exec_lo, s8
	v_mov_b32_e32 v44, 0
	ds_read_b128 v[48:51], v44 offset:32
	s_waitcnt lgkmcnt(0)
	v_mul_f64 v[44:45], v[3:4], v[50:51]
	v_mul_f64 v[50:51], v[1:2], v[50:51]
	v_fma_f64 v[1:2], v[1:2], v[48:49], -v[44:45]
	v_fma_f64 v[3:4], v[3:4], v[48:49], v[50:51]
	buffer_store_dword v2, off, s[0:3], 0 offset:36
	buffer_store_dword v1, off, s[0:3], 0 offset:32
	;; [unrolled: 1-line block ×4, first 2 shown]
.LBB81_151:
	s_or_b32 exec_lo, exec_lo, s6
	v_mov_b32_e32 v4, s22
	s_mov_b32 s6, exec_lo
	s_clause 0x3
	buffer_load_dword v1, v4, s[0:3], 0 offen
	buffer_load_dword v2, v4, s[0:3], 0 offen offset:4
	buffer_load_dword v3, v4, s[0:3], 0 offen offset:8
	;; [unrolled: 1-line block ×3, first 2 shown]
	s_waitcnt vmcnt(0)
	ds_write_b128 v42, v[1:4]
	s_waitcnt lgkmcnt(0)
	s_waitcnt_vscnt null, 0x0
	s_barrier
	buffer_gl0_inv
	v_cmpx_gt_u32_e32 3, v0
	s_cbranch_execz .LBB81_159
; %bb.152:
	ds_read_b128 v[1:4], v42
	v_cmp_ne_u32_e32 vcc_lo, 1, v43
	s_cbranch_vccnz .LBB81_154
; %bb.153:
	s_clause 0x3
	buffer_load_dword v44, v41, s[0:3], 0 offen offset:8
	buffer_load_dword v45, v41, s[0:3], 0 offen offset:12
	buffer_load_dword v48, v41, s[0:3], 0 offen
	buffer_load_dword v49, v41, s[0:3], 0 offen offset:4
	s_waitcnt vmcnt(2) lgkmcnt(0)
	v_mul_f64 v[50:51], v[3:4], v[44:45]
	v_mul_f64 v[44:45], v[1:2], v[44:45]
	s_waitcnt vmcnt(0)
	v_fma_f64 v[1:2], v[1:2], v[48:49], -v[50:51]
	v_fma_f64 v[3:4], v[3:4], v[48:49], v[44:45]
.LBB81_154:
	s_mov_b32 s8, exec_lo
	v_cmpx_ne_u32_e32 2, v0
	s_cbranch_execz .LBB81_158
; %bb.155:
	s_clause 0x3
	buffer_load_dword v44, v41, s[0:3], 0 offen offset:24
	buffer_load_dword v45, v41, s[0:3], 0 offen offset:28
	;; [unrolled: 1-line block ×4, first 2 shown]
	ds_read_b128 v[48:51], v42 offset:16
	s_waitcnt vmcnt(2) lgkmcnt(0)
	v_mul_f64 v[54:55], v[50:51], v[44:45]
	v_mul_f64 v[44:45], v[48:49], v[44:45]
	s_waitcnt vmcnt(0)
	v_fma_f64 v[48:49], v[48:49], v[52:53], -v[54:55]
	v_fma_f64 v[44:45], v[50:51], v[52:53], v[44:45]
	v_add_f64 v[1:2], v[1:2], v[48:49]
	v_add_f64 v[3:4], v[3:4], v[44:45]
	s_and_saveexec_b32 s25, s4
	s_cbranch_execz .LBB81_157
; %bb.156:
	s_clause 0x3
	buffer_load_dword v44, off, s[0:3], 0 offset:40
	buffer_load_dword v45, off, s[0:3], 0 offset:44
	;; [unrolled: 1-line block ×4, first 2 shown]
	v_mov_b32_e32 v46, 0
	ds_read_b128 v[48:51], v46 offset:320
	s_waitcnt vmcnt(2) lgkmcnt(0)
	v_mul_f64 v[54:55], v[48:49], v[44:45]
	v_mul_f64 v[44:45], v[50:51], v[44:45]
	s_waitcnt vmcnt(0)
	v_fma_f64 v[50:51], v[50:51], v[52:53], v[54:55]
	v_fma_f64 v[44:45], v[48:49], v[52:53], -v[44:45]
	v_add_f64 v[3:4], v[3:4], v[50:51]
	v_add_f64 v[1:2], v[1:2], v[44:45]
.LBB81_157:
	s_or_b32 exec_lo, exec_lo, s25
.LBB81_158:
	s_or_b32 exec_lo, exec_lo, s8
	v_mov_b32_e32 v44, 0
	ds_read_b128 v[48:51], v44 offset:48
	s_waitcnt lgkmcnt(0)
	v_mul_f64 v[44:45], v[3:4], v[50:51]
	v_mul_f64 v[50:51], v[1:2], v[50:51]
	v_fma_f64 v[1:2], v[1:2], v[48:49], -v[44:45]
	v_fma_f64 v[3:4], v[3:4], v[48:49], v[50:51]
	buffer_store_dword v2, off, s[0:3], 0 offset:52
	buffer_store_dword v1, off, s[0:3], 0 offset:48
	;; [unrolled: 1-line block ×4, first 2 shown]
.LBB81_159:
	s_or_b32 exec_lo, exec_lo, s6
	v_mov_b32_e32 v4, s21
	s_mov_b32 s4, exec_lo
	s_clause 0x3
	buffer_load_dword v1, v4, s[0:3], 0 offen
	buffer_load_dword v2, v4, s[0:3], 0 offen offset:4
	buffer_load_dword v3, v4, s[0:3], 0 offen offset:8
	;; [unrolled: 1-line block ×3, first 2 shown]
	s_waitcnt vmcnt(0)
	ds_write_b128 v42, v[1:4]
	s_waitcnt lgkmcnt(0)
	s_waitcnt_vscnt null, 0x0
	s_barrier
	buffer_gl0_inv
	v_cmpx_gt_u32_e32 4, v0
	s_cbranch_execz .LBB81_167
; %bb.160:
	ds_read_b128 v[1:4], v42
	v_cmp_ne_u32_e32 vcc_lo, 1, v43
	s_cbranch_vccnz .LBB81_162
; %bb.161:
	s_clause 0x3
	buffer_load_dword v44, v41, s[0:3], 0 offen offset:8
	buffer_load_dword v45, v41, s[0:3], 0 offen offset:12
	buffer_load_dword v48, v41, s[0:3], 0 offen
	buffer_load_dword v49, v41, s[0:3], 0 offen offset:4
	s_waitcnt vmcnt(2) lgkmcnt(0)
	v_mul_f64 v[50:51], v[3:4], v[44:45]
	v_mul_f64 v[44:45], v[1:2], v[44:45]
	s_waitcnt vmcnt(0)
	v_fma_f64 v[1:2], v[1:2], v[48:49], -v[50:51]
	v_fma_f64 v[3:4], v[3:4], v[48:49], v[44:45]
.LBB81_162:
	s_mov_b32 s6, exec_lo
	v_cmpx_ne_u32_e32 3, v0
	s_cbranch_execz .LBB81_166
; %bb.163:
	v_add_nc_u32_e32 v44, 0x130, v47
	v_add3_u32 v45, 0, v47, 16
	v_mov_b32_e32 v46, v0
	s_mov_b32 s8, 0
	.p2align	6
.LBB81_164:                             ; =>This Inner Loop Header: Depth=1
	s_clause 0x3
	buffer_load_dword v52, v45, s[0:3], 0 offen offset:8
	buffer_load_dword v53, v45, s[0:3], 0 offen offset:12
	buffer_load_dword v54, v45, s[0:3], 0 offen
	buffer_load_dword v55, v45, s[0:3], 0 offen offset:4
	ds_read_b128 v[48:51], v44
	v_add_nc_u32_e32 v46, 1, v46
	v_add_nc_u32_e32 v44, 16, v44
	;; [unrolled: 1-line block ×3, first 2 shown]
	v_cmp_lt_u32_e32 vcc_lo, 2, v46
	s_or_b32 s8, vcc_lo, s8
	s_waitcnt vmcnt(2) lgkmcnt(0)
	v_mul_f64 v[56:57], v[50:51], v[52:53]
	v_mul_f64 v[52:53], v[48:49], v[52:53]
	s_waitcnt vmcnt(0)
	v_fma_f64 v[48:49], v[48:49], v[54:55], -v[56:57]
	v_fma_f64 v[50:51], v[50:51], v[54:55], v[52:53]
	v_add_f64 v[1:2], v[1:2], v[48:49]
	v_add_f64 v[3:4], v[3:4], v[50:51]
	s_andn2_b32 exec_lo, exec_lo, s8
	s_cbranch_execnz .LBB81_164
; %bb.165:
	s_or_b32 exec_lo, exec_lo, s8
.LBB81_166:
	s_or_b32 exec_lo, exec_lo, s6
	v_mov_b32_e32 v44, 0
	ds_read_b128 v[48:51], v44 offset:64
	s_waitcnt lgkmcnt(0)
	v_mul_f64 v[44:45], v[3:4], v[50:51]
	v_mul_f64 v[50:51], v[1:2], v[50:51]
	v_fma_f64 v[1:2], v[1:2], v[48:49], -v[44:45]
	v_fma_f64 v[3:4], v[3:4], v[48:49], v[50:51]
	buffer_store_dword v2, off, s[0:3], 0 offset:68
	buffer_store_dword v1, off, s[0:3], 0 offset:64
	;; [unrolled: 1-line block ×4, first 2 shown]
.LBB81_167:
	s_or_b32 exec_lo, exec_lo, s4
	v_mov_b32_e32 v4, s20
	s_mov_b32 s4, exec_lo
	s_clause 0x3
	buffer_load_dword v1, v4, s[0:3], 0 offen
	buffer_load_dword v2, v4, s[0:3], 0 offen offset:4
	buffer_load_dword v3, v4, s[0:3], 0 offen offset:8
	;; [unrolled: 1-line block ×3, first 2 shown]
	s_waitcnt vmcnt(0)
	ds_write_b128 v42, v[1:4]
	s_waitcnt lgkmcnt(0)
	s_waitcnt_vscnt null, 0x0
	s_barrier
	buffer_gl0_inv
	v_cmpx_gt_u32_e32 5, v0
	s_cbranch_execz .LBB81_175
; %bb.168:
	ds_read_b128 v[1:4], v42
	v_cmp_ne_u32_e32 vcc_lo, 1, v43
	s_cbranch_vccnz .LBB81_170
; %bb.169:
	s_clause 0x3
	buffer_load_dword v44, v41, s[0:3], 0 offen offset:8
	buffer_load_dword v45, v41, s[0:3], 0 offen offset:12
	buffer_load_dword v48, v41, s[0:3], 0 offen
	buffer_load_dword v49, v41, s[0:3], 0 offen offset:4
	s_waitcnt vmcnt(2) lgkmcnt(0)
	v_mul_f64 v[50:51], v[3:4], v[44:45]
	v_mul_f64 v[44:45], v[1:2], v[44:45]
	s_waitcnt vmcnt(0)
	v_fma_f64 v[1:2], v[1:2], v[48:49], -v[50:51]
	v_fma_f64 v[3:4], v[3:4], v[48:49], v[44:45]
.LBB81_170:
	s_mov_b32 s6, exec_lo
	v_cmpx_ne_u32_e32 4, v0
	s_cbranch_execz .LBB81_174
; %bb.171:
	v_add_nc_u32_e32 v44, 0x130, v47
	v_add3_u32 v45, 0, v47, 16
	v_mov_b32_e32 v46, v0
	s_mov_b32 s8, 0
	.p2align	6
.LBB81_172:                             ; =>This Inner Loop Header: Depth=1
	s_clause 0x3
	buffer_load_dword v52, v45, s[0:3], 0 offen offset:8
	buffer_load_dword v53, v45, s[0:3], 0 offen offset:12
	buffer_load_dword v54, v45, s[0:3], 0 offen
	buffer_load_dword v55, v45, s[0:3], 0 offen offset:4
	ds_read_b128 v[48:51], v44
	v_add_nc_u32_e32 v46, 1, v46
	v_add_nc_u32_e32 v44, 16, v44
	;; [unrolled: 1-line block ×3, first 2 shown]
	v_cmp_lt_u32_e32 vcc_lo, 3, v46
	s_or_b32 s8, vcc_lo, s8
	s_waitcnt vmcnt(2) lgkmcnt(0)
	v_mul_f64 v[56:57], v[50:51], v[52:53]
	v_mul_f64 v[52:53], v[48:49], v[52:53]
	s_waitcnt vmcnt(0)
	v_fma_f64 v[48:49], v[48:49], v[54:55], -v[56:57]
	v_fma_f64 v[50:51], v[50:51], v[54:55], v[52:53]
	v_add_f64 v[1:2], v[1:2], v[48:49]
	v_add_f64 v[3:4], v[3:4], v[50:51]
	s_andn2_b32 exec_lo, exec_lo, s8
	s_cbranch_execnz .LBB81_172
; %bb.173:
	s_or_b32 exec_lo, exec_lo, s8
.LBB81_174:
	s_or_b32 exec_lo, exec_lo, s6
	v_mov_b32_e32 v44, 0
	ds_read_b128 v[48:51], v44 offset:80
	s_waitcnt lgkmcnt(0)
	v_mul_f64 v[44:45], v[3:4], v[50:51]
	v_mul_f64 v[50:51], v[1:2], v[50:51]
	v_fma_f64 v[1:2], v[1:2], v[48:49], -v[44:45]
	v_fma_f64 v[3:4], v[3:4], v[48:49], v[50:51]
	buffer_store_dword v2, off, s[0:3], 0 offset:84
	buffer_store_dword v1, off, s[0:3], 0 offset:80
	;; [unrolled: 1-line block ×4, first 2 shown]
.LBB81_175:
	s_or_b32 exec_lo, exec_lo, s4
	v_mov_b32_e32 v4, s19
	s_mov_b32 s4, exec_lo
	s_clause 0x3
	buffer_load_dword v1, v4, s[0:3], 0 offen
	buffer_load_dword v2, v4, s[0:3], 0 offen offset:4
	buffer_load_dword v3, v4, s[0:3], 0 offen offset:8
	;; [unrolled: 1-line block ×3, first 2 shown]
	s_waitcnt vmcnt(0)
	ds_write_b128 v42, v[1:4]
	s_waitcnt lgkmcnt(0)
	s_waitcnt_vscnt null, 0x0
	s_barrier
	buffer_gl0_inv
	v_cmpx_gt_u32_e32 6, v0
	s_cbranch_execz .LBB81_183
; %bb.176:
	ds_read_b128 v[1:4], v42
	v_cmp_ne_u32_e32 vcc_lo, 1, v43
	s_cbranch_vccnz .LBB81_178
; %bb.177:
	s_clause 0x3
	buffer_load_dword v44, v41, s[0:3], 0 offen offset:8
	buffer_load_dword v45, v41, s[0:3], 0 offen offset:12
	buffer_load_dword v48, v41, s[0:3], 0 offen
	buffer_load_dword v49, v41, s[0:3], 0 offen offset:4
	s_waitcnt vmcnt(2) lgkmcnt(0)
	v_mul_f64 v[50:51], v[3:4], v[44:45]
	v_mul_f64 v[44:45], v[1:2], v[44:45]
	s_waitcnt vmcnt(0)
	v_fma_f64 v[1:2], v[1:2], v[48:49], -v[50:51]
	v_fma_f64 v[3:4], v[3:4], v[48:49], v[44:45]
.LBB81_178:
	s_mov_b32 s6, exec_lo
	v_cmpx_ne_u32_e32 5, v0
	s_cbranch_execz .LBB81_182
; %bb.179:
	v_add_nc_u32_e32 v44, 0x130, v47
	v_add3_u32 v45, 0, v47, 16
	v_mov_b32_e32 v46, v0
	s_mov_b32 s8, 0
	.p2align	6
.LBB81_180:                             ; =>This Inner Loop Header: Depth=1
	s_clause 0x3
	buffer_load_dword v52, v45, s[0:3], 0 offen offset:8
	buffer_load_dword v53, v45, s[0:3], 0 offen offset:12
	buffer_load_dword v54, v45, s[0:3], 0 offen
	buffer_load_dword v55, v45, s[0:3], 0 offen offset:4
	ds_read_b128 v[48:51], v44
	v_add_nc_u32_e32 v46, 1, v46
	v_add_nc_u32_e32 v44, 16, v44
	;; [unrolled: 1-line block ×3, first 2 shown]
	v_cmp_lt_u32_e32 vcc_lo, 4, v46
	s_or_b32 s8, vcc_lo, s8
	s_waitcnt vmcnt(2) lgkmcnt(0)
	v_mul_f64 v[56:57], v[50:51], v[52:53]
	v_mul_f64 v[52:53], v[48:49], v[52:53]
	s_waitcnt vmcnt(0)
	v_fma_f64 v[48:49], v[48:49], v[54:55], -v[56:57]
	v_fma_f64 v[50:51], v[50:51], v[54:55], v[52:53]
	v_add_f64 v[1:2], v[1:2], v[48:49]
	v_add_f64 v[3:4], v[3:4], v[50:51]
	s_andn2_b32 exec_lo, exec_lo, s8
	s_cbranch_execnz .LBB81_180
; %bb.181:
	s_or_b32 exec_lo, exec_lo, s8
.LBB81_182:
	s_or_b32 exec_lo, exec_lo, s6
	v_mov_b32_e32 v44, 0
	ds_read_b128 v[48:51], v44 offset:96
	s_waitcnt lgkmcnt(0)
	v_mul_f64 v[44:45], v[3:4], v[50:51]
	v_mul_f64 v[50:51], v[1:2], v[50:51]
	v_fma_f64 v[1:2], v[1:2], v[48:49], -v[44:45]
	v_fma_f64 v[3:4], v[3:4], v[48:49], v[50:51]
	buffer_store_dword v2, off, s[0:3], 0 offset:100
	buffer_store_dword v1, off, s[0:3], 0 offset:96
	;; [unrolled: 1-line block ×4, first 2 shown]
.LBB81_183:
	s_or_b32 exec_lo, exec_lo, s4
	v_mov_b32_e32 v4, s18
	s_mov_b32 s4, exec_lo
	s_clause 0x3
	buffer_load_dword v1, v4, s[0:3], 0 offen
	buffer_load_dword v2, v4, s[0:3], 0 offen offset:4
	buffer_load_dword v3, v4, s[0:3], 0 offen offset:8
	;; [unrolled: 1-line block ×3, first 2 shown]
	s_waitcnt vmcnt(0)
	ds_write_b128 v42, v[1:4]
	s_waitcnt lgkmcnt(0)
	s_waitcnt_vscnt null, 0x0
	s_barrier
	buffer_gl0_inv
	v_cmpx_gt_u32_e32 7, v0
	s_cbranch_execz .LBB81_191
; %bb.184:
	ds_read_b128 v[1:4], v42
	v_cmp_ne_u32_e32 vcc_lo, 1, v43
	s_cbranch_vccnz .LBB81_186
; %bb.185:
	s_clause 0x3
	buffer_load_dword v44, v41, s[0:3], 0 offen offset:8
	buffer_load_dword v45, v41, s[0:3], 0 offen offset:12
	buffer_load_dword v48, v41, s[0:3], 0 offen
	buffer_load_dword v49, v41, s[0:3], 0 offen offset:4
	s_waitcnt vmcnt(2) lgkmcnt(0)
	v_mul_f64 v[50:51], v[3:4], v[44:45]
	v_mul_f64 v[44:45], v[1:2], v[44:45]
	s_waitcnt vmcnt(0)
	v_fma_f64 v[1:2], v[1:2], v[48:49], -v[50:51]
	v_fma_f64 v[3:4], v[3:4], v[48:49], v[44:45]
.LBB81_186:
	s_mov_b32 s6, exec_lo
	v_cmpx_ne_u32_e32 6, v0
	s_cbranch_execz .LBB81_190
; %bb.187:
	v_add_nc_u32_e32 v44, 0x130, v47
	v_add3_u32 v45, 0, v47, 16
	v_mov_b32_e32 v46, v0
	s_mov_b32 s8, 0
	.p2align	6
.LBB81_188:                             ; =>This Inner Loop Header: Depth=1
	s_clause 0x3
	buffer_load_dword v52, v45, s[0:3], 0 offen offset:8
	buffer_load_dword v53, v45, s[0:3], 0 offen offset:12
	buffer_load_dword v54, v45, s[0:3], 0 offen
	buffer_load_dword v55, v45, s[0:3], 0 offen offset:4
	ds_read_b128 v[48:51], v44
	v_add_nc_u32_e32 v46, 1, v46
	v_add_nc_u32_e32 v44, 16, v44
	;; [unrolled: 1-line block ×3, first 2 shown]
	v_cmp_lt_u32_e32 vcc_lo, 5, v46
	s_or_b32 s8, vcc_lo, s8
	s_waitcnt vmcnt(2) lgkmcnt(0)
	v_mul_f64 v[56:57], v[50:51], v[52:53]
	v_mul_f64 v[52:53], v[48:49], v[52:53]
	s_waitcnt vmcnt(0)
	v_fma_f64 v[48:49], v[48:49], v[54:55], -v[56:57]
	v_fma_f64 v[50:51], v[50:51], v[54:55], v[52:53]
	v_add_f64 v[1:2], v[1:2], v[48:49]
	v_add_f64 v[3:4], v[3:4], v[50:51]
	s_andn2_b32 exec_lo, exec_lo, s8
	s_cbranch_execnz .LBB81_188
; %bb.189:
	s_or_b32 exec_lo, exec_lo, s8
.LBB81_190:
	s_or_b32 exec_lo, exec_lo, s6
	v_mov_b32_e32 v44, 0
	ds_read_b128 v[48:51], v44 offset:112
	s_waitcnt lgkmcnt(0)
	v_mul_f64 v[44:45], v[3:4], v[50:51]
	v_mul_f64 v[50:51], v[1:2], v[50:51]
	v_fma_f64 v[1:2], v[1:2], v[48:49], -v[44:45]
	v_fma_f64 v[3:4], v[3:4], v[48:49], v[50:51]
	buffer_store_dword v2, off, s[0:3], 0 offset:116
	buffer_store_dword v1, off, s[0:3], 0 offset:112
	;; [unrolled: 1-line block ×4, first 2 shown]
.LBB81_191:
	s_or_b32 exec_lo, exec_lo, s4
	v_mov_b32_e32 v4, s17
	s_mov_b32 s4, exec_lo
	s_clause 0x3
	buffer_load_dword v1, v4, s[0:3], 0 offen
	buffer_load_dword v2, v4, s[0:3], 0 offen offset:4
	buffer_load_dword v3, v4, s[0:3], 0 offen offset:8
	;; [unrolled: 1-line block ×3, first 2 shown]
	s_waitcnt vmcnt(0)
	ds_write_b128 v42, v[1:4]
	s_waitcnt lgkmcnt(0)
	s_waitcnt_vscnt null, 0x0
	s_barrier
	buffer_gl0_inv
	v_cmpx_gt_u32_e32 8, v0
	s_cbranch_execz .LBB81_199
; %bb.192:
	ds_read_b128 v[1:4], v42
	v_cmp_ne_u32_e32 vcc_lo, 1, v43
	s_cbranch_vccnz .LBB81_194
; %bb.193:
	s_clause 0x3
	buffer_load_dword v44, v41, s[0:3], 0 offen offset:8
	buffer_load_dword v45, v41, s[0:3], 0 offen offset:12
	buffer_load_dword v48, v41, s[0:3], 0 offen
	buffer_load_dword v49, v41, s[0:3], 0 offen offset:4
	s_waitcnt vmcnt(2) lgkmcnt(0)
	v_mul_f64 v[50:51], v[3:4], v[44:45]
	v_mul_f64 v[44:45], v[1:2], v[44:45]
	s_waitcnt vmcnt(0)
	v_fma_f64 v[1:2], v[1:2], v[48:49], -v[50:51]
	v_fma_f64 v[3:4], v[3:4], v[48:49], v[44:45]
.LBB81_194:
	s_mov_b32 s6, exec_lo
	v_cmpx_ne_u32_e32 7, v0
	s_cbranch_execz .LBB81_198
; %bb.195:
	v_add_nc_u32_e32 v44, 0x130, v47
	v_add3_u32 v45, 0, v47, 16
	v_mov_b32_e32 v46, v0
	s_mov_b32 s8, 0
	.p2align	6
.LBB81_196:                             ; =>This Inner Loop Header: Depth=1
	s_clause 0x3
	buffer_load_dword v52, v45, s[0:3], 0 offen offset:8
	buffer_load_dword v53, v45, s[0:3], 0 offen offset:12
	buffer_load_dword v54, v45, s[0:3], 0 offen
	buffer_load_dword v55, v45, s[0:3], 0 offen offset:4
	ds_read_b128 v[48:51], v44
	v_add_nc_u32_e32 v46, 1, v46
	v_add_nc_u32_e32 v44, 16, v44
	;; [unrolled: 1-line block ×3, first 2 shown]
	v_cmp_lt_u32_e32 vcc_lo, 6, v46
	s_or_b32 s8, vcc_lo, s8
	s_waitcnt vmcnt(2) lgkmcnt(0)
	v_mul_f64 v[56:57], v[50:51], v[52:53]
	v_mul_f64 v[52:53], v[48:49], v[52:53]
	s_waitcnt vmcnt(0)
	v_fma_f64 v[48:49], v[48:49], v[54:55], -v[56:57]
	v_fma_f64 v[50:51], v[50:51], v[54:55], v[52:53]
	v_add_f64 v[1:2], v[1:2], v[48:49]
	v_add_f64 v[3:4], v[3:4], v[50:51]
	s_andn2_b32 exec_lo, exec_lo, s8
	s_cbranch_execnz .LBB81_196
; %bb.197:
	s_or_b32 exec_lo, exec_lo, s8
.LBB81_198:
	s_or_b32 exec_lo, exec_lo, s6
	v_mov_b32_e32 v44, 0
	ds_read_b128 v[48:51], v44 offset:128
	s_waitcnt lgkmcnt(0)
	v_mul_f64 v[44:45], v[3:4], v[50:51]
	v_mul_f64 v[50:51], v[1:2], v[50:51]
	v_fma_f64 v[1:2], v[1:2], v[48:49], -v[44:45]
	v_fma_f64 v[3:4], v[3:4], v[48:49], v[50:51]
	buffer_store_dword v2, off, s[0:3], 0 offset:132
	buffer_store_dword v1, off, s[0:3], 0 offset:128
	;; [unrolled: 1-line block ×4, first 2 shown]
.LBB81_199:
	s_or_b32 exec_lo, exec_lo, s4
	v_mov_b32_e32 v4, s16
	s_mov_b32 s4, exec_lo
	s_clause 0x3
	buffer_load_dword v1, v4, s[0:3], 0 offen
	buffer_load_dword v2, v4, s[0:3], 0 offen offset:4
	buffer_load_dword v3, v4, s[0:3], 0 offen offset:8
	;; [unrolled: 1-line block ×3, first 2 shown]
	s_waitcnt vmcnt(0)
	ds_write_b128 v42, v[1:4]
	s_waitcnt lgkmcnt(0)
	s_waitcnt_vscnt null, 0x0
	s_barrier
	buffer_gl0_inv
	v_cmpx_gt_u32_e32 9, v0
	s_cbranch_execz .LBB81_207
; %bb.200:
	ds_read_b128 v[1:4], v42
	v_cmp_ne_u32_e32 vcc_lo, 1, v43
	s_cbranch_vccnz .LBB81_202
; %bb.201:
	s_clause 0x3
	buffer_load_dword v44, v41, s[0:3], 0 offen offset:8
	buffer_load_dword v45, v41, s[0:3], 0 offen offset:12
	buffer_load_dword v48, v41, s[0:3], 0 offen
	buffer_load_dword v49, v41, s[0:3], 0 offen offset:4
	s_waitcnt vmcnt(2) lgkmcnt(0)
	v_mul_f64 v[50:51], v[3:4], v[44:45]
	v_mul_f64 v[44:45], v[1:2], v[44:45]
	s_waitcnt vmcnt(0)
	v_fma_f64 v[1:2], v[1:2], v[48:49], -v[50:51]
	v_fma_f64 v[3:4], v[3:4], v[48:49], v[44:45]
.LBB81_202:
	s_mov_b32 s6, exec_lo
	v_cmpx_ne_u32_e32 8, v0
	s_cbranch_execz .LBB81_206
; %bb.203:
	v_add_nc_u32_e32 v44, 0x130, v47
	v_add3_u32 v45, 0, v47, 16
	v_mov_b32_e32 v46, v0
	s_mov_b32 s8, 0
	.p2align	6
.LBB81_204:                             ; =>This Inner Loop Header: Depth=1
	s_clause 0x3
	buffer_load_dword v52, v45, s[0:3], 0 offen offset:8
	buffer_load_dword v53, v45, s[0:3], 0 offen offset:12
	buffer_load_dword v54, v45, s[0:3], 0 offen
	buffer_load_dword v55, v45, s[0:3], 0 offen offset:4
	ds_read_b128 v[48:51], v44
	v_add_nc_u32_e32 v46, 1, v46
	v_add_nc_u32_e32 v44, 16, v44
	;; [unrolled: 1-line block ×3, first 2 shown]
	v_cmp_lt_u32_e32 vcc_lo, 7, v46
	s_or_b32 s8, vcc_lo, s8
	s_waitcnt vmcnt(2) lgkmcnt(0)
	v_mul_f64 v[56:57], v[50:51], v[52:53]
	v_mul_f64 v[52:53], v[48:49], v[52:53]
	s_waitcnt vmcnt(0)
	v_fma_f64 v[48:49], v[48:49], v[54:55], -v[56:57]
	v_fma_f64 v[50:51], v[50:51], v[54:55], v[52:53]
	v_add_f64 v[1:2], v[1:2], v[48:49]
	v_add_f64 v[3:4], v[3:4], v[50:51]
	s_andn2_b32 exec_lo, exec_lo, s8
	s_cbranch_execnz .LBB81_204
; %bb.205:
	s_or_b32 exec_lo, exec_lo, s8
.LBB81_206:
	s_or_b32 exec_lo, exec_lo, s6
	v_mov_b32_e32 v44, 0
	ds_read_b128 v[48:51], v44 offset:144
	s_waitcnt lgkmcnt(0)
	v_mul_f64 v[44:45], v[3:4], v[50:51]
	v_mul_f64 v[50:51], v[1:2], v[50:51]
	v_fma_f64 v[1:2], v[1:2], v[48:49], -v[44:45]
	v_fma_f64 v[3:4], v[3:4], v[48:49], v[50:51]
	buffer_store_dword v2, off, s[0:3], 0 offset:148
	buffer_store_dword v1, off, s[0:3], 0 offset:144
	buffer_store_dword v4, off, s[0:3], 0 offset:156
	buffer_store_dword v3, off, s[0:3], 0 offset:152
.LBB81_207:
	s_or_b32 exec_lo, exec_lo, s4
	v_mov_b32_e32 v4, s15
	s_mov_b32 s4, exec_lo
	s_clause 0x3
	buffer_load_dword v1, v4, s[0:3], 0 offen
	buffer_load_dword v2, v4, s[0:3], 0 offen offset:4
	buffer_load_dword v3, v4, s[0:3], 0 offen offset:8
	;; [unrolled: 1-line block ×3, first 2 shown]
	s_waitcnt vmcnt(0)
	ds_write_b128 v42, v[1:4]
	s_waitcnt lgkmcnt(0)
	s_waitcnt_vscnt null, 0x0
	s_barrier
	buffer_gl0_inv
	v_cmpx_gt_u32_e32 10, v0
	s_cbranch_execz .LBB81_215
; %bb.208:
	ds_read_b128 v[1:4], v42
	v_cmp_ne_u32_e32 vcc_lo, 1, v43
	s_cbranch_vccnz .LBB81_210
; %bb.209:
	s_clause 0x3
	buffer_load_dword v44, v41, s[0:3], 0 offen offset:8
	buffer_load_dword v45, v41, s[0:3], 0 offen offset:12
	buffer_load_dword v48, v41, s[0:3], 0 offen
	buffer_load_dword v49, v41, s[0:3], 0 offen offset:4
	s_waitcnt vmcnt(2) lgkmcnt(0)
	v_mul_f64 v[50:51], v[3:4], v[44:45]
	v_mul_f64 v[44:45], v[1:2], v[44:45]
	s_waitcnt vmcnt(0)
	v_fma_f64 v[1:2], v[1:2], v[48:49], -v[50:51]
	v_fma_f64 v[3:4], v[3:4], v[48:49], v[44:45]
.LBB81_210:
	s_mov_b32 s6, exec_lo
	v_cmpx_ne_u32_e32 9, v0
	s_cbranch_execz .LBB81_214
; %bb.211:
	v_add_nc_u32_e32 v44, 0x130, v47
	v_add3_u32 v45, 0, v47, 16
	v_mov_b32_e32 v46, v0
	s_mov_b32 s8, 0
	.p2align	6
.LBB81_212:                             ; =>This Inner Loop Header: Depth=1
	s_clause 0x3
	buffer_load_dword v52, v45, s[0:3], 0 offen offset:8
	buffer_load_dword v53, v45, s[0:3], 0 offen offset:12
	buffer_load_dword v54, v45, s[0:3], 0 offen
	buffer_load_dword v55, v45, s[0:3], 0 offen offset:4
	ds_read_b128 v[48:51], v44
	v_add_nc_u32_e32 v46, 1, v46
	v_add_nc_u32_e32 v44, 16, v44
	v_add_nc_u32_e32 v45, 16, v45
	v_cmp_lt_u32_e32 vcc_lo, 8, v46
	s_or_b32 s8, vcc_lo, s8
	s_waitcnt vmcnt(2) lgkmcnt(0)
	v_mul_f64 v[56:57], v[50:51], v[52:53]
	v_mul_f64 v[52:53], v[48:49], v[52:53]
	s_waitcnt vmcnt(0)
	v_fma_f64 v[48:49], v[48:49], v[54:55], -v[56:57]
	v_fma_f64 v[50:51], v[50:51], v[54:55], v[52:53]
	v_add_f64 v[1:2], v[1:2], v[48:49]
	v_add_f64 v[3:4], v[3:4], v[50:51]
	s_andn2_b32 exec_lo, exec_lo, s8
	s_cbranch_execnz .LBB81_212
; %bb.213:
	s_or_b32 exec_lo, exec_lo, s8
.LBB81_214:
	s_or_b32 exec_lo, exec_lo, s6
	v_mov_b32_e32 v44, 0
	ds_read_b128 v[48:51], v44 offset:160
	s_waitcnt lgkmcnt(0)
	v_mul_f64 v[44:45], v[3:4], v[50:51]
	v_mul_f64 v[50:51], v[1:2], v[50:51]
	v_fma_f64 v[1:2], v[1:2], v[48:49], -v[44:45]
	v_fma_f64 v[3:4], v[3:4], v[48:49], v[50:51]
	buffer_store_dword v2, off, s[0:3], 0 offset:164
	buffer_store_dword v1, off, s[0:3], 0 offset:160
	;; [unrolled: 1-line block ×4, first 2 shown]
.LBB81_215:
	s_or_b32 exec_lo, exec_lo, s4
	v_mov_b32_e32 v4, s14
	s_mov_b32 s4, exec_lo
	s_clause 0x3
	buffer_load_dword v1, v4, s[0:3], 0 offen
	buffer_load_dword v2, v4, s[0:3], 0 offen offset:4
	buffer_load_dword v3, v4, s[0:3], 0 offen offset:8
	buffer_load_dword v4, v4, s[0:3], 0 offen offset:12
	s_waitcnt vmcnt(0)
	ds_write_b128 v42, v[1:4]
	s_waitcnt lgkmcnt(0)
	s_waitcnt_vscnt null, 0x0
	s_barrier
	buffer_gl0_inv
	v_cmpx_gt_u32_e32 11, v0
	s_cbranch_execz .LBB81_223
; %bb.216:
	ds_read_b128 v[1:4], v42
	v_cmp_ne_u32_e32 vcc_lo, 1, v43
	s_cbranch_vccnz .LBB81_218
; %bb.217:
	s_clause 0x3
	buffer_load_dword v44, v41, s[0:3], 0 offen offset:8
	buffer_load_dword v45, v41, s[0:3], 0 offen offset:12
	buffer_load_dword v48, v41, s[0:3], 0 offen
	buffer_load_dword v49, v41, s[0:3], 0 offen offset:4
	s_waitcnt vmcnt(2) lgkmcnt(0)
	v_mul_f64 v[50:51], v[3:4], v[44:45]
	v_mul_f64 v[44:45], v[1:2], v[44:45]
	s_waitcnt vmcnt(0)
	v_fma_f64 v[1:2], v[1:2], v[48:49], -v[50:51]
	v_fma_f64 v[3:4], v[3:4], v[48:49], v[44:45]
.LBB81_218:
	s_mov_b32 s6, exec_lo
	v_cmpx_ne_u32_e32 10, v0
	s_cbranch_execz .LBB81_222
; %bb.219:
	v_add_nc_u32_e32 v44, 0x130, v47
	v_add3_u32 v45, 0, v47, 16
	v_mov_b32_e32 v46, v0
	s_mov_b32 s8, 0
	.p2align	6
.LBB81_220:                             ; =>This Inner Loop Header: Depth=1
	s_clause 0x3
	buffer_load_dword v52, v45, s[0:3], 0 offen offset:8
	buffer_load_dword v53, v45, s[0:3], 0 offen offset:12
	buffer_load_dword v54, v45, s[0:3], 0 offen
	buffer_load_dword v55, v45, s[0:3], 0 offen offset:4
	ds_read_b128 v[48:51], v44
	v_add_nc_u32_e32 v46, 1, v46
	v_add_nc_u32_e32 v44, 16, v44
	;; [unrolled: 1-line block ×3, first 2 shown]
	v_cmp_lt_u32_e32 vcc_lo, 9, v46
	s_or_b32 s8, vcc_lo, s8
	s_waitcnt vmcnt(2) lgkmcnt(0)
	v_mul_f64 v[56:57], v[50:51], v[52:53]
	v_mul_f64 v[52:53], v[48:49], v[52:53]
	s_waitcnt vmcnt(0)
	v_fma_f64 v[48:49], v[48:49], v[54:55], -v[56:57]
	v_fma_f64 v[50:51], v[50:51], v[54:55], v[52:53]
	v_add_f64 v[1:2], v[1:2], v[48:49]
	v_add_f64 v[3:4], v[3:4], v[50:51]
	s_andn2_b32 exec_lo, exec_lo, s8
	s_cbranch_execnz .LBB81_220
; %bb.221:
	s_or_b32 exec_lo, exec_lo, s8
.LBB81_222:
	s_or_b32 exec_lo, exec_lo, s6
	v_mov_b32_e32 v44, 0
	ds_read_b128 v[48:51], v44 offset:176
	s_waitcnt lgkmcnt(0)
	v_mul_f64 v[44:45], v[3:4], v[50:51]
	v_mul_f64 v[50:51], v[1:2], v[50:51]
	v_fma_f64 v[1:2], v[1:2], v[48:49], -v[44:45]
	v_fma_f64 v[3:4], v[3:4], v[48:49], v[50:51]
	buffer_store_dword v2, off, s[0:3], 0 offset:180
	buffer_store_dword v1, off, s[0:3], 0 offset:176
	;; [unrolled: 1-line block ×4, first 2 shown]
.LBB81_223:
	s_or_b32 exec_lo, exec_lo, s4
	v_mov_b32_e32 v4, s13
	s_mov_b32 s4, exec_lo
	s_clause 0x3
	buffer_load_dword v1, v4, s[0:3], 0 offen
	buffer_load_dword v2, v4, s[0:3], 0 offen offset:4
	buffer_load_dword v3, v4, s[0:3], 0 offen offset:8
	;; [unrolled: 1-line block ×3, first 2 shown]
	s_waitcnt vmcnt(0)
	ds_write_b128 v42, v[1:4]
	s_waitcnt lgkmcnt(0)
	s_waitcnt_vscnt null, 0x0
	s_barrier
	buffer_gl0_inv
	v_cmpx_gt_u32_e32 12, v0
	s_cbranch_execz .LBB81_231
; %bb.224:
	ds_read_b128 v[1:4], v42
	v_cmp_ne_u32_e32 vcc_lo, 1, v43
	s_cbranch_vccnz .LBB81_226
; %bb.225:
	s_clause 0x3
	buffer_load_dword v44, v41, s[0:3], 0 offen offset:8
	buffer_load_dword v45, v41, s[0:3], 0 offen offset:12
	buffer_load_dword v48, v41, s[0:3], 0 offen
	buffer_load_dword v49, v41, s[0:3], 0 offen offset:4
	s_waitcnt vmcnt(2) lgkmcnt(0)
	v_mul_f64 v[50:51], v[3:4], v[44:45]
	v_mul_f64 v[44:45], v[1:2], v[44:45]
	s_waitcnt vmcnt(0)
	v_fma_f64 v[1:2], v[1:2], v[48:49], -v[50:51]
	v_fma_f64 v[3:4], v[3:4], v[48:49], v[44:45]
.LBB81_226:
	s_mov_b32 s6, exec_lo
	v_cmpx_ne_u32_e32 11, v0
	s_cbranch_execz .LBB81_230
; %bb.227:
	v_add_nc_u32_e32 v44, 0x130, v47
	v_add3_u32 v45, 0, v47, 16
	v_mov_b32_e32 v46, v0
	s_mov_b32 s8, 0
	.p2align	6
.LBB81_228:                             ; =>This Inner Loop Header: Depth=1
	s_clause 0x3
	buffer_load_dword v52, v45, s[0:3], 0 offen offset:8
	buffer_load_dword v53, v45, s[0:3], 0 offen offset:12
	buffer_load_dword v54, v45, s[0:3], 0 offen
	buffer_load_dword v55, v45, s[0:3], 0 offen offset:4
	ds_read_b128 v[48:51], v44
	v_add_nc_u32_e32 v46, 1, v46
	v_add_nc_u32_e32 v44, 16, v44
	;; [unrolled: 1-line block ×3, first 2 shown]
	v_cmp_lt_u32_e32 vcc_lo, 10, v46
	s_or_b32 s8, vcc_lo, s8
	s_waitcnt vmcnt(2) lgkmcnt(0)
	v_mul_f64 v[56:57], v[50:51], v[52:53]
	v_mul_f64 v[52:53], v[48:49], v[52:53]
	s_waitcnt vmcnt(0)
	v_fma_f64 v[48:49], v[48:49], v[54:55], -v[56:57]
	v_fma_f64 v[50:51], v[50:51], v[54:55], v[52:53]
	v_add_f64 v[1:2], v[1:2], v[48:49]
	v_add_f64 v[3:4], v[3:4], v[50:51]
	s_andn2_b32 exec_lo, exec_lo, s8
	s_cbranch_execnz .LBB81_228
; %bb.229:
	s_or_b32 exec_lo, exec_lo, s8
.LBB81_230:
	s_or_b32 exec_lo, exec_lo, s6
	v_mov_b32_e32 v44, 0
	ds_read_b128 v[48:51], v44 offset:192
	s_waitcnt lgkmcnt(0)
	v_mul_f64 v[44:45], v[3:4], v[50:51]
	v_mul_f64 v[50:51], v[1:2], v[50:51]
	v_fma_f64 v[1:2], v[1:2], v[48:49], -v[44:45]
	v_fma_f64 v[3:4], v[3:4], v[48:49], v[50:51]
	buffer_store_dword v2, off, s[0:3], 0 offset:196
	buffer_store_dword v1, off, s[0:3], 0 offset:192
	;; [unrolled: 1-line block ×4, first 2 shown]
.LBB81_231:
	s_or_b32 exec_lo, exec_lo, s4
	v_mov_b32_e32 v4, s12
	s_mov_b32 s4, exec_lo
	s_clause 0x3
	buffer_load_dword v1, v4, s[0:3], 0 offen
	buffer_load_dword v2, v4, s[0:3], 0 offen offset:4
	buffer_load_dword v3, v4, s[0:3], 0 offen offset:8
	;; [unrolled: 1-line block ×3, first 2 shown]
	s_waitcnt vmcnt(0)
	ds_write_b128 v42, v[1:4]
	s_waitcnt lgkmcnt(0)
	s_waitcnt_vscnt null, 0x0
	s_barrier
	buffer_gl0_inv
	v_cmpx_gt_u32_e32 13, v0
	s_cbranch_execz .LBB81_239
; %bb.232:
	ds_read_b128 v[1:4], v42
	v_cmp_ne_u32_e32 vcc_lo, 1, v43
	s_cbranch_vccnz .LBB81_234
; %bb.233:
	s_clause 0x3
	buffer_load_dword v44, v41, s[0:3], 0 offen offset:8
	buffer_load_dword v45, v41, s[0:3], 0 offen offset:12
	buffer_load_dword v48, v41, s[0:3], 0 offen
	buffer_load_dword v49, v41, s[0:3], 0 offen offset:4
	s_waitcnt vmcnt(2) lgkmcnt(0)
	v_mul_f64 v[50:51], v[3:4], v[44:45]
	v_mul_f64 v[44:45], v[1:2], v[44:45]
	s_waitcnt vmcnt(0)
	v_fma_f64 v[1:2], v[1:2], v[48:49], -v[50:51]
	v_fma_f64 v[3:4], v[3:4], v[48:49], v[44:45]
.LBB81_234:
	s_mov_b32 s6, exec_lo
	v_cmpx_ne_u32_e32 12, v0
	s_cbranch_execz .LBB81_238
; %bb.235:
	v_add_nc_u32_e32 v44, 0x130, v47
	v_add3_u32 v45, 0, v47, 16
	v_mov_b32_e32 v46, v0
	s_mov_b32 s8, 0
	.p2align	6
.LBB81_236:                             ; =>This Inner Loop Header: Depth=1
	s_clause 0x3
	buffer_load_dword v52, v45, s[0:3], 0 offen offset:8
	buffer_load_dword v53, v45, s[0:3], 0 offen offset:12
	buffer_load_dword v54, v45, s[0:3], 0 offen
	buffer_load_dword v55, v45, s[0:3], 0 offen offset:4
	ds_read_b128 v[48:51], v44
	v_add_nc_u32_e32 v46, 1, v46
	v_add_nc_u32_e32 v44, 16, v44
	;; [unrolled: 1-line block ×3, first 2 shown]
	v_cmp_lt_u32_e32 vcc_lo, 11, v46
	s_or_b32 s8, vcc_lo, s8
	s_waitcnt vmcnt(2) lgkmcnt(0)
	v_mul_f64 v[56:57], v[50:51], v[52:53]
	v_mul_f64 v[52:53], v[48:49], v[52:53]
	s_waitcnt vmcnt(0)
	v_fma_f64 v[48:49], v[48:49], v[54:55], -v[56:57]
	v_fma_f64 v[50:51], v[50:51], v[54:55], v[52:53]
	v_add_f64 v[1:2], v[1:2], v[48:49]
	v_add_f64 v[3:4], v[3:4], v[50:51]
	s_andn2_b32 exec_lo, exec_lo, s8
	s_cbranch_execnz .LBB81_236
; %bb.237:
	s_or_b32 exec_lo, exec_lo, s8
.LBB81_238:
	s_or_b32 exec_lo, exec_lo, s6
	v_mov_b32_e32 v44, 0
	ds_read_b128 v[48:51], v44 offset:208
	s_waitcnt lgkmcnt(0)
	v_mul_f64 v[44:45], v[3:4], v[50:51]
	v_mul_f64 v[50:51], v[1:2], v[50:51]
	v_fma_f64 v[1:2], v[1:2], v[48:49], -v[44:45]
	v_fma_f64 v[3:4], v[3:4], v[48:49], v[50:51]
	buffer_store_dword v2, off, s[0:3], 0 offset:212
	buffer_store_dword v1, off, s[0:3], 0 offset:208
	;; [unrolled: 1-line block ×4, first 2 shown]
.LBB81_239:
	s_or_b32 exec_lo, exec_lo, s4
	v_mov_b32_e32 v4, s11
	s_mov_b32 s4, exec_lo
	s_clause 0x3
	buffer_load_dword v1, v4, s[0:3], 0 offen
	buffer_load_dword v2, v4, s[0:3], 0 offen offset:4
	buffer_load_dword v3, v4, s[0:3], 0 offen offset:8
	;; [unrolled: 1-line block ×3, first 2 shown]
	s_waitcnt vmcnt(0)
	ds_write_b128 v42, v[1:4]
	s_waitcnt lgkmcnt(0)
	s_waitcnt_vscnt null, 0x0
	s_barrier
	buffer_gl0_inv
	v_cmpx_gt_u32_e32 14, v0
	s_cbranch_execz .LBB81_247
; %bb.240:
	ds_read_b128 v[1:4], v42
	v_cmp_ne_u32_e32 vcc_lo, 1, v43
	s_cbranch_vccnz .LBB81_242
; %bb.241:
	s_clause 0x3
	buffer_load_dword v44, v41, s[0:3], 0 offen offset:8
	buffer_load_dword v45, v41, s[0:3], 0 offen offset:12
	buffer_load_dword v48, v41, s[0:3], 0 offen
	buffer_load_dword v49, v41, s[0:3], 0 offen offset:4
	s_waitcnt vmcnt(2) lgkmcnt(0)
	v_mul_f64 v[50:51], v[3:4], v[44:45]
	v_mul_f64 v[44:45], v[1:2], v[44:45]
	s_waitcnt vmcnt(0)
	v_fma_f64 v[1:2], v[1:2], v[48:49], -v[50:51]
	v_fma_f64 v[3:4], v[3:4], v[48:49], v[44:45]
.LBB81_242:
	s_mov_b32 s6, exec_lo
	v_cmpx_ne_u32_e32 13, v0
	s_cbranch_execz .LBB81_246
; %bb.243:
	v_add_nc_u32_e32 v44, 0x130, v47
	v_add3_u32 v45, 0, v47, 16
	v_mov_b32_e32 v46, v0
	s_mov_b32 s8, 0
	.p2align	6
.LBB81_244:                             ; =>This Inner Loop Header: Depth=1
	s_clause 0x3
	buffer_load_dword v52, v45, s[0:3], 0 offen offset:8
	buffer_load_dword v53, v45, s[0:3], 0 offen offset:12
	buffer_load_dword v54, v45, s[0:3], 0 offen
	buffer_load_dword v55, v45, s[0:3], 0 offen offset:4
	ds_read_b128 v[48:51], v44
	v_add_nc_u32_e32 v46, 1, v46
	v_add_nc_u32_e32 v44, 16, v44
	;; [unrolled: 1-line block ×3, first 2 shown]
	v_cmp_lt_u32_e32 vcc_lo, 12, v46
	s_or_b32 s8, vcc_lo, s8
	s_waitcnt vmcnt(2) lgkmcnt(0)
	v_mul_f64 v[56:57], v[50:51], v[52:53]
	v_mul_f64 v[52:53], v[48:49], v[52:53]
	s_waitcnt vmcnt(0)
	v_fma_f64 v[48:49], v[48:49], v[54:55], -v[56:57]
	v_fma_f64 v[50:51], v[50:51], v[54:55], v[52:53]
	v_add_f64 v[1:2], v[1:2], v[48:49]
	v_add_f64 v[3:4], v[3:4], v[50:51]
	s_andn2_b32 exec_lo, exec_lo, s8
	s_cbranch_execnz .LBB81_244
; %bb.245:
	s_or_b32 exec_lo, exec_lo, s8
.LBB81_246:
	s_or_b32 exec_lo, exec_lo, s6
	v_mov_b32_e32 v44, 0
	ds_read_b128 v[48:51], v44 offset:224
	s_waitcnt lgkmcnt(0)
	v_mul_f64 v[44:45], v[3:4], v[50:51]
	v_mul_f64 v[50:51], v[1:2], v[50:51]
	v_fma_f64 v[1:2], v[1:2], v[48:49], -v[44:45]
	v_fma_f64 v[3:4], v[3:4], v[48:49], v[50:51]
	buffer_store_dword v2, off, s[0:3], 0 offset:228
	buffer_store_dword v1, off, s[0:3], 0 offset:224
	;; [unrolled: 1-line block ×4, first 2 shown]
.LBB81_247:
	s_or_b32 exec_lo, exec_lo, s4
	v_mov_b32_e32 v4, s10
	s_mov_b32 s4, exec_lo
	s_clause 0x3
	buffer_load_dword v1, v4, s[0:3], 0 offen
	buffer_load_dword v2, v4, s[0:3], 0 offen offset:4
	buffer_load_dword v3, v4, s[0:3], 0 offen offset:8
	;; [unrolled: 1-line block ×3, first 2 shown]
	s_waitcnt vmcnt(0)
	ds_write_b128 v42, v[1:4]
	s_waitcnt lgkmcnt(0)
	s_waitcnt_vscnt null, 0x0
	s_barrier
	buffer_gl0_inv
	v_cmpx_gt_u32_e32 15, v0
	s_cbranch_execz .LBB81_255
; %bb.248:
	ds_read_b128 v[1:4], v42
	v_cmp_ne_u32_e32 vcc_lo, 1, v43
	s_cbranch_vccnz .LBB81_250
; %bb.249:
	s_clause 0x3
	buffer_load_dword v44, v41, s[0:3], 0 offen offset:8
	buffer_load_dword v45, v41, s[0:3], 0 offen offset:12
	buffer_load_dword v48, v41, s[0:3], 0 offen
	buffer_load_dword v49, v41, s[0:3], 0 offen offset:4
	s_waitcnt vmcnt(2) lgkmcnt(0)
	v_mul_f64 v[50:51], v[3:4], v[44:45]
	v_mul_f64 v[44:45], v[1:2], v[44:45]
	s_waitcnt vmcnt(0)
	v_fma_f64 v[1:2], v[1:2], v[48:49], -v[50:51]
	v_fma_f64 v[3:4], v[3:4], v[48:49], v[44:45]
.LBB81_250:
	s_mov_b32 s6, exec_lo
	v_cmpx_ne_u32_e32 14, v0
	s_cbranch_execz .LBB81_254
; %bb.251:
	v_add_nc_u32_e32 v44, 0x130, v47
	v_add3_u32 v45, 0, v47, 16
	v_mov_b32_e32 v46, v0
	s_mov_b32 s8, 0
	.p2align	6
.LBB81_252:                             ; =>This Inner Loop Header: Depth=1
	s_clause 0x3
	buffer_load_dword v52, v45, s[0:3], 0 offen offset:8
	buffer_load_dword v53, v45, s[0:3], 0 offen offset:12
	buffer_load_dword v54, v45, s[0:3], 0 offen
	buffer_load_dword v55, v45, s[0:3], 0 offen offset:4
	ds_read_b128 v[48:51], v44
	v_add_nc_u32_e32 v46, 1, v46
	v_add_nc_u32_e32 v44, 16, v44
	;; [unrolled: 1-line block ×3, first 2 shown]
	v_cmp_lt_u32_e32 vcc_lo, 13, v46
	s_or_b32 s8, vcc_lo, s8
	s_waitcnt vmcnt(2) lgkmcnt(0)
	v_mul_f64 v[56:57], v[50:51], v[52:53]
	v_mul_f64 v[52:53], v[48:49], v[52:53]
	s_waitcnt vmcnt(0)
	v_fma_f64 v[48:49], v[48:49], v[54:55], -v[56:57]
	v_fma_f64 v[50:51], v[50:51], v[54:55], v[52:53]
	v_add_f64 v[1:2], v[1:2], v[48:49]
	v_add_f64 v[3:4], v[3:4], v[50:51]
	s_andn2_b32 exec_lo, exec_lo, s8
	s_cbranch_execnz .LBB81_252
; %bb.253:
	s_or_b32 exec_lo, exec_lo, s8
.LBB81_254:
	s_or_b32 exec_lo, exec_lo, s6
	v_mov_b32_e32 v44, 0
	ds_read_b128 v[48:51], v44 offset:240
	s_waitcnt lgkmcnt(0)
	v_mul_f64 v[44:45], v[3:4], v[50:51]
	v_mul_f64 v[50:51], v[1:2], v[50:51]
	v_fma_f64 v[1:2], v[1:2], v[48:49], -v[44:45]
	v_fma_f64 v[3:4], v[3:4], v[48:49], v[50:51]
	buffer_store_dword v2, off, s[0:3], 0 offset:244
	buffer_store_dword v1, off, s[0:3], 0 offset:240
	;; [unrolled: 1-line block ×4, first 2 shown]
.LBB81_255:
	s_or_b32 exec_lo, exec_lo, s4
	v_mov_b32_e32 v4, s9
	v_cmp_gt_u32_e64 s4, 16, v0
	s_clause 0x3
	buffer_load_dword v1, v4, s[0:3], 0 offen
	buffer_load_dword v2, v4, s[0:3], 0 offen offset:4
	buffer_load_dword v3, v4, s[0:3], 0 offen offset:8
	;; [unrolled: 1-line block ×3, first 2 shown]
	s_waitcnt vmcnt(0)
	ds_write_b128 v42, v[1:4]
	s_waitcnt lgkmcnt(0)
	s_waitcnt_vscnt null, 0x0
	s_barrier
	buffer_gl0_inv
	s_and_saveexec_b32 s6, s4
	s_cbranch_execz .LBB81_263
; %bb.256:
	ds_read_b128 v[1:4], v42
	v_cmp_ne_u32_e32 vcc_lo, 1, v43
	s_cbranch_vccnz .LBB81_258
; %bb.257:
	s_clause 0x3
	buffer_load_dword v44, v41, s[0:3], 0 offen offset:8
	buffer_load_dword v45, v41, s[0:3], 0 offen offset:12
	buffer_load_dword v48, v41, s[0:3], 0 offen
	buffer_load_dword v49, v41, s[0:3], 0 offen offset:4
	s_waitcnt vmcnt(2) lgkmcnt(0)
	v_mul_f64 v[50:51], v[3:4], v[44:45]
	v_mul_f64 v[44:45], v[1:2], v[44:45]
	s_waitcnt vmcnt(0)
	v_fma_f64 v[1:2], v[1:2], v[48:49], -v[50:51]
	v_fma_f64 v[3:4], v[3:4], v[48:49], v[44:45]
.LBB81_258:
	s_mov_b32 s8, exec_lo
	v_cmpx_ne_u32_e32 15, v0
	s_cbranch_execz .LBB81_262
; %bb.259:
	v_add_nc_u32_e32 v44, 0x130, v47
	v_add3_u32 v45, 0, v47, 16
	v_mov_b32_e32 v46, v0
	s_mov_b32 s25, 0
	.p2align	6
.LBB81_260:                             ; =>This Inner Loop Header: Depth=1
	s_clause 0x3
	buffer_load_dword v52, v45, s[0:3], 0 offen offset:8
	buffer_load_dword v53, v45, s[0:3], 0 offen offset:12
	buffer_load_dword v54, v45, s[0:3], 0 offen
	buffer_load_dword v55, v45, s[0:3], 0 offen offset:4
	ds_read_b128 v[48:51], v44
	v_add_nc_u32_e32 v46, 1, v46
	v_add_nc_u32_e32 v44, 16, v44
	;; [unrolled: 1-line block ×3, first 2 shown]
	v_cmp_lt_u32_e32 vcc_lo, 14, v46
	s_or_b32 s25, vcc_lo, s25
	s_waitcnt vmcnt(2) lgkmcnt(0)
	v_mul_f64 v[56:57], v[50:51], v[52:53]
	v_mul_f64 v[52:53], v[48:49], v[52:53]
	s_waitcnt vmcnt(0)
	v_fma_f64 v[48:49], v[48:49], v[54:55], -v[56:57]
	v_fma_f64 v[50:51], v[50:51], v[54:55], v[52:53]
	v_add_f64 v[1:2], v[1:2], v[48:49]
	v_add_f64 v[3:4], v[3:4], v[50:51]
	s_andn2_b32 exec_lo, exec_lo, s25
	s_cbranch_execnz .LBB81_260
; %bb.261:
	s_or_b32 exec_lo, exec_lo, s25
.LBB81_262:
	s_or_b32 exec_lo, exec_lo, s8
	v_mov_b32_e32 v44, 0
	ds_read_b128 v[48:51], v44 offset:256
	s_waitcnt lgkmcnt(0)
	v_mul_f64 v[44:45], v[3:4], v[50:51]
	v_mul_f64 v[50:51], v[1:2], v[50:51]
	v_fma_f64 v[1:2], v[1:2], v[48:49], -v[44:45]
	v_fma_f64 v[3:4], v[3:4], v[48:49], v[50:51]
	buffer_store_dword v2, off, s[0:3], 0 offset:260
	buffer_store_dword v1, off, s[0:3], 0 offset:256
	;; [unrolled: 1-line block ×4, first 2 shown]
.LBB81_263:
	s_or_b32 exec_lo, exec_lo, s6
	v_mov_b32_e32 v4, s7
	s_mov_b32 s6, exec_lo
                                        ; implicit-def: $sgpr26
	s_clause 0x3
	buffer_load_dword v1, v4, s[0:3], 0 offen
	buffer_load_dword v2, v4, s[0:3], 0 offen offset:4
	buffer_load_dword v3, v4, s[0:3], 0 offen offset:8
	;; [unrolled: 1-line block ×3, first 2 shown]
	s_waitcnt vmcnt(0)
	ds_write_b128 v42, v[1:4]
	s_waitcnt lgkmcnt(0)
	s_waitcnt_vscnt null, 0x0
	s_barrier
	buffer_gl0_inv
                                        ; implicit-def: $vgpr1_vgpr2
	v_cmpx_ne_u32_e32 17, v0
	s_cbranch_execz .LBB81_271
; %bb.264:
	ds_read_b128 v[1:4], v42
	v_cmp_ne_u32_e32 vcc_lo, 1, v43
	s_cbranch_vccnz .LBB81_266
; %bb.265:
	s_clause 0x3
	buffer_load_dword v42, v41, s[0:3], 0 offen offset:8
	buffer_load_dword v43, v41, s[0:3], 0 offen offset:12
	buffer_load_dword v44, v41, s[0:3], 0 offen
	buffer_load_dword v45, v41, s[0:3], 0 offen offset:4
	s_waitcnt vmcnt(2) lgkmcnt(0)
	v_mul_f64 v[48:49], v[3:4], v[42:43]
	v_mul_f64 v[41:42], v[1:2], v[42:43]
	s_waitcnt vmcnt(0)
	v_fma_f64 v[1:2], v[1:2], v[44:45], -v[48:49]
	v_fma_f64 v[3:4], v[3:4], v[44:45], v[41:42]
.LBB81_266:
	s_and_saveexec_b32 s8, s4
	s_cbranch_execz .LBB81_270
; %bb.267:
	v_add_nc_u32_e32 v41, 0x130, v47
	v_add3_u32 v42, 0, v47, 16
	s_mov_b32 s4, 0
	.p2align	6
.LBB81_268:                             ; =>This Inner Loop Header: Depth=1
	s_clause 0x3
	buffer_load_dword v47, v42, s[0:3], 0 offen offset:8
	buffer_load_dword v48, v42, s[0:3], 0 offen offset:12
	buffer_load_dword v49, v42, s[0:3], 0 offen
	buffer_load_dword v50, v42, s[0:3], 0 offen offset:4
	ds_read_b128 v[43:46], v41
	v_add_nc_u32_e32 v0, 1, v0
	v_add_nc_u32_e32 v41, 16, v41
	;; [unrolled: 1-line block ×3, first 2 shown]
	v_cmp_lt_u32_e32 vcc_lo, 15, v0
	s_or_b32 s4, vcc_lo, s4
	s_waitcnt vmcnt(2) lgkmcnt(0)
	v_mul_f64 v[51:52], v[45:46], v[47:48]
	v_mul_f64 v[47:48], v[43:44], v[47:48]
	s_waitcnt vmcnt(0)
	v_fma_f64 v[43:44], v[43:44], v[49:50], -v[51:52]
	v_fma_f64 v[45:46], v[45:46], v[49:50], v[47:48]
	v_add_f64 v[1:2], v[1:2], v[43:44]
	v_add_f64 v[3:4], v[3:4], v[45:46]
	s_andn2_b32 exec_lo, exec_lo, s4
	s_cbranch_execnz .LBB81_268
; %bb.269:
	s_or_b32 exec_lo, exec_lo, s4
.LBB81_270:
	s_or_b32 exec_lo, exec_lo, s8
	v_mov_b32_e32 v0, 0
	s_movk_i32 s26, 0x118
	s_or_b32 s5, s5, exec_lo
	ds_read_b128 v[41:44], v0 offset:272
	s_waitcnt lgkmcnt(0)
	v_mul_f64 v[45:46], v[3:4], v[43:44]
	v_mul_f64 v[43:44], v[1:2], v[43:44]
	v_fma_f64 v[45:46], v[1:2], v[41:42], -v[45:46]
	v_fma_f64 v[1:2], v[3:4], v[41:42], v[43:44]
	buffer_store_dword v46, off, s[0:3], 0 offset:276
	buffer_store_dword v45, off, s[0:3], 0 offset:272
.LBB81_271:
	s_or_b32 exec_lo, exec_lo, s6
.LBB81_272:
	s_and_saveexec_b32 s4, s5
	s_cbranch_execz .LBB81_274
; %bb.273:
	v_mov_b32_e32 v0, s26
	buffer_store_dword v2, v0, s[0:3], 0 offen offset:4
	buffer_store_dword v1, v0, s[0:3], 0 offen
.LBB81_274:
	s_or_b32 exec_lo, exec_lo, s4
	s_clause 0x3
	buffer_load_dword v0, off, s[0:3], 0
	buffer_load_dword v1, off, s[0:3], 0 offset:4
	buffer_load_dword v2, off, s[0:3], 0 offset:8
	;; [unrolled: 1-line block ×3, first 2 shown]
	v_mov_b32_e32 v4, s24
	s_waitcnt vmcnt(0)
	flat_store_dwordx4 v[5:6], v[0:3]
	s_clause 0x3
	buffer_load_dword v0, v4, s[0:3], 0 offen
	buffer_load_dword v1, v4, s[0:3], 0 offen offset:4
	buffer_load_dword v2, v4, s[0:3], 0 offen offset:8
	buffer_load_dword v3, v4, s[0:3], 0 offen offset:12
	v_mov_b32_e32 v4, s23
	s_waitcnt vmcnt(0)
	flat_store_dwordx4 v[7:8], v[0:3]
	s_clause 0x3
	buffer_load_dword v0, v4, s[0:3], 0 offen
	buffer_load_dword v1, v4, s[0:3], 0 offen offset:4
	buffer_load_dword v2, v4, s[0:3], 0 offen offset:8
	buffer_load_dword v3, v4, s[0:3], 0 offen offset:12
	;; [unrolled: 8-line block ×17, first 2 shown]
	s_waitcnt vmcnt(0)
	flat_store_dwordx4 v[39:40], v[0:3]
.LBB81_275:
	s_endpgm
	.section	.rodata,"a",@progbits
	.p2align	6, 0x0
	.amdhsa_kernel _ZN9rocsolver6v33100L18trti2_kernel_smallILi18E19rocblas_complex_numIdEPKPS3_EEv13rocblas_fill_17rocblas_diagonal_T1_iil
		.amdhsa_group_segment_fixed_size 576
		.amdhsa_private_segment_fixed_size 304
		.amdhsa_kernarg_size 32
		.amdhsa_user_sgpr_count 6
		.amdhsa_user_sgpr_private_segment_buffer 1
		.amdhsa_user_sgpr_dispatch_ptr 0
		.amdhsa_user_sgpr_queue_ptr 0
		.amdhsa_user_sgpr_kernarg_segment_ptr 1
		.amdhsa_user_sgpr_dispatch_id 0
		.amdhsa_user_sgpr_flat_scratch_init 0
		.amdhsa_user_sgpr_private_segment_size 0
		.amdhsa_wavefront_size32 1
		.amdhsa_uses_dynamic_stack 0
		.amdhsa_system_sgpr_private_segment_wavefront_offset 1
		.amdhsa_system_sgpr_workgroup_id_x 1
		.amdhsa_system_sgpr_workgroup_id_y 0
		.amdhsa_system_sgpr_workgroup_id_z 0
		.amdhsa_system_sgpr_workgroup_info 0
		.amdhsa_system_vgpr_workitem_id 0
		.amdhsa_next_free_vgpr 58
		.amdhsa_next_free_sgpr 31
		.amdhsa_reserve_vcc 1
		.amdhsa_reserve_flat_scratch 0
		.amdhsa_float_round_mode_32 0
		.amdhsa_float_round_mode_16_64 0
		.amdhsa_float_denorm_mode_32 3
		.amdhsa_float_denorm_mode_16_64 3
		.amdhsa_dx10_clamp 1
		.amdhsa_ieee_mode 1
		.amdhsa_fp16_overflow 0
		.amdhsa_workgroup_processor_mode 1
		.amdhsa_memory_ordered 1
		.amdhsa_forward_progress 1
		.amdhsa_shared_vgpr_count 0
		.amdhsa_exception_fp_ieee_invalid_op 0
		.amdhsa_exception_fp_denorm_src 0
		.amdhsa_exception_fp_ieee_div_zero 0
		.amdhsa_exception_fp_ieee_overflow 0
		.amdhsa_exception_fp_ieee_underflow 0
		.amdhsa_exception_fp_ieee_inexact 0
		.amdhsa_exception_int_div_zero 0
	.end_amdhsa_kernel
	.section	.text._ZN9rocsolver6v33100L18trti2_kernel_smallILi18E19rocblas_complex_numIdEPKPS3_EEv13rocblas_fill_17rocblas_diagonal_T1_iil,"axG",@progbits,_ZN9rocsolver6v33100L18trti2_kernel_smallILi18E19rocblas_complex_numIdEPKPS3_EEv13rocblas_fill_17rocblas_diagonal_T1_iil,comdat
.Lfunc_end81:
	.size	_ZN9rocsolver6v33100L18trti2_kernel_smallILi18E19rocblas_complex_numIdEPKPS3_EEv13rocblas_fill_17rocblas_diagonal_T1_iil, .Lfunc_end81-_ZN9rocsolver6v33100L18trti2_kernel_smallILi18E19rocblas_complex_numIdEPKPS3_EEv13rocblas_fill_17rocblas_diagonal_T1_iil
                                        ; -- End function
	.set _ZN9rocsolver6v33100L18trti2_kernel_smallILi18E19rocblas_complex_numIdEPKPS3_EEv13rocblas_fill_17rocblas_diagonal_T1_iil.num_vgpr, 58
	.set _ZN9rocsolver6v33100L18trti2_kernel_smallILi18E19rocblas_complex_numIdEPKPS3_EEv13rocblas_fill_17rocblas_diagonal_T1_iil.num_agpr, 0
	.set _ZN9rocsolver6v33100L18trti2_kernel_smallILi18E19rocblas_complex_numIdEPKPS3_EEv13rocblas_fill_17rocblas_diagonal_T1_iil.numbered_sgpr, 31
	.set _ZN9rocsolver6v33100L18trti2_kernel_smallILi18E19rocblas_complex_numIdEPKPS3_EEv13rocblas_fill_17rocblas_diagonal_T1_iil.num_named_barrier, 0
	.set _ZN9rocsolver6v33100L18trti2_kernel_smallILi18E19rocblas_complex_numIdEPKPS3_EEv13rocblas_fill_17rocblas_diagonal_T1_iil.private_seg_size, 304
	.set _ZN9rocsolver6v33100L18trti2_kernel_smallILi18E19rocblas_complex_numIdEPKPS3_EEv13rocblas_fill_17rocblas_diagonal_T1_iil.uses_vcc, 1
	.set _ZN9rocsolver6v33100L18trti2_kernel_smallILi18E19rocblas_complex_numIdEPKPS3_EEv13rocblas_fill_17rocblas_diagonal_T1_iil.uses_flat_scratch, 0
	.set _ZN9rocsolver6v33100L18trti2_kernel_smallILi18E19rocblas_complex_numIdEPKPS3_EEv13rocblas_fill_17rocblas_diagonal_T1_iil.has_dyn_sized_stack, 0
	.set _ZN9rocsolver6v33100L18trti2_kernel_smallILi18E19rocblas_complex_numIdEPKPS3_EEv13rocblas_fill_17rocblas_diagonal_T1_iil.has_recursion, 0
	.set _ZN9rocsolver6v33100L18trti2_kernel_smallILi18E19rocblas_complex_numIdEPKPS3_EEv13rocblas_fill_17rocblas_diagonal_T1_iil.has_indirect_call, 0
	.section	.AMDGPU.csdata,"",@progbits
; Kernel info:
; codeLenInByte = 17884
; TotalNumSgprs: 33
; NumVgprs: 58
; ScratchSize: 304
; MemoryBound: 0
; FloatMode: 240
; IeeeMode: 1
; LDSByteSize: 576 bytes/workgroup (compile time only)
; SGPRBlocks: 0
; VGPRBlocks: 7
; NumSGPRsForWavesPerEU: 33
; NumVGPRsForWavesPerEU: 58
; Occupancy: 16
; WaveLimiterHint : 1
; COMPUTE_PGM_RSRC2:SCRATCH_EN: 1
; COMPUTE_PGM_RSRC2:USER_SGPR: 6
; COMPUTE_PGM_RSRC2:TRAP_HANDLER: 0
; COMPUTE_PGM_RSRC2:TGID_X_EN: 1
; COMPUTE_PGM_RSRC2:TGID_Y_EN: 0
; COMPUTE_PGM_RSRC2:TGID_Z_EN: 0
; COMPUTE_PGM_RSRC2:TIDIG_COMP_CNT: 0
	.section	.text._ZN9rocsolver6v33100L18trti2_kernel_smallILi19E19rocblas_complex_numIdEPKPS3_EEv13rocblas_fill_17rocblas_diagonal_T1_iil,"axG",@progbits,_ZN9rocsolver6v33100L18trti2_kernel_smallILi19E19rocblas_complex_numIdEPKPS3_EEv13rocblas_fill_17rocblas_diagonal_T1_iil,comdat
	.globl	_ZN9rocsolver6v33100L18trti2_kernel_smallILi19E19rocblas_complex_numIdEPKPS3_EEv13rocblas_fill_17rocblas_diagonal_T1_iil ; -- Begin function _ZN9rocsolver6v33100L18trti2_kernel_smallILi19E19rocblas_complex_numIdEPKPS3_EEv13rocblas_fill_17rocblas_diagonal_T1_iil
	.p2align	8
	.type	_ZN9rocsolver6v33100L18trti2_kernel_smallILi19E19rocblas_complex_numIdEPKPS3_EEv13rocblas_fill_17rocblas_diagonal_T1_iil,@function
_ZN9rocsolver6v33100L18trti2_kernel_smallILi19E19rocblas_complex_numIdEPKPS3_EEv13rocblas_fill_17rocblas_diagonal_T1_iil: ; @_ZN9rocsolver6v33100L18trti2_kernel_smallILi19E19rocblas_complex_numIdEPKPS3_EEv13rocblas_fill_17rocblas_diagonal_T1_iil
; %bb.0:
	s_add_u32 s0, s0, s7
	s_addc_u32 s1, s1, 0
	s_mov_b32 s7, exec_lo
	v_cmpx_gt_u32_e32 19, v0
	s_cbranch_execz .LBB82_291
; %bb.1:
	s_clause 0x1
	s_load_dwordx2 s[12:13], s[4:5], 0x10
	s_load_dwordx4 s[8:11], s[4:5], 0x0
	s_ashr_i32 s7, s6, 31
	v_lshlrev_b32_e32 v49, 4, v0
	s_lshl_b64 s[4:5], s[6:7], 3
	s_movk_i32 s26, 0xd0
	s_movk_i32 s27, 0xe0
	;; [unrolled: 1-line block ×6, first 2 shown]
	s_waitcnt lgkmcnt(0)
	s_ashr_i32 s7, s12, 31
	s_add_u32 s4, s10, s4
	s_addc_u32 s5, s11, s5
	s_mov_b32 s6, s12
	s_load_dwordx2 s[4:5], s[4:5], 0x0
	s_lshl_b64 s[6:7], s[6:7], 4
	v_add3_u32 v11, s13, s13, v0
	s_movk_i32 s10, 0x90
	s_movk_i32 s11, 0xa0
	;; [unrolled: 1-line block ×3, first 2 shown]
	v_ashrrev_i32_e32 v12, 31, v11
	v_add_nc_u32_e32 v13, s13, v11
	v_lshlrev_b64 v[9:10], 4, v[11:12]
	v_ashrrev_i32_e32 v14, 31, v13
	v_add_nc_u32_e32 v15, s13, v13
	v_lshlrev_b64 v[11:12], 4, v[13:14]
	v_ashrrev_i32_e32 v16, 31, v15
	s_waitcnt lgkmcnt(0)
	s_add_u32 s4, s4, s6
	s_addc_u32 s5, s5, s7
	v_add_co_u32 v5, s6, s4, v49
	v_add_co_ci_u32_e64 v6, null, s5, 0, s6
	s_mov_b32 s6, s13
	s_ashr_i32 s7, s13, 31
	v_lshlrev_b64 v[13:14], 4, v[15:16]
	flat_load_dwordx4 v[1:4], v[5:6]
	s_lshl_b64 s[6:7], s[6:7], 4
	v_add_nc_u32_e32 v17, s13, v15
	v_add_co_u32 v7, vcc_lo, v5, s6
	v_add_co_ci_u32_e64 v8, null, s7, v6, vcc_lo
	v_add_co_u32 v9, vcc_lo, s4, v9
	v_add_co_ci_u32_e64 v10, null, s5, v10, vcc_lo
	;; [unrolled: 2-line block ×4, first 2 shown]
	v_ashrrev_i32_e32 v18, 31, v17
	v_add_nc_u32_e32 v19, s13, v17
	s_cmpk_lg_i32 s9, 0x84
	s_movk_i32 s6, 0x70
	s_movk_i32 s7, 0x80
	v_lshlrev_b64 v[15:16], 4, v[17:18]
	v_ashrrev_i32_e32 v20, 31, v19
	v_add_nc_u32_e32 v21, s13, v19
	s_cselect_b32 s25, -1, 0
	s_cmpk_eq_i32 s9, 0x84
	s_waitcnt vmcnt(0) lgkmcnt(0)
	buffer_store_dword v4, off, s[0:3], 0 offset:12
	buffer_store_dword v3, off, s[0:3], 0 offset:8
	;; [unrolled: 1-line block ×3, first 2 shown]
	buffer_store_dword v1, off, s[0:3], 0
	flat_load_dwordx4 v[1:4], v[7:8]
	v_add_co_u32 v15, vcc_lo, s4, v15
	v_add_co_ci_u32_e64 v16, null, s5, v16, vcc_lo
	v_lshlrev_b64 v[17:18], 4, v[19:20]
	v_ashrrev_i32_e32 v22, 31, v21
	v_add_nc_u32_e32 v23, s13, v21
	s_waitcnt vmcnt(0) lgkmcnt(0)
	buffer_store_dword v4, off, s[0:3], 0 offset:28
	buffer_store_dword v3, off, s[0:3], 0 offset:24
	buffer_store_dword v2, off, s[0:3], 0 offset:20
	buffer_store_dword v1, off, s[0:3], 0 offset:16
	flat_load_dwordx4 v[1:4], v[9:10]
	v_add_co_u32 v17, vcc_lo, s4, v17
	v_add_co_ci_u32_e64 v18, null, s5, v18, vcc_lo
	v_lshlrev_b64 v[19:20], 4, v[21:22]
	v_ashrrev_i32_e32 v24, 31, v23
	v_add_nc_u32_e32 v25, s13, v23
	s_waitcnt vmcnt(0) lgkmcnt(0)
	buffer_store_dword v4, off, s[0:3], 0 offset:44
	buffer_store_dword v3, off, s[0:3], 0 offset:40
	buffer_store_dword v2, off, s[0:3], 0 offset:36
	buffer_store_dword v1, off, s[0:3], 0 offset:32
	;; [unrolled: 11-line block ×10, first 2 shown]
	flat_load_dwordx4 v[1:4], v[27:28]
	v_add_co_u32 v35, vcc_lo, s4, v35
	v_add_co_ci_u32_e64 v36, null, s5, v36, vcc_lo
	v_lshlrev_b64 v[37:38], 4, v[39:40]
	v_ashrrev_i32_e32 v42, 31, v41
	s_waitcnt vmcnt(0) lgkmcnt(0)
	buffer_store_dword v4, off, s[0:3], 0 offset:188
	buffer_store_dword v3, off, s[0:3], 0 offset:184
	buffer_store_dword v2, off, s[0:3], 0 offset:180
	buffer_store_dword v1, off, s[0:3], 0 offset:176
	flat_load_dwordx4 v[1:4], v[29:30]
	v_add_co_u32 v37, vcc_lo, s4, v37
	v_add_co_ci_u32_e64 v38, null, s5, v38, vcc_lo
	v_lshlrev_b64 v[39:40], 4, v[41:42]
	v_add_nc_u32_e32 v41, s13, v41
	s_movk_i32 s13, 0xc0
	s_waitcnt vmcnt(0) lgkmcnt(0)
	buffer_store_dword v4, off, s[0:3], 0 offset:204
	buffer_store_dword v3, off, s[0:3], 0 offset:200
	;; [unrolled: 1-line block ×4, first 2 shown]
	flat_load_dwordx4 v[1:4], v[31:32]
	v_add_co_u32 v39, vcc_lo, s4, v39
	v_add_co_ci_u32_e64 v40, null, s5, v40, vcc_lo
	v_ashrrev_i32_e32 v42, 31, v41
	s_waitcnt vmcnt(0) lgkmcnt(0)
	buffer_store_dword v4, off, s[0:3], 0 offset:220
	buffer_store_dword v3, off, s[0:3], 0 offset:216
	;; [unrolled: 1-line block ×4, first 2 shown]
	flat_load_dwordx4 v[1:4], v[33:34]
	v_lshlrev_b64 v[41:42], 4, v[41:42]
	s_waitcnt vmcnt(0) lgkmcnt(0)
	buffer_store_dword v4, off, s[0:3], 0 offset:236
	buffer_store_dword v3, off, s[0:3], 0 offset:232
	;; [unrolled: 1-line block ×4, first 2 shown]
	flat_load_dwordx4 v[1:4], v[35:36]
	v_add_co_u32 v41, vcc_lo, s4, v41
	v_add_co_ci_u32_e64 v42, null, s5, v42, vcc_lo
	s_movk_i32 s4, 0x50
	s_movk_i32 s5, 0x60
	s_waitcnt vmcnt(0) lgkmcnt(0)
	buffer_store_dword v4, off, s[0:3], 0 offset:252
	buffer_store_dword v3, off, s[0:3], 0 offset:248
	buffer_store_dword v2, off, s[0:3], 0 offset:244
	buffer_store_dword v1, off, s[0:3], 0 offset:240
	flat_load_dwordx4 v[1:4], v[37:38]
	s_waitcnt vmcnt(0) lgkmcnt(0)
	buffer_store_dword v4, off, s[0:3], 0 offset:268
	buffer_store_dword v3, off, s[0:3], 0 offset:264
	buffer_store_dword v2, off, s[0:3], 0 offset:260
	buffer_store_dword v1, off, s[0:3], 0 offset:256
	flat_load_dwordx4 v[1:4], v[39:40]
	;; [unrolled: 6-line block ×3, first 2 shown]
	s_waitcnt vmcnt(0) lgkmcnt(0)
	buffer_store_dword v4, off, s[0:3], 0 offset:300
	buffer_store_dword v3, off, s[0:3], 0 offset:296
	;; [unrolled: 1-line block ×4, first 2 shown]
	s_cbranch_scc1 .LBB82_7
; %bb.2:
	v_lshl_add_u32 v50, v0, 4, 0
                                        ; implicit-def: $vgpr45_vgpr46
                                        ; implicit-def: $vgpr3_vgpr4
	s_clause 0x3
	buffer_load_dword v43, v50, s[0:3], 0 offen
	buffer_load_dword v44, v50, s[0:3], 0 offen offset:4
	buffer_load_dword v47, v50, s[0:3], 0 offen offset:8
	;; [unrolled: 1-line block ×3, first 2 shown]
	s_waitcnt vmcnt(0)
	v_cmp_ngt_f64_e64 s9, |v[43:44]|, |v[47:48]|
	s_and_saveexec_b32 s14, s9
	s_xor_b32 s9, exec_lo, s14
	s_cbranch_execz .LBB82_4
; %bb.3:
	v_div_scale_f64 v[1:2], null, v[47:48], v[47:48], v[43:44]
	v_div_scale_f64 v[51:52], vcc_lo, v[43:44], v[47:48], v[43:44]
	v_rcp_f64_e32 v[3:4], v[1:2]
	v_fma_f64 v[45:46], -v[1:2], v[3:4], 1.0
	v_fma_f64 v[3:4], v[3:4], v[45:46], v[3:4]
	v_fma_f64 v[45:46], -v[1:2], v[3:4], 1.0
	v_fma_f64 v[3:4], v[3:4], v[45:46], v[3:4]
	v_mul_f64 v[45:46], v[51:52], v[3:4]
	v_fma_f64 v[1:2], -v[1:2], v[45:46], v[51:52]
	v_div_fmas_f64 v[1:2], v[1:2], v[3:4], v[45:46]
	v_div_fixup_f64 v[1:2], v[1:2], v[47:48], v[43:44]
	v_fma_f64 v[3:4], v[43:44], v[1:2], v[47:48]
	v_div_scale_f64 v[43:44], null, v[3:4], v[3:4], 1.0
	v_div_scale_f64 v[51:52], vcc_lo, 1.0, v[3:4], 1.0
	v_rcp_f64_e32 v[45:46], v[43:44]
	v_fma_f64 v[47:48], -v[43:44], v[45:46], 1.0
	v_fma_f64 v[45:46], v[45:46], v[47:48], v[45:46]
	v_fma_f64 v[47:48], -v[43:44], v[45:46], 1.0
	v_fma_f64 v[45:46], v[45:46], v[47:48], v[45:46]
	v_mul_f64 v[47:48], v[51:52], v[45:46]
	v_fma_f64 v[43:44], -v[43:44], v[47:48], v[51:52]
	v_div_fmas_f64 v[43:44], v[43:44], v[45:46], v[47:48]
                                        ; implicit-def: $vgpr47_vgpr48
	v_div_fixup_f64 v[3:4], v[43:44], v[3:4], 1.0
                                        ; implicit-def: $vgpr43_vgpr44
	v_mul_f64 v[45:46], v[1:2], v[3:4]
	v_xor_b32_e32 v4, 0x80000000, v4
	v_xor_b32_e32 v2, 0x80000000, v46
	v_mov_b32_e32 v1, v45
.LBB82_4:
	s_andn2_saveexec_b32 s9, s9
	s_cbranch_execz .LBB82_6
; %bb.5:
	v_div_scale_f64 v[1:2], null, v[43:44], v[43:44], v[47:48]
	v_div_scale_f64 v[51:52], vcc_lo, v[47:48], v[43:44], v[47:48]
	v_rcp_f64_e32 v[3:4], v[1:2]
	v_fma_f64 v[45:46], -v[1:2], v[3:4], 1.0
	v_fma_f64 v[3:4], v[3:4], v[45:46], v[3:4]
	v_fma_f64 v[45:46], -v[1:2], v[3:4], 1.0
	v_fma_f64 v[3:4], v[3:4], v[45:46], v[3:4]
	v_mul_f64 v[45:46], v[51:52], v[3:4]
	v_fma_f64 v[1:2], -v[1:2], v[45:46], v[51:52]
	v_div_fmas_f64 v[1:2], v[1:2], v[3:4], v[45:46]
	v_div_fixup_f64 v[1:2], v[1:2], v[43:44], v[47:48]
	v_fma_f64 v[3:4], v[47:48], v[1:2], v[43:44]
	v_div_scale_f64 v[43:44], null, v[3:4], v[3:4], 1.0
	v_rcp_f64_e32 v[45:46], v[43:44]
	v_fma_f64 v[47:48], -v[43:44], v[45:46], 1.0
	v_fma_f64 v[45:46], v[45:46], v[47:48], v[45:46]
	v_fma_f64 v[47:48], -v[43:44], v[45:46], 1.0
	v_fma_f64 v[45:46], v[45:46], v[47:48], v[45:46]
	v_div_scale_f64 v[47:48], vcc_lo, 1.0, v[3:4], 1.0
	v_mul_f64 v[51:52], v[47:48], v[45:46]
	v_fma_f64 v[43:44], -v[43:44], v[51:52], v[47:48]
	v_div_fmas_f64 v[43:44], v[43:44], v[45:46], v[51:52]
	v_div_fixup_f64 v[45:46], v[43:44], v[3:4], 1.0
	v_mul_f64 v[3:4], v[1:2], -v[45:46]
	v_xor_b32_e32 v2, 0x80000000, v46
	v_mov_b32_e32 v1, v45
.LBB82_6:
	s_or_b32 exec_lo, exec_lo, s9
	buffer_store_dword v4, v50, s[0:3], 0 offen offset:12
	v_xor_b32_e32 v4, 0x80000000, v4
	buffer_store_dword v46, v50, s[0:3], 0 offen offset:4
	buffer_store_dword v45, v50, s[0:3], 0 offen
	buffer_store_dword v3, v50, s[0:3], 0 offen offset:8
	s_branch .LBB82_8
.LBB82_7:
	v_mov_b32_e32 v1, 0
	v_mov_b32_e32 v3, 0
	;; [unrolled: 1-line block ×4, first 2 shown]
.LBB82_8:
	v_add_nc_u32_e32 v44, 0x130, v49
	v_mov_b32_e32 v43, v49
	s_mov_b32 s24, 16
	s_mov_b32 s23, 32
	;; [unrolled: 1-line block ×17, first 2 shown]
	s_cmpk_eq_i32 s8, 0x79
	ds_write_b128 v49, v[1:4]
	s_cbranch_scc1 .LBB82_148
; %bb.9:
	v_mov_b32_e32 v4, s7
	v_cmp_eq_u32_e64 s4, 18, v0
	s_clause 0x3
	buffer_load_dword v1, v4, s[0:3], 0 offen
	buffer_load_dword v2, v4, s[0:3], 0 offen offset:4
	buffer_load_dword v3, v4, s[0:3], 0 offen offset:8
	;; [unrolled: 1-line block ×3, first 2 shown]
	s_waitcnt vmcnt(0)
	ds_write_b128 v44, v[1:4]
	s_waitcnt lgkmcnt(0)
	s_waitcnt_vscnt null, 0x0
	s_barrier
	buffer_gl0_inv
	s_and_saveexec_b32 s5, s4
	s_cbranch_execz .LBB82_13
; %bb.10:
	ds_read_b128 v[1:4], v44
	s_andn2_b32 vcc_lo, exec_lo, s25
	s_cbranch_vccnz .LBB82_12
; %bb.11:
	s_clause 0x3
	buffer_load_dword v45, v43, s[0:3], 0 offen offset:8
	buffer_load_dword v46, v43, s[0:3], 0 offen offset:12
	buffer_load_dword v47, v43, s[0:3], 0 offen
	buffer_load_dword v48, v43, s[0:3], 0 offen offset:4
	s_waitcnt vmcnt(2) lgkmcnt(0)
	v_mul_f64 v[50:51], v[3:4], v[45:46]
	v_mul_f64 v[45:46], v[1:2], v[45:46]
	s_waitcnt vmcnt(0)
	v_fma_f64 v[1:2], v[1:2], v[47:48], -v[50:51]
	v_fma_f64 v[3:4], v[3:4], v[47:48], v[45:46]
.LBB82_12:
	v_mov_b32_e32 v45, 0
	ds_read_b128 v[45:48], v45 offset:272
	s_waitcnt lgkmcnt(0)
	v_mul_f64 v[50:51], v[3:4], v[47:48]
	v_mul_f64 v[47:48], v[1:2], v[47:48]
	v_fma_f64 v[1:2], v[1:2], v[45:46], -v[50:51]
	v_fma_f64 v[3:4], v[3:4], v[45:46], v[47:48]
	buffer_store_dword v2, off, s[0:3], 0 offset:276
	buffer_store_dword v1, off, s[0:3], 0 offset:272
	;; [unrolled: 1-line block ×4, first 2 shown]
.LBB82_13:
	s_or_b32 exec_lo, exec_lo, s5
	v_mov_b32_e32 v4, s9
	v_cmp_lt_u32_e64 s5, 16, v0
	s_clause 0x3
	buffer_load_dword v1, v4, s[0:3], 0 offen
	buffer_load_dword v2, v4, s[0:3], 0 offen offset:4
	buffer_load_dword v3, v4, s[0:3], 0 offen offset:8
	;; [unrolled: 1-line block ×3, first 2 shown]
	s_waitcnt vmcnt(0)
	ds_write_b128 v44, v[1:4]
	s_waitcnt lgkmcnt(0)
	s_waitcnt_vscnt null, 0x0
	s_barrier
	buffer_gl0_inv
	s_and_saveexec_b32 s8, s5
	s_cbranch_execz .LBB82_19
; %bb.14:
	ds_read_b128 v[1:4], v44
	s_andn2_b32 vcc_lo, exec_lo, s25
	s_cbranch_vccnz .LBB82_16
; %bb.15:
	s_clause 0x3
	buffer_load_dword v45, v43, s[0:3], 0 offen offset:8
	buffer_load_dword v46, v43, s[0:3], 0 offen offset:12
	buffer_load_dword v47, v43, s[0:3], 0 offen
	buffer_load_dword v48, v43, s[0:3], 0 offen offset:4
	s_waitcnt vmcnt(2) lgkmcnt(0)
	v_mul_f64 v[50:51], v[3:4], v[45:46]
	v_mul_f64 v[45:46], v[1:2], v[45:46]
	s_waitcnt vmcnt(0)
	v_fma_f64 v[1:2], v[1:2], v[47:48], -v[50:51]
	v_fma_f64 v[3:4], v[3:4], v[47:48], v[45:46]
.LBB82_16:
	s_and_saveexec_b32 s26, s4
	s_cbranch_execz .LBB82_18
; %bb.17:
	s_clause 0x3
	buffer_load_dword v50, off, s[0:3], 0 offset:280
	buffer_load_dword v51, off, s[0:3], 0 offset:284
	;; [unrolled: 1-line block ×4, first 2 shown]
	v_mov_b32_e32 v45, 0
	ds_read_b128 v[45:48], v45 offset:576
	s_waitcnt vmcnt(2) lgkmcnt(0)
	v_mul_f64 v[54:55], v[45:46], v[50:51]
	v_mul_f64 v[50:51], v[47:48], v[50:51]
	s_waitcnt vmcnt(0)
	v_fma_f64 v[47:48], v[47:48], v[52:53], v[54:55]
	v_fma_f64 v[45:46], v[45:46], v[52:53], -v[50:51]
	v_add_f64 v[3:4], v[3:4], v[47:48]
	v_add_f64 v[1:2], v[1:2], v[45:46]
.LBB82_18:
	s_or_b32 exec_lo, exec_lo, s26
	v_mov_b32_e32 v45, 0
	ds_read_b128 v[45:48], v45 offset:256
	s_waitcnt lgkmcnt(0)
	v_mul_f64 v[50:51], v[3:4], v[47:48]
	v_mul_f64 v[47:48], v[1:2], v[47:48]
	v_fma_f64 v[1:2], v[1:2], v[45:46], -v[50:51]
	v_fma_f64 v[3:4], v[3:4], v[45:46], v[47:48]
	buffer_store_dword v2, off, s[0:3], 0 offset:260
	buffer_store_dword v1, off, s[0:3], 0 offset:256
	;; [unrolled: 1-line block ×4, first 2 shown]
.LBB82_19:
	s_or_b32 exec_lo, exec_lo, s8
	v_mov_b32_e32 v4, s10
	v_cmp_lt_u32_e64 s4, 15, v0
	s_clause 0x3
	buffer_load_dword v1, v4, s[0:3], 0 offen
	buffer_load_dword v2, v4, s[0:3], 0 offen offset:4
	buffer_load_dword v3, v4, s[0:3], 0 offen offset:8
	;; [unrolled: 1-line block ×3, first 2 shown]
	s_waitcnt vmcnt(0)
	ds_write_b128 v44, v[1:4]
	s_waitcnt lgkmcnt(0)
	s_waitcnt_vscnt null, 0x0
	s_barrier
	buffer_gl0_inv
	s_and_saveexec_b32 s8, s4
	s_cbranch_execz .LBB82_27
; %bb.20:
	ds_read_b128 v[1:4], v44
	s_andn2_b32 vcc_lo, exec_lo, s25
	s_cbranch_vccnz .LBB82_22
; %bb.21:
	s_clause 0x3
	buffer_load_dword v45, v43, s[0:3], 0 offen offset:8
	buffer_load_dword v46, v43, s[0:3], 0 offen offset:12
	buffer_load_dword v47, v43, s[0:3], 0 offen
	buffer_load_dword v48, v43, s[0:3], 0 offen offset:4
	s_waitcnt vmcnt(2) lgkmcnt(0)
	v_mul_f64 v[50:51], v[3:4], v[45:46]
	v_mul_f64 v[45:46], v[1:2], v[45:46]
	s_waitcnt vmcnt(0)
	v_fma_f64 v[1:2], v[1:2], v[47:48], -v[50:51]
	v_fma_f64 v[3:4], v[3:4], v[47:48], v[45:46]
.LBB82_22:
	s_and_saveexec_b32 s26, s5
	s_cbranch_execz .LBB82_26
; %bb.23:
	v_add_nc_u32_e32 v45, -16, v0
	s_movk_i32 s27, 0x230
	s_mov_b32 s5, 0
	s_mov_b32 s28, s9
	.p2align	6
.LBB82_24:                              ; =>This Inner Loop Header: Depth=1
	v_mov_b32_e32 v48, s28
	v_add_nc_u32_e32 v45, -1, v45
	s_add_i32 s28, s28, 16
	s_clause 0x3
	buffer_load_dword v46, v48, s[0:3], 0 offen offset:8
	buffer_load_dword v47, v48, s[0:3], 0 offen offset:12
	buffer_load_dword v54, v48, s[0:3], 0 offen
	buffer_load_dword v55, v48, s[0:3], 0 offen offset:4
	v_mov_b32_e32 v48, s27
	v_cmp_eq_u32_e32 vcc_lo, 0, v45
	s_add_i32 s27, s27, 16
	ds_read_b128 v[50:53], v48
	s_or_b32 s5, vcc_lo, s5
	s_waitcnt vmcnt(2) lgkmcnt(0)
	v_mul_f64 v[56:57], v[52:53], v[46:47]
	v_mul_f64 v[46:47], v[50:51], v[46:47]
	s_waitcnt vmcnt(0)
	v_fma_f64 v[50:51], v[50:51], v[54:55], -v[56:57]
	v_fma_f64 v[46:47], v[52:53], v[54:55], v[46:47]
	v_add_f64 v[1:2], v[1:2], v[50:51]
	v_add_f64 v[3:4], v[3:4], v[46:47]
	s_andn2_b32 exec_lo, exec_lo, s5
	s_cbranch_execnz .LBB82_24
; %bb.25:
	s_or_b32 exec_lo, exec_lo, s5
.LBB82_26:
	s_or_b32 exec_lo, exec_lo, s26
	v_mov_b32_e32 v45, 0
	ds_read_b128 v[45:48], v45 offset:240
	s_waitcnt lgkmcnt(0)
	v_mul_f64 v[50:51], v[3:4], v[47:48]
	v_mul_f64 v[47:48], v[1:2], v[47:48]
	v_fma_f64 v[1:2], v[1:2], v[45:46], -v[50:51]
	v_fma_f64 v[3:4], v[3:4], v[45:46], v[47:48]
	buffer_store_dword v2, off, s[0:3], 0 offset:244
	buffer_store_dword v1, off, s[0:3], 0 offset:240
	;; [unrolled: 1-line block ×4, first 2 shown]
.LBB82_27:
	s_or_b32 exec_lo, exec_lo, s8
	v_mov_b32_e32 v4, s11
	v_cmp_lt_u32_e64 s5, 14, v0
	s_clause 0x3
	buffer_load_dword v1, v4, s[0:3], 0 offen
	buffer_load_dword v2, v4, s[0:3], 0 offen offset:4
	buffer_load_dword v3, v4, s[0:3], 0 offen offset:8
	;; [unrolled: 1-line block ×3, first 2 shown]
	s_waitcnt vmcnt(0)
	ds_write_b128 v44, v[1:4]
	s_waitcnt lgkmcnt(0)
	s_waitcnt_vscnt null, 0x0
	s_barrier
	buffer_gl0_inv
	s_and_saveexec_b32 s8, s5
	s_cbranch_execz .LBB82_35
; %bb.28:
	ds_read_b128 v[1:4], v44
	s_andn2_b32 vcc_lo, exec_lo, s25
	s_cbranch_vccnz .LBB82_30
; %bb.29:
	s_clause 0x3
	buffer_load_dword v45, v43, s[0:3], 0 offen offset:8
	buffer_load_dword v46, v43, s[0:3], 0 offen offset:12
	buffer_load_dword v47, v43, s[0:3], 0 offen
	buffer_load_dword v48, v43, s[0:3], 0 offen offset:4
	s_waitcnt vmcnt(2) lgkmcnt(0)
	v_mul_f64 v[50:51], v[3:4], v[45:46]
	v_mul_f64 v[45:46], v[1:2], v[45:46]
	s_waitcnt vmcnt(0)
	v_fma_f64 v[1:2], v[1:2], v[47:48], -v[50:51]
	v_fma_f64 v[3:4], v[3:4], v[47:48], v[45:46]
.LBB82_30:
	s_and_saveexec_b32 s26, s4
	s_cbranch_execz .LBB82_34
; %bb.31:
	v_add_nc_u32_e32 v45, -15, v0
	s_movk_i32 s27, 0x220
	s_mov_b32 s4, 0
	s_mov_b32 s28, s10
	.p2align	6
.LBB82_32:                              ; =>This Inner Loop Header: Depth=1
	v_mov_b32_e32 v48, s28
	v_add_nc_u32_e32 v45, -1, v45
	s_add_i32 s28, s28, 16
	s_clause 0x3
	buffer_load_dword v46, v48, s[0:3], 0 offen offset:8
	buffer_load_dword v47, v48, s[0:3], 0 offen offset:12
	buffer_load_dword v54, v48, s[0:3], 0 offen
	buffer_load_dword v55, v48, s[0:3], 0 offen offset:4
	v_mov_b32_e32 v48, s27
	v_cmp_eq_u32_e32 vcc_lo, 0, v45
	s_add_i32 s27, s27, 16
	ds_read_b128 v[50:53], v48
	s_or_b32 s4, vcc_lo, s4
	s_waitcnt vmcnt(2) lgkmcnt(0)
	v_mul_f64 v[56:57], v[52:53], v[46:47]
	v_mul_f64 v[46:47], v[50:51], v[46:47]
	s_waitcnt vmcnt(0)
	v_fma_f64 v[50:51], v[50:51], v[54:55], -v[56:57]
	v_fma_f64 v[46:47], v[52:53], v[54:55], v[46:47]
	v_add_f64 v[1:2], v[1:2], v[50:51]
	v_add_f64 v[3:4], v[3:4], v[46:47]
	s_andn2_b32 exec_lo, exec_lo, s4
	s_cbranch_execnz .LBB82_32
; %bb.33:
	s_or_b32 exec_lo, exec_lo, s4
.LBB82_34:
	s_or_b32 exec_lo, exec_lo, s26
	v_mov_b32_e32 v45, 0
	ds_read_b128 v[45:48], v45 offset:224
	s_waitcnt lgkmcnt(0)
	v_mul_f64 v[50:51], v[3:4], v[47:48]
	v_mul_f64 v[47:48], v[1:2], v[47:48]
	v_fma_f64 v[1:2], v[1:2], v[45:46], -v[50:51]
	v_fma_f64 v[3:4], v[3:4], v[45:46], v[47:48]
	buffer_store_dword v2, off, s[0:3], 0 offset:228
	buffer_store_dword v1, off, s[0:3], 0 offset:224
	;; [unrolled: 1-line block ×4, first 2 shown]
.LBB82_35:
	s_or_b32 exec_lo, exec_lo, s8
	v_mov_b32_e32 v4, s12
	v_cmp_lt_u32_e64 s4, 13, v0
	s_clause 0x3
	buffer_load_dword v1, v4, s[0:3], 0 offen
	buffer_load_dword v2, v4, s[0:3], 0 offen offset:4
	buffer_load_dword v3, v4, s[0:3], 0 offen offset:8
	;; [unrolled: 1-line block ×3, first 2 shown]
	s_waitcnt vmcnt(0)
	ds_write_b128 v44, v[1:4]
	s_waitcnt lgkmcnt(0)
	s_waitcnt_vscnt null, 0x0
	s_barrier
	buffer_gl0_inv
	s_and_saveexec_b32 s8, s4
	s_cbranch_execz .LBB82_43
; %bb.36:
	ds_read_b128 v[1:4], v44
	s_andn2_b32 vcc_lo, exec_lo, s25
	s_cbranch_vccnz .LBB82_38
; %bb.37:
	s_clause 0x3
	buffer_load_dword v45, v43, s[0:3], 0 offen offset:8
	buffer_load_dword v46, v43, s[0:3], 0 offen offset:12
	buffer_load_dword v47, v43, s[0:3], 0 offen
	buffer_load_dword v48, v43, s[0:3], 0 offen offset:4
	s_waitcnt vmcnt(2) lgkmcnt(0)
	v_mul_f64 v[50:51], v[3:4], v[45:46]
	v_mul_f64 v[45:46], v[1:2], v[45:46]
	s_waitcnt vmcnt(0)
	v_fma_f64 v[1:2], v[1:2], v[47:48], -v[50:51]
	v_fma_f64 v[3:4], v[3:4], v[47:48], v[45:46]
.LBB82_38:
	s_and_saveexec_b32 s26, s5
	s_cbranch_execz .LBB82_42
; %bb.39:
	v_add_nc_u32_e32 v45, -14, v0
	s_movk_i32 s27, 0x210
	s_mov_b32 s5, 0
	s_mov_b32 s28, s11
	.p2align	6
.LBB82_40:                              ; =>This Inner Loop Header: Depth=1
	v_mov_b32_e32 v48, s28
	v_add_nc_u32_e32 v45, -1, v45
	s_add_i32 s28, s28, 16
	s_clause 0x3
	buffer_load_dword v46, v48, s[0:3], 0 offen offset:8
	buffer_load_dword v47, v48, s[0:3], 0 offen offset:12
	buffer_load_dword v54, v48, s[0:3], 0 offen
	buffer_load_dword v55, v48, s[0:3], 0 offen offset:4
	v_mov_b32_e32 v48, s27
	v_cmp_eq_u32_e32 vcc_lo, 0, v45
	s_add_i32 s27, s27, 16
	ds_read_b128 v[50:53], v48
	s_or_b32 s5, vcc_lo, s5
	s_waitcnt vmcnt(2) lgkmcnt(0)
	v_mul_f64 v[56:57], v[52:53], v[46:47]
	v_mul_f64 v[46:47], v[50:51], v[46:47]
	s_waitcnt vmcnt(0)
	v_fma_f64 v[50:51], v[50:51], v[54:55], -v[56:57]
	v_fma_f64 v[46:47], v[52:53], v[54:55], v[46:47]
	v_add_f64 v[1:2], v[1:2], v[50:51]
	v_add_f64 v[3:4], v[3:4], v[46:47]
	s_andn2_b32 exec_lo, exec_lo, s5
	s_cbranch_execnz .LBB82_40
; %bb.41:
	s_or_b32 exec_lo, exec_lo, s5
.LBB82_42:
	s_or_b32 exec_lo, exec_lo, s26
	v_mov_b32_e32 v45, 0
	ds_read_b128 v[45:48], v45 offset:208
	s_waitcnt lgkmcnt(0)
	v_mul_f64 v[50:51], v[3:4], v[47:48]
	v_mul_f64 v[47:48], v[1:2], v[47:48]
	v_fma_f64 v[1:2], v[1:2], v[45:46], -v[50:51]
	v_fma_f64 v[3:4], v[3:4], v[45:46], v[47:48]
	buffer_store_dword v2, off, s[0:3], 0 offset:212
	buffer_store_dword v1, off, s[0:3], 0 offset:208
	;; [unrolled: 1-line block ×4, first 2 shown]
.LBB82_43:
	s_or_b32 exec_lo, exec_lo, s8
	v_mov_b32_e32 v4, s13
	v_cmp_lt_u32_e64 s5, 12, v0
	s_clause 0x3
	buffer_load_dword v1, v4, s[0:3], 0 offen
	buffer_load_dword v2, v4, s[0:3], 0 offen offset:4
	buffer_load_dword v3, v4, s[0:3], 0 offen offset:8
	;; [unrolled: 1-line block ×3, first 2 shown]
	s_waitcnt vmcnt(0)
	ds_write_b128 v44, v[1:4]
	s_waitcnt lgkmcnt(0)
	s_waitcnt_vscnt null, 0x0
	s_barrier
	buffer_gl0_inv
	s_and_saveexec_b32 s8, s5
	s_cbranch_execz .LBB82_51
; %bb.44:
	ds_read_b128 v[1:4], v44
	s_andn2_b32 vcc_lo, exec_lo, s25
	s_cbranch_vccnz .LBB82_46
; %bb.45:
	s_clause 0x3
	buffer_load_dword v45, v43, s[0:3], 0 offen offset:8
	buffer_load_dword v46, v43, s[0:3], 0 offen offset:12
	buffer_load_dword v47, v43, s[0:3], 0 offen
	buffer_load_dword v48, v43, s[0:3], 0 offen offset:4
	s_waitcnt vmcnt(2) lgkmcnt(0)
	v_mul_f64 v[50:51], v[3:4], v[45:46]
	v_mul_f64 v[45:46], v[1:2], v[45:46]
	s_waitcnt vmcnt(0)
	v_fma_f64 v[1:2], v[1:2], v[47:48], -v[50:51]
	v_fma_f64 v[3:4], v[3:4], v[47:48], v[45:46]
.LBB82_46:
	s_and_saveexec_b32 s26, s4
	s_cbranch_execz .LBB82_50
; %bb.47:
	v_add_nc_u32_e32 v45, -13, v0
	s_movk_i32 s27, 0x200
	s_mov_b32 s4, 0
	s_mov_b32 s28, s12
	.p2align	6
.LBB82_48:                              ; =>This Inner Loop Header: Depth=1
	v_mov_b32_e32 v48, s28
	v_add_nc_u32_e32 v45, -1, v45
	s_add_i32 s28, s28, 16
	s_clause 0x3
	buffer_load_dword v46, v48, s[0:3], 0 offen offset:8
	buffer_load_dword v47, v48, s[0:3], 0 offen offset:12
	buffer_load_dword v54, v48, s[0:3], 0 offen
	buffer_load_dword v55, v48, s[0:3], 0 offen offset:4
	v_mov_b32_e32 v48, s27
	v_cmp_eq_u32_e32 vcc_lo, 0, v45
	s_add_i32 s27, s27, 16
	ds_read_b128 v[50:53], v48
	s_or_b32 s4, vcc_lo, s4
	s_waitcnt vmcnt(2) lgkmcnt(0)
	v_mul_f64 v[56:57], v[52:53], v[46:47]
	v_mul_f64 v[46:47], v[50:51], v[46:47]
	s_waitcnt vmcnt(0)
	v_fma_f64 v[50:51], v[50:51], v[54:55], -v[56:57]
	v_fma_f64 v[46:47], v[52:53], v[54:55], v[46:47]
	v_add_f64 v[1:2], v[1:2], v[50:51]
	v_add_f64 v[3:4], v[3:4], v[46:47]
	s_andn2_b32 exec_lo, exec_lo, s4
	s_cbranch_execnz .LBB82_48
; %bb.49:
	s_or_b32 exec_lo, exec_lo, s4
.LBB82_50:
	s_or_b32 exec_lo, exec_lo, s26
	v_mov_b32_e32 v45, 0
	ds_read_b128 v[45:48], v45 offset:192
	s_waitcnt lgkmcnt(0)
	v_mul_f64 v[50:51], v[3:4], v[47:48]
	v_mul_f64 v[47:48], v[1:2], v[47:48]
	v_fma_f64 v[1:2], v[1:2], v[45:46], -v[50:51]
	v_fma_f64 v[3:4], v[3:4], v[45:46], v[47:48]
	buffer_store_dword v2, off, s[0:3], 0 offset:196
	buffer_store_dword v1, off, s[0:3], 0 offset:192
	;; [unrolled: 1-line block ×4, first 2 shown]
.LBB82_51:
	s_or_b32 exec_lo, exec_lo, s8
	v_mov_b32_e32 v4, s14
	v_cmp_lt_u32_e64 s4, 11, v0
	s_clause 0x3
	buffer_load_dword v1, v4, s[0:3], 0 offen
	buffer_load_dword v2, v4, s[0:3], 0 offen offset:4
	buffer_load_dword v3, v4, s[0:3], 0 offen offset:8
	buffer_load_dword v4, v4, s[0:3], 0 offen offset:12
	s_waitcnt vmcnt(0)
	ds_write_b128 v44, v[1:4]
	s_waitcnt lgkmcnt(0)
	s_waitcnt_vscnt null, 0x0
	s_barrier
	buffer_gl0_inv
	s_and_saveexec_b32 s8, s4
	s_cbranch_execz .LBB82_59
; %bb.52:
	ds_read_b128 v[1:4], v44
	s_andn2_b32 vcc_lo, exec_lo, s25
	s_cbranch_vccnz .LBB82_54
; %bb.53:
	s_clause 0x3
	buffer_load_dword v45, v43, s[0:3], 0 offen offset:8
	buffer_load_dword v46, v43, s[0:3], 0 offen offset:12
	buffer_load_dword v47, v43, s[0:3], 0 offen
	buffer_load_dword v48, v43, s[0:3], 0 offen offset:4
	s_waitcnt vmcnt(2) lgkmcnt(0)
	v_mul_f64 v[50:51], v[3:4], v[45:46]
	v_mul_f64 v[45:46], v[1:2], v[45:46]
	s_waitcnt vmcnt(0)
	v_fma_f64 v[1:2], v[1:2], v[47:48], -v[50:51]
	v_fma_f64 v[3:4], v[3:4], v[47:48], v[45:46]
.LBB82_54:
	s_and_saveexec_b32 s26, s5
	s_cbranch_execz .LBB82_58
; %bb.55:
	v_add_nc_u32_e32 v45, -12, v0
	s_movk_i32 s27, 0x1f0
	s_mov_b32 s5, 0
	s_mov_b32 s28, s13
	.p2align	6
.LBB82_56:                              ; =>This Inner Loop Header: Depth=1
	v_mov_b32_e32 v48, s28
	v_add_nc_u32_e32 v45, -1, v45
	s_add_i32 s28, s28, 16
	s_clause 0x3
	buffer_load_dword v46, v48, s[0:3], 0 offen offset:8
	buffer_load_dword v47, v48, s[0:3], 0 offen offset:12
	buffer_load_dword v54, v48, s[0:3], 0 offen
	buffer_load_dword v55, v48, s[0:3], 0 offen offset:4
	v_mov_b32_e32 v48, s27
	v_cmp_eq_u32_e32 vcc_lo, 0, v45
	s_add_i32 s27, s27, 16
	ds_read_b128 v[50:53], v48
	s_or_b32 s5, vcc_lo, s5
	s_waitcnt vmcnt(2) lgkmcnt(0)
	v_mul_f64 v[56:57], v[52:53], v[46:47]
	v_mul_f64 v[46:47], v[50:51], v[46:47]
	s_waitcnt vmcnt(0)
	v_fma_f64 v[50:51], v[50:51], v[54:55], -v[56:57]
	v_fma_f64 v[46:47], v[52:53], v[54:55], v[46:47]
	v_add_f64 v[1:2], v[1:2], v[50:51]
	v_add_f64 v[3:4], v[3:4], v[46:47]
	s_andn2_b32 exec_lo, exec_lo, s5
	s_cbranch_execnz .LBB82_56
; %bb.57:
	s_or_b32 exec_lo, exec_lo, s5
.LBB82_58:
	s_or_b32 exec_lo, exec_lo, s26
	v_mov_b32_e32 v45, 0
	ds_read_b128 v[45:48], v45 offset:176
	s_waitcnt lgkmcnt(0)
	v_mul_f64 v[50:51], v[3:4], v[47:48]
	v_mul_f64 v[47:48], v[1:2], v[47:48]
	v_fma_f64 v[1:2], v[1:2], v[45:46], -v[50:51]
	v_fma_f64 v[3:4], v[3:4], v[45:46], v[47:48]
	buffer_store_dword v2, off, s[0:3], 0 offset:180
	buffer_store_dword v1, off, s[0:3], 0 offset:176
	;; [unrolled: 1-line block ×4, first 2 shown]
.LBB82_59:
	s_or_b32 exec_lo, exec_lo, s8
	v_mov_b32_e32 v4, s15
	v_cmp_lt_u32_e64 s5, 10, v0
	s_clause 0x3
	buffer_load_dword v1, v4, s[0:3], 0 offen
	buffer_load_dword v2, v4, s[0:3], 0 offen offset:4
	buffer_load_dword v3, v4, s[0:3], 0 offen offset:8
	;; [unrolled: 1-line block ×3, first 2 shown]
	s_waitcnt vmcnt(0)
	ds_write_b128 v44, v[1:4]
	s_waitcnt lgkmcnt(0)
	s_waitcnt_vscnt null, 0x0
	s_barrier
	buffer_gl0_inv
	s_and_saveexec_b32 s8, s5
	s_cbranch_execz .LBB82_67
; %bb.60:
	ds_read_b128 v[1:4], v44
	s_andn2_b32 vcc_lo, exec_lo, s25
	s_cbranch_vccnz .LBB82_62
; %bb.61:
	s_clause 0x3
	buffer_load_dword v45, v43, s[0:3], 0 offen offset:8
	buffer_load_dword v46, v43, s[0:3], 0 offen offset:12
	buffer_load_dword v47, v43, s[0:3], 0 offen
	buffer_load_dword v48, v43, s[0:3], 0 offen offset:4
	s_waitcnt vmcnt(2) lgkmcnt(0)
	v_mul_f64 v[50:51], v[3:4], v[45:46]
	v_mul_f64 v[45:46], v[1:2], v[45:46]
	s_waitcnt vmcnt(0)
	v_fma_f64 v[1:2], v[1:2], v[47:48], -v[50:51]
	v_fma_f64 v[3:4], v[3:4], v[47:48], v[45:46]
.LBB82_62:
	s_and_saveexec_b32 s26, s4
	s_cbranch_execz .LBB82_66
; %bb.63:
	v_add_nc_u32_e32 v45, -11, v0
	s_movk_i32 s27, 0x1e0
	s_mov_b32 s4, 0
	s_mov_b32 s28, s14
	.p2align	6
.LBB82_64:                              ; =>This Inner Loop Header: Depth=1
	v_mov_b32_e32 v48, s28
	v_add_nc_u32_e32 v45, -1, v45
	s_add_i32 s28, s28, 16
	s_clause 0x3
	buffer_load_dword v46, v48, s[0:3], 0 offen offset:8
	buffer_load_dword v47, v48, s[0:3], 0 offen offset:12
	buffer_load_dword v54, v48, s[0:3], 0 offen
	buffer_load_dword v55, v48, s[0:3], 0 offen offset:4
	v_mov_b32_e32 v48, s27
	v_cmp_eq_u32_e32 vcc_lo, 0, v45
	s_add_i32 s27, s27, 16
	ds_read_b128 v[50:53], v48
	s_or_b32 s4, vcc_lo, s4
	s_waitcnt vmcnt(2) lgkmcnt(0)
	v_mul_f64 v[56:57], v[52:53], v[46:47]
	v_mul_f64 v[46:47], v[50:51], v[46:47]
	s_waitcnt vmcnt(0)
	v_fma_f64 v[50:51], v[50:51], v[54:55], -v[56:57]
	v_fma_f64 v[46:47], v[52:53], v[54:55], v[46:47]
	v_add_f64 v[1:2], v[1:2], v[50:51]
	v_add_f64 v[3:4], v[3:4], v[46:47]
	s_andn2_b32 exec_lo, exec_lo, s4
	s_cbranch_execnz .LBB82_64
; %bb.65:
	s_or_b32 exec_lo, exec_lo, s4
.LBB82_66:
	s_or_b32 exec_lo, exec_lo, s26
	v_mov_b32_e32 v45, 0
	ds_read_b128 v[45:48], v45 offset:160
	s_waitcnt lgkmcnt(0)
	v_mul_f64 v[50:51], v[3:4], v[47:48]
	v_mul_f64 v[47:48], v[1:2], v[47:48]
	v_fma_f64 v[1:2], v[1:2], v[45:46], -v[50:51]
	v_fma_f64 v[3:4], v[3:4], v[45:46], v[47:48]
	buffer_store_dword v2, off, s[0:3], 0 offset:164
	buffer_store_dword v1, off, s[0:3], 0 offset:160
	;; [unrolled: 1-line block ×4, first 2 shown]
.LBB82_67:
	s_or_b32 exec_lo, exec_lo, s8
	v_mov_b32_e32 v4, s16
	v_cmp_lt_u32_e64 s4, 9, v0
	s_clause 0x3
	buffer_load_dword v1, v4, s[0:3], 0 offen
	buffer_load_dword v2, v4, s[0:3], 0 offen offset:4
	buffer_load_dword v3, v4, s[0:3], 0 offen offset:8
	;; [unrolled: 1-line block ×3, first 2 shown]
	s_waitcnt vmcnt(0)
	ds_write_b128 v44, v[1:4]
	s_waitcnt lgkmcnt(0)
	s_waitcnt_vscnt null, 0x0
	s_barrier
	buffer_gl0_inv
	s_and_saveexec_b32 s8, s4
	s_cbranch_execz .LBB82_75
; %bb.68:
	ds_read_b128 v[1:4], v44
	s_andn2_b32 vcc_lo, exec_lo, s25
	s_cbranch_vccnz .LBB82_70
; %bb.69:
	s_clause 0x3
	buffer_load_dword v45, v43, s[0:3], 0 offen offset:8
	buffer_load_dword v46, v43, s[0:3], 0 offen offset:12
	buffer_load_dword v47, v43, s[0:3], 0 offen
	buffer_load_dword v48, v43, s[0:3], 0 offen offset:4
	s_waitcnt vmcnt(2) lgkmcnt(0)
	v_mul_f64 v[50:51], v[3:4], v[45:46]
	v_mul_f64 v[45:46], v[1:2], v[45:46]
	s_waitcnt vmcnt(0)
	v_fma_f64 v[1:2], v[1:2], v[47:48], -v[50:51]
	v_fma_f64 v[3:4], v[3:4], v[47:48], v[45:46]
.LBB82_70:
	s_and_saveexec_b32 s26, s5
	s_cbranch_execz .LBB82_74
; %bb.71:
	v_add_nc_u32_e32 v45, -10, v0
	s_movk_i32 s27, 0x1d0
	s_mov_b32 s5, 0
	s_mov_b32 s28, s15
	.p2align	6
.LBB82_72:                              ; =>This Inner Loop Header: Depth=1
	v_mov_b32_e32 v48, s28
	v_add_nc_u32_e32 v45, -1, v45
	s_add_i32 s28, s28, 16
	s_clause 0x3
	buffer_load_dword v46, v48, s[0:3], 0 offen offset:8
	buffer_load_dword v47, v48, s[0:3], 0 offen offset:12
	buffer_load_dword v54, v48, s[0:3], 0 offen
	buffer_load_dword v55, v48, s[0:3], 0 offen offset:4
	v_mov_b32_e32 v48, s27
	v_cmp_eq_u32_e32 vcc_lo, 0, v45
	s_add_i32 s27, s27, 16
	ds_read_b128 v[50:53], v48
	s_or_b32 s5, vcc_lo, s5
	s_waitcnt vmcnt(2) lgkmcnt(0)
	v_mul_f64 v[56:57], v[52:53], v[46:47]
	v_mul_f64 v[46:47], v[50:51], v[46:47]
	s_waitcnt vmcnt(0)
	v_fma_f64 v[50:51], v[50:51], v[54:55], -v[56:57]
	v_fma_f64 v[46:47], v[52:53], v[54:55], v[46:47]
	v_add_f64 v[1:2], v[1:2], v[50:51]
	v_add_f64 v[3:4], v[3:4], v[46:47]
	s_andn2_b32 exec_lo, exec_lo, s5
	s_cbranch_execnz .LBB82_72
; %bb.73:
	s_or_b32 exec_lo, exec_lo, s5
.LBB82_74:
	s_or_b32 exec_lo, exec_lo, s26
	v_mov_b32_e32 v45, 0
	ds_read_b128 v[45:48], v45 offset:144
	s_waitcnt lgkmcnt(0)
	v_mul_f64 v[50:51], v[3:4], v[47:48]
	v_mul_f64 v[47:48], v[1:2], v[47:48]
	v_fma_f64 v[1:2], v[1:2], v[45:46], -v[50:51]
	v_fma_f64 v[3:4], v[3:4], v[45:46], v[47:48]
	buffer_store_dword v2, off, s[0:3], 0 offset:148
	buffer_store_dword v1, off, s[0:3], 0 offset:144
	;; [unrolled: 1-line block ×4, first 2 shown]
.LBB82_75:
	s_or_b32 exec_lo, exec_lo, s8
	v_mov_b32_e32 v4, s17
	v_cmp_lt_u32_e64 s5, 8, v0
	s_clause 0x3
	buffer_load_dword v1, v4, s[0:3], 0 offen
	buffer_load_dword v2, v4, s[0:3], 0 offen offset:4
	buffer_load_dword v3, v4, s[0:3], 0 offen offset:8
	;; [unrolled: 1-line block ×3, first 2 shown]
	s_waitcnt vmcnt(0)
	ds_write_b128 v44, v[1:4]
	s_waitcnt lgkmcnt(0)
	s_waitcnt_vscnt null, 0x0
	s_barrier
	buffer_gl0_inv
	s_and_saveexec_b32 s8, s5
	s_cbranch_execz .LBB82_83
; %bb.76:
	ds_read_b128 v[1:4], v44
	s_andn2_b32 vcc_lo, exec_lo, s25
	s_cbranch_vccnz .LBB82_78
; %bb.77:
	s_clause 0x3
	buffer_load_dword v45, v43, s[0:3], 0 offen offset:8
	buffer_load_dword v46, v43, s[0:3], 0 offen offset:12
	buffer_load_dword v47, v43, s[0:3], 0 offen
	buffer_load_dword v48, v43, s[0:3], 0 offen offset:4
	s_waitcnt vmcnt(2) lgkmcnt(0)
	v_mul_f64 v[50:51], v[3:4], v[45:46]
	v_mul_f64 v[45:46], v[1:2], v[45:46]
	s_waitcnt vmcnt(0)
	v_fma_f64 v[1:2], v[1:2], v[47:48], -v[50:51]
	v_fma_f64 v[3:4], v[3:4], v[47:48], v[45:46]
.LBB82_78:
	s_and_saveexec_b32 s26, s4
	s_cbranch_execz .LBB82_82
; %bb.79:
	v_add_nc_u32_e32 v45, -9, v0
	s_movk_i32 s27, 0x1c0
	s_mov_b32 s4, 0
	s_mov_b32 s28, s16
	.p2align	6
.LBB82_80:                              ; =>This Inner Loop Header: Depth=1
	v_mov_b32_e32 v48, s28
	v_add_nc_u32_e32 v45, -1, v45
	s_add_i32 s28, s28, 16
	s_clause 0x3
	buffer_load_dword v46, v48, s[0:3], 0 offen offset:8
	buffer_load_dword v47, v48, s[0:3], 0 offen offset:12
	buffer_load_dword v54, v48, s[0:3], 0 offen
	buffer_load_dword v55, v48, s[0:3], 0 offen offset:4
	v_mov_b32_e32 v48, s27
	v_cmp_eq_u32_e32 vcc_lo, 0, v45
	s_add_i32 s27, s27, 16
	ds_read_b128 v[50:53], v48
	s_or_b32 s4, vcc_lo, s4
	s_waitcnt vmcnt(2) lgkmcnt(0)
	v_mul_f64 v[56:57], v[52:53], v[46:47]
	v_mul_f64 v[46:47], v[50:51], v[46:47]
	s_waitcnt vmcnt(0)
	v_fma_f64 v[50:51], v[50:51], v[54:55], -v[56:57]
	v_fma_f64 v[46:47], v[52:53], v[54:55], v[46:47]
	v_add_f64 v[1:2], v[1:2], v[50:51]
	v_add_f64 v[3:4], v[3:4], v[46:47]
	s_andn2_b32 exec_lo, exec_lo, s4
	s_cbranch_execnz .LBB82_80
; %bb.81:
	s_or_b32 exec_lo, exec_lo, s4
.LBB82_82:
	s_or_b32 exec_lo, exec_lo, s26
	v_mov_b32_e32 v45, 0
	ds_read_b128 v[45:48], v45 offset:128
	s_waitcnt lgkmcnt(0)
	v_mul_f64 v[50:51], v[3:4], v[47:48]
	v_mul_f64 v[47:48], v[1:2], v[47:48]
	v_fma_f64 v[1:2], v[1:2], v[45:46], -v[50:51]
	v_fma_f64 v[3:4], v[3:4], v[45:46], v[47:48]
	buffer_store_dword v2, off, s[0:3], 0 offset:132
	buffer_store_dword v1, off, s[0:3], 0 offset:128
	buffer_store_dword v4, off, s[0:3], 0 offset:140
	buffer_store_dword v3, off, s[0:3], 0 offset:136
.LBB82_83:
	s_or_b32 exec_lo, exec_lo, s8
	v_mov_b32_e32 v4, s18
	v_cmp_lt_u32_e64 s4, 7, v0
	s_clause 0x3
	buffer_load_dword v1, v4, s[0:3], 0 offen
	buffer_load_dword v2, v4, s[0:3], 0 offen offset:4
	buffer_load_dword v3, v4, s[0:3], 0 offen offset:8
	;; [unrolled: 1-line block ×3, first 2 shown]
	s_waitcnt vmcnt(0)
	ds_write_b128 v44, v[1:4]
	s_waitcnt lgkmcnt(0)
	s_waitcnt_vscnt null, 0x0
	s_barrier
	buffer_gl0_inv
	s_and_saveexec_b32 s8, s4
	s_cbranch_execz .LBB82_91
; %bb.84:
	ds_read_b128 v[1:4], v44
	s_andn2_b32 vcc_lo, exec_lo, s25
	s_cbranch_vccnz .LBB82_86
; %bb.85:
	s_clause 0x3
	buffer_load_dword v45, v43, s[0:3], 0 offen offset:8
	buffer_load_dword v46, v43, s[0:3], 0 offen offset:12
	buffer_load_dword v47, v43, s[0:3], 0 offen
	buffer_load_dword v48, v43, s[0:3], 0 offen offset:4
	s_waitcnt vmcnt(2) lgkmcnt(0)
	v_mul_f64 v[50:51], v[3:4], v[45:46]
	v_mul_f64 v[45:46], v[1:2], v[45:46]
	s_waitcnt vmcnt(0)
	v_fma_f64 v[1:2], v[1:2], v[47:48], -v[50:51]
	v_fma_f64 v[3:4], v[3:4], v[47:48], v[45:46]
.LBB82_86:
	s_and_saveexec_b32 s26, s5
	s_cbranch_execz .LBB82_90
; %bb.87:
	v_add_nc_u32_e32 v45, -8, v0
	s_movk_i32 s27, 0x1b0
	s_mov_b32 s5, 0
	s_mov_b32 s28, s17
	.p2align	6
.LBB82_88:                              ; =>This Inner Loop Header: Depth=1
	v_mov_b32_e32 v48, s28
	v_add_nc_u32_e32 v45, -1, v45
	s_add_i32 s28, s28, 16
	s_clause 0x3
	buffer_load_dword v46, v48, s[0:3], 0 offen offset:8
	buffer_load_dword v47, v48, s[0:3], 0 offen offset:12
	buffer_load_dword v54, v48, s[0:3], 0 offen
	buffer_load_dword v55, v48, s[0:3], 0 offen offset:4
	v_mov_b32_e32 v48, s27
	v_cmp_eq_u32_e32 vcc_lo, 0, v45
	s_add_i32 s27, s27, 16
	ds_read_b128 v[50:53], v48
	s_or_b32 s5, vcc_lo, s5
	s_waitcnt vmcnt(2) lgkmcnt(0)
	v_mul_f64 v[56:57], v[52:53], v[46:47]
	v_mul_f64 v[46:47], v[50:51], v[46:47]
	s_waitcnt vmcnt(0)
	v_fma_f64 v[50:51], v[50:51], v[54:55], -v[56:57]
	v_fma_f64 v[46:47], v[52:53], v[54:55], v[46:47]
	v_add_f64 v[1:2], v[1:2], v[50:51]
	v_add_f64 v[3:4], v[3:4], v[46:47]
	s_andn2_b32 exec_lo, exec_lo, s5
	s_cbranch_execnz .LBB82_88
; %bb.89:
	s_or_b32 exec_lo, exec_lo, s5
.LBB82_90:
	s_or_b32 exec_lo, exec_lo, s26
	v_mov_b32_e32 v45, 0
	ds_read_b128 v[45:48], v45 offset:112
	s_waitcnt lgkmcnt(0)
	v_mul_f64 v[50:51], v[3:4], v[47:48]
	v_mul_f64 v[47:48], v[1:2], v[47:48]
	v_fma_f64 v[1:2], v[1:2], v[45:46], -v[50:51]
	v_fma_f64 v[3:4], v[3:4], v[45:46], v[47:48]
	buffer_store_dword v2, off, s[0:3], 0 offset:116
	buffer_store_dword v1, off, s[0:3], 0 offset:112
	;; [unrolled: 1-line block ×4, first 2 shown]
.LBB82_91:
	s_or_b32 exec_lo, exec_lo, s8
	v_mov_b32_e32 v4, s19
	v_cmp_lt_u32_e64 s5, 6, v0
	s_clause 0x3
	buffer_load_dword v1, v4, s[0:3], 0 offen
	buffer_load_dword v2, v4, s[0:3], 0 offen offset:4
	buffer_load_dword v3, v4, s[0:3], 0 offen offset:8
	;; [unrolled: 1-line block ×3, first 2 shown]
	s_waitcnt vmcnt(0)
	ds_write_b128 v44, v[1:4]
	s_waitcnt lgkmcnt(0)
	s_waitcnt_vscnt null, 0x0
	s_barrier
	buffer_gl0_inv
	s_and_saveexec_b32 s8, s5
	s_cbranch_execz .LBB82_99
; %bb.92:
	ds_read_b128 v[1:4], v44
	s_andn2_b32 vcc_lo, exec_lo, s25
	s_cbranch_vccnz .LBB82_94
; %bb.93:
	s_clause 0x3
	buffer_load_dword v45, v43, s[0:3], 0 offen offset:8
	buffer_load_dword v46, v43, s[0:3], 0 offen offset:12
	buffer_load_dword v47, v43, s[0:3], 0 offen
	buffer_load_dword v48, v43, s[0:3], 0 offen offset:4
	s_waitcnt vmcnt(2) lgkmcnt(0)
	v_mul_f64 v[50:51], v[3:4], v[45:46]
	v_mul_f64 v[45:46], v[1:2], v[45:46]
	s_waitcnt vmcnt(0)
	v_fma_f64 v[1:2], v[1:2], v[47:48], -v[50:51]
	v_fma_f64 v[3:4], v[3:4], v[47:48], v[45:46]
.LBB82_94:
	s_and_saveexec_b32 s26, s4
	s_cbranch_execz .LBB82_98
; %bb.95:
	v_add_nc_u32_e32 v45, -7, v0
	s_movk_i32 s27, 0x1a0
	s_mov_b32 s4, 0
	s_mov_b32 s28, s18
	.p2align	6
.LBB82_96:                              ; =>This Inner Loop Header: Depth=1
	v_mov_b32_e32 v48, s28
	v_add_nc_u32_e32 v45, -1, v45
	s_add_i32 s28, s28, 16
	s_clause 0x3
	buffer_load_dword v46, v48, s[0:3], 0 offen offset:8
	buffer_load_dword v47, v48, s[0:3], 0 offen offset:12
	buffer_load_dword v54, v48, s[0:3], 0 offen
	buffer_load_dword v55, v48, s[0:3], 0 offen offset:4
	v_mov_b32_e32 v48, s27
	v_cmp_eq_u32_e32 vcc_lo, 0, v45
	s_add_i32 s27, s27, 16
	ds_read_b128 v[50:53], v48
	s_or_b32 s4, vcc_lo, s4
	s_waitcnt vmcnt(2) lgkmcnt(0)
	v_mul_f64 v[56:57], v[52:53], v[46:47]
	v_mul_f64 v[46:47], v[50:51], v[46:47]
	s_waitcnt vmcnt(0)
	v_fma_f64 v[50:51], v[50:51], v[54:55], -v[56:57]
	v_fma_f64 v[46:47], v[52:53], v[54:55], v[46:47]
	v_add_f64 v[1:2], v[1:2], v[50:51]
	v_add_f64 v[3:4], v[3:4], v[46:47]
	s_andn2_b32 exec_lo, exec_lo, s4
	s_cbranch_execnz .LBB82_96
; %bb.97:
	s_or_b32 exec_lo, exec_lo, s4
.LBB82_98:
	s_or_b32 exec_lo, exec_lo, s26
	v_mov_b32_e32 v45, 0
	ds_read_b128 v[45:48], v45 offset:96
	s_waitcnt lgkmcnt(0)
	v_mul_f64 v[50:51], v[3:4], v[47:48]
	v_mul_f64 v[47:48], v[1:2], v[47:48]
	v_fma_f64 v[1:2], v[1:2], v[45:46], -v[50:51]
	v_fma_f64 v[3:4], v[3:4], v[45:46], v[47:48]
	buffer_store_dword v2, off, s[0:3], 0 offset:100
	buffer_store_dword v1, off, s[0:3], 0 offset:96
	;; [unrolled: 1-line block ×4, first 2 shown]
.LBB82_99:
	s_or_b32 exec_lo, exec_lo, s8
	v_mov_b32_e32 v4, s20
	v_cmp_lt_u32_e64 s4, 5, v0
	s_clause 0x3
	buffer_load_dword v1, v4, s[0:3], 0 offen
	buffer_load_dword v2, v4, s[0:3], 0 offen offset:4
	buffer_load_dword v3, v4, s[0:3], 0 offen offset:8
	;; [unrolled: 1-line block ×3, first 2 shown]
	s_waitcnt vmcnt(0)
	ds_write_b128 v44, v[1:4]
	s_waitcnt lgkmcnt(0)
	s_waitcnt_vscnt null, 0x0
	s_barrier
	buffer_gl0_inv
	s_and_saveexec_b32 s8, s4
	s_cbranch_execz .LBB82_107
; %bb.100:
	ds_read_b128 v[1:4], v44
	s_andn2_b32 vcc_lo, exec_lo, s25
	s_cbranch_vccnz .LBB82_102
; %bb.101:
	s_clause 0x3
	buffer_load_dword v45, v43, s[0:3], 0 offen offset:8
	buffer_load_dword v46, v43, s[0:3], 0 offen offset:12
	buffer_load_dword v47, v43, s[0:3], 0 offen
	buffer_load_dword v48, v43, s[0:3], 0 offen offset:4
	s_waitcnt vmcnt(2) lgkmcnt(0)
	v_mul_f64 v[50:51], v[3:4], v[45:46]
	v_mul_f64 v[45:46], v[1:2], v[45:46]
	s_waitcnt vmcnt(0)
	v_fma_f64 v[1:2], v[1:2], v[47:48], -v[50:51]
	v_fma_f64 v[3:4], v[3:4], v[47:48], v[45:46]
.LBB82_102:
	s_and_saveexec_b32 s26, s5
	s_cbranch_execz .LBB82_106
; %bb.103:
	v_add_nc_u32_e32 v45, -6, v0
	s_movk_i32 s27, 0x190
	s_mov_b32 s5, 0
	s_mov_b32 s28, s19
	.p2align	6
.LBB82_104:                             ; =>This Inner Loop Header: Depth=1
	v_mov_b32_e32 v48, s28
	v_add_nc_u32_e32 v45, -1, v45
	s_add_i32 s28, s28, 16
	s_clause 0x3
	buffer_load_dword v46, v48, s[0:3], 0 offen offset:8
	buffer_load_dword v47, v48, s[0:3], 0 offen offset:12
	buffer_load_dword v54, v48, s[0:3], 0 offen
	buffer_load_dword v55, v48, s[0:3], 0 offen offset:4
	v_mov_b32_e32 v48, s27
	v_cmp_eq_u32_e32 vcc_lo, 0, v45
	s_add_i32 s27, s27, 16
	ds_read_b128 v[50:53], v48
	s_or_b32 s5, vcc_lo, s5
	s_waitcnt vmcnt(2) lgkmcnt(0)
	v_mul_f64 v[56:57], v[52:53], v[46:47]
	v_mul_f64 v[46:47], v[50:51], v[46:47]
	s_waitcnt vmcnt(0)
	v_fma_f64 v[50:51], v[50:51], v[54:55], -v[56:57]
	v_fma_f64 v[46:47], v[52:53], v[54:55], v[46:47]
	v_add_f64 v[1:2], v[1:2], v[50:51]
	v_add_f64 v[3:4], v[3:4], v[46:47]
	s_andn2_b32 exec_lo, exec_lo, s5
	s_cbranch_execnz .LBB82_104
; %bb.105:
	s_or_b32 exec_lo, exec_lo, s5
.LBB82_106:
	s_or_b32 exec_lo, exec_lo, s26
	v_mov_b32_e32 v45, 0
	ds_read_b128 v[45:48], v45 offset:80
	s_waitcnt lgkmcnt(0)
	v_mul_f64 v[50:51], v[3:4], v[47:48]
	v_mul_f64 v[47:48], v[1:2], v[47:48]
	v_fma_f64 v[1:2], v[1:2], v[45:46], -v[50:51]
	v_fma_f64 v[3:4], v[3:4], v[45:46], v[47:48]
	buffer_store_dword v2, off, s[0:3], 0 offset:84
	buffer_store_dword v1, off, s[0:3], 0 offset:80
	;; [unrolled: 1-line block ×4, first 2 shown]
.LBB82_107:
	s_or_b32 exec_lo, exec_lo, s8
	v_mov_b32_e32 v4, s21
	v_cmp_lt_u32_e64 s5, 4, v0
	s_clause 0x3
	buffer_load_dword v1, v4, s[0:3], 0 offen
	buffer_load_dword v2, v4, s[0:3], 0 offen offset:4
	buffer_load_dword v3, v4, s[0:3], 0 offen offset:8
	;; [unrolled: 1-line block ×3, first 2 shown]
	s_waitcnt vmcnt(0)
	ds_write_b128 v44, v[1:4]
	s_waitcnt lgkmcnt(0)
	s_waitcnt_vscnt null, 0x0
	s_barrier
	buffer_gl0_inv
	s_and_saveexec_b32 s8, s5
	s_cbranch_execz .LBB82_115
; %bb.108:
	ds_read_b128 v[1:4], v44
	s_andn2_b32 vcc_lo, exec_lo, s25
	s_cbranch_vccnz .LBB82_110
; %bb.109:
	s_clause 0x3
	buffer_load_dword v45, v43, s[0:3], 0 offen offset:8
	buffer_load_dword v46, v43, s[0:3], 0 offen offset:12
	buffer_load_dword v47, v43, s[0:3], 0 offen
	buffer_load_dword v48, v43, s[0:3], 0 offen offset:4
	s_waitcnt vmcnt(2) lgkmcnt(0)
	v_mul_f64 v[50:51], v[3:4], v[45:46]
	v_mul_f64 v[45:46], v[1:2], v[45:46]
	s_waitcnt vmcnt(0)
	v_fma_f64 v[1:2], v[1:2], v[47:48], -v[50:51]
	v_fma_f64 v[3:4], v[3:4], v[47:48], v[45:46]
.LBB82_110:
	s_and_saveexec_b32 s26, s4
	s_cbranch_execz .LBB82_114
; %bb.111:
	v_add_nc_u32_e32 v45, -5, v0
	s_movk_i32 s27, 0x180
	s_mov_b32 s4, 0
	s_mov_b32 s28, s20
	.p2align	6
.LBB82_112:                             ; =>This Inner Loop Header: Depth=1
	v_mov_b32_e32 v48, s28
	v_add_nc_u32_e32 v45, -1, v45
	s_add_i32 s28, s28, 16
	s_clause 0x3
	buffer_load_dword v46, v48, s[0:3], 0 offen offset:8
	buffer_load_dword v47, v48, s[0:3], 0 offen offset:12
	buffer_load_dword v54, v48, s[0:3], 0 offen
	buffer_load_dword v55, v48, s[0:3], 0 offen offset:4
	v_mov_b32_e32 v48, s27
	v_cmp_eq_u32_e32 vcc_lo, 0, v45
	s_add_i32 s27, s27, 16
	ds_read_b128 v[50:53], v48
	s_or_b32 s4, vcc_lo, s4
	s_waitcnt vmcnt(2) lgkmcnt(0)
	v_mul_f64 v[56:57], v[52:53], v[46:47]
	v_mul_f64 v[46:47], v[50:51], v[46:47]
	s_waitcnt vmcnt(0)
	v_fma_f64 v[50:51], v[50:51], v[54:55], -v[56:57]
	v_fma_f64 v[46:47], v[52:53], v[54:55], v[46:47]
	v_add_f64 v[1:2], v[1:2], v[50:51]
	v_add_f64 v[3:4], v[3:4], v[46:47]
	s_andn2_b32 exec_lo, exec_lo, s4
	s_cbranch_execnz .LBB82_112
; %bb.113:
	s_or_b32 exec_lo, exec_lo, s4
.LBB82_114:
	s_or_b32 exec_lo, exec_lo, s26
	v_mov_b32_e32 v45, 0
	ds_read_b128 v[45:48], v45 offset:64
	s_waitcnt lgkmcnt(0)
	v_mul_f64 v[50:51], v[3:4], v[47:48]
	v_mul_f64 v[47:48], v[1:2], v[47:48]
	v_fma_f64 v[1:2], v[1:2], v[45:46], -v[50:51]
	v_fma_f64 v[3:4], v[3:4], v[45:46], v[47:48]
	buffer_store_dword v2, off, s[0:3], 0 offset:68
	buffer_store_dword v1, off, s[0:3], 0 offset:64
	;; [unrolled: 1-line block ×4, first 2 shown]
.LBB82_115:
	s_or_b32 exec_lo, exec_lo, s8
	v_mov_b32_e32 v4, s22
	v_cmp_lt_u32_e64 s4, 3, v0
	s_clause 0x3
	buffer_load_dword v1, v4, s[0:3], 0 offen
	buffer_load_dword v2, v4, s[0:3], 0 offen offset:4
	buffer_load_dword v3, v4, s[0:3], 0 offen offset:8
	;; [unrolled: 1-line block ×3, first 2 shown]
	s_waitcnt vmcnt(0)
	ds_write_b128 v44, v[1:4]
	s_waitcnt lgkmcnt(0)
	s_waitcnt_vscnt null, 0x0
	s_barrier
	buffer_gl0_inv
	s_and_saveexec_b32 s8, s4
	s_cbranch_execz .LBB82_123
; %bb.116:
	ds_read_b128 v[1:4], v44
	s_andn2_b32 vcc_lo, exec_lo, s25
	s_cbranch_vccnz .LBB82_118
; %bb.117:
	s_clause 0x3
	buffer_load_dword v45, v43, s[0:3], 0 offen offset:8
	buffer_load_dword v46, v43, s[0:3], 0 offen offset:12
	buffer_load_dword v47, v43, s[0:3], 0 offen
	buffer_load_dword v48, v43, s[0:3], 0 offen offset:4
	s_waitcnt vmcnt(2) lgkmcnt(0)
	v_mul_f64 v[50:51], v[3:4], v[45:46]
	v_mul_f64 v[45:46], v[1:2], v[45:46]
	s_waitcnt vmcnt(0)
	v_fma_f64 v[1:2], v[1:2], v[47:48], -v[50:51]
	v_fma_f64 v[3:4], v[3:4], v[47:48], v[45:46]
.LBB82_118:
	s_and_saveexec_b32 s26, s5
	s_cbranch_execz .LBB82_122
; %bb.119:
	v_add_nc_u32_e32 v45, -4, v0
	s_movk_i32 s27, 0x170
	s_mov_b32 s5, 0
	s_mov_b32 s28, s21
	.p2align	6
.LBB82_120:                             ; =>This Inner Loop Header: Depth=1
	v_mov_b32_e32 v48, s28
	v_add_nc_u32_e32 v45, -1, v45
	s_add_i32 s28, s28, 16
	s_clause 0x3
	buffer_load_dword v46, v48, s[0:3], 0 offen offset:8
	buffer_load_dword v47, v48, s[0:3], 0 offen offset:12
	buffer_load_dword v54, v48, s[0:3], 0 offen
	buffer_load_dword v55, v48, s[0:3], 0 offen offset:4
	v_mov_b32_e32 v48, s27
	v_cmp_eq_u32_e32 vcc_lo, 0, v45
	s_add_i32 s27, s27, 16
	ds_read_b128 v[50:53], v48
	s_or_b32 s5, vcc_lo, s5
	s_waitcnt vmcnt(2) lgkmcnt(0)
	v_mul_f64 v[56:57], v[52:53], v[46:47]
	v_mul_f64 v[46:47], v[50:51], v[46:47]
	s_waitcnt vmcnt(0)
	v_fma_f64 v[50:51], v[50:51], v[54:55], -v[56:57]
	v_fma_f64 v[46:47], v[52:53], v[54:55], v[46:47]
	v_add_f64 v[1:2], v[1:2], v[50:51]
	v_add_f64 v[3:4], v[3:4], v[46:47]
	s_andn2_b32 exec_lo, exec_lo, s5
	s_cbranch_execnz .LBB82_120
; %bb.121:
	s_or_b32 exec_lo, exec_lo, s5
.LBB82_122:
	s_or_b32 exec_lo, exec_lo, s26
	v_mov_b32_e32 v45, 0
	ds_read_b128 v[45:48], v45 offset:48
	s_waitcnt lgkmcnt(0)
	v_mul_f64 v[50:51], v[3:4], v[47:48]
	v_mul_f64 v[47:48], v[1:2], v[47:48]
	v_fma_f64 v[1:2], v[1:2], v[45:46], -v[50:51]
	v_fma_f64 v[3:4], v[3:4], v[45:46], v[47:48]
	buffer_store_dword v2, off, s[0:3], 0 offset:52
	buffer_store_dword v1, off, s[0:3], 0 offset:48
	;; [unrolled: 1-line block ×4, first 2 shown]
.LBB82_123:
	s_or_b32 exec_lo, exec_lo, s8
	v_mov_b32_e32 v4, s23
	v_cmp_lt_u32_e64 s5, 2, v0
	s_clause 0x3
	buffer_load_dword v1, v4, s[0:3], 0 offen
	buffer_load_dword v2, v4, s[0:3], 0 offen offset:4
	buffer_load_dword v3, v4, s[0:3], 0 offen offset:8
	;; [unrolled: 1-line block ×3, first 2 shown]
	s_waitcnt vmcnt(0)
	ds_write_b128 v44, v[1:4]
	s_waitcnt lgkmcnt(0)
	s_waitcnt_vscnt null, 0x0
	s_barrier
	buffer_gl0_inv
	s_and_saveexec_b32 s8, s5
	s_cbranch_execz .LBB82_131
; %bb.124:
	ds_read_b128 v[1:4], v44
	s_andn2_b32 vcc_lo, exec_lo, s25
	s_cbranch_vccnz .LBB82_126
; %bb.125:
	s_clause 0x3
	buffer_load_dword v45, v43, s[0:3], 0 offen offset:8
	buffer_load_dword v46, v43, s[0:3], 0 offen offset:12
	buffer_load_dword v47, v43, s[0:3], 0 offen
	buffer_load_dword v48, v43, s[0:3], 0 offen offset:4
	s_waitcnt vmcnt(2) lgkmcnt(0)
	v_mul_f64 v[50:51], v[3:4], v[45:46]
	v_mul_f64 v[45:46], v[1:2], v[45:46]
	s_waitcnt vmcnt(0)
	v_fma_f64 v[1:2], v[1:2], v[47:48], -v[50:51]
	v_fma_f64 v[3:4], v[3:4], v[47:48], v[45:46]
.LBB82_126:
	s_and_saveexec_b32 s26, s4
	s_cbranch_execz .LBB82_130
; %bb.127:
	v_add_nc_u32_e32 v45, -3, v0
	s_movk_i32 s27, 0x160
	s_mov_b32 s4, 0
	s_mov_b32 s28, s22
	.p2align	6
.LBB82_128:                             ; =>This Inner Loop Header: Depth=1
	v_mov_b32_e32 v48, s28
	v_add_nc_u32_e32 v45, -1, v45
	s_add_i32 s28, s28, 16
	s_clause 0x3
	buffer_load_dword v46, v48, s[0:3], 0 offen offset:8
	buffer_load_dword v47, v48, s[0:3], 0 offen offset:12
	buffer_load_dword v54, v48, s[0:3], 0 offen
	buffer_load_dword v55, v48, s[0:3], 0 offen offset:4
	v_mov_b32_e32 v48, s27
	v_cmp_eq_u32_e32 vcc_lo, 0, v45
	s_add_i32 s27, s27, 16
	ds_read_b128 v[50:53], v48
	s_or_b32 s4, vcc_lo, s4
	s_waitcnt vmcnt(2) lgkmcnt(0)
	v_mul_f64 v[56:57], v[52:53], v[46:47]
	v_mul_f64 v[46:47], v[50:51], v[46:47]
	s_waitcnt vmcnt(0)
	v_fma_f64 v[50:51], v[50:51], v[54:55], -v[56:57]
	v_fma_f64 v[46:47], v[52:53], v[54:55], v[46:47]
	v_add_f64 v[1:2], v[1:2], v[50:51]
	v_add_f64 v[3:4], v[3:4], v[46:47]
	s_andn2_b32 exec_lo, exec_lo, s4
	s_cbranch_execnz .LBB82_128
; %bb.129:
	s_or_b32 exec_lo, exec_lo, s4
.LBB82_130:
	s_or_b32 exec_lo, exec_lo, s26
	v_mov_b32_e32 v45, 0
	ds_read_b128 v[45:48], v45 offset:32
	s_waitcnt lgkmcnt(0)
	v_mul_f64 v[50:51], v[3:4], v[47:48]
	v_mul_f64 v[47:48], v[1:2], v[47:48]
	v_fma_f64 v[1:2], v[1:2], v[45:46], -v[50:51]
	v_fma_f64 v[3:4], v[3:4], v[45:46], v[47:48]
	buffer_store_dword v2, off, s[0:3], 0 offset:36
	buffer_store_dword v1, off, s[0:3], 0 offset:32
	;; [unrolled: 1-line block ×4, first 2 shown]
.LBB82_131:
	s_or_b32 exec_lo, exec_lo, s8
	v_mov_b32_e32 v4, s24
	v_cmp_lt_u32_e64 s4, 1, v0
	s_clause 0x3
	buffer_load_dword v1, v4, s[0:3], 0 offen
	buffer_load_dword v2, v4, s[0:3], 0 offen offset:4
	buffer_load_dword v3, v4, s[0:3], 0 offen offset:8
	;; [unrolled: 1-line block ×3, first 2 shown]
	s_waitcnt vmcnt(0)
	ds_write_b128 v44, v[1:4]
	s_waitcnt lgkmcnt(0)
	s_waitcnt_vscnt null, 0x0
	s_barrier
	buffer_gl0_inv
	s_and_saveexec_b32 s8, s4
	s_cbranch_execz .LBB82_139
; %bb.132:
	ds_read_b128 v[1:4], v44
	s_andn2_b32 vcc_lo, exec_lo, s25
	s_cbranch_vccnz .LBB82_134
; %bb.133:
	s_clause 0x3
	buffer_load_dword v45, v43, s[0:3], 0 offen offset:8
	buffer_load_dword v46, v43, s[0:3], 0 offen offset:12
	buffer_load_dword v47, v43, s[0:3], 0 offen
	buffer_load_dword v48, v43, s[0:3], 0 offen offset:4
	s_waitcnt vmcnt(2) lgkmcnt(0)
	v_mul_f64 v[50:51], v[3:4], v[45:46]
	v_mul_f64 v[45:46], v[1:2], v[45:46]
	s_waitcnt vmcnt(0)
	v_fma_f64 v[1:2], v[1:2], v[47:48], -v[50:51]
	v_fma_f64 v[3:4], v[3:4], v[47:48], v[45:46]
.LBB82_134:
	s_and_saveexec_b32 s26, s5
	s_cbranch_execz .LBB82_138
; %bb.135:
	v_add_nc_u32_e32 v45, -2, v0
	s_movk_i32 s27, 0x150
	s_mov_b32 s5, 0
	s_mov_b32 s28, s23
	.p2align	6
.LBB82_136:                             ; =>This Inner Loop Header: Depth=1
	v_mov_b32_e32 v48, s28
	v_add_nc_u32_e32 v45, -1, v45
	s_add_i32 s28, s28, 16
	s_clause 0x3
	buffer_load_dword v46, v48, s[0:3], 0 offen offset:8
	buffer_load_dword v47, v48, s[0:3], 0 offen offset:12
	buffer_load_dword v54, v48, s[0:3], 0 offen
	buffer_load_dword v55, v48, s[0:3], 0 offen offset:4
	v_mov_b32_e32 v48, s27
	v_cmp_eq_u32_e32 vcc_lo, 0, v45
	s_add_i32 s27, s27, 16
	ds_read_b128 v[50:53], v48
	s_or_b32 s5, vcc_lo, s5
	s_waitcnt vmcnt(2) lgkmcnt(0)
	v_mul_f64 v[56:57], v[52:53], v[46:47]
	v_mul_f64 v[46:47], v[50:51], v[46:47]
	s_waitcnt vmcnt(0)
	v_fma_f64 v[50:51], v[50:51], v[54:55], -v[56:57]
	v_fma_f64 v[46:47], v[52:53], v[54:55], v[46:47]
	v_add_f64 v[1:2], v[1:2], v[50:51]
	v_add_f64 v[3:4], v[3:4], v[46:47]
	s_andn2_b32 exec_lo, exec_lo, s5
	s_cbranch_execnz .LBB82_136
; %bb.137:
	s_or_b32 exec_lo, exec_lo, s5
.LBB82_138:
	s_or_b32 exec_lo, exec_lo, s26
	v_mov_b32_e32 v45, 0
	ds_read_b128 v[45:48], v45 offset:16
	s_waitcnt lgkmcnt(0)
	v_mul_f64 v[50:51], v[3:4], v[47:48]
	v_mul_f64 v[47:48], v[1:2], v[47:48]
	v_fma_f64 v[1:2], v[1:2], v[45:46], -v[50:51]
	v_fma_f64 v[3:4], v[3:4], v[45:46], v[47:48]
	buffer_store_dword v2, off, s[0:3], 0 offset:20
	buffer_store_dword v1, off, s[0:3], 0 offset:16
	;; [unrolled: 1-line block ×4, first 2 shown]
.LBB82_139:
	s_or_b32 exec_lo, exec_lo, s8
	s_clause 0x3
	buffer_load_dword v1, off, s[0:3], 0
	buffer_load_dword v2, off, s[0:3], 0 offset:4
	buffer_load_dword v3, off, s[0:3], 0 offset:8
	buffer_load_dword v4, off, s[0:3], 0 offset:12
	s_mov_b32 s8, 0
	s_mov_b32 s5, 0
	s_mov_b32 s26, exec_lo
                                        ; implicit-def: $sgpr27
	s_waitcnt vmcnt(0)
	ds_write_b128 v44, v[1:4]
	s_waitcnt lgkmcnt(0)
	s_waitcnt_vscnt null, 0x0
	s_barrier
	buffer_gl0_inv
                                        ; implicit-def: $vgpr1_vgpr2
	v_cmpx_ne_u32_e32 0, v0
	s_cbranch_execz .LBB82_147
; %bb.140:
	ds_read_b128 v[1:4], v44
	s_andn2_b32 vcc_lo, exec_lo, s25
	s_cbranch_vccnz .LBB82_142
; %bb.141:
	s_clause 0x3
	buffer_load_dword v45, v43, s[0:3], 0 offen offset:8
	buffer_load_dword v46, v43, s[0:3], 0 offen offset:12
	buffer_load_dword v47, v43, s[0:3], 0 offen
	buffer_load_dword v48, v43, s[0:3], 0 offen offset:4
	s_waitcnt vmcnt(2) lgkmcnt(0)
	v_mul_f64 v[50:51], v[3:4], v[45:46]
	v_mul_f64 v[45:46], v[1:2], v[45:46]
	s_waitcnt vmcnt(0)
	v_fma_f64 v[1:2], v[1:2], v[47:48], -v[50:51]
	v_fma_f64 v[3:4], v[3:4], v[47:48], v[45:46]
.LBB82_142:
	s_and_saveexec_b32 s5, s4
	s_cbranch_execz .LBB82_146
; %bb.143:
	v_add_nc_u32_e32 v45, -1, v0
	s_movk_i32 s27, 0x140
	s_mov_b32 s4, 0
	s_mov_b32 s28, s24
	.p2align	6
.LBB82_144:                             ; =>This Inner Loop Header: Depth=1
	v_mov_b32_e32 v48, s28
	v_add_nc_u32_e32 v45, -1, v45
	s_add_i32 s28, s28, 16
	s_clause 0x3
	buffer_load_dword v46, v48, s[0:3], 0 offen offset:8
	buffer_load_dword v47, v48, s[0:3], 0 offen offset:12
	buffer_load_dword v54, v48, s[0:3], 0 offen
	buffer_load_dword v55, v48, s[0:3], 0 offen offset:4
	v_mov_b32_e32 v48, s27
	v_cmp_eq_u32_e32 vcc_lo, 0, v45
	s_add_i32 s27, s27, 16
	ds_read_b128 v[50:53], v48
	s_or_b32 s4, vcc_lo, s4
	s_waitcnt vmcnt(2) lgkmcnt(0)
	v_mul_f64 v[56:57], v[52:53], v[46:47]
	v_mul_f64 v[46:47], v[50:51], v[46:47]
	s_waitcnt vmcnt(0)
	v_fma_f64 v[50:51], v[50:51], v[54:55], -v[56:57]
	v_fma_f64 v[46:47], v[52:53], v[54:55], v[46:47]
	v_add_f64 v[1:2], v[1:2], v[50:51]
	v_add_f64 v[3:4], v[3:4], v[46:47]
	s_andn2_b32 exec_lo, exec_lo, s4
	s_cbranch_execnz .LBB82_144
; %bb.145:
	s_or_b32 exec_lo, exec_lo, s4
.LBB82_146:
	s_or_b32 exec_lo, exec_lo, s5
	v_mov_b32_e32 v45, 0
	s_mov_b32 s5, exec_lo
	s_or_b32 s27, 0, 8
	ds_read_b128 v[45:48], v45
	s_waitcnt lgkmcnt(0)
	v_mul_f64 v[50:51], v[3:4], v[47:48]
	v_mul_f64 v[47:48], v[1:2], v[47:48]
	v_fma_f64 v[50:51], v[1:2], v[45:46], -v[50:51]
	v_fma_f64 v[1:2], v[3:4], v[45:46], v[47:48]
	buffer_store_dword v51, off, s[0:3], 0 offset:4
	buffer_store_dword v50, off, s[0:3], 0
.LBB82_147:
	s_or_b32 exec_lo, exec_lo, s26
	s_and_b32 vcc_lo, exec_lo, s8
	s_cbranch_vccnz .LBB82_149
	s_branch .LBB82_288
.LBB82_148:
	s_mov_b32 s5, 0
                                        ; implicit-def: $vgpr1_vgpr2
                                        ; implicit-def: $sgpr27
	s_cbranch_execz .LBB82_288
.LBB82_149:
	v_mov_b32_e32 v4, s24
	v_cmp_eq_u32_e64 s4, 0, v0
	v_cndmask_b32_e64 v45, 0, 1, s25
	s_clause 0x3
	buffer_load_dword v1, v4, s[0:3], 0 offen
	buffer_load_dword v2, v4, s[0:3], 0 offen offset:4
	buffer_load_dword v3, v4, s[0:3], 0 offen offset:8
	;; [unrolled: 1-line block ×3, first 2 shown]
	s_waitcnt vmcnt(0)
	ds_write_b128 v44, v[1:4]
	s_waitcnt lgkmcnt(0)
	s_waitcnt_vscnt null, 0x0
	s_barrier
	buffer_gl0_inv
	s_and_saveexec_b32 s8, s4
	s_cbranch_execz .LBB82_153
; %bb.150:
	ds_read_b128 v[1:4], v44
	s_andn2_b32 vcc_lo, exec_lo, s25
	s_cbranch_vccnz .LBB82_152
; %bb.151:
	s_clause 0x3
	buffer_load_dword v46, v43, s[0:3], 0 offen offset:8
	buffer_load_dword v47, v43, s[0:3], 0 offen offset:12
	buffer_load_dword v50, v43, s[0:3], 0 offen
	buffer_load_dword v51, v43, s[0:3], 0 offen offset:4
	s_waitcnt vmcnt(2) lgkmcnt(0)
	v_mul_f64 v[52:53], v[3:4], v[46:47]
	v_mul_f64 v[46:47], v[1:2], v[46:47]
	s_waitcnt vmcnt(0)
	v_fma_f64 v[1:2], v[1:2], v[50:51], -v[52:53]
	v_fma_f64 v[3:4], v[3:4], v[50:51], v[46:47]
.LBB82_152:
	v_mov_b32_e32 v46, 0
	ds_read_b128 v[50:53], v46 offset:16
	s_waitcnt lgkmcnt(0)
	v_mul_f64 v[46:47], v[3:4], v[52:53]
	v_mul_f64 v[52:53], v[1:2], v[52:53]
	v_fma_f64 v[1:2], v[1:2], v[50:51], -v[46:47]
	v_fma_f64 v[3:4], v[3:4], v[50:51], v[52:53]
	buffer_store_dword v2, off, s[0:3], 0 offset:20
	buffer_store_dword v1, off, s[0:3], 0 offset:16
	;; [unrolled: 1-line block ×4, first 2 shown]
.LBB82_153:
	s_or_b32 exec_lo, exec_lo, s8
	v_mov_b32_e32 v4, s23
	s_mov_b32 s8, exec_lo
	s_clause 0x3
	buffer_load_dword v1, v4, s[0:3], 0 offen
	buffer_load_dword v2, v4, s[0:3], 0 offen offset:4
	buffer_load_dword v3, v4, s[0:3], 0 offen offset:8
	;; [unrolled: 1-line block ×3, first 2 shown]
	s_waitcnt vmcnt(0)
	ds_write_b128 v44, v[1:4]
	s_waitcnt lgkmcnt(0)
	s_waitcnt_vscnt null, 0x0
	s_barrier
	buffer_gl0_inv
	v_cmpx_gt_u32_e32 2, v0
	s_cbranch_execz .LBB82_159
; %bb.154:
	ds_read_b128 v[1:4], v44
	v_cmp_ne_u32_e32 vcc_lo, 1, v45
	s_cbranch_vccnz .LBB82_156
; %bb.155:
	s_clause 0x3
	buffer_load_dword v46, v43, s[0:3], 0 offen offset:8
	buffer_load_dword v47, v43, s[0:3], 0 offen offset:12
	buffer_load_dword v50, v43, s[0:3], 0 offen
	buffer_load_dword v51, v43, s[0:3], 0 offen offset:4
	s_waitcnt vmcnt(2) lgkmcnt(0)
	v_mul_f64 v[52:53], v[3:4], v[46:47]
	v_mul_f64 v[46:47], v[1:2], v[46:47]
	s_waitcnt vmcnt(0)
	v_fma_f64 v[1:2], v[1:2], v[50:51], -v[52:53]
	v_fma_f64 v[3:4], v[3:4], v[50:51], v[46:47]
.LBB82_156:
	s_and_saveexec_b32 s25, s4
	s_cbranch_execz .LBB82_158
; %bb.157:
	s_clause 0x3
	buffer_load_dword v46, off, s[0:3], 0 offset:24
	buffer_load_dword v47, off, s[0:3], 0 offset:28
	;; [unrolled: 1-line block ×4, first 2 shown]
	v_mov_b32_e32 v48, 0
	ds_read_b128 v[50:53], v48 offset:320
	s_waitcnt vmcnt(2) lgkmcnt(0)
	v_mul_f64 v[56:57], v[52:53], v[46:47]
	v_mul_f64 v[46:47], v[50:51], v[46:47]
	s_waitcnt vmcnt(0)
	v_fma_f64 v[50:51], v[50:51], v[54:55], -v[56:57]
	v_fma_f64 v[46:47], v[52:53], v[54:55], v[46:47]
	v_add_f64 v[1:2], v[1:2], v[50:51]
	v_add_f64 v[3:4], v[3:4], v[46:47]
.LBB82_158:
	s_or_b32 exec_lo, exec_lo, s25
	v_mov_b32_e32 v46, 0
	ds_read_b128 v[50:53], v46 offset:32
	s_waitcnt lgkmcnt(0)
	v_mul_f64 v[46:47], v[3:4], v[52:53]
	v_mul_f64 v[52:53], v[1:2], v[52:53]
	v_fma_f64 v[1:2], v[1:2], v[50:51], -v[46:47]
	v_fma_f64 v[3:4], v[3:4], v[50:51], v[52:53]
	buffer_store_dword v2, off, s[0:3], 0 offset:36
	buffer_store_dword v1, off, s[0:3], 0 offset:32
	;; [unrolled: 1-line block ×4, first 2 shown]
.LBB82_159:
	s_or_b32 exec_lo, exec_lo, s8
	v_mov_b32_e32 v4, s22
	s_mov_b32 s8, exec_lo
	s_clause 0x3
	buffer_load_dword v1, v4, s[0:3], 0 offen
	buffer_load_dword v2, v4, s[0:3], 0 offen offset:4
	buffer_load_dword v3, v4, s[0:3], 0 offen offset:8
	;; [unrolled: 1-line block ×3, first 2 shown]
	s_waitcnt vmcnt(0)
	ds_write_b128 v44, v[1:4]
	s_waitcnt lgkmcnt(0)
	s_waitcnt_vscnt null, 0x0
	s_barrier
	buffer_gl0_inv
	v_cmpx_gt_u32_e32 3, v0
	s_cbranch_execz .LBB82_167
; %bb.160:
	ds_read_b128 v[1:4], v44
	v_cmp_ne_u32_e32 vcc_lo, 1, v45
	s_cbranch_vccnz .LBB82_162
; %bb.161:
	s_clause 0x3
	buffer_load_dword v46, v43, s[0:3], 0 offen offset:8
	buffer_load_dword v47, v43, s[0:3], 0 offen offset:12
	buffer_load_dword v50, v43, s[0:3], 0 offen
	buffer_load_dword v51, v43, s[0:3], 0 offen offset:4
	s_waitcnt vmcnt(2) lgkmcnt(0)
	v_mul_f64 v[52:53], v[3:4], v[46:47]
	v_mul_f64 v[46:47], v[1:2], v[46:47]
	s_waitcnt vmcnt(0)
	v_fma_f64 v[1:2], v[1:2], v[50:51], -v[52:53]
	v_fma_f64 v[3:4], v[3:4], v[50:51], v[46:47]
.LBB82_162:
	s_mov_b32 s25, exec_lo
	v_cmpx_ne_u32_e32 2, v0
	s_cbranch_execz .LBB82_166
; %bb.163:
	s_clause 0x3
	buffer_load_dword v46, v43, s[0:3], 0 offen offset:24
	buffer_load_dword v47, v43, s[0:3], 0 offen offset:28
	;; [unrolled: 1-line block ×4, first 2 shown]
	ds_read_b128 v[50:53], v44 offset:16
	s_waitcnt vmcnt(2) lgkmcnt(0)
	v_mul_f64 v[56:57], v[52:53], v[46:47]
	v_mul_f64 v[46:47], v[50:51], v[46:47]
	s_waitcnt vmcnt(0)
	v_fma_f64 v[50:51], v[50:51], v[54:55], -v[56:57]
	v_fma_f64 v[46:47], v[52:53], v[54:55], v[46:47]
	v_add_f64 v[1:2], v[1:2], v[50:51]
	v_add_f64 v[3:4], v[3:4], v[46:47]
	s_and_saveexec_b32 s26, s4
	s_cbranch_execz .LBB82_165
; %bb.164:
	s_clause 0x3
	buffer_load_dword v46, off, s[0:3], 0 offset:40
	buffer_load_dword v47, off, s[0:3], 0 offset:44
	;; [unrolled: 1-line block ×4, first 2 shown]
	v_mov_b32_e32 v48, 0
	ds_read_b128 v[50:53], v48 offset:336
	s_waitcnt vmcnt(2) lgkmcnt(0)
	v_mul_f64 v[56:57], v[50:51], v[46:47]
	v_mul_f64 v[46:47], v[52:53], v[46:47]
	s_waitcnt vmcnt(0)
	v_fma_f64 v[52:53], v[52:53], v[54:55], v[56:57]
	v_fma_f64 v[46:47], v[50:51], v[54:55], -v[46:47]
	v_add_f64 v[3:4], v[3:4], v[52:53]
	v_add_f64 v[1:2], v[1:2], v[46:47]
.LBB82_165:
	s_or_b32 exec_lo, exec_lo, s26
.LBB82_166:
	s_or_b32 exec_lo, exec_lo, s25
	v_mov_b32_e32 v46, 0
	ds_read_b128 v[50:53], v46 offset:48
	s_waitcnt lgkmcnt(0)
	v_mul_f64 v[46:47], v[3:4], v[52:53]
	v_mul_f64 v[52:53], v[1:2], v[52:53]
	v_fma_f64 v[1:2], v[1:2], v[50:51], -v[46:47]
	v_fma_f64 v[3:4], v[3:4], v[50:51], v[52:53]
	buffer_store_dword v2, off, s[0:3], 0 offset:52
	buffer_store_dword v1, off, s[0:3], 0 offset:48
	;; [unrolled: 1-line block ×4, first 2 shown]
.LBB82_167:
	s_or_b32 exec_lo, exec_lo, s8
	v_mov_b32_e32 v4, s21
	s_mov_b32 s4, exec_lo
	s_clause 0x3
	buffer_load_dword v1, v4, s[0:3], 0 offen
	buffer_load_dword v2, v4, s[0:3], 0 offen offset:4
	buffer_load_dword v3, v4, s[0:3], 0 offen offset:8
	;; [unrolled: 1-line block ×3, first 2 shown]
	s_waitcnt vmcnt(0)
	ds_write_b128 v44, v[1:4]
	s_waitcnt lgkmcnt(0)
	s_waitcnt_vscnt null, 0x0
	s_barrier
	buffer_gl0_inv
	v_cmpx_gt_u32_e32 4, v0
	s_cbranch_execz .LBB82_175
; %bb.168:
	ds_read_b128 v[1:4], v44
	v_cmp_ne_u32_e32 vcc_lo, 1, v45
	s_cbranch_vccnz .LBB82_170
; %bb.169:
	s_clause 0x3
	buffer_load_dword v46, v43, s[0:3], 0 offen offset:8
	buffer_load_dword v47, v43, s[0:3], 0 offen offset:12
	buffer_load_dword v50, v43, s[0:3], 0 offen
	buffer_load_dword v51, v43, s[0:3], 0 offen offset:4
	s_waitcnt vmcnt(2) lgkmcnt(0)
	v_mul_f64 v[52:53], v[3:4], v[46:47]
	v_mul_f64 v[46:47], v[1:2], v[46:47]
	s_waitcnt vmcnt(0)
	v_fma_f64 v[1:2], v[1:2], v[50:51], -v[52:53]
	v_fma_f64 v[3:4], v[3:4], v[50:51], v[46:47]
.LBB82_170:
	s_mov_b32 s8, exec_lo
	v_cmpx_ne_u32_e32 3, v0
	s_cbranch_execz .LBB82_174
; %bb.171:
	v_add_nc_u32_e32 v46, 0x140, v49
	v_add3_u32 v47, 0, v49, 16
	v_mov_b32_e32 v48, v0
	s_mov_b32 s25, 0
	.p2align	6
.LBB82_172:                             ; =>This Inner Loop Header: Depth=1
	s_clause 0x3
	buffer_load_dword v54, v47, s[0:3], 0 offen offset:8
	buffer_load_dword v55, v47, s[0:3], 0 offen offset:12
	buffer_load_dword v56, v47, s[0:3], 0 offen
	buffer_load_dword v57, v47, s[0:3], 0 offen offset:4
	ds_read_b128 v[50:53], v46
	v_add_nc_u32_e32 v48, 1, v48
	v_add_nc_u32_e32 v46, 16, v46
	;; [unrolled: 1-line block ×3, first 2 shown]
	v_cmp_lt_u32_e32 vcc_lo, 2, v48
	s_or_b32 s25, vcc_lo, s25
	s_waitcnt vmcnt(2) lgkmcnt(0)
	v_mul_f64 v[58:59], v[52:53], v[54:55]
	v_mul_f64 v[54:55], v[50:51], v[54:55]
	s_waitcnt vmcnt(0)
	v_fma_f64 v[50:51], v[50:51], v[56:57], -v[58:59]
	v_fma_f64 v[52:53], v[52:53], v[56:57], v[54:55]
	v_add_f64 v[1:2], v[1:2], v[50:51]
	v_add_f64 v[3:4], v[3:4], v[52:53]
	s_andn2_b32 exec_lo, exec_lo, s25
	s_cbranch_execnz .LBB82_172
; %bb.173:
	s_or_b32 exec_lo, exec_lo, s25
.LBB82_174:
	s_or_b32 exec_lo, exec_lo, s8
	v_mov_b32_e32 v46, 0
	ds_read_b128 v[50:53], v46 offset:64
	s_waitcnt lgkmcnt(0)
	v_mul_f64 v[46:47], v[3:4], v[52:53]
	v_mul_f64 v[52:53], v[1:2], v[52:53]
	v_fma_f64 v[1:2], v[1:2], v[50:51], -v[46:47]
	v_fma_f64 v[3:4], v[3:4], v[50:51], v[52:53]
	buffer_store_dword v2, off, s[0:3], 0 offset:68
	buffer_store_dword v1, off, s[0:3], 0 offset:64
	;; [unrolled: 1-line block ×4, first 2 shown]
.LBB82_175:
	s_or_b32 exec_lo, exec_lo, s4
	v_mov_b32_e32 v4, s20
	s_mov_b32 s4, exec_lo
	s_clause 0x3
	buffer_load_dword v1, v4, s[0:3], 0 offen
	buffer_load_dword v2, v4, s[0:3], 0 offen offset:4
	buffer_load_dword v3, v4, s[0:3], 0 offen offset:8
	buffer_load_dword v4, v4, s[0:3], 0 offen offset:12
	s_waitcnt vmcnt(0)
	ds_write_b128 v44, v[1:4]
	s_waitcnt lgkmcnt(0)
	s_waitcnt_vscnt null, 0x0
	s_barrier
	buffer_gl0_inv
	v_cmpx_gt_u32_e32 5, v0
	s_cbranch_execz .LBB82_183
; %bb.176:
	ds_read_b128 v[1:4], v44
	v_cmp_ne_u32_e32 vcc_lo, 1, v45
	s_cbranch_vccnz .LBB82_178
; %bb.177:
	s_clause 0x3
	buffer_load_dword v46, v43, s[0:3], 0 offen offset:8
	buffer_load_dword v47, v43, s[0:3], 0 offen offset:12
	buffer_load_dword v50, v43, s[0:3], 0 offen
	buffer_load_dword v51, v43, s[0:3], 0 offen offset:4
	s_waitcnt vmcnt(2) lgkmcnt(0)
	v_mul_f64 v[52:53], v[3:4], v[46:47]
	v_mul_f64 v[46:47], v[1:2], v[46:47]
	s_waitcnt vmcnt(0)
	v_fma_f64 v[1:2], v[1:2], v[50:51], -v[52:53]
	v_fma_f64 v[3:4], v[3:4], v[50:51], v[46:47]
.LBB82_178:
	s_mov_b32 s8, exec_lo
	v_cmpx_ne_u32_e32 4, v0
	s_cbranch_execz .LBB82_182
; %bb.179:
	v_add_nc_u32_e32 v46, 0x140, v49
	v_add3_u32 v47, 0, v49, 16
	v_mov_b32_e32 v48, v0
	s_mov_b32 s25, 0
	.p2align	6
.LBB82_180:                             ; =>This Inner Loop Header: Depth=1
	s_clause 0x3
	buffer_load_dword v54, v47, s[0:3], 0 offen offset:8
	buffer_load_dword v55, v47, s[0:3], 0 offen offset:12
	buffer_load_dword v56, v47, s[0:3], 0 offen
	buffer_load_dword v57, v47, s[0:3], 0 offen offset:4
	ds_read_b128 v[50:53], v46
	v_add_nc_u32_e32 v48, 1, v48
	v_add_nc_u32_e32 v46, 16, v46
	;; [unrolled: 1-line block ×3, first 2 shown]
	v_cmp_lt_u32_e32 vcc_lo, 3, v48
	s_or_b32 s25, vcc_lo, s25
	s_waitcnt vmcnt(2) lgkmcnt(0)
	v_mul_f64 v[58:59], v[52:53], v[54:55]
	v_mul_f64 v[54:55], v[50:51], v[54:55]
	s_waitcnt vmcnt(0)
	v_fma_f64 v[50:51], v[50:51], v[56:57], -v[58:59]
	v_fma_f64 v[52:53], v[52:53], v[56:57], v[54:55]
	v_add_f64 v[1:2], v[1:2], v[50:51]
	v_add_f64 v[3:4], v[3:4], v[52:53]
	s_andn2_b32 exec_lo, exec_lo, s25
	s_cbranch_execnz .LBB82_180
; %bb.181:
	s_or_b32 exec_lo, exec_lo, s25
.LBB82_182:
	s_or_b32 exec_lo, exec_lo, s8
	v_mov_b32_e32 v46, 0
	ds_read_b128 v[50:53], v46 offset:80
	s_waitcnt lgkmcnt(0)
	v_mul_f64 v[46:47], v[3:4], v[52:53]
	v_mul_f64 v[52:53], v[1:2], v[52:53]
	v_fma_f64 v[1:2], v[1:2], v[50:51], -v[46:47]
	v_fma_f64 v[3:4], v[3:4], v[50:51], v[52:53]
	buffer_store_dword v2, off, s[0:3], 0 offset:84
	buffer_store_dword v1, off, s[0:3], 0 offset:80
	;; [unrolled: 1-line block ×4, first 2 shown]
.LBB82_183:
	s_or_b32 exec_lo, exec_lo, s4
	v_mov_b32_e32 v4, s19
	s_mov_b32 s4, exec_lo
	s_clause 0x3
	buffer_load_dword v1, v4, s[0:3], 0 offen
	buffer_load_dword v2, v4, s[0:3], 0 offen offset:4
	buffer_load_dword v3, v4, s[0:3], 0 offen offset:8
	;; [unrolled: 1-line block ×3, first 2 shown]
	s_waitcnt vmcnt(0)
	ds_write_b128 v44, v[1:4]
	s_waitcnt lgkmcnt(0)
	s_waitcnt_vscnt null, 0x0
	s_barrier
	buffer_gl0_inv
	v_cmpx_gt_u32_e32 6, v0
	s_cbranch_execz .LBB82_191
; %bb.184:
	ds_read_b128 v[1:4], v44
	v_cmp_ne_u32_e32 vcc_lo, 1, v45
	s_cbranch_vccnz .LBB82_186
; %bb.185:
	s_clause 0x3
	buffer_load_dword v46, v43, s[0:3], 0 offen offset:8
	buffer_load_dword v47, v43, s[0:3], 0 offen offset:12
	buffer_load_dword v50, v43, s[0:3], 0 offen
	buffer_load_dword v51, v43, s[0:3], 0 offen offset:4
	s_waitcnt vmcnt(2) lgkmcnt(0)
	v_mul_f64 v[52:53], v[3:4], v[46:47]
	v_mul_f64 v[46:47], v[1:2], v[46:47]
	s_waitcnt vmcnt(0)
	v_fma_f64 v[1:2], v[1:2], v[50:51], -v[52:53]
	v_fma_f64 v[3:4], v[3:4], v[50:51], v[46:47]
.LBB82_186:
	s_mov_b32 s8, exec_lo
	v_cmpx_ne_u32_e32 5, v0
	s_cbranch_execz .LBB82_190
; %bb.187:
	v_add_nc_u32_e32 v46, 0x140, v49
	v_add3_u32 v47, 0, v49, 16
	v_mov_b32_e32 v48, v0
	s_mov_b32 s25, 0
	.p2align	6
.LBB82_188:                             ; =>This Inner Loop Header: Depth=1
	s_clause 0x3
	buffer_load_dword v54, v47, s[0:3], 0 offen offset:8
	buffer_load_dword v55, v47, s[0:3], 0 offen offset:12
	buffer_load_dword v56, v47, s[0:3], 0 offen
	buffer_load_dword v57, v47, s[0:3], 0 offen offset:4
	ds_read_b128 v[50:53], v46
	v_add_nc_u32_e32 v48, 1, v48
	v_add_nc_u32_e32 v46, 16, v46
	;; [unrolled: 1-line block ×3, first 2 shown]
	v_cmp_lt_u32_e32 vcc_lo, 4, v48
	s_or_b32 s25, vcc_lo, s25
	s_waitcnt vmcnt(2) lgkmcnt(0)
	v_mul_f64 v[58:59], v[52:53], v[54:55]
	v_mul_f64 v[54:55], v[50:51], v[54:55]
	s_waitcnt vmcnt(0)
	v_fma_f64 v[50:51], v[50:51], v[56:57], -v[58:59]
	v_fma_f64 v[52:53], v[52:53], v[56:57], v[54:55]
	v_add_f64 v[1:2], v[1:2], v[50:51]
	v_add_f64 v[3:4], v[3:4], v[52:53]
	s_andn2_b32 exec_lo, exec_lo, s25
	s_cbranch_execnz .LBB82_188
; %bb.189:
	s_or_b32 exec_lo, exec_lo, s25
.LBB82_190:
	s_or_b32 exec_lo, exec_lo, s8
	v_mov_b32_e32 v46, 0
	ds_read_b128 v[50:53], v46 offset:96
	s_waitcnt lgkmcnt(0)
	v_mul_f64 v[46:47], v[3:4], v[52:53]
	v_mul_f64 v[52:53], v[1:2], v[52:53]
	v_fma_f64 v[1:2], v[1:2], v[50:51], -v[46:47]
	v_fma_f64 v[3:4], v[3:4], v[50:51], v[52:53]
	buffer_store_dword v2, off, s[0:3], 0 offset:100
	buffer_store_dword v1, off, s[0:3], 0 offset:96
	;; [unrolled: 1-line block ×4, first 2 shown]
.LBB82_191:
	s_or_b32 exec_lo, exec_lo, s4
	v_mov_b32_e32 v4, s18
	s_mov_b32 s4, exec_lo
	s_clause 0x3
	buffer_load_dword v1, v4, s[0:3], 0 offen
	buffer_load_dword v2, v4, s[0:3], 0 offen offset:4
	buffer_load_dword v3, v4, s[0:3], 0 offen offset:8
	;; [unrolled: 1-line block ×3, first 2 shown]
	s_waitcnt vmcnt(0)
	ds_write_b128 v44, v[1:4]
	s_waitcnt lgkmcnt(0)
	s_waitcnt_vscnt null, 0x0
	s_barrier
	buffer_gl0_inv
	v_cmpx_gt_u32_e32 7, v0
	s_cbranch_execz .LBB82_199
; %bb.192:
	ds_read_b128 v[1:4], v44
	v_cmp_ne_u32_e32 vcc_lo, 1, v45
	s_cbranch_vccnz .LBB82_194
; %bb.193:
	s_clause 0x3
	buffer_load_dword v46, v43, s[0:3], 0 offen offset:8
	buffer_load_dword v47, v43, s[0:3], 0 offen offset:12
	buffer_load_dword v50, v43, s[0:3], 0 offen
	buffer_load_dword v51, v43, s[0:3], 0 offen offset:4
	s_waitcnt vmcnt(2) lgkmcnt(0)
	v_mul_f64 v[52:53], v[3:4], v[46:47]
	v_mul_f64 v[46:47], v[1:2], v[46:47]
	s_waitcnt vmcnt(0)
	v_fma_f64 v[1:2], v[1:2], v[50:51], -v[52:53]
	v_fma_f64 v[3:4], v[3:4], v[50:51], v[46:47]
.LBB82_194:
	s_mov_b32 s8, exec_lo
	v_cmpx_ne_u32_e32 6, v0
	s_cbranch_execz .LBB82_198
; %bb.195:
	v_add_nc_u32_e32 v46, 0x140, v49
	v_add3_u32 v47, 0, v49, 16
	v_mov_b32_e32 v48, v0
	s_mov_b32 s25, 0
	.p2align	6
.LBB82_196:                             ; =>This Inner Loop Header: Depth=1
	s_clause 0x3
	buffer_load_dword v54, v47, s[0:3], 0 offen offset:8
	buffer_load_dword v55, v47, s[0:3], 0 offen offset:12
	buffer_load_dword v56, v47, s[0:3], 0 offen
	buffer_load_dword v57, v47, s[0:3], 0 offen offset:4
	ds_read_b128 v[50:53], v46
	v_add_nc_u32_e32 v48, 1, v48
	v_add_nc_u32_e32 v46, 16, v46
	v_add_nc_u32_e32 v47, 16, v47
	v_cmp_lt_u32_e32 vcc_lo, 5, v48
	s_or_b32 s25, vcc_lo, s25
	s_waitcnt vmcnt(2) lgkmcnt(0)
	v_mul_f64 v[58:59], v[52:53], v[54:55]
	v_mul_f64 v[54:55], v[50:51], v[54:55]
	s_waitcnt vmcnt(0)
	v_fma_f64 v[50:51], v[50:51], v[56:57], -v[58:59]
	v_fma_f64 v[52:53], v[52:53], v[56:57], v[54:55]
	v_add_f64 v[1:2], v[1:2], v[50:51]
	v_add_f64 v[3:4], v[3:4], v[52:53]
	s_andn2_b32 exec_lo, exec_lo, s25
	s_cbranch_execnz .LBB82_196
; %bb.197:
	s_or_b32 exec_lo, exec_lo, s25
.LBB82_198:
	s_or_b32 exec_lo, exec_lo, s8
	v_mov_b32_e32 v46, 0
	ds_read_b128 v[50:53], v46 offset:112
	s_waitcnt lgkmcnt(0)
	v_mul_f64 v[46:47], v[3:4], v[52:53]
	v_mul_f64 v[52:53], v[1:2], v[52:53]
	v_fma_f64 v[1:2], v[1:2], v[50:51], -v[46:47]
	v_fma_f64 v[3:4], v[3:4], v[50:51], v[52:53]
	buffer_store_dword v2, off, s[0:3], 0 offset:116
	buffer_store_dword v1, off, s[0:3], 0 offset:112
	;; [unrolled: 1-line block ×4, first 2 shown]
.LBB82_199:
	s_or_b32 exec_lo, exec_lo, s4
	v_mov_b32_e32 v4, s17
	s_mov_b32 s4, exec_lo
	s_clause 0x3
	buffer_load_dword v1, v4, s[0:3], 0 offen
	buffer_load_dword v2, v4, s[0:3], 0 offen offset:4
	buffer_load_dword v3, v4, s[0:3], 0 offen offset:8
	;; [unrolled: 1-line block ×3, first 2 shown]
	s_waitcnt vmcnt(0)
	ds_write_b128 v44, v[1:4]
	s_waitcnt lgkmcnt(0)
	s_waitcnt_vscnt null, 0x0
	s_barrier
	buffer_gl0_inv
	v_cmpx_gt_u32_e32 8, v0
	s_cbranch_execz .LBB82_207
; %bb.200:
	ds_read_b128 v[1:4], v44
	v_cmp_ne_u32_e32 vcc_lo, 1, v45
	s_cbranch_vccnz .LBB82_202
; %bb.201:
	s_clause 0x3
	buffer_load_dword v46, v43, s[0:3], 0 offen offset:8
	buffer_load_dword v47, v43, s[0:3], 0 offen offset:12
	buffer_load_dword v50, v43, s[0:3], 0 offen
	buffer_load_dword v51, v43, s[0:3], 0 offen offset:4
	s_waitcnt vmcnt(2) lgkmcnt(0)
	v_mul_f64 v[52:53], v[3:4], v[46:47]
	v_mul_f64 v[46:47], v[1:2], v[46:47]
	s_waitcnt vmcnt(0)
	v_fma_f64 v[1:2], v[1:2], v[50:51], -v[52:53]
	v_fma_f64 v[3:4], v[3:4], v[50:51], v[46:47]
.LBB82_202:
	s_mov_b32 s8, exec_lo
	v_cmpx_ne_u32_e32 7, v0
	s_cbranch_execz .LBB82_206
; %bb.203:
	v_add_nc_u32_e32 v46, 0x140, v49
	v_add3_u32 v47, 0, v49, 16
	v_mov_b32_e32 v48, v0
	s_mov_b32 s25, 0
	.p2align	6
.LBB82_204:                             ; =>This Inner Loop Header: Depth=1
	s_clause 0x3
	buffer_load_dword v54, v47, s[0:3], 0 offen offset:8
	buffer_load_dword v55, v47, s[0:3], 0 offen offset:12
	buffer_load_dword v56, v47, s[0:3], 0 offen
	buffer_load_dword v57, v47, s[0:3], 0 offen offset:4
	ds_read_b128 v[50:53], v46
	v_add_nc_u32_e32 v48, 1, v48
	v_add_nc_u32_e32 v46, 16, v46
	v_add_nc_u32_e32 v47, 16, v47
	v_cmp_lt_u32_e32 vcc_lo, 6, v48
	s_or_b32 s25, vcc_lo, s25
	s_waitcnt vmcnt(2) lgkmcnt(0)
	v_mul_f64 v[58:59], v[52:53], v[54:55]
	v_mul_f64 v[54:55], v[50:51], v[54:55]
	s_waitcnt vmcnt(0)
	v_fma_f64 v[50:51], v[50:51], v[56:57], -v[58:59]
	v_fma_f64 v[52:53], v[52:53], v[56:57], v[54:55]
	v_add_f64 v[1:2], v[1:2], v[50:51]
	v_add_f64 v[3:4], v[3:4], v[52:53]
	s_andn2_b32 exec_lo, exec_lo, s25
	s_cbranch_execnz .LBB82_204
; %bb.205:
	s_or_b32 exec_lo, exec_lo, s25
.LBB82_206:
	s_or_b32 exec_lo, exec_lo, s8
	v_mov_b32_e32 v46, 0
	ds_read_b128 v[50:53], v46 offset:128
	s_waitcnt lgkmcnt(0)
	v_mul_f64 v[46:47], v[3:4], v[52:53]
	v_mul_f64 v[52:53], v[1:2], v[52:53]
	v_fma_f64 v[1:2], v[1:2], v[50:51], -v[46:47]
	v_fma_f64 v[3:4], v[3:4], v[50:51], v[52:53]
	buffer_store_dword v2, off, s[0:3], 0 offset:132
	buffer_store_dword v1, off, s[0:3], 0 offset:128
	;; [unrolled: 1-line block ×4, first 2 shown]
.LBB82_207:
	s_or_b32 exec_lo, exec_lo, s4
	v_mov_b32_e32 v4, s16
	s_mov_b32 s4, exec_lo
	s_clause 0x3
	buffer_load_dword v1, v4, s[0:3], 0 offen
	buffer_load_dword v2, v4, s[0:3], 0 offen offset:4
	buffer_load_dword v3, v4, s[0:3], 0 offen offset:8
	;; [unrolled: 1-line block ×3, first 2 shown]
	s_waitcnt vmcnt(0)
	ds_write_b128 v44, v[1:4]
	s_waitcnt lgkmcnt(0)
	s_waitcnt_vscnt null, 0x0
	s_barrier
	buffer_gl0_inv
	v_cmpx_gt_u32_e32 9, v0
	s_cbranch_execz .LBB82_215
; %bb.208:
	ds_read_b128 v[1:4], v44
	v_cmp_ne_u32_e32 vcc_lo, 1, v45
	s_cbranch_vccnz .LBB82_210
; %bb.209:
	s_clause 0x3
	buffer_load_dword v46, v43, s[0:3], 0 offen offset:8
	buffer_load_dword v47, v43, s[0:3], 0 offen offset:12
	buffer_load_dword v50, v43, s[0:3], 0 offen
	buffer_load_dword v51, v43, s[0:3], 0 offen offset:4
	s_waitcnt vmcnt(2) lgkmcnt(0)
	v_mul_f64 v[52:53], v[3:4], v[46:47]
	v_mul_f64 v[46:47], v[1:2], v[46:47]
	s_waitcnt vmcnt(0)
	v_fma_f64 v[1:2], v[1:2], v[50:51], -v[52:53]
	v_fma_f64 v[3:4], v[3:4], v[50:51], v[46:47]
.LBB82_210:
	s_mov_b32 s8, exec_lo
	v_cmpx_ne_u32_e32 8, v0
	s_cbranch_execz .LBB82_214
; %bb.211:
	v_add_nc_u32_e32 v46, 0x140, v49
	v_add3_u32 v47, 0, v49, 16
	v_mov_b32_e32 v48, v0
	s_mov_b32 s25, 0
	.p2align	6
.LBB82_212:                             ; =>This Inner Loop Header: Depth=1
	s_clause 0x3
	buffer_load_dword v54, v47, s[0:3], 0 offen offset:8
	buffer_load_dword v55, v47, s[0:3], 0 offen offset:12
	buffer_load_dword v56, v47, s[0:3], 0 offen
	buffer_load_dword v57, v47, s[0:3], 0 offen offset:4
	ds_read_b128 v[50:53], v46
	v_add_nc_u32_e32 v48, 1, v48
	v_add_nc_u32_e32 v46, 16, v46
	;; [unrolled: 1-line block ×3, first 2 shown]
	v_cmp_lt_u32_e32 vcc_lo, 7, v48
	s_or_b32 s25, vcc_lo, s25
	s_waitcnt vmcnt(2) lgkmcnt(0)
	v_mul_f64 v[58:59], v[52:53], v[54:55]
	v_mul_f64 v[54:55], v[50:51], v[54:55]
	s_waitcnt vmcnt(0)
	v_fma_f64 v[50:51], v[50:51], v[56:57], -v[58:59]
	v_fma_f64 v[52:53], v[52:53], v[56:57], v[54:55]
	v_add_f64 v[1:2], v[1:2], v[50:51]
	v_add_f64 v[3:4], v[3:4], v[52:53]
	s_andn2_b32 exec_lo, exec_lo, s25
	s_cbranch_execnz .LBB82_212
; %bb.213:
	s_or_b32 exec_lo, exec_lo, s25
.LBB82_214:
	s_or_b32 exec_lo, exec_lo, s8
	v_mov_b32_e32 v46, 0
	ds_read_b128 v[50:53], v46 offset:144
	s_waitcnt lgkmcnt(0)
	v_mul_f64 v[46:47], v[3:4], v[52:53]
	v_mul_f64 v[52:53], v[1:2], v[52:53]
	v_fma_f64 v[1:2], v[1:2], v[50:51], -v[46:47]
	v_fma_f64 v[3:4], v[3:4], v[50:51], v[52:53]
	buffer_store_dword v2, off, s[0:3], 0 offset:148
	buffer_store_dword v1, off, s[0:3], 0 offset:144
	;; [unrolled: 1-line block ×4, first 2 shown]
.LBB82_215:
	s_or_b32 exec_lo, exec_lo, s4
	v_mov_b32_e32 v4, s15
	s_mov_b32 s4, exec_lo
	s_clause 0x3
	buffer_load_dword v1, v4, s[0:3], 0 offen
	buffer_load_dword v2, v4, s[0:3], 0 offen offset:4
	buffer_load_dword v3, v4, s[0:3], 0 offen offset:8
	;; [unrolled: 1-line block ×3, first 2 shown]
	s_waitcnt vmcnt(0)
	ds_write_b128 v44, v[1:4]
	s_waitcnt lgkmcnt(0)
	s_waitcnt_vscnt null, 0x0
	s_barrier
	buffer_gl0_inv
	v_cmpx_gt_u32_e32 10, v0
	s_cbranch_execz .LBB82_223
; %bb.216:
	ds_read_b128 v[1:4], v44
	v_cmp_ne_u32_e32 vcc_lo, 1, v45
	s_cbranch_vccnz .LBB82_218
; %bb.217:
	s_clause 0x3
	buffer_load_dword v46, v43, s[0:3], 0 offen offset:8
	buffer_load_dword v47, v43, s[0:3], 0 offen offset:12
	buffer_load_dword v50, v43, s[0:3], 0 offen
	buffer_load_dword v51, v43, s[0:3], 0 offen offset:4
	s_waitcnt vmcnt(2) lgkmcnt(0)
	v_mul_f64 v[52:53], v[3:4], v[46:47]
	v_mul_f64 v[46:47], v[1:2], v[46:47]
	s_waitcnt vmcnt(0)
	v_fma_f64 v[1:2], v[1:2], v[50:51], -v[52:53]
	v_fma_f64 v[3:4], v[3:4], v[50:51], v[46:47]
.LBB82_218:
	s_mov_b32 s8, exec_lo
	v_cmpx_ne_u32_e32 9, v0
	s_cbranch_execz .LBB82_222
; %bb.219:
	v_add_nc_u32_e32 v46, 0x140, v49
	v_add3_u32 v47, 0, v49, 16
	v_mov_b32_e32 v48, v0
	s_mov_b32 s25, 0
	.p2align	6
.LBB82_220:                             ; =>This Inner Loop Header: Depth=1
	s_clause 0x3
	buffer_load_dword v54, v47, s[0:3], 0 offen offset:8
	buffer_load_dword v55, v47, s[0:3], 0 offen offset:12
	buffer_load_dword v56, v47, s[0:3], 0 offen
	buffer_load_dword v57, v47, s[0:3], 0 offen offset:4
	ds_read_b128 v[50:53], v46
	v_add_nc_u32_e32 v48, 1, v48
	v_add_nc_u32_e32 v46, 16, v46
	;; [unrolled: 1-line block ×3, first 2 shown]
	v_cmp_lt_u32_e32 vcc_lo, 8, v48
	s_or_b32 s25, vcc_lo, s25
	s_waitcnt vmcnt(2) lgkmcnt(0)
	v_mul_f64 v[58:59], v[52:53], v[54:55]
	v_mul_f64 v[54:55], v[50:51], v[54:55]
	s_waitcnt vmcnt(0)
	v_fma_f64 v[50:51], v[50:51], v[56:57], -v[58:59]
	v_fma_f64 v[52:53], v[52:53], v[56:57], v[54:55]
	v_add_f64 v[1:2], v[1:2], v[50:51]
	v_add_f64 v[3:4], v[3:4], v[52:53]
	s_andn2_b32 exec_lo, exec_lo, s25
	s_cbranch_execnz .LBB82_220
; %bb.221:
	s_or_b32 exec_lo, exec_lo, s25
.LBB82_222:
	s_or_b32 exec_lo, exec_lo, s8
	v_mov_b32_e32 v46, 0
	ds_read_b128 v[50:53], v46 offset:160
	s_waitcnt lgkmcnt(0)
	v_mul_f64 v[46:47], v[3:4], v[52:53]
	v_mul_f64 v[52:53], v[1:2], v[52:53]
	v_fma_f64 v[1:2], v[1:2], v[50:51], -v[46:47]
	v_fma_f64 v[3:4], v[3:4], v[50:51], v[52:53]
	buffer_store_dword v2, off, s[0:3], 0 offset:164
	buffer_store_dword v1, off, s[0:3], 0 offset:160
	;; [unrolled: 1-line block ×4, first 2 shown]
.LBB82_223:
	s_or_b32 exec_lo, exec_lo, s4
	v_mov_b32_e32 v4, s14
	s_mov_b32 s4, exec_lo
	s_clause 0x3
	buffer_load_dword v1, v4, s[0:3], 0 offen
	buffer_load_dword v2, v4, s[0:3], 0 offen offset:4
	buffer_load_dword v3, v4, s[0:3], 0 offen offset:8
	buffer_load_dword v4, v4, s[0:3], 0 offen offset:12
	s_waitcnt vmcnt(0)
	ds_write_b128 v44, v[1:4]
	s_waitcnt lgkmcnt(0)
	s_waitcnt_vscnt null, 0x0
	s_barrier
	buffer_gl0_inv
	v_cmpx_gt_u32_e32 11, v0
	s_cbranch_execz .LBB82_231
; %bb.224:
	ds_read_b128 v[1:4], v44
	v_cmp_ne_u32_e32 vcc_lo, 1, v45
	s_cbranch_vccnz .LBB82_226
; %bb.225:
	s_clause 0x3
	buffer_load_dword v46, v43, s[0:3], 0 offen offset:8
	buffer_load_dword v47, v43, s[0:3], 0 offen offset:12
	buffer_load_dword v50, v43, s[0:3], 0 offen
	buffer_load_dword v51, v43, s[0:3], 0 offen offset:4
	s_waitcnt vmcnt(2) lgkmcnt(0)
	v_mul_f64 v[52:53], v[3:4], v[46:47]
	v_mul_f64 v[46:47], v[1:2], v[46:47]
	s_waitcnt vmcnt(0)
	v_fma_f64 v[1:2], v[1:2], v[50:51], -v[52:53]
	v_fma_f64 v[3:4], v[3:4], v[50:51], v[46:47]
.LBB82_226:
	s_mov_b32 s8, exec_lo
	v_cmpx_ne_u32_e32 10, v0
	s_cbranch_execz .LBB82_230
; %bb.227:
	v_add_nc_u32_e32 v46, 0x140, v49
	v_add3_u32 v47, 0, v49, 16
	v_mov_b32_e32 v48, v0
	s_mov_b32 s25, 0
	.p2align	6
.LBB82_228:                             ; =>This Inner Loop Header: Depth=1
	s_clause 0x3
	buffer_load_dword v54, v47, s[0:3], 0 offen offset:8
	buffer_load_dword v55, v47, s[0:3], 0 offen offset:12
	buffer_load_dword v56, v47, s[0:3], 0 offen
	buffer_load_dword v57, v47, s[0:3], 0 offen offset:4
	ds_read_b128 v[50:53], v46
	v_add_nc_u32_e32 v48, 1, v48
	v_add_nc_u32_e32 v46, 16, v46
	;; [unrolled: 1-line block ×3, first 2 shown]
	v_cmp_lt_u32_e32 vcc_lo, 9, v48
	s_or_b32 s25, vcc_lo, s25
	s_waitcnt vmcnt(2) lgkmcnt(0)
	v_mul_f64 v[58:59], v[52:53], v[54:55]
	v_mul_f64 v[54:55], v[50:51], v[54:55]
	s_waitcnt vmcnt(0)
	v_fma_f64 v[50:51], v[50:51], v[56:57], -v[58:59]
	v_fma_f64 v[52:53], v[52:53], v[56:57], v[54:55]
	v_add_f64 v[1:2], v[1:2], v[50:51]
	v_add_f64 v[3:4], v[3:4], v[52:53]
	s_andn2_b32 exec_lo, exec_lo, s25
	s_cbranch_execnz .LBB82_228
; %bb.229:
	s_or_b32 exec_lo, exec_lo, s25
.LBB82_230:
	s_or_b32 exec_lo, exec_lo, s8
	v_mov_b32_e32 v46, 0
	ds_read_b128 v[50:53], v46 offset:176
	s_waitcnt lgkmcnt(0)
	v_mul_f64 v[46:47], v[3:4], v[52:53]
	v_mul_f64 v[52:53], v[1:2], v[52:53]
	v_fma_f64 v[1:2], v[1:2], v[50:51], -v[46:47]
	v_fma_f64 v[3:4], v[3:4], v[50:51], v[52:53]
	buffer_store_dword v2, off, s[0:3], 0 offset:180
	buffer_store_dword v1, off, s[0:3], 0 offset:176
	;; [unrolled: 1-line block ×4, first 2 shown]
.LBB82_231:
	s_or_b32 exec_lo, exec_lo, s4
	v_mov_b32_e32 v4, s13
	s_mov_b32 s4, exec_lo
	s_clause 0x3
	buffer_load_dword v1, v4, s[0:3], 0 offen
	buffer_load_dword v2, v4, s[0:3], 0 offen offset:4
	buffer_load_dword v3, v4, s[0:3], 0 offen offset:8
	;; [unrolled: 1-line block ×3, first 2 shown]
	s_waitcnt vmcnt(0)
	ds_write_b128 v44, v[1:4]
	s_waitcnt lgkmcnt(0)
	s_waitcnt_vscnt null, 0x0
	s_barrier
	buffer_gl0_inv
	v_cmpx_gt_u32_e32 12, v0
	s_cbranch_execz .LBB82_239
; %bb.232:
	ds_read_b128 v[1:4], v44
	v_cmp_ne_u32_e32 vcc_lo, 1, v45
	s_cbranch_vccnz .LBB82_234
; %bb.233:
	s_clause 0x3
	buffer_load_dword v46, v43, s[0:3], 0 offen offset:8
	buffer_load_dword v47, v43, s[0:3], 0 offen offset:12
	buffer_load_dword v50, v43, s[0:3], 0 offen
	buffer_load_dword v51, v43, s[0:3], 0 offen offset:4
	s_waitcnt vmcnt(2) lgkmcnt(0)
	v_mul_f64 v[52:53], v[3:4], v[46:47]
	v_mul_f64 v[46:47], v[1:2], v[46:47]
	s_waitcnt vmcnt(0)
	v_fma_f64 v[1:2], v[1:2], v[50:51], -v[52:53]
	v_fma_f64 v[3:4], v[3:4], v[50:51], v[46:47]
.LBB82_234:
	s_mov_b32 s8, exec_lo
	v_cmpx_ne_u32_e32 11, v0
	s_cbranch_execz .LBB82_238
; %bb.235:
	v_add_nc_u32_e32 v46, 0x140, v49
	v_add3_u32 v47, 0, v49, 16
	v_mov_b32_e32 v48, v0
	s_mov_b32 s25, 0
	.p2align	6
.LBB82_236:                             ; =>This Inner Loop Header: Depth=1
	s_clause 0x3
	buffer_load_dword v54, v47, s[0:3], 0 offen offset:8
	buffer_load_dword v55, v47, s[0:3], 0 offen offset:12
	buffer_load_dword v56, v47, s[0:3], 0 offen
	buffer_load_dword v57, v47, s[0:3], 0 offen offset:4
	ds_read_b128 v[50:53], v46
	v_add_nc_u32_e32 v48, 1, v48
	v_add_nc_u32_e32 v46, 16, v46
	;; [unrolled: 1-line block ×3, first 2 shown]
	v_cmp_lt_u32_e32 vcc_lo, 10, v48
	s_or_b32 s25, vcc_lo, s25
	s_waitcnt vmcnt(2) lgkmcnt(0)
	v_mul_f64 v[58:59], v[52:53], v[54:55]
	v_mul_f64 v[54:55], v[50:51], v[54:55]
	s_waitcnt vmcnt(0)
	v_fma_f64 v[50:51], v[50:51], v[56:57], -v[58:59]
	v_fma_f64 v[52:53], v[52:53], v[56:57], v[54:55]
	v_add_f64 v[1:2], v[1:2], v[50:51]
	v_add_f64 v[3:4], v[3:4], v[52:53]
	s_andn2_b32 exec_lo, exec_lo, s25
	s_cbranch_execnz .LBB82_236
; %bb.237:
	s_or_b32 exec_lo, exec_lo, s25
.LBB82_238:
	s_or_b32 exec_lo, exec_lo, s8
	v_mov_b32_e32 v46, 0
	ds_read_b128 v[50:53], v46 offset:192
	s_waitcnt lgkmcnt(0)
	v_mul_f64 v[46:47], v[3:4], v[52:53]
	v_mul_f64 v[52:53], v[1:2], v[52:53]
	v_fma_f64 v[1:2], v[1:2], v[50:51], -v[46:47]
	v_fma_f64 v[3:4], v[3:4], v[50:51], v[52:53]
	buffer_store_dword v2, off, s[0:3], 0 offset:196
	buffer_store_dword v1, off, s[0:3], 0 offset:192
	;; [unrolled: 1-line block ×4, first 2 shown]
.LBB82_239:
	s_or_b32 exec_lo, exec_lo, s4
	v_mov_b32_e32 v4, s12
	s_mov_b32 s4, exec_lo
	s_clause 0x3
	buffer_load_dword v1, v4, s[0:3], 0 offen
	buffer_load_dword v2, v4, s[0:3], 0 offen offset:4
	buffer_load_dword v3, v4, s[0:3], 0 offen offset:8
	;; [unrolled: 1-line block ×3, first 2 shown]
	s_waitcnt vmcnt(0)
	ds_write_b128 v44, v[1:4]
	s_waitcnt lgkmcnt(0)
	s_waitcnt_vscnt null, 0x0
	s_barrier
	buffer_gl0_inv
	v_cmpx_gt_u32_e32 13, v0
	s_cbranch_execz .LBB82_247
; %bb.240:
	ds_read_b128 v[1:4], v44
	v_cmp_ne_u32_e32 vcc_lo, 1, v45
	s_cbranch_vccnz .LBB82_242
; %bb.241:
	s_clause 0x3
	buffer_load_dword v46, v43, s[0:3], 0 offen offset:8
	buffer_load_dword v47, v43, s[0:3], 0 offen offset:12
	buffer_load_dword v50, v43, s[0:3], 0 offen
	buffer_load_dword v51, v43, s[0:3], 0 offen offset:4
	s_waitcnt vmcnt(2) lgkmcnt(0)
	v_mul_f64 v[52:53], v[3:4], v[46:47]
	v_mul_f64 v[46:47], v[1:2], v[46:47]
	s_waitcnt vmcnt(0)
	v_fma_f64 v[1:2], v[1:2], v[50:51], -v[52:53]
	v_fma_f64 v[3:4], v[3:4], v[50:51], v[46:47]
.LBB82_242:
	s_mov_b32 s8, exec_lo
	v_cmpx_ne_u32_e32 12, v0
	s_cbranch_execz .LBB82_246
; %bb.243:
	v_add_nc_u32_e32 v46, 0x140, v49
	v_add3_u32 v47, 0, v49, 16
	v_mov_b32_e32 v48, v0
	s_mov_b32 s25, 0
	.p2align	6
.LBB82_244:                             ; =>This Inner Loop Header: Depth=1
	s_clause 0x3
	buffer_load_dword v54, v47, s[0:3], 0 offen offset:8
	buffer_load_dword v55, v47, s[0:3], 0 offen offset:12
	buffer_load_dword v56, v47, s[0:3], 0 offen
	buffer_load_dword v57, v47, s[0:3], 0 offen offset:4
	ds_read_b128 v[50:53], v46
	v_add_nc_u32_e32 v48, 1, v48
	v_add_nc_u32_e32 v46, 16, v46
	;; [unrolled: 1-line block ×3, first 2 shown]
	v_cmp_lt_u32_e32 vcc_lo, 11, v48
	s_or_b32 s25, vcc_lo, s25
	s_waitcnt vmcnt(2) lgkmcnt(0)
	v_mul_f64 v[58:59], v[52:53], v[54:55]
	v_mul_f64 v[54:55], v[50:51], v[54:55]
	s_waitcnt vmcnt(0)
	v_fma_f64 v[50:51], v[50:51], v[56:57], -v[58:59]
	v_fma_f64 v[52:53], v[52:53], v[56:57], v[54:55]
	v_add_f64 v[1:2], v[1:2], v[50:51]
	v_add_f64 v[3:4], v[3:4], v[52:53]
	s_andn2_b32 exec_lo, exec_lo, s25
	s_cbranch_execnz .LBB82_244
; %bb.245:
	s_or_b32 exec_lo, exec_lo, s25
.LBB82_246:
	s_or_b32 exec_lo, exec_lo, s8
	v_mov_b32_e32 v46, 0
	ds_read_b128 v[50:53], v46 offset:208
	s_waitcnt lgkmcnt(0)
	v_mul_f64 v[46:47], v[3:4], v[52:53]
	v_mul_f64 v[52:53], v[1:2], v[52:53]
	v_fma_f64 v[1:2], v[1:2], v[50:51], -v[46:47]
	v_fma_f64 v[3:4], v[3:4], v[50:51], v[52:53]
	buffer_store_dword v2, off, s[0:3], 0 offset:212
	buffer_store_dword v1, off, s[0:3], 0 offset:208
	;; [unrolled: 1-line block ×4, first 2 shown]
.LBB82_247:
	s_or_b32 exec_lo, exec_lo, s4
	v_mov_b32_e32 v4, s11
	s_mov_b32 s4, exec_lo
	s_clause 0x3
	buffer_load_dword v1, v4, s[0:3], 0 offen
	buffer_load_dword v2, v4, s[0:3], 0 offen offset:4
	buffer_load_dword v3, v4, s[0:3], 0 offen offset:8
	;; [unrolled: 1-line block ×3, first 2 shown]
	s_waitcnt vmcnt(0)
	ds_write_b128 v44, v[1:4]
	s_waitcnt lgkmcnt(0)
	s_waitcnt_vscnt null, 0x0
	s_barrier
	buffer_gl0_inv
	v_cmpx_gt_u32_e32 14, v0
	s_cbranch_execz .LBB82_255
; %bb.248:
	ds_read_b128 v[1:4], v44
	v_cmp_ne_u32_e32 vcc_lo, 1, v45
	s_cbranch_vccnz .LBB82_250
; %bb.249:
	s_clause 0x3
	buffer_load_dword v46, v43, s[0:3], 0 offen offset:8
	buffer_load_dword v47, v43, s[0:3], 0 offen offset:12
	buffer_load_dword v50, v43, s[0:3], 0 offen
	buffer_load_dword v51, v43, s[0:3], 0 offen offset:4
	s_waitcnt vmcnt(2) lgkmcnt(0)
	v_mul_f64 v[52:53], v[3:4], v[46:47]
	v_mul_f64 v[46:47], v[1:2], v[46:47]
	s_waitcnt vmcnt(0)
	v_fma_f64 v[1:2], v[1:2], v[50:51], -v[52:53]
	v_fma_f64 v[3:4], v[3:4], v[50:51], v[46:47]
.LBB82_250:
	s_mov_b32 s8, exec_lo
	v_cmpx_ne_u32_e32 13, v0
	s_cbranch_execz .LBB82_254
; %bb.251:
	v_add_nc_u32_e32 v46, 0x140, v49
	v_add3_u32 v47, 0, v49, 16
	v_mov_b32_e32 v48, v0
	s_mov_b32 s25, 0
	.p2align	6
.LBB82_252:                             ; =>This Inner Loop Header: Depth=1
	s_clause 0x3
	buffer_load_dword v54, v47, s[0:3], 0 offen offset:8
	buffer_load_dword v55, v47, s[0:3], 0 offen offset:12
	buffer_load_dword v56, v47, s[0:3], 0 offen
	buffer_load_dword v57, v47, s[0:3], 0 offen offset:4
	ds_read_b128 v[50:53], v46
	v_add_nc_u32_e32 v48, 1, v48
	v_add_nc_u32_e32 v46, 16, v46
	;; [unrolled: 1-line block ×3, first 2 shown]
	v_cmp_lt_u32_e32 vcc_lo, 12, v48
	s_or_b32 s25, vcc_lo, s25
	s_waitcnt vmcnt(2) lgkmcnt(0)
	v_mul_f64 v[58:59], v[52:53], v[54:55]
	v_mul_f64 v[54:55], v[50:51], v[54:55]
	s_waitcnt vmcnt(0)
	v_fma_f64 v[50:51], v[50:51], v[56:57], -v[58:59]
	v_fma_f64 v[52:53], v[52:53], v[56:57], v[54:55]
	v_add_f64 v[1:2], v[1:2], v[50:51]
	v_add_f64 v[3:4], v[3:4], v[52:53]
	s_andn2_b32 exec_lo, exec_lo, s25
	s_cbranch_execnz .LBB82_252
; %bb.253:
	s_or_b32 exec_lo, exec_lo, s25
.LBB82_254:
	s_or_b32 exec_lo, exec_lo, s8
	v_mov_b32_e32 v46, 0
	ds_read_b128 v[50:53], v46 offset:224
	s_waitcnt lgkmcnt(0)
	v_mul_f64 v[46:47], v[3:4], v[52:53]
	v_mul_f64 v[52:53], v[1:2], v[52:53]
	v_fma_f64 v[1:2], v[1:2], v[50:51], -v[46:47]
	v_fma_f64 v[3:4], v[3:4], v[50:51], v[52:53]
	buffer_store_dword v2, off, s[0:3], 0 offset:228
	buffer_store_dword v1, off, s[0:3], 0 offset:224
	;; [unrolled: 1-line block ×4, first 2 shown]
.LBB82_255:
	s_or_b32 exec_lo, exec_lo, s4
	v_mov_b32_e32 v4, s10
	s_mov_b32 s4, exec_lo
	s_clause 0x3
	buffer_load_dword v1, v4, s[0:3], 0 offen
	buffer_load_dword v2, v4, s[0:3], 0 offen offset:4
	buffer_load_dword v3, v4, s[0:3], 0 offen offset:8
	;; [unrolled: 1-line block ×3, first 2 shown]
	s_waitcnt vmcnt(0)
	ds_write_b128 v44, v[1:4]
	s_waitcnt lgkmcnt(0)
	s_waitcnt_vscnt null, 0x0
	s_barrier
	buffer_gl0_inv
	v_cmpx_gt_u32_e32 15, v0
	s_cbranch_execz .LBB82_263
; %bb.256:
	ds_read_b128 v[1:4], v44
	v_cmp_ne_u32_e32 vcc_lo, 1, v45
	s_cbranch_vccnz .LBB82_258
; %bb.257:
	s_clause 0x3
	buffer_load_dword v46, v43, s[0:3], 0 offen offset:8
	buffer_load_dword v47, v43, s[0:3], 0 offen offset:12
	buffer_load_dword v50, v43, s[0:3], 0 offen
	buffer_load_dword v51, v43, s[0:3], 0 offen offset:4
	s_waitcnt vmcnt(2) lgkmcnt(0)
	v_mul_f64 v[52:53], v[3:4], v[46:47]
	v_mul_f64 v[46:47], v[1:2], v[46:47]
	s_waitcnt vmcnt(0)
	v_fma_f64 v[1:2], v[1:2], v[50:51], -v[52:53]
	v_fma_f64 v[3:4], v[3:4], v[50:51], v[46:47]
.LBB82_258:
	s_mov_b32 s8, exec_lo
	v_cmpx_ne_u32_e32 14, v0
	s_cbranch_execz .LBB82_262
; %bb.259:
	v_add_nc_u32_e32 v46, 0x140, v49
	v_add3_u32 v47, 0, v49, 16
	v_mov_b32_e32 v48, v0
	s_mov_b32 s25, 0
	.p2align	6
.LBB82_260:                             ; =>This Inner Loop Header: Depth=1
	s_clause 0x3
	buffer_load_dword v54, v47, s[0:3], 0 offen offset:8
	buffer_load_dword v55, v47, s[0:3], 0 offen offset:12
	buffer_load_dword v56, v47, s[0:3], 0 offen
	buffer_load_dword v57, v47, s[0:3], 0 offen offset:4
	ds_read_b128 v[50:53], v46
	v_add_nc_u32_e32 v48, 1, v48
	v_add_nc_u32_e32 v46, 16, v46
	;; [unrolled: 1-line block ×3, first 2 shown]
	v_cmp_lt_u32_e32 vcc_lo, 13, v48
	s_or_b32 s25, vcc_lo, s25
	s_waitcnt vmcnt(2) lgkmcnt(0)
	v_mul_f64 v[58:59], v[52:53], v[54:55]
	v_mul_f64 v[54:55], v[50:51], v[54:55]
	s_waitcnt vmcnt(0)
	v_fma_f64 v[50:51], v[50:51], v[56:57], -v[58:59]
	v_fma_f64 v[52:53], v[52:53], v[56:57], v[54:55]
	v_add_f64 v[1:2], v[1:2], v[50:51]
	v_add_f64 v[3:4], v[3:4], v[52:53]
	s_andn2_b32 exec_lo, exec_lo, s25
	s_cbranch_execnz .LBB82_260
; %bb.261:
	s_or_b32 exec_lo, exec_lo, s25
.LBB82_262:
	s_or_b32 exec_lo, exec_lo, s8
	v_mov_b32_e32 v46, 0
	ds_read_b128 v[50:53], v46 offset:240
	s_waitcnt lgkmcnt(0)
	v_mul_f64 v[46:47], v[3:4], v[52:53]
	v_mul_f64 v[52:53], v[1:2], v[52:53]
	v_fma_f64 v[1:2], v[1:2], v[50:51], -v[46:47]
	v_fma_f64 v[3:4], v[3:4], v[50:51], v[52:53]
	buffer_store_dword v2, off, s[0:3], 0 offset:244
	buffer_store_dword v1, off, s[0:3], 0 offset:240
	;; [unrolled: 1-line block ×4, first 2 shown]
.LBB82_263:
	s_or_b32 exec_lo, exec_lo, s4
	v_mov_b32_e32 v4, s9
	s_mov_b32 s4, exec_lo
	s_clause 0x3
	buffer_load_dword v1, v4, s[0:3], 0 offen
	buffer_load_dword v2, v4, s[0:3], 0 offen offset:4
	buffer_load_dword v3, v4, s[0:3], 0 offen offset:8
	;; [unrolled: 1-line block ×3, first 2 shown]
	s_waitcnt vmcnt(0)
	ds_write_b128 v44, v[1:4]
	s_waitcnt lgkmcnt(0)
	s_waitcnt_vscnt null, 0x0
	s_barrier
	buffer_gl0_inv
	v_cmpx_gt_u32_e32 16, v0
	s_cbranch_execz .LBB82_271
; %bb.264:
	ds_read_b128 v[1:4], v44
	v_cmp_ne_u32_e32 vcc_lo, 1, v45
	s_cbranch_vccnz .LBB82_266
; %bb.265:
	s_clause 0x3
	buffer_load_dword v46, v43, s[0:3], 0 offen offset:8
	buffer_load_dword v47, v43, s[0:3], 0 offen offset:12
	buffer_load_dword v50, v43, s[0:3], 0 offen
	buffer_load_dword v51, v43, s[0:3], 0 offen offset:4
	s_waitcnt vmcnt(2) lgkmcnt(0)
	v_mul_f64 v[52:53], v[3:4], v[46:47]
	v_mul_f64 v[46:47], v[1:2], v[46:47]
	s_waitcnt vmcnt(0)
	v_fma_f64 v[1:2], v[1:2], v[50:51], -v[52:53]
	v_fma_f64 v[3:4], v[3:4], v[50:51], v[46:47]
.LBB82_266:
	s_mov_b32 s8, exec_lo
	v_cmpx_ne_u32_e32 15, v0
	s_cbranch_execz .LBB82_270
; %bb.267:
	v_add_nc_u32_e32 v46, 0x140, v49
	v_add3_u32 v47, 0, v49, 16
	v_mov_b32_e32 v48, v0
	s_mov_b32 s25, 0
	.p2align	6
.LBB82_268:                             ; =>This Inner Loop Header: Depth=1
	s_clause 0x3
	buffer_load_dword v54, v47, s[0:3], 0 offen offset:8
	buffer_load_dword v55, v47, s[0:3], 0 offen offset:12
	buffer_load_dword v56, v47, s[0:3], 0 offen
	buffer_load_dword v57, v47, s[0:3], 0 offen offset:4
	ds_read_b128 v[50:53], v46
	v_add_nc_u32_e32 v48, 1, v48
	v_add_nc_u32_e32 v46, 16, v46
	;; [unrolled: 1-line block ×3, first 2 shown]
	v_cmp_lt_u32_e32 vcc_lo, 14, v48
	s_or_b32 s25, vcc_lo, s25
	s_waitcnt vmcnt(2) lgkmcnt(0)
	v_mul_f64 v[58:59], v[52:53], v[54:55]
	v_mul_f64 v[54:55], v[50:51], v[54:55]
	s_waitcnt vmcnt(0)
	v_fma_f64 v[50:51], v[50:51], v[56:57], -v[58:59]
	v_fma_f64 v[52:53], v[52:53], v[56:57], v[54:55]
	v_add_f64 v[1:2], v[1:2], v[50:51]
	v_add_f64 v[3:4], v[3:4], v[52:53]
	s_andn2_b32 exec_lo, exec_lo, s25
	s_cbranch_execnz .LBB82_268
; %bb.269:
	s_or_b32 exec_lo, exec_lo, s25
.LBB82_270:
	s_or_b32 exec_lo, exec_lo, s8
	v_mov_b32_e32 v46, 0
	ds_read_b128 v[50:53], v46 offset:256
	s_waitcnt lgkmcnt(0)
	v_mul_f64 v[46:47], v[3:4], v[52:53]
	v_mul_f64 v[52:53], v[1:2], v[52:53]
	v_fma_f64 v[1:2], v[1:2], v[50:51], -v[46:47]
	v_fma_f64 v[3:4], v[3:4], v[50:51], v[52:53]
	buffer_store_dword v2, off, s[0:3], 0 offset:260
	buffer_store_dword v1, off, s[0:3], 0 offset:256
	;; [unrolled: 1-line block ×4, first 2 shown]
.LBB82_271:
	s_or_b32 exec_lo, exec_lo, s4
	v_mov_b32_e32 v4, s7
	v_cmp_gt_u32_e64 s4, 17, v0
	s_clause 0x3
	buffer_load_dword v1, v4, s[0:3], 0 offen
	buffer_load_dword v2, v4, s[0:3], 0 offen offset:4
	buffer_load_dword v3, v4, s[0:3], 0 offen offset:8
	;; [unrolled: 1-line block ×3, first 2 shown]
	s_waitcnt vmcnt(0)
	ds_write_b128 v44, v[1:4]
	s_waitcnt lgkmcnt(0)
	s_waitcnt_vscnt null, 0x0
	s_barrier
	buffer_gl0_inv
	s_and_saveexec_b32 s8, s4
	s_cbranch_execz .LBB82_279
; %bb.272:
	ds_read_b128 v[1:4], v44
	v_cmp_ne_u32_e32 vcc_lo, 1, v45
	s_cbranch_vccnz .LBB82_274
; %bb.273:
	s_clause 0x3
	buffer_load_dword v46, v43, s[0:3], 0 offen offset:8
	buffer_load_dword v47, v43, s[0:3], 0 offen offset:12
	buffer_load_dword v50, v43, s[0:3], 0 offen
	buffer_load_dword v51, v43, s[0:3], 0 offen offset:4
	s_waitcnt vmcnt(2) lgkmcnt(0)
	v_mul_f64 v[52:53], v[3:4], v[46:47]
	v_mul_f64 v[46:47], v[1:2], v[46:47]
	s_waitcnt vmcnt(0)
	v_fma_f64 v[1:2], v[1:2], v[50:51], -v[52:53]
	v_fma_f64 v[3:4], v[3:4], v[50:51], v[46:47]
.LBB82_274:
	s_mov_b32 s25, exec_lo
	v_cmpx_ne_u32_e32 16, v0
	s_cbranch_execz .LBB82_278
; %bb.275:
	v_add_nc_u32_e32 v46, 0x140, v49
	v_add3_u32 v47, 0, v49, 16
	v_mov_b32_e32 v48, v0
	s_mov_b32 s26, 0
	.p2align	6
.LBB82_276:                             ; =>This Inner Loop Header: Depth=1
	s_clause 0x3
	buffer_load_dword v54, v47, s[0:3], 0 offen offset:8
	buffer_load_dword v55, v47, s[0:3], 0 offen offset:12
	buffer_load_dword v56, v47, s[0:3], 0 offen
	buffer_load_dword v57, v47, s[0:3], 0 offen offset:4
	ds_read_b128 v[50:53], v46
	v_add_nc_u32_e32 v48, 1, v48
	v_add_nc_u32_e32 v46, 16, v46
	;; [unrolled: 1-line block ×3, first 2 shown]
	v_cmp_lt_u32_e32 vcc_lo, 15, v48
	s_or_b32 s26, vcc_lo, s26
	s_waitcnt vmcnt(2) lgkmcnt(0)
	v_mul_f64 v[58:59], v[52:53], v[54:55]
	v_mul_f64 v[54:55], v[50:51], v[54:55]
	s_waitcnt vmcnt(0)
	v_fma_f64 v[50:51], v[50:51], v[56:57], -v[58:59]
	v_fma_f64 v[52:53], v[52:53], v[56:57], v[54:55]
	v_add_f64 v[1:2], v[1:2], v[50:51]
	v_add_f64 v[3:4], v[3:4], v[52:53]
	s_andn2_b32 exec_lo, exec_lo, s26
	s_cbranch_execnz .LBB82_276
; %bb.277:
	s_or_b32 exec_lo, exec_lo, s26
.LBB82_278:
	s_or_b32 exec_lo, exec_lo, s25
	v_mov_b32_e32 v46, 0
	ds_read_b128 v[50:53], v46 offset:272
	s_waitcnt lgkmcnt(0)
	v_mul_f64 v[46:47], v[3:4], v[52:53]
	v_mul_f64 v[52:53], v[1:2], v[52:53]
	v_fma_f64 v[1:2], v[1:2], v[50:51], -v[46:47]
	v_fma_f64 v[3:4], v[3:4], v[50:51], v[52:53]
	buffer_store_dword v2, off, s[0:3], 0 offset:276
	buffer_store_dword v1, off, s[0:3], 0 offset:272
	;; [unrolled: 1-line block ×4, first 2 shown]
.LBB82_279:
	s_or_b32 exec_lo, exec_lo, s8
	v_mov_b32_e32 v4, s6
	s_mov_b32 s8, exec_lo
                                        ; implicit-def: $sgpr27
	s_clause 0x3
	buffer_load_dword v1, v4, s[0:3], 0 offen
	buffer_load_dword v2, v4, s[0:3], 0 offen offset:4
	buffer_load_dword v3, v4, s[0:3], 0 offen offset:8
	;; [unrolled: 1-line block ×3, first 2 shown]
	s_waitcnt vmcnt(0)
	ds_write_b128 v44, v[1:4]
	s_waitcnt lgkmcnt(0)
	s_waitcnt_vscnt null, 0x0
	s_barrier
	buffer_gl0_inv
                                        ; implicit-def: $vgpr1_vgpr2
	v_cmpx_ne_u32_e32 18, v0
	s_cbranch_execz .LBB82_287
; %bb.280:
	ds_read_b128 v[1:4], v44
	v_cmp_ne_u32_e32 vcc_lo, 1, v45
	s_cbranch_vccnz .LBB82_282
; %bb.281:
	s_clause 0x3
	buffer_load_dword v44, v43, s[0:3], 0 offen offset:8
	buffer_load_dword v45, v43, s[0:3], 0 offen offset:12
	buffer_load_dword v46, v43, s[0:3], 0 offen
	buffer_load_dword v47, v43, s[0:3], 0 offen offset:4
	s_waitcnt vmcnt(2) lgkmcnt(0)
	v_mul_f64 v[50:51], v[3:4], v[44:45]
	v_mul_f64 v[43:44], v[1:2], v[44:45]
	s_waitcnt vmcnt(0)
	v_fma_f64 v[1:2], v[1:2], v[46:47], -v[50:51]
	v_fma_f64 v[3:4], v[3:4], v[46:47], v[43:44]
.LBB82_282:
	s_and_saveexec_b32 s25, s4
	s_cbranch_execz .LBB82_286
; %bb.283:
	v_add_nc_u32_e32 v43, 0x140, v49
	v_add3_u32 v44, 0, v49, 16
	s_mov_b32 s4, 0
	.p2align	6
.LBB82_284:                             ; =>This Inner Loop Header: Depth=1
	s_clause 0x3
	buffer_load_dword v49, v44, s[0:3], 0 offen offset:8
	buffer_load_dword v50, v44, s[0:3], 0 offen offset:12
	buffer_load_dword v51, v44, s[0:3], 0 offen
	buffer_load_dword v52, v44, s[0:3], 0 offen offset:4
	ds_read_b128 v[45:48], v43
	v_add_nc_u32_e32 v0, 1, v0
	v_add_nc_u32_e32 v43, 16, v43
	v_add_nc_u32_e32 v44, 16, v44
	v_cmp_lt_u32_e32 vcc_lo, 16, v0
	s_or_b32 s4, vcc_lo, s4
	s_waitcnt vmcnt(2) lgkmcnt(0)
	v_mul_f64 v[53:54], v[47:48], v[49:50]
	v_mul_f64 v[49:50], v[45:46], v[49:50]
	s_waitcnt vmcnt(0)
	v_fma_f64 v[45:46], v[45:46], v[51:52], -v[53:54]
	v_fma_f64 v[47:48], v[47:48], v[51:52], v[49:50]
	v_add_f64 v[1:2], v[1:2], v[45:46]
	v_add_f64 v[3:4], v[3:4], v[47:48]
	s_andn2_b32 exec_lo, exec_lo, s4
	s_cbranch_execnz .LBB82_284
; %bb.285:
	s_or_b32 exec_lo, exec_lo, s4
.LBB82_286:
	s_or_b32 exec_lo, exec_lo, s25
	v_mov_b32_e32 v0, 0
	s_movk_i32 s27, 0x128
	s_or_b32 s5, s5, exec_lo
	ds_read_b128 v[43:46], v0 offset:288
	s_waitcnt lgkmcnt(0)
	v_mul_f64 v[47:48], v[3:4], v[45:46]
	v_mul_f64 v[45:46], v[1:2], v[45:46]
	v_fma_f64 v[47:48], v[1:2], v[43:44], -v[47:48]
	v_fma_f64 v[1:2], v[3:4], v[43:44], v[45:46]
	buffer_store_dword v48, off, s[0:3], 0 offset:292
	buffer_store_dword v47, off, s[0:3], 0 offset:288
.LBB82_287:
	s_or_b32 exec_lo, exec_lo, s8
.LBB82_288:
	s_and_saveexec_b32 s4, s5
	s_cbranch_execz .LBB82_290
; %bb.289:
	v_mov_b32_e32 v0, s27
	buffer_store_dword v2, v0, s[0:3], 0 offen offset:4
	buffer_store_dword v1, v0, s[0:3], 0 offen
.LBB82_290:
	s_or_b32 exec_lo, exec_lo, s4
	s_clause 0x3
	buffer_load_dword v0, off, s[0:3], 0
	buffer_load_dword v1, off, s[0:3], 0 offset:4
	buffer_load_dword v2, off, s[0:3], 0 offset:8
	;; [unrolled: 1-line block ×3, first 2 shown]
	v_mov_b32_e32 v4, s24
	s_waitcnt vmcnt(0)
	flat_store_dwordx4 v[5:6], v[0:3]
	s_clause 0x3
	buffer_load_dword v0, v4, s[0:3], 0 offen
	buffer_load_dword v1, v4, s[0:3], 0 offen offset:4
	buffer_load_dword v2, v4, s[0:3], 0 offen offset:8
	buffer_load_dword v3, v4, s[0:3], 0 offen offset:12
	v_mov_b32_e32 v4, s23
	s_waitcnt vmcnt(0)
	flat_store_dwordx4 v[7:8], v[0:3]
	s_clause 0x3
	buffer_load_dword v0, v4, s[0:3], 0 offen
	buffer_load_dword v1, v4, s[0:3], 0 offen offset:4
	buffer_load_dword v2, v4, s[0:3], 0 offen offset:8
	buffer_load_dword v3, v4, s[0:3], 0 offen offset:12
	;; [unrolled: 8-line block ×18, first 2 shown]
	s_waitcnt vmcnt(0)
	flat_store_dwordx4 v[41:42], v[0:3]
.LBB82_291:
	s_endpgm
	.section	.rodata,"a",@progbits
	.p2align	6, 0x0
	.amdhsa_kernel _ZN9rocsolver6v33100L18trti2_kernel_smallILi19E19rocblas_complex_numIdEPKPS3_EEv13rocblas_fill_17rocblas_diagonal_T1_iil
		.amdhsa_group_segment_fixed_size 608
		.amdhsa_private_segment_fixed_size 320
		.amdhsa_kernarg_size 32
		.amdhsa_user_sgpr_count 6
		.amdhsa_user_sgpr_private_segment_buffer 1
		.amdhsa_user_sgpr_dispatch_ptr 0
		.amdhsa_user_sgpr_queue_ptr 0
		.amdhsa_user_sgpr_kernarg_segment_ptr 1
		.amdhsa_user_sgpr_dispatch_id 0
		.amdhsa_user_sgpr_flat_scratch_init 0
		.amdhsa_user_sgpr_private_segment_size 0
		.amdhsa_wavefront_size32 1
		.amdhsa_uses_dynamic_stack 0
		.amdhsa_system_sgpr_private_segment_wavefront_offset 1
		.amdhsa_system_sgpr_workgroup_id_x 1
		.amdhsa_system_sgpr_workgroup_id_y 0
		.amdhsa_system_sgpr_workgroup_id_z 0
		.amdhsa_system_sgpr_workgroup_info 0
		.amdhsa_system_vgpr_workitem_id 0
		.amdhsa_next_free_vgpr 60
		.amdhsa_next_free_sgpr 32
		.amdhsa_reserve_vcc 1
		.amdhsa_reserve_flat_scratch 0
		.amdhsa_float_round_mode_32 0
		.amdhsa_float_round_mode_16_64 0
		.amdhsa_float_denorm_mode_32 3
		.amdhsa_float_denorm_mode_16_64 3
		.amdhsa_dx10_clamp 1
		.amdhsa_ieee_mode 1
		.amdhsa_fp16_overflow 0
		.amdhsa_workgroup_processor_mode 1
		.amdhsa_memory_ordered 1
		.amdhsa_forward_progress 1
		.amdhsa_shared_vgpr_count 0
		.amdhsa_exception_fp_ieee_invalid_op 0
		.amdhsa_exception_fp_denorm_src 0
		.amdhsa_exception_fp_ieee_div_zero 0
		.amdhsa_exception_fp_ieee_overflow 0
		.amdhsa_exception_fp_ieee_underflow 0
		.amdhsa_exception_fp_ieee_inexact 0
		.amdhsa_exception_int_div_zero 0
	.end_amdhsa_kernel
	.section	.text._ZN9rocsolver6v33100L18trti2_kernel_smallILi19E19rocblas_complex_numIdEPKPS3_EEv13rocblas_fill_17rocblas_diagonal_T1_iil,"axG",@progbits,_ZN9rocsolver6v33100L18trti2_kernel_smallILi19E19rocblas_complex_numIdEPKPS3_EEv13rocblas_fill_17rocblas_diagonal_T1_iil,comdat
.Lfunc_end82:
	.size	_ZN9rocsolver6v33100L18trti2_kernel_smallILi19E19rocblas_complex_numIdEPKPS3_EEv13rocblas_fill_17rocblas_diagonal_T1_iil, .Lfunc_end82-_ZN9rocsolver6v33100L18trti2_kernel_smallILi19E19rocblas_complex_numIdEPKPS3_EEv13rocblas_fill_17rocblas_diagonal_T1_iil
                                        ; -- End function
	.set _ZN9rocsolver6v33100L18trti2_kernel_smallILi19E19rocblas_complex_numIdEPKPS3_EEv13rocblas_fill_17rocblas_diagonal_T1_iil.num_vgpr, 60
	.set _ZN9rocsolver6v33100L18trti2_kernel_smallILi19E19rocblas_complex_numIdEPKPS3_EEv13rocblas_fill_17rocblas_diagonal_T1_iil.num_agpr, 0
	.set _ZN9rocsolver6v33100L18trti2_kernel_smallILi19E19rocblas_complex_numIdEPKPS3_EEv13rocblas_fill_17rocblas_diagonal_T1_iil.numbered_sgpr, 32
	.set _ZN9rocsolver6v33100L18trti2_kernel_smallILi19E19rocblas_complex_numIdEPKPS3_EEv13rocblas_fill_17rocblas_diagonal_T1_iil.num_named_barrier, 0
	.set _ZN9rocsolver6v33100L18trti2_kernel_smallILi19E19rocblas_complex_numIdEPKPS3_EEv13rocblas_fill_17rocblas_diagonal_T1_iil.private_seg_size, 320
	.set _ZN9rocsolver6v33100L18trti2_kernel_smallILi19E19rocblas_complex_numIdEPKPS3_EEv13rocblas_fill_17rocblas_diagonal_T1_iil.uses_vcc, 1
	.set _ZN9rocsolver6v33100L18trti2_kernel_smallILi19E19rocblas_complex_numIdEPKPS3_EEv13rocblas_fill_17rocblas_diagonal_T1_iil.uses_flat_scratch, 0
	.set _ZN9rocsolver6v33100L18trti2_kernel_smallILi19E19rocblas_complex_numIdEPKPS3_EEv13rocblas_fill_17rocblas_diagonal_T1_iil.has_dyn_sized_stack, 0
	.set _ZN9rocsolver6v33100L18trti2_kernel_smallILi19E19rocblas_complex_numIdEPKPS3_EEv13rocblas_fill_17rocblas_diagonal_T1_iil.has_recursion, 0
	.set _ZN9rocsolver6v33100L18trti2_kernel_smallILi19E19rocblas_complex_numIdEPKPS3_EEv13rocblas_fill_17rocblas_diagonal_T1_iil.has_indirect_call, 0
	.section	.AMDGPU.csdata,"",@progbits
; Kernel info:
; codeLenInByte = 18960
; TotalNumSgprs: 34
; NumVgprs: 60
; ScratchSize: 320
; MemoryBound: 0
; FloatMode: 240
; IeeeMode: 1
; LDSByteSize: 608 bytes/workgroup (compile time only)
; SGPRBlocks: 0
; VGPRBlocks: 7
; NumSGPRsForWavesPerEU: 34
; NumVGPRsForWavesPerEU: 60
; Occupancy: 16
; WaveLimiterHint : 1
; COMPUTE_PGM_RSRC2:SCRATCH_EN: 1
; COMPUTE_PGM_RSRC2:USER_SGPR: 6
; COMPUTE_PGM_RSRC2:TRAP_HANDLER: 0
; COMPUTE_PGM_RSRC2:TGID_X_EN: 1
; COMPUTE_PGM_RSRC2:TGID_Y_EN: 0
; COMPUTE_PGM_RSRC2:TGID_Z_EN: 0
; COMPUTE_PGM_RSRC2:TIDIG_COMP_CNT: 0
	.section	.text._ZN9rocsolver6v33100L18trti2_kernel_smallILi20E19rocblas_complex_numIdEPKPS3_EEv13rocblas_fill_17rocblas_diagonal_T1_iil,"axG",@progbits,_ZN9rocsolver6v33100L18trti2_kernel_smallILi20E19rocblas_complex_numIdEPKPS3_EEv13rocblas_fill_17rocblas_diagonal_T1_iil,comdat
	.globl	_ZN9rocsolver6v33100L18trti2_kernel_smallILi20E19rocblas_complex_numIdEPKPS3_EEv13rocblas_fill_17rocblas_diagonal_T1_iil ; -- Begin function _ZN9rocsolver6v33100L18trti2_kernel_smallILi20E19rocblas_complex_numIdEPKPS3_EEv13rocblas_fill_17rocblas_diagonal_T1_iil
	.p2align	8
	.type	_ZN9rocsolver6v33100L18trti2_kernel_smallILi20E19rocblas_complex_numIdEPKPS3_EEv13rocblas_fill_17rocblas_diagonal_T1_iil,@function
_ZN9rocsolver6v33100L18trti2_kernel_smallILi20E19rocblas_complex_numIdEPKPS3_EEv13rocblas_fill_17rocblas_diagonal_T1_iil: ; @_ZN9rocsolver6v33100L18trti2_kernel_smallILi20E19rocblas_complex_numIdEPKPS3_EEv13rocblas_fill_17rocblas_diagonal_T1_iil
; %bb.0:
	s_add_u32 s0, s0, s7
	s_addc_u32 s1, s1, 0
	s_mov_b32 s7, exec_lo
	v_cmpx_gt_u32_e32 20, v0
	s_cbranch_execz .LBB83_307
; %bb.1:
	s_clause 0x1
	s_load_dwordx2 s[12:13], s[4:5], 0x10
	s_load_dwordx4 s[8:11], s[4:5], 0x0
	s_ashr_i32 s7, s6, 31
	v_lshlrev_b32_e32 v51, 4, v0
	s_lshl_b64 s[4:5], s[6:7], 3
	s_movk_i32 s14, 0xd0
	s_movk_i32 s28, 0xe0
	;; [unrolled: 1-line block ×7, first 2 shown]
	s_waitcnt lgkmcnt(0)
	s_ashr_i32 s7, s12, 31
	s_add_u32 s4, s10, s4
	s_addc_u32 s5, s11, s5
	s_mov_b32 s6, s12
	s_load_dwordx2 s[4:5], s[4:5], 0x0
	s_lshl_b64 s[6:7], s[6:7], 4
	v_add3_u32 v11, s13, s13, v0
	s_movk_i32 s10, 0x90
	s_movk_i32 s11, 0xa0
	;; [unrolled: 1-line block ×3, first 2 shown]
	v_ashrrev_i32_e32 v12, 31, v11
	v_add_nc_u32_e32 v13, s13, v11
	v_lshlrev_b64 v[9:10], 4, v[11:12]
	v_ashrrev_i32_e32 v14, 31, v13
	v_add_nc_u32_e32 v15, s13, v13
	v_lshlrev_b64 v[11:12], 4, v[13:14]
	v_ashrrev_i32_e32 v16, 31, v15
	s_waitcnt lgkmcnt(0)
	s_add_u32 s4, s4, s6
	s_addc_u32 s5, s5, s7
	v_add_co_u32 v5, s6, s4, v51
	v_add_co_ci_u32_e64 v6, null, s5, 0, s6
	s_mov_b32 s6, s13
	s_ashr_i32 s7, s13, 31
	v_lshlrev_b64 v[13:14], 4, v[15:16]
	flat_load_dwordx4 v[1:4], v[5:6]
	s_lshl_b64 s[6:7], s[6:7], 4
	v_add_nc_u32_e32 v17, s13, v15
	v_add_co_u32 v7, vcc_lo, v5, s6
	v_add_co_ci_u32_e64 v8, null, s7, v6, vcc_lo
	v_add_co_u32 v9, vcc_lo, s4, v9
	v_add_co_ci_u32_e64 v10, null, s5, v10, vcc_lo
	v_add_co_u32 v11, vcc_lo, s4, v11
	v_add_co_ci_u32_e64 v12, null, s5, v12, vcc_lo
	v_add_co_u32 v13, vcc_lo, s4, v13
	v_add_co_ci_u32_e64 v14, null, s5, v14, vcc_lo
	v_ashrrev_i32_e32 v18, 31, v17
	v_add_nc_u32_e32 v19, s13, v17
	s_cmpk_lg_i32 s9, 0x84
	s_movk_i32 s6, 0x70
	s_movk_i32 s7, 0x80
	v_lshlrev_b64 v[15:16], 4, v[17:18]
	v_ashrrev_i32_e32 v20, 31, v19
	v_add_nc_u32_e32 v21, s13, v19
	s_cselect_b32 s27, -1, 0
	s_cmpk_eq_i32 s9, 0x84
	s_waitcnt vmcnt(0) lgkmcnt(0)
	buffer_store_dword v4, off, s[0:3], 0 offset:12
	buffer_store_dword v3, off, s[0:3], 0 offset:8
	;; [unrolled: 1-line block ×3, first 2 shown]
	buffer_store_dword v1, off, s[0:3], 0
	flat_load_dwordx4 v[1:4], v[7:8]
	v_add_co_u32 v15, vcc_lo, s4, v15
	v_add_co_ci_u32_e64 v16, null, s5, v16, vcc_lo
	v_lshlrev_b64 v[17:18], 4, v[19:20]
	v_ashrrev_i32_e32 v22, 31, v21
	v_add_nc_u32_e32 v23, s13, v21
	s_waitcnt vmcnt(0) lgkmcnt(0)
	buffer_store_dword v4, off, s[0:3], 0 offset:28
	buffer_store_dword v3, off, s[0:3], 0 offset:24
	buffer_store_dword v2, off, s[0:3], 0 offset:20
	buffer_store_dword v1, off, s[0:3], 0 offset:16
	flat_load_dwordx4 v[1:4], v[9:10]
	v_add_co_u32 v17, vcc_lo, s4, v17
	v_add_co_ci_u32_e64 v18, null, s5, v18, vcc_lo
	v_lshlrev_b64 v[19:20], 4, v[21:22]
	v_ashrrev_i32_e32 v24, 31, v23
	v_add_nc_u32_e32 v25, s13, v23
	s_waitcnt vmcnt(0) lgkmcnt(0)
	buffer_store_dword v4, off, s[0:3], 0 offset:44
	buffer_store_dword v3, off, s[0:3], 0 offset:40
	buffer_store_dword v2, off, s[0:3], 0 offset:36
	buffer_store_dword v1, off, s[0:3], 0 offset:32
	;; [unrolled: 11-line block ×11, first 2 shown]
	flat_load_dwordx4 v[1:4], v[29:30]
	v_add_co_u32 v37, vcc_lo, s4, v37
	v_add_co_ci_u32_e64 v38, null, s5, v38, vcc_lo
	v_lshlrev_b64 v[39:40], 4, v[41:42]
	v_ashrrev_i32_e32 v44, 31, v43
	s_waitcnt vmcnt(0) lgkmcnt(0)
	buffer_store_dword v4, off, s[0:3], 0 offset:204
	buffer_store_dword v3, off, s[0:3], 0 offset:200
	;; [unrolled: 1-line block ×4, first 2 shown]
	flat_load_dwordx4 v[1:4], v[31:32]
	v_add_co_u32 v39, vcc_lo, s4, v39
	v_add_co_ci_u32_e64 v40, null, s5, v40, vcc_lo
	v_lshlrev_b64 v[41:42], 4, v[43:44]
	v_add_nc_u32_e32 v43, s13, v43
	s_movk_i32 s13, 0xc0
	s_waitcnt vmcnt(0) lgkmcnt(0)
	buffer_store_dword v4, off, s[0:3], 0 offset:220
	buffer_store_dword v3, off, s[0:3], 0 offset:216
	;; [unrolled: 1-line block ×4, first 2 shown]
	flat_load_dwordx4 v[1:4], v[33:34]
	v_add_co_u32 v41, vcc_lo, s4, v41
	v_add_co_ci_u32_e64 v42, null, s5, v42, vcc_lo
	v_ashrrev_i32_e32 v44, 31, v43
	s_waitcnt vmcnt(0) lgkmcnt(0)
	buffer_store_dword v4, off, s[0:3], 0 offset:236
	buffer_store_dword v3, off, s[0:3], 0 offset:232
	;; [unrolled: 1-line block ×4, first 2 shown]
	flat_load_dwordx4 v[1:4], v[35:36]
	v_lshlrev_b64 v[43:44], 4, v[43:44]
	s_waitcnt vmcnt(0) lgkmcnt(0)
	buffer_store_dword v4, off, s[0:3], 0 offset:252
	buffer_store_dword v3, off, s[0:3], 0 offset:248
	;; [unrolled: 1-line block ×4, first 2 shown]
	flat_load_dwordx4 v[1:4], v[37:38]
	v_add_co_u32 v43, vcc_lo, s4, v43
	v_add_co_ci_u32_e64 v44, null, s5, v44, vcc_lo
	s_movk_i32 s4, 0x50
	s_movk_i32 s5, 0x60
	s_waitcnt vmcnt(0) lgkmcnt(0)
	buffer_store_dword v4, off, s[0:3], 0 offset:268
	buffer_store_dword v3, off, s[0:3], 0 offset:264
	buffer_store_dword v2, off, s[0:3], 0 offset:260
	buffer_store_dword v1, off, s[0:3], 0 offset:256
	flat_load_dwordx4 v[1:4], v[39:40]
	s_waitcnt vmcnt(0) lgkmcnt(0)
	buffer_store_dword v4, off, s[0:3], 0 offset:284
	buffer_store_dword v3, off, s[0:3], 0 offset:280
	buffer_store_dword v2, off, s[0:3], 0 offset:276
	buffer_store_dword v1, off, s[0:3], 0 offset:272
	flat_load_dwordx4 v[1:4], v[41:42]
	;; [unrolled: 6-line block ×3, first 2 shown]
	s_waitcnt vmcnt(0) lgkmcnt(0)
	buffer_store_dword v4, off, s[0:3], 0 offset:316
	buffer_store_dword v3, off, s[0:3], 0 offset:312
	;; [unrolled: 1-line block ×4, first 2 shown]
	s_cbranch_scc1 .LBB83_7
; %bb.2:
	v_lshl_add_u32 v52, v0, 4, 0
                                        ; implicit-def: $vgpr47_vgpr48
                                        ; implicit-def: $vgpr3_vgpr4
	s_clause 0x3
	buffer_load_dword v45, v52, s[0:3], 0 offen
	buffer_load_dword v46, v52, s[0:3], 0 offen offset:4
	buffer_load_dword v49, v52, s[0:3], 0 offen offset:8
	;; [unrolled: 1-line block ×3, first 2 shown]
	s_waitcnt vmcnt(0)
	v_cmp_ngt_f64_e64 s9, |v[45:46]|, |v[49:50]|
	s_and_saveexec_b32 s15, s9
	s_xor_b32 s9, exec_lo, s15
	s_cbranch_execz .LBB83_4
; %bb.3:
	v_div_scale_f64 v[1:2], null, v[49:50], v[49:50], v[45:46]
	v_div_scale_f64 v[53:54], vcc_lo, v[45:46], v[49:50], v[45:46]
	v_rcp_f64_e32 v[3:4], v[1:2]
	v_fma_f64 v[47:48], -v[1:2], v[3:4], 1.0
	v_fma_f64 v[3:4], v[3:4], v[47:48], v[3:4]
	v_fma_f64 v[47:48], -v[1:2], v[3:4], 1.0
	v_fma_f64 v[3:4], v[3:4], v[47:48], v[3:4]
	v_mul_f64 v[47:48], v[53:54], v[3:4]
	v_fma_f64 v[1:2], -v[1:2], v[47:48], v[53:54]
	v_div_fmas_f64 v[1:2], v[1:2], v[3:4], v[47:48]
	v_div_fixup_f64 v[1:2], v[1:2], v[49:50], v[45:46]
	v_fma_f64 v[3:4], v[45:46], v[1:2], v[49:50]
	v_div_scale_f64 v[45:46], null, v[3:4], v[3:4], 1.0
	v_div_scale_f64 v[53:54], vcc_lo, 1.0, v[3:4], 1.0
	v_rcp_f64_e32 v[47:48], v[45:46]
	v_fma_f64 v[49:50], -v[45:46], v[47:48], 1.0
	v_fma_f64 v[47:48], v[47:48], v[49:50], v[47:48]
	v_fma_f64 v[49:50], -v[45:46], v[47:48], 1.0
	v_fma_f64 v[47:48], v[47:48], v[49:50], v[47:48]
	v_mul_f64 v[49:50], v[53:54], v[47:48]
	v_fma_f64 v[45:46], -v[45:46], v[49:50], v[53:54]
	v_div_fmas_f64 v[45:46], v[45:46], v[47:48], v[49:50]
                                        ; implicit-def: $vgpr49_vgpr50
	v_div_fixup_f64 v[3:4], v[45:46], v[3:4], 1.0
                                        ; implicit-def: $vgpr45_vgpr46
	v_mul_f64 v[47:48], v[1:2], v[3:4]
	v_xor_b32_e32 v4, 0x80000000, v4
	v_xor_b32_e32 v2, 0x80000000, v48
	v_mov_b32_e32 v1, v47
.LBB83_4:
	s_andn2_saveexec_b32 s9, s9
	s_cbranch_execz .LBB83_6
; %bb.5:
	v_div_scale_f64 v[1:2], null, v[45:46], v[45:46], v[49:50]
	v_div_scale_f64 v[53:54], vcc_lo, v[49:50], v[45:46], v[49:50]
	v_rcp_f64_e32 v[3:4], v[1:2]
	v_fma_f64 v[47:48], -v[1:2], v[3:4], 1.0
	v_fma_f64 v[3:4], v[3:4], v[47:48], v[3:4]
	v_fma_f64 v[47:48], -v[1:2], v[3:4], 1.0
	v_fma_f64 v[3:4], v[3:4], v[47:48], v[3:4]
	v_mul_f64 v[47:48], v[53:54], v[3:4]
	v_fma_f64 v[1:2], -v[1:2], v[47:48], v[53:54]
	v_div_fmas_f64 v[1:2], v[1:2], v[3:4], v[47:48]
	v_div_fixup_f64 v[1:2], v[1:2], v[45:46], v[49:50]
	v_fma_f64 v[3:4], v[49:50], v[1:2], v[45:46]
	v_div_scale_f64 v[45:46], null, v[3:4], v[3:4], 1.0
	v_rcp_f64_e32 v[47:48], v[45:46]
	v_fma_f64 v[49:50], -v[45:46], v[47:48], 1.0
	v_fma_f64 v[47:48], v[47:48], v[49:50], v[47:48]
	v_fma_f64 v[49:50], -v[45:46], v[47:48], 1.0
	v_fma_f64 v[47:48], v[47:48], v[49:50], v[47:48]
	v_div_scale_f64 v[49:50], vcc_lo, 1.0, v[3:4], 1.0
	v_mul_f64 v[53:54], v[49:50], v[47:48]
	v_fma_f64 v[45:46], -v[45:46], v[53:54], v[49:50]
	v_div_fmas_f64 v[45:46], v[45:46], v[47:48], v[53:54]
	v_div_fixup_f64 v[47:48], v[45:46], v[3:4], 1.0
	v_mul_f64 v[3:4], v[1:2], -v[47:48]
	v_xor_b32_e32 v2, 0x80000000, v48
	v_mov_b32_e32 v1, v47
.LBB83_6:
	s_or_b32 exec_lo, exec_lo, s9
	buffer_store_dword v4, v52, s[0:3], 0 offen offset:12
	v_xor_b32_e32 v4, 0x80000000, v4
	buffer_store_dword v48, v52, s[0:3], 0 offen offset:4
	buffer_store_dword v47, v52, s[0:3], 0 offen
	buffer_store_dword v3, v52, s[0:3], 0 offen offset:8
	s_branch .LBB83_8
.LBB83_7:
	v_mov_b32_e32 v1, 0
	v_mov_b32_e32 v3, 0
	;; [unrolled: 1-line block ×4, first 2 shown]
.LBB83_8:
	v_add_nc_u32_e32 v46, 0x140, v51
	v_mov_b32_e32 v45, v51
	s_mov_b32 s26, 16
	s_mov_b32 s25, 32
	;; [unrolled: 1-line block ×18, first 2 shown]
	s_cmpk_eq_i32 s8, 0x79
	ds_write_b128 v51, v[1:4]
	s_cbranch_scc1 .LBB83_156
; %bb.9:
	v_mov_b32_e32 v4, s9
	v_cmp_eq_u32_e64 s4, 19, v0
	s_clause 0x3
	buffer_load_dword v1, v4, s[0:3], 0 offen
	buffer_load_dword v2, v4, s[0:3], 0 offen offset:4
	buffer_load_dword v3, v4, s[0:3], 0 offen offset:8
	;; [unrolled: 1-line block ×3, first 2 shown]
	s_waitcnt vmcnt(0)
	ds_write_b128 v46, v[1:4]
	s_waitcnt lgkmcnt(0)
	s_waitcnt_vscnt null, 0x0
	s_barrier
	buffer_gl0_inv
	s_and_saveexec_b32 s5, s4
	s_cbranch_execz .LBB83_13
; %bb.10:
	ds_read_b128 v[1:4], v46
	s_andn2_b32 vcc_lo, exec_lo, s27
	s_cbranch_vccnz .LBB83_12
; %bb.11:
	s_clause 0x3
	buffer_load_dword v47, v45, s[0:3], 0 offen offset:8
	buffer_load_dword v48, v45, s[0:3], 0 offen offset:12
	buffer_load_dword v49, v45, s[0:3], 0 offen
	buffer_load_dword v50, v45, s[0:3], 0 offen offset:4
	s_waitcnt vmcnt(2) lgkmcnt(0)
	v_mul_f64 v[52:53], v[3:4], v[47:48]
	v_mul_f64 v[47:48], v[1:2], v[47:48]
	s_waitcnt vmcnt(0)
	v_fma_f64 v[1:2], v[1:2], v[49:50], -v[52:53]
	v_fma_f64 v[3:4], v[3:4], v[49:50], v[47:48]
.LBB83_12:
	v_mov_b32_e32 v47, 0
	ds_read_b128 v[47:50], v47 offset:288
	s_waitcnt lgkmcnt(0)
	v_mul_f64 v[52:53], v[3:4], v[49:50]
	v_mul_f64 v[49:50], v[1:2], v[49:50]
	v_fma_f64 v[1:2], v[1:2], v[47:48], -v[52:53]
	v_fma_f64 v[3:4], v[3:4], v[47:48], v[49:50]
	buffer_store_dword v2, off, s[0:3], 0 offset:292
	buffer_store_dword v1, off, s[0:3], 0 offset:288
	buffer_store_dword v4, off, s[0:3], 0 offset:300
	buffer_store_dword v3, off, s[0:3], 0 offset:296
.LBB83_13:
	s_or_b32 exec_lo, exec_lo, s5
	v_mov_b32_e32 v4, s10
	v_cmp_lt_u32_e64 s5, 17, v0
	s_clause 0x3
	buffer_load_dword v1, v4, s[0:3], 0 offen
	buffer_load_dword v2, v4, s[0:3], 0 offen offset:4
	buffer_load_dword v3, v4, s[0:3], 0 offen offset:8
	;; [unrolled: 1-line block ×3, first 2 shown]
	s_waitcnt vmcnt(0)
	ds_write_b128 v46, v[1:4]
	s_waitcnt lgkmcnt(0)
	s_waitcnt_vscnt null, 0x0
	s_barrier
	buffer_gl0_inv
	s_and_saveexec_b32 s6, s5
	s_cbranch_execz .LBB83_19
; %bb.14:
	ds_read_b128 v[1:4], v46
	s_andn2_b32 vcc_lo, exec_lo, s27
	s_cbranch_vccnz .LBB83_16
; %bb.15:
	s_clause 0x3
	buffer_load_dword v47, v45, s[0:3], 0 offen offset:8
	buffer_load_dword v48, v45, s[0:3], 0 offen offset:12
	buffer_load_dword v49, v45, s[0:3], 0 offen
	buffer_load_dword v50, v45, s[0:3], 0 offen offset:4
	s_waitcnt vmcnt(2) lgkmcnt(0)
	v_mul_f64 v[52:53], v[3:4], v[47:48]
	v_mul_f64 v[47:48], v[1:2], v[47:48]
	s_waitcnt vmcnt(0)
	v_fma_f64 v[1:2], v[1:2], v[49:50], -v[52:53]
	v_fma_f64 v[3:4], v[3:4], v[49:50], v[47:48]
.LBB83_16:
	s_and_saveexec_b32 s8, s4
	s_cbranch_execz .LBB83_18
; %bb.17:
	s_clause 0x3
	buffer_load_dword v52, off, s[0:3], 0 offset:296
	buffer_load_dword v53, off, s[0:3], 0 offset:300
	;; [unrolled: 1-line block ×4, first 2 shown]
	v_mov_b32_e32 v47, 0
	ds_read_b128 v[47:50], v47 offset:608
	s_waitcnt vmcnt(2) lgkmcnt(0)
	v_mul_f64 v[56:57], v[47:48], v[52:53]
	v_mul_f64 v[52:53], v[49:50], v[52:53]
	s_waitcnt vmcnt(0)
	v_fma_f64 v[49:50], v[49:50], v[54:55], v[56:57]
	v_fma_f64 v[47:48], v[47:48], v[54:55], -v[52:53]
	v_add_f64 v[3:4], v[3:4], v[49:50]
	v_add_f64 v[1:2], v[1:2], v[47:48]
.LBB83_18:
	s_or_b32 exec_lo, exec_lo, s8
	v_mov_b32_e32 v47, 0
	ds_read_b128 v[47:50], v47 offset:272
	s_waitcnt lgkmcnt(0)
	v_mul_f64 v[52:53], v[3:4], v[49:50]
	v_mul_f64 v[49:50], v[1:2], v[49:50]
	v_fma_f64 v[1:2], v[1:2], v[47:48], -v[52:53]
	v_fma_f64 v[3:4], v[3:4], v[47:48], v[49:50]
	buffer_store_dword v2, off, s[0:3], 0 offset:276
	buffer_store_dword v1, off, s[0:3], 0 offset:272
	buffer_store_dword v4, off, s[0:3], 0 offset:284
	buffer_store_dword v3, off, s[0:3], 0 offset:280
.LBB83_19:
	s_or_b32 exec_lo, exec_lo, s6
	v_mov_b32_e32 v4, s11
	v_cmp_lt_u32_e64 s4, 16, v0
	s_clause 0x3
	buffer_load_dword v1, v4, s[0:3], 0 offen
	buffer_load_dword v2, v4, s[0:3], 0 offen offset:4
	buffer_load_dword v3, v4, s[0:3], 0 offen offset:8
	buffer_load_dword v4, v4, s[0:3], 0 offen offset:12
	s_waitcnt vmcnt(0)
	ds_write_b128 v46, v[1:4]
	s_waitcnt lgkmcnt(0)
	s_waitcnt_vscnt null, 0x0
	s_barrier
	buffer_gl0_inv
	s_and_saveexec_b32 s6, s4
	s_cbranch_execz .LBB83_27
; %bb.20:
	ds_read_b128 v[1:4], v46
	s_andn2_b32 vcc_lo, exec_lo, s27
	s_cbranch_vccnz .LBB83_22
; %bb.21:
	s_clause 0x3
	buffer_load_dword v47, v45, s[0:3], 0 offen offset:8
	buffer_load_dword v48, v45, s[0:3], 0 offen offset:12
	buffer_load_dword v49, v45, s[0:3], 0 offen
	buffer_load_dword v50, v45, s[0:3], 0 offen offset:4
	s_waitcnt vmcnt(2) lgkmcnt(0)
	v_mul_f64 v[52:53], v[3:4], v[47:48]
	v_mul_f64 v[47:48], v[1:2], v[47:48]
	s_waitcnt vmcnt(0)
	v_fma_f64 v[1:2], v[1:2], v[49:50], -v[52:53]
	v_fma_f64 v[3:4], v[3:4], v[49:50], v[47:48]
.LBB83_22:
	s_and_saveexec_b32 s8, s5
	s_cbranch_execz .LBB83_26
; %bb.23:
	v_subrev_nc_u32_e32 v47, 17, v0
	s_movk_i32 s28, 0x250
	s_mov_b32 s5, 0
	s_mov_b32 s29, s10
	.p2align	6
.LBB83_24:                              ; =>This Inner Loop Header: Depth=1
	v_mov_b32_e32 v50, s29
	v_add_nc_u32_e32 v47, -1, v47
	s_add_i32 s29, s29, 16
	s_clause 0x3
	buffer_load_dword v48, v50, s[0:3], 0 offen offset:8
	buffer_load_dword v49, v50, s[0:3], 0 offen offset:12
	buffer_load_dword v56, v50, s[0:3], 0 offen
	buffer_load_dword v57, v50, s[0:3], 0 offen offset:4
	v_mov_b32_e32 v50, s28
	v_cmp_eq_u32_e32 vcc_lo, 0, v47
	s_add_i32 s28, s28, 16
	ds_read_b128 v[52:55], v50
	s_or_b32 s5, vcc_lo, s5
	s_waitcnt vmcnt(2) lgkmcnt(0)
	v_mul_f64 v[58:59], v[54:55], v[48:49]
	v_mul_f64 v[48:49], v[52:53], v[48:49]
	s_waitcnt vmcnt(0)
	v_fma_f64 v[52:53], v[52:53], v[56:57], -v[58:59]
	v_fma_f64 v[48:49], v[54:55], v[56:57], v[48:49]
	v_add_f64 v[1:2], v[1:2], v[52:53]
	v_add_f64 v[3:4], v[3:4], v[48:49]
	s_andn2_b32 exec_lo, exec_lo, s5
	s_cbranch_execnz .LBB83_24
; %bb.25:
	s_or_b32 exec_lo, exec_lo, s5
.LBB83_26:
	s_or_b32 exec_lo, exec_lo, s8
	v_mov_b32_e32 v47, 0
	ds_read_b128 v[47:50], v47 offset:256
	s_waitcnt lgkmcnt(0)
	v_mul_f64 v[52:53], v[3:4], v[49:50]
	v_mul_f64 v[49:50], v[1:2], v[49:50]
	v_fma_f64 v[1:2], v[1:2], v[47:48], -v[52:53]
	v_fma_f64 v[3:4], v[3:4], v[47:48], v[49:50]
	buffer_store_dword v2, off, s[0:3], 0 offset:260
	buffer_store_dword v1, off, s[0:3], 0 offset:256
	;; [unrolled: 1-line block ×4, first 2 shown]
.LBB83_27:
	s_or_b32 exec_lo, exec_lo, s6
	v_mov_b32_e32 v4, s12
	v_cmp_lt_u32_e64 s5, 15, v0
	s_clause 0x3
	buffer_load_dword v1, v4, s[0:3], 0 offen
	buffer_load_dword v2, v4, s[0:3], 0 offen offset:4
	buffer_load_dword v3, v4, s[0:3], 0 offen offset:8
	;; [unrolled: 1-line block ×3, first 2 shown]
	s_waitcnt vmcnt(0)
	ds_write_b128 v46, v[1:4]
	s_waitcnt lgkmcnt(0)
	s_waitcnt_vscnt null, 0x0
	s_barrier
	buffer_gl0_inv
	s_and_saveexec_b32 s6, s5
	s_cbranch_execz .LBB83_35
; %bb.28:
	ds_read_b128 v[1:4], v46
	s_andn2_b32 vcc_lo, exec_lo, s27
	s_cbranch_vccnz .LBB83_30
; %bb.29:
	s_clause 0x3
	buffer_load_dword v47, v45, s[0:3], 0 offen offset:8
	buffer_load_dword v48, v45, s[0:3], 0 offen offset:12
	buffer_load_dword v49, v45, s[0:3], 0 offen
	buffer_load_dword v50, v45, s[0:3], 0 offen offset:4
	s_waitcnt vmcnt(2) lgkmcnt(0)
	v_mul_f64 v[52:53], v[3:4], v[47:48]
	v_mul_f64 v[47:48], v[1:2], v[47:48]
	s_waitcnt vmcnt(0)
	v_fma_f64 v[1:2], v[1:2], v[49:50], -v[52:53]
	v_fma_f64 v[3:4], v[3:4], v[49:50], v[47:48]
.LBB83_30:
	s_and_saveexec_b32 s8, s4
	s_cbranch_execz .LBB83_34
; %bb.31:
	v_add_nc_u32_e32 v47, -16, v0
	s_movk_i32 s28, 0x240
	s_mov_b32 s4, 0
	s_mov_b32 s29, s11
	.p2align	6
.LBB83_32:                              ; =>This Inner Loop Header: Depth=1
	v_mov_b32_e32 v50, s29
	v_add_nc_u32_e32 v47, -1, v47
	s_add_i32 s29, s29, 16
	s_clause 0x3
	buffer_load_dword v48, v50, s[0:3], 0 offen offset:8
	buffer_load_dword v49, v50, s[0:3], 0 offen offset:12
	buffer_load_dword v56, v50, s[0:3], 0 offen
	buffer_load_dword v57, v50, s[0:3], 0 offen offset:4
	v_mov_b32_e32 v50, s28
	v_cmp_eq_u32_e32 vcc_lo, 0, v47
	s_add_i32 s28, s28, 16
	ds_read_b128 v[52:55], v50
	s_or_b32 s4, vcc_lo, s4
	s_waitcnt vmcnt(2) lgkmcnt(0)
	v_mul_f64 v[58:59], v[54:55], v[48:49]
	v_mul_f64 v[48:49], v[52:53], v[48:49]
	s_waitcnt vmcnt(0)
	v_fma_f64 v[52:53], v[52:53], v[56:57], -v[58:59]
	v_fma_f64 v[48:49], v[54:55], v[56:57], v[48:49]
	v_add_f64 v[1:2], v[1:2], v[52:53]
	v_add_f64 v[3:4], v[3:4], v[48:49]
	s_andn2_b32 exec_lo, exec_lo, s4
	s_cbranch_execnz .LBB83_32
; %bb.33:
	s_or_b32 exec_lo, exec_lo, s4
.LBB83_34:
	s_or_b32 exec_lo, exec_lo, s8
	v_mov_b32_e32 v47, 0
	ds_read_b128 v[47:50], v47 offset:240
	s_waitcnt lgkmcnt(0)
	v_mul_f64 v[52:53], v[3:4], v[49:50]
	v_mul_f64 v[49:50], v[1:2], v[49:50]
	v_fma_f64 v[1:2], v[1:2], v[47:48], -v[52:53]
	v_fma_f64 v[3:4], v[3:4], v[47:48], v[49:50]
	buffer_store_dword v2, off, s[0:3], 0 offset:244
	buffer_store_dword v1, off, s[0:3], 0 offset:240
	;; [unrolled: 1-line block ×4, first 2 shown]
.LBB83_35:
	s_or_b32 exec_lo, exec_lo, s6
	v_mov_b32_e32 v4, s13
	v_cmp_lt_u32_e64 s4, 14, v0
	s_clause 0x3
	buffer_load_dword v1, v4, s[0:3], 0 offen
	buffer_load_dword v2, v4, s[0:3], 0 offen offset:4
	buffer_load_dword v3, v4, s[0:3], 0 offen offset:8
	;; [unrolled: 1-line block ×3, first 2 shown]
	s_waitcnt vmcnt(0)
	ds_write_b128 v46, v[1:4]
	s_waitcnt lgkmcnt(0)
	s_waitcnt_vscnt null, 0x0
	s_barrier
	buffer_gl0_inv
	s_and_saveexec_b32 s6, s4
	s_cbranch_execz .LBB83_43
; %bb.36:
	ds_read_b128 v[1:4], v46
	s_andn2_b32 vcc_lo, exec_lo, s27
	s_cbranch_vccnz .LBB83_38
; %bb.37:
	s_clause 0x3
	buffer_load_dword v47, v45, s[0:3], 0 offen offset:8
	buffer_load_dword v48, v45, s[0:3], 0 offen offset:12
	buffer_load_dword v49, v45, s[0:3], 0 offen
	buffer_load_dword v50, v45, s[0:3], 0 offen offset:4
	s_waitcnt vmcnt(2) lgkmcnt(0)
	v_mul_f64 v[52:53], v[3:4], v[47:48]
	v_mul_f64 v[47:48], v[1:2], v[47:48]
	s_waitcnt vmcnt(0)
	v_fma_f64 v[1:2], v[1:2], v[49:50], -v[52:53]
	v_fma_f64 v[3:4], v[3:4], v[49:50], v[47:48]
.LBB83_38:
	s_and_saveexec_b32 s8, s5
	s_cbranch_execz .LBB83_42
; %bb.39:
	v_add_nc_u32_e32 v47, -15, v0
	s_movk_i32 s28, 0x230
	s_mov_b32 s5, 0
	s_mov_b32 s29, s12
	.p2align	6
.LBB83_40:                              ; =>This Inner Loop Header: Depth=1
	v_mov_b32_e32 v50, s29
	v_add_nc_u32_e32 v47, -1, v47
	s_add_i32 s29, s29, 16
	s_clause 0x3
	buffer_load_dword v48, v50, s[0:3], 0 offen offset:8
	buffer_load_dword v49, v50, s[0:3], 0 offen offset:12
	buffer_load_dword v56, v50, s[0:3], 0 offen
	buffer_load_dword v57, v50, s[0:3], 0 offen offset:4
	v_mov_b32_e32 v50, s28
	v_cmp_eq_u32_e32 vcc_lo, 0, v47
	s_add_i32 s28, s28, 16
	ds_read_b128 v[52:55], v50
	s_or_b32 s5, vcc_lo, s5
	s_waitcnt vmcnt(2) lgkmcnt(0)
	v_mul_f64 v[58:59], v[54:55], v[48:49]
	v_mul_f64 v[48:49], v[52:53], v[48:49]
	s_waitcnt vmcnt(0)
	v_fma_f64 v[52:53], v[52:53], v[56:57], -v[58:59]
	v_fma_f64 v[48:49], v[54:55], v[56:57], v[48:49]
	v_add_f64 v[1:2], v[1:2], v[52:53]
	v_add_f64 v[3:4], v[3:4], v[48:49]
	s_andn2_b32 exec_lo, exec_lo, s5
	s_cbranch_execnz .LBB83_40
; %bb.41:
	s_or_b32 exec_lo, exec_lo, s5
.LBB83_42:
	s_or_b32 exec_lo, exec_lo, s8
	v_mov_b32_e32 v47, 0
	ds_read_b128 v[47:50], v47 offset:224
	s_waitcnt lgkmcnt(0)
	v_mul_f64 v[52:53], v[3:4], v[49:50]
	v_mul_f64 v[49:50], v[1:2], v[49:50]
	v_fma_f64 v[1:2], v[1:2], v[47:48], -v[52:53]
	v_fma_f64 v[3:4], v[3:4], v[47:48], v[49:50]
	buffer_store_dword v2, off, s[0:3], 0 offset:228
	buffer_store_dword v1, off, s[0:3], 0 offset:224
	;; [unrolled: 1-line block ×4, first 2 shown]
.LBB83_43:
	s_or_b32 exec_lo, exec_lo, s6
	v_mov_b32_e32 v4, s14
	v_cmp_lt_u32_e64 s5, 13, v0
	s_clause 0x3
	buffer_load_dword v1, v4, s[0:3], 0 offen
	buffer_load_dword v2, v4, s[0:3], 0 offen offset:4
	buffer_load_dword v3, v4, s[0:3], 0 offen offset:8
	;; [unrolled: 1-line block ×3, first 2 shown]
	s_waitcnt vmcnt(0)
	ds_write_b128 v46, v[1:4]
	s_waitcnt lgkmcnt(0)
	s_waitcnt_vscnt null, 0x0
	s_barrier
	buffer_gl0_inv
	s_and_saveexec_b32 s6, s5
	s_cbranch_execz .LBB83_51
; %bb.44:
	ds_read_b128 v[1:4], v46
	s_andn2_b32 vcc_lo, exec_lo, s27
	s_cbranch_vccnz .LBB83_46
; %bb.45:
	s_clause 0x3
	buffer_load_dword v47, v45, s[0:3], 0 offen offset:8
	buffer_load_dword v48, v45, s[0:3], 0 offen offset:12
	buffer_load_dword v49, v45, s[0:3], 0 offen
	buffer_load_dword v50, v45, s[0:3], 0 offen offset:4
	s_waitcnt vmcnt(2) lgkmcnt(0)
	v_mul_f64 v[52:53], v[3:4], v[47:48]
	v_mul_f64 v[47:48], v[1:2], v[47:48]
	s_waitcnt vmcnt(0)
	v_fma_f64 v[1:2], v[1:2], v[49:50], -v[52:53]
	v_fma_f64 v[3:4], v[3:4], v[49:50], v[47:48]
.LBB83_46:
	s_and_saveexec_b32 s8, s4
	s_cbranch_execz .LBB83_50
; %bb.47:
	v_add_nc_u32_e32 v47, -14, v0
	s_movk_i32 s28, 0x220
	s_mov_b32 s4, 0
	s_mov_b32 s29, s13
	.p2align	6
.LBB83_48:                              ; =>This Inner Loop Header: Depth=1
	v_mov_b32_e32 v50, s29
	v_add_nc_u32_e32 v47, -1, v47
	s_add_i32 s29, s29, 16
	s_clause 0x3
	buffer_load_dword v48, v50, s[0:3], 0 offen offset:8
	buffer_load_dword v49, v50, s[0:3], 0 offen offset:12
	buffer_load_dword v56, v50, s[0:3], 0 offen
	buffer_load_dword v57, v50, s[0:3], 0 offen offset:4
	v_mov_b32_e32 v50, s28
	v_cmp_eq_u32_e32 vcc_lo, 0, v47
	s_add_i32 s28, s28, 16
	ds_read_b128 v[52:55], v50
	s_or_b32 s4, vcc_lo, s4
	s_waitcnt vmcnt(2) lgkmcnt(0)
	v_mul_f64 v[58:59], v[54:55], v[48:49]
	v_mul_f64 v[48:49], v[52:53], v[48:49]
	s_waitcnt vmcnt(0)
	v_fma_f64 v[52:53], v[52:53], v[56:57], -v[58:59]
	v_fma_f64 v[48:49], v[54:55], v[56:57], v[48:49]
	v_add_f64 v[1:2], v[1:2], v[52:53]
	v_add_f64 v[3:4], v[3:4], v[48:49]
	s_andn2_b32 exec_lo, exec_lo, s4
	s_cbranch_execnz .LBB83_48
; %bb.49:
	s_or_b32 exec_lo, exec_lo, s4
.LBB83_50:
	s_or_b32 exec_lo, exec_lo, s8
	v_mov_b32_e32 v47, 0
	ds_read_b128 v[47:50], v47 offset:208
	s_waitcnt lgkmcnt(0)
	v_mul_f64 v[52:53], v[3:4], v[49:50]
	v_mul_f64 v[49:50], v[1:2], v[49:50]
	v_fma_f64 v[1:2], v[1:2], v[47:48], -v[52:53]
	v_fma_f64 v[3:4], v[3:4], v[47:48], v[49:50]
	buffer_store_dword v2, off, s[0:3], 0 offset:212
	buffer_store_dword v1, off, s[0:3], 0 offset:208
	;; [unrolled: 1-line block ×4, first 2 shown]
.LBB83_51:
	s_or_b32 exec_lo, exec_lo, s6
	v_mov_b32_e32 v4, s15
	v_cmp_lt_u32_e64 s4, 12, v0
	s_clause 0x3
	buffer_load_dword v1, v4, s[0:3], 0 offen
	buffer_load_dword v2, v4, s[0:3], 0 offen offset:4
	buffer_load_dword v3, v4, s[0:3], 0 offen offset:8
	;; [unrolled: 1-line block ×3, first 2 shown]
	s_waitcnt vmcnt(0)
	ds_write_b128 v46, v[1:4]
	s_waitcnt lgkmcnt(0)
	s_waitcnt_vscnt null, 0x0
	s_barrier
	buffer_gl0_inv
	s_and_saveexec_b32 s6, s4
	s_cbranch_execz .LBB83_59
; %bb.52:
	ds_read_b128 v[1:4], v46
	s_andn2_b32 vcc_lo, exec_lo, s27
	s_cbranch_vccnz .LBB83_54
; %bb.53:
	s_clause 0x3
	buffer_load_dword v47, v45, s[0:3], 0 offen offset:8
	buffer_load_dword v48, v45, s[0:3], 0 offen offset:12
	buffer_load_dword v49, v45, s[0:3], 0 offen
	buffer_load_dword v50, v45, s[0:3], 0 offen offset:4
	s_waitcnt vmcnt(2) lgkmcnt(0)
	v_mul_f64 v[52:53], v[3:4], v[47:48]
	v_mul_f64 v[47:48], v[1:2], v[47:48]
	s_waitcnt vmcnt(0)
	v_fma_f64 v[1:2], v[1:2], v[49:50], -v[52:53]
	v_fma_f64 v[3:4], v[3:4], v[49:50], v[47:48]
.LBB83_54:
	s_and_saveexec_b32 s8, s5
	s_cbranch_execz .LBB83_58
; %bb.55:
	v_add_nc_u32_e32 v47, -13, v0
	s_movk_i32 s28, 0x210
	s_mov_b32 s5, 0
	s_mov_b32 s29, s14
	.p2align	6
.LBB83_56:                              ; =>This Inner Loop Header: Depth=1
	v_mov_b32_e32 v50, s29
	v_add_nc_u32_e32 v47, -1, v47
	s_add_i32 s29, s29, 16
	s_clause 0x3
	buffer_load_dword v48, v50, s[0:3], 0 offen offset:8
	buffer_load_dword v49, v50, s[0:3], 0 offen offset:12
	buffer_load_dword v56, v50, s[0:3], 0 offen
	buffer_load_dword v57, v50, s[0:3], 0 offen offset:4
	v_mov_b32_e32 v50, s28
	v_cmp_eq_u32_e32 vcc_lo, 0, v47
	s_add_i32 s28, s28, 16
	ds_read_b128 v[52:55], v50
	s_or_b32 s5, vcc_lo, s5
	s_waitcnt vmcnt(2) lgkmcnt(0)
	v_mul_f64 v[58:59], v[54:55], v[48:49]
	v_mul_f64 v[48:49], v[52:53], v[48:49]
	s_waitcnt vmcnt(0)
	v_fma_f64 v[52:53], v[52:53], v[56:57], -v[58:59]
	v_fma_f64 v[48:49], v[54:55], v[56:57], v[48:49]
	v_add_f64 v[1:2], v[1:2], v[52:53]
	v_add_f64 v[3:4], v[3:4], v[48:49]
	s_andn2_b32 exec_lo, exec_lo, s5
	s_cbranch_execnz .LBB83_56
; %bb.57:
	s_or_b32 exec_lo, exec_lo, s5
.LBB83_58:
	s_or_b32 exec_lo, exec_lo, s8
	v_mov_b32_e32 v47, 0
	ds_read_b128 v[47:50], v47 offset:192
	s_waitcnt lgkmcnt(0)
	v_mul_f64 v[52:53], v[3:4], v[49:50]
	v_mul_f64 v[49:50], v[1:2], v[49:50]
	v_fma_f64 v[1:2], v[1:2], v[47:48], -v[52:53]
	v_fma_f64 v[3:4], v[3:4], v[47:48], v[49:50]
	buffer_store_dword v2, off, s[0:3], 0 offset:196
	buffer_store_dword v1, off, s[0:3], 0 offset:192
	;; [unrolled: 1-line block ×4, first 2 shown]
.LBB83_59:
	s_or_b32 exec_lo, exec_lo, s6
	v_mov_b32_e32 v4, s16
	v_cmp_lt_u32_e64 s5, 11, v0
	s_clause 0x3
	buffer_load_dword v1, v4, s[0:3], 0 offen
	buffer_load_dword v2, v4, s[0:3], 0 offen offset:4
	buffer_load_dword v3, v4, s[0:3], 0 offen offset:8
	;; [unrolled: 1-line block ×3, first 2 shown]
	s_waitcnt vmcnt(0)
	ds_write_b128 v46, v[1:4]
	s_waitcnt lgkmcnt(0)
	s_waitcnt_vscnt null, 0x0
	s_barrier
	buffer_gl0_inv
	s_and_saveexec_b32 s6, s5
	s_cbranch_execz .LBB83_67
; %bb.60:
	ds_read_b128 v[1:4], v46
	s_andn2_b32 vcc_lo, exec_lo, s27
	s_cbranch_vccnz .LBB83_62
; %bb.61:
	s_clause 0x3
	buffer_load_dword v47, v45, s[0:3], 0 offen offset:8
	buffer_load_dword v48, v45, s[0:3], 0 offen offset:12
	buffer_load_dword v49, v45, s[0:3], 0 offen
	buffer_load_dword v50, v45, s[0:3], 0 offen offset:4
	s_waitcnt vmcnt(2) lgkmcnt(0)
	v_mul_f64 v[52:53], v[3:4], v[47:48]
	v_mul_f64 v[47:48], v[1:2], v[47:48]
	s_waitcnt vmcnt(0)
	v_fma_f64 v[1:2], v[1:2], v[49:50], -v[52:53]
	v_fma_f64 v[3:4], v[3:4], v[49:50], v[47:48]
.LBB83_62:
	s_and_saveexec_b32 s8, s4
	s_cbranch_execz .LBB83_66
; %bb.63:
	v_add_nc_u32_e32 v47, -12, v0
	s_movk_i32 s28, 0x200
	s_mov_b32 s4, 0
	s_mov_b32 s29, s15
	.p2align	6
.LBB83_64:                              ; =>This Inner Loop Header: Depth=1
	v_mov_b32_e32 v50, s29
	v_add_nc_u32_e32 v47, -1, v47
	s_add_i32 s29, s29, 16
	s_clause 0x3
	buffer_load_dword v48, v50, s[0:3], 0 offen offset:8
	buffer_load_dword v49, v50, s[0:3], 0 offen offset:12
	buffer_load_dword v56, v50, s[0:3], 0 offen
	buffer_load_dword v57, v50, s[0:3], 0 offen offset:4
	v_mov_b32_e32 v50, s28
	v_cmp_eq_u32_e32 vcc_lo, 0, v47
	s_add_i32 s28, s28, 16
	ds_read_b128 v[52:55], v50
	s_or_b32 s4, vcc_lo, s4
	s_waitcnt vmcnt(2) lgkmcnt(0)
	v_mul_f64 v[58:59], v[54:55], v[48:49]
	v_mul_f64 v[48:49], v[52:53], v[48:49]
	s_waitcnt vmcnt(0)
	v_fma_f64 v[52:53], v[52:53], v[56:57], -v[58:59]
	v_fma_f64 v[48:49], v[54:55], v[56:57], v[48:49]
	v_add_f64 v[1:2], v[1:2], v[52:53]
	v_add_f64 v[3:4], v[3:4], v[48:49]
	s_andn2_b32 exec_lo, exec_lo, s4
	s_cbranch_execnz .LBB83_64
; %bb.65:
	s_or_b32 exec_lo, exec_lo, s4
.LBB83_66:
	s_or_b32 exec_lo, exec_lo, s8
	v_mov_b32_e32 v47, 0
	ds_read_b128 v[47:50], v47 offset:176
	s_waitcnt lgkmcnt(0)
	v_mul_f64 v[52:53], v[3:4], v[49:50]
	v_mul_f64 v[49:50], v[1:2], v[49:50]
	v_fma_f64 v[1:2], v[1:2], v[47:48], -v[52:53]
	v_fma_f64 v[3:4], v[3:4], v[47:48], v[49:50]
	buffer_store_dword v2, off, s[0:3], 0 offset:180
	buffer_store_dword v1, off, s[0:3], 0 offset:176
	buffer_store_dword v4, off, s[0:3], 0 offset:188
	buffer_store_dword v3, off, s[0:3], 0 offset:184
.LBB83_67:
	s_or_b32 exec_lo, exec_lo, s6
	v_mov_b32_e32 v4, s17
	v_cmp_lt_u32_e64 s4, 10, v0
	s_clause 0x3
	buffer_load_dword v1, v4, s[0:3], 0 offen
	buffer_load_dword v2, v4, s[0:3], 0 offen offset:4
	buffer_load_dword v3, v4, s[0:3], 0 offen offset:8
	;; [unrolled: 1-line block ×3, first 2 shown]
	s_waitcnt vmcnt(0)
	ds_write_b128 v46, v[1:4]
	s_waitcnt lgkmcnt(0)
	s_waitcnt_vscnt null, 0x0
	s_barrier
	buffer_gl0_inv
	s_and_saveexec_b32 s6, s4
	s_cbranch_execz .LBB83_75
; %bb.68:
	ds_read_b128 v[1:4], v46
	s_andn2_b32 vcc_lo, exec_lo, s27
	s_cbranch_vccnz .LBB83_70
; %bb.69:
	s_clause 0x3
	buffer_load_dword v47, v45, s[0:3], 0 offen offset:8
	buffer_load_dword v48, v45, s[0:3], 0 offen offset:12
	buffer_load_dword v49, v45, s[0:3], 0 offen
	buffer_load_dword v50, v45, s[0:3], 0 offen offset:4
	s_waitcnt vmcnt(2) lgkmcnt(0)
	v_mul_f64 v[52:53], v[3:4], v[47:48]
	v_mul_f64 v[47:48], v[1:2], v[47:48]
	s_waitcnt vmcnt(0)
	v_fma_f64 v[1:2], v[1:2], v[49:50], -v[52:53]
	v_fma_f64 v[3:4], v[3:4], v[49:50], v[47:48]
.LBB83_70:
	s_and_saveexec_b32 s8, s5
	s_cbranch_execz .LBB83_74
; %bb.71:
	v_add_nc_u32_e32 v47, -11, v0
	s_movk_i32 s28, 0x1f0
	s_mov_b32 s5, 0
	s_mov_b32 s29, s16
	.p2align	6
.LBB83_72:                              ; =>This Inner Loop Header: Depth=1
	v_mov_b32_e32 v50, s29
	v_add_nc_u32_e32 v47, -1, v47
	s_add_i32 s29, s29, 16
	s_clause 0x3
	buffer_load_dword v48, v50, s[0:3], 0 offen offset:8
	buffer_load_dword v49, v50, s[0:3], 0 offen offset:12
	buffer_load_dword v56, v50, s[0:3], 0 offen
	buffer_load_dword v57, v50, s[0:3], 0 offen offset:4
	v_mov_b32_e32 v50, s28
	v_cmp_eq_u32_e32 vcc_lo, 0, v47
	s_add_i32 s28, s28, 16
	ds_read_b128 v[52:55], v50
	s_or_b32 s5, vcc_lo, s5
	s_waitcnt vmcnt(2) lgkmcnt(0)
	v_mul_f64 v[58:59], v[54:55], v[48:49]
	v_mul_f64 v[48:49], v[52:53], v[48:49]
	s_waitcnt vmcnt(0)
	v_fma_f64 v[52:53], v[52:53], v[56:57], -v[58:59]
	v_fma_f64 v[48:49], v[54:55], v[56:57], v[48:49]
	v_add_f64 v[1:2], v[1:2], v[52:53]
	v_add_f64 v[3:4], v[3:4], v[48:49]
	s_andn2_b32 exec_lo, exec_lo, s5
	s_cbranch_execnz .LBB83_72
; %bb.73:
	s_or_b32 exec_lo, exec_lo, s5
.LBB83_74:
	s_or_b32 exec_lo, exec_lo, s8
	v_mov_b32_e32 v47, 0
	ds_read_b128 v[47:50], v47 offset:160
	s_waitcnt lgkmcnt(0)
	v_mul_f64 v[52:53], v[3:4], v[49:50]
	v_mul_f64 v[49:50], v[1:2], v[49:50]
	v_fma_f64 v[1:2], v[1:2], v[47:48], -v[52:53]
	v_fma_f64 v[3:4], v[3:4], v[47:48], v[49:50]
	buffer_store_dword v2, off, s[0:3], 0 offset:164
	buffer_store_dword v1, off, s[0:3], 0 offset:160
	;; [unrolled: 1-line block ×4, first 2 shown]
.LBB83_75:
	s_or_b32 exec_lo, exec_lo, s6
	v_mov_b32_e32 v4, s18
	v_cmp_lt_u32_e64 s5, 9, v0
	s_clause 0x3
	buffer_load_dword v1, v4, s[0:3], 0 offen
	buffer_load_dword v2, v4, s[0:3], 0 offen offset:4
	buffer_load_dword v3, v4, s[0:3], 0 offen offset:8
	;; [unrolled: 1-line block ×3, first 2 shown]
	s_waitcnt vmcnt(0)
	ds_write_b128 v46, v[1:4]
	s_waitcnt lgkmcnt(0)
	s_waitcnt_vscnt null, 0x0
	s_barrier
	buffer_gl0_inv
	s_and_saveexec_b32 s6, s5
	s_cbranch_execz .LBB83_83
; %bb.76:
	ds_read_b128 v[1:4], v46
	s_andn2_b32 vcc_lo, exec_lo, s27
	s_cbranch_vccnz .LBB83_78
; %bb.77:
	s_clause 0x3
	buffer_load_dword v47, v45, s[0:3], 0 offen offset:8
	buffer_load_dword v48, v45, s[0:3], 0 offen offset:12
	buffer_load_dword v49, v45, s[0:3], 0 offen
	buffer_load_dword v50, v45, s[0:3], 0 offen offset:4
	s_waitcnt vmcnt(2) lgkmcnt(0)
	v_mul_f64 v[52:53], v[3:4], v[47:48]
	v_mul_f64 v[47:48], v[1:2], v[47:48]
	s_waitcnt vmcnt(0)
	v_fma_f64 v[1:2], v[1:2], v[49:50], -v[52:53]
	v_fma_f64 v[3:4], v[3:4], v[49:50], v[47:48]
.LBB83_78:
	s_and_saveexec_b32 s8, s4
	s_cbranch_execz .LBB83_82
; %bb.79:
	v_add_nc_u32_e32 v47, -10, v0
	s_movk_i32 s28, 0x1e0
	s_mov_b32 s4, 0
	s_mov_b32 s29, s17
	.p2align	6
.LBB83_80:                              ; =>This Inner Loop Header: Depth=1
	v_mov_b32_e32 v50, s29
	v_add_nc_u32_e32 v47, -1, v47
	s_add_i32 s29, s29, 16
	s_clause 0x3
	buffer_load_dword v48, v50, s[0:3], 0 offen offset:8
	buffer_load_dword v49, v50, s[0:3], 0 offen offset:12
	buffer_load_dword v56, v50, s[0:3], 0 offen
	buffer_load_dword v57, v50, s[0:3], 0 offen offset:4
	v_mov_b32_e32 v50, s28
	v_cmp_eq_u32_e32 vcc_lo, 0, v47
	s_add_i32 s28, s28, 16
	ds_read_b128 v[52:55], v50
	s_or_b32 s4, vcc_lo, s4
	s_waitcnt vmcnt(2) lgkmcnt(0)
	v_mul_f64 v[58:59], v[54:55], v[48:49]
	v_mul_f64 v[48:49], v[52:53], v[48:49]
	s_waitcnt vmcnt(0)
	v_fma_f64 v[52:53], v[52:53], v[56:57], -v[58:59]
	v_fma_f64 v[48:49], v[54:55], v[56:57], v[48:49]
	v_add_f64 v[1:2], v[1:2], v[52:53]
	v_add_f64 v[3:4], v[3:4], v[48:49]
	s_andn2_b32 exec_lo, exec_lo, s4
	s_cbranch_execnz .LBB83_80
; %bb.81:
	s_or_b32 exec_lo, exec_lo, s4
.LBB83_82:
	s_or_b32 exec_lo, exec_lo, s8
	v_mov_b32_e32 v47, 0
	ds_read_b128 v[47:50], v47 offset:144
	s_waitcnt lgkmcnt(0)
	v_mul_f64 v[52:53], v[3:4], v[49:50]
	v_mul_f64 v[49:50], v[1:2], v[49:50]
	v_fma_f64 v[1:2], v[1:2], v[47:48], -v[52:53]
	v_fma_f64 v[3:4], v[3:4], v[47:48], v[49:50]
	buffer_store_dword v2, off, s[0:3], 0 offset:148
	buffer_store_dword v1, off, s[0:3], 0 offset:144
	;; [unrolled: 1-line block ×4, first 2 shown]
.LBB83_83:
	s_or_b32 exec_lo, exec_lo, s6
	v_mov_b32_e32 v4, s19
	v_cmp_lt_u32_e64 s4, 8, v0
	s_clause 0x3
	buffer_load_dword v1, v4, s[0:3], 0 offen
	buffer_load_dword v2, v4, s[0:3], 0 offen offset:4
	buffer_load_dword v3, v4, s[0:3], 0 offen offset:8
	;; [unrolled: 1-line block ×3, first 2 shown]
	s_waitcnt vmcnt(0)
	ds_write_b128 v46, v[1:4]
	s_waitcnt lgkmcnt(0)
	s_waitcnt_vscnt null, 0x0
	s_barrier
	buffer_gl0_inv
	s_and_saveexec_b32 s6, s4
	s_cbranch_execz .LBB83_91
; %bb.84:
	ds_read_b128 v[1:4], v46
	s_andn2_b32 vcc_lo, exec_lo, s27
	s_cbranch_vccnz .LBB83_86
; %bb.85:
	s_clause 0x3
	buffer_load_dword v47, v45, s[0:3], 0 offen offset:8
	buffer_load_dword v48, v45, s[0:3], 0 offen offset:12
	buffer_load_dword v49, v45, s[0:3], 0 offen
	buffer_load_dword v50, v45, s[0:3], 0 offen offset:4
	s_waitcnt vmcnt(2) lgkmcnt(0)
	v_mul_f64 v[52:53], v[3:4], v[47:48]
	v_mul_f64 v[47:48], v[1:2], v[47:48]
	s_waitcnt vmcnt(0)
	v_fma_f64 v[1:2], v[1:2], v[49:50], -v[52:53]
	v_fma_f64 v[3:4], v[3:4], v[49:50], v[47:48]
.LBB83_86:
	s_and_saveexec_b32 s8, s5
	s_cbranch_execz .LBB83_90
; %bb.87:
	v_add_nc_u32_e32 v47, -9, v0
	s_movk_i32 s28, 0x1d0
	s_mov_b32 s5, 0
	s_mov_b32 s29, s18
	.p2align	6
.LBB83_88:                              ; =>This Inner Loop Header: Depth=1
	v_mov_b32_e32 v50, s29
	v_add_nc_u32_e32 v47, -1, v47
	s_add_i32 s29, s29, 16
	s_clause 0x3
	buffer_load_dword v48, v50, s[0:3], 0 offen offset:8
	buffer_load_dword v49, v50, s[0:3], 0 offen offset:12
	buffer_load_dword v56, v50, s[0:3], 0 offen
	buffer_load_dword v57, v50, s[0:3], 0 offen offset:4
	v_mov_b32_e32 v50, s28
	v_cmp_eq_u32_e32 vcc_lo, 0, v47
	s_add_i32 s28, s28, 16
	ds_read_b128 v[52:55], v50
	s_or_b32 s5, vcc_lo, s5
	s_waitcnt vmcnt(2) lgkmcnt(0)
	v_mul_f64 v[58:59], v[54:55], v[48:49]
	v_mul_f64 v[48:49], v[52:53], v[48:49]
	s_waitcnt vmcnt(0)
	v_fma_f64 v[52:53], v[52:53], v[56:57], -v[58:59]
	v_fma_f64 v[48:49], v[54:55], v[56:57], v[48:49]
	v_add_f64 v[1:2], v[1:2], v[52:53]
	v_add_f64 v[3:4], v[3:4], v[48:49]
	s_andn2_b32 exec_lo, exec_lo, s5
	s_cbranch_execnz .LBB83_88
; %bb.89:
	s_or_b32 exec_lo, exec_lo, s5
.LBB83_90:
	s_or_b32 exec_lo, exec_lo, s8
	v_mov_b32_e32 v47, 0
	ds_read_b128 v[47:50], v47 offset:128
	s_waitcnt lgkmcnt(0)
	v_mul_f64 v[52:53], v[3:4], v[49:50]
	v_mul_f64 v[49:50], v[1:2], v[49:50]
	v_fma_f64 v[1:2], v[1:2], v[47:48], -v[52:53]
	v_fma_f64 v[3:4], v[3:4], v[47:48], v[49:50]
	buffer_store_dword v2, off, s[0:3], 0 offset:132
	buffer_store_dword v1, off, s[0:3], 0 offset:128
	;; [unrolled: 1-line block ×4, first 2 shown]
.LBB83_91:
	s_or_b32 exec_lo, exec_lo, s6
	v_mov_b32_e32 v4, s20
	v_cmp_lt_u32_e64 s5, 7, v0
	s_clause 0x3
	buffer_load_dword v1, v4, s[0:3], 0 offen
	buffer_load_dword v2, v4, s[0:3], 0 offen offset:4
	buffer_load_dword v3, v4, s[0:3], 0 offen offset:8
	;; [unrolled: 1-line block ×3, first 2 shown]
	s_waitcnt vmcnt(0)
	ds_write_b128 v46, v[1:4]
	s_waitcnt lgkmcnt(0)
	s_waitcnt_vscnt null, 0x0
	s_barrier
	buffer_gl0_inv
	s_and_saveexec_b32 s6, s5
	s_cbranch_execz .LBB83_99
; %bb.92:
	ds_read_b128 v[1:4], v46
	s_andn2_b32 vcc_lo, exec_lo, s27
	s_cbranch_vccnz .LBB83_94
; %bb.93:
	s_clause 0x3
	buffer_load_dword v47, v45, s[0:3], 0 offen offset:8
	buffer_load_dword v48, v45, s[0:3], 0 offen offset:12
	buffer_load_dword v49, v45, s[0:3], 0 offen
	buffer_load_dword v50, v45, s[0:3], 0 offen offset:4
	s_waitcnt vmcnt(2) lgkmcnt(0)
	v_mul_f64 v[52:53], v[3:4], v[47:48]
	v_mul_f64 v[47:48], v[1:2], v[47:48]
	s_waitcnt vmcnt(0)
	v_fma_f64 v[1:2], v[1:2], v[49:50], -v[52:53]
	v_fma_f64 v[3:4], v[3:4], v[49:50], v[47:48]
.LBB83_94:
	s_and_saveexec_b32 s8, s4
	s_cbranch_execz .LBB83_98
; %bb.95:
	v_add_nc_u32_e32 v47, -8, v0
	s_movk_i32 s28, 0x1c0
	s_mov_b32 s4, 0
	s_mov_b32 s29, s19
	.p2align	6
.LBB83_96:                              ; =>This Inner Loop Header: Depth=1
	v_mov_b32_e32 v50, s29
	v_add_nc_u32_e32 v47, -1, v47
	s_add_i32 s29, s29, 16
	s_clause 0x3
	buffer_load_dword v48, v50, s[0:3], 0 offen offset:8
	buffer_load_dword v49, v50, s[0:3], 0 offen offset:12
	buffer_load_dword v56, v50, s[0:3], 0 offen
	buffer_load_dword v57, v50, s[0:3], 0 offen offset:4
	v_mov_b32_e32 v50, s28
	v_cmp_eq_u32_e32 vcc_lo, 0, v47
	s_add_i32 s28, s28, 16
	ds_read_b128 v[52:55], v50
	s_or_b32 s4, vcc_lo, s4
	s_waitcnt vmcnt(2) lgkmcnt(0)
	v_mul_f64 v[58:59], v[54:55], v[48:49]
	v_mul_f64 v[48:49], v[52:53], v[48:49]
	s_waitcnt vmcnt(0)
	v_fma_f64 v[52:53], v[52:53], v[56:57], -v[58:59]
	v_fma_f64 v[48:49], v[54:55], v[56:57], v[48:49]
	v_add_f64 v[1:2], v[1:2], v[52:53]
	v_add_f64 v[3:4], v[3:4], v[48:49]
	s_andn2_b32 exec_lo, exec_lo, s4
	s_cbranch_execnz .LBB83_96
; %bb.97:
	s_or_b32 exec_lo, exec_lo, s4
.LBB83_98:
	s_or_b32 exec_lo, exec_lo, s8
	v_mov_b32_e32 v47, 0
	ds_read_b128 v[47:50], v47 offset:112
	s_waitcnt lgkmcnt(0)
	v_mul_f64 v[52:53], v[3:4], v[49:50]
	v_mul_f64 v[49:50], v[1:2], v[49:50]
	v_fma_f64 v[1:2], v[1:2], v[47:48], -v[52:53]
	v_fma_f64 v[3:4], v[3:4], v[47:48], v[49:50]
	buffer_store_dword v2, off, s[0:3], 0 offset:116
	buffer_store_dword v1, off, s[0:3], 0 offset:112
	buffer_store_dword v4, off, s[0:3], 0 offset:124
	buffer_store_dword v3, off, s[0:3], 0 offset:120
.LBB83_99:
	s_or_b32 exec_lo, exec_lo, s6
	v_mov_b32_e32 v4, s21
	v_cmp_lt_u32_e64 s4, 6, v0
	s_clause 0x3
	buffer_load_dword v1, v4, s[0:3], 0 offen
	buffer_load_dword v2, v4, s[0:3], 0 offen offset:4
	buffer_load_dword v3, v4, s[0:3], 0 offen offset:8
	;; [unrolled: 1-line block ×3, first 2 shown]
	s_waitcnt vmcnt(0)
	ds_write_b128 v46, v[1:4]
	s_waitcnt lgkmcnt(0)
	s_waitcnt_vscnt null, 0x0
	s_barrier
	buffer_gl0_inv
	s_and_saveexec_b32 s6, s4
	s_cbranch_execz .LBB83_107
; %bb.100:
	ds_read_b128 v[1:4], v46
	s_andn2_b32 vcc_lo, exec_lo, s27
	s_cbranch_vccnz .LBB83_102
; %bb.101:
	s_clause 0x3
	buffer_load_dword v47, v45, s[0:3], 0 offen offset:8
	buffer_load_dword v48, v45, s[0:3], 0 offen offset:12
	buffer_load_dword v49, v45, s[0:3], 0 offen
	buffer_load_dword v50, v45, s[0:3], 0 offen offset:4
	s_waitcnt vmcnt(2) lgkmcnt(0)
	v_mul_f64 v[52:53], v[3:4], v[47:48]
	v_mul_f64 v[47:48], v[1:2], v[47:48]
	s_waitcnt vmcnt(0)
	v_fma_f64 v[1:2], v[1:2], v[49:50], -v[52:53]
	v_fma_f64 v[3:4], v[3:4], v[49:50], v[47:48]
.LBB83_102:
	s_and_saveexec_b32 s8, s5
	s_cbranch_execz .LBB83_106
; %bb.103:
	v_add_nc_u32_e32 v47, -7, v0
	s_movk_i32 s28, 0x1b0
	s_mov_b32 s5, 0
	s_mov_b32 s29, s20
	.p2align	6
.LBB83_104:                             ; =>This Inner Loop Header: Depth=1
	v_mov_b32_e32 v50, s29
	v_add_nc_u32_e32 v47, -1, v47
	s_add_i32 s29, s29, 16
	s_clause 0x3
	buffer_load_dword v48, v50, s[0:3], 0 offen offset:8
	buffer_load_dword v49, v50, s[0:3], 0 offen offset:12
	buffer_load_dword v56, v50, s[0:3], 0 offen
	buffer_load_dword v57, v50, s[0:3], 0 offen offset:4
	v_mov_b32_e32 v50, s28
	v_cmp_eq_u32_e32 vcc_lo, 0, v47
	s_add_i32 s28, s28, 16
	ds_read_b128 v[52:55], v50
	s_or_b32 s5, vcc_lo, s5
	s_waitcnt vmcnt(2) lgkmcnt(0)
	v_mul_f64 v[58:59], v[54:55], v[48:49]
	v_mul_f64 v[48:49], v[52:53], v[48:49]
	s_waitcnt vmcnt(0)
	v_fma_f64 v[52:53], v[52:53], v[56:57], -v[58:59]
	v_fma_f64 v[48:49], v[54:55], v[56:57], v[48:49]
	v_add_f64 v[1:2], v[1:2], v[52:53]
	v_add_f64 v[3:4], v[3:4], v[48:49]
	s_andn2_b32 exec_lo, exec_lo, s5
	s_cbranch_execnz .LBB83_104
; %bb.105:
	s_or_b32 exec_lo, exec_lo, s5
.LBB83_106:
	s_or_b32 exec_lo, exec_lo, s8
	v_mov_b32_e32 v47, 0
	ds_read_b128 v[47:50], v47 offset:96
	s_waitcnt lgkmcnt(0)
	v_mul_f64 v[52:53], v[3:4], v[49:50]
	v_mul_f64 v[49:50], v[1:2], v[49:50]
	v_fma_f64 v[1:2], v[1:2], v[47:48], -v[52:53]
	v_fma_f64 v[3:4], v[3:4], v[47:48], v[49:50]
	buffer_store_dword v2, off, s[0:3], 0 offset:100
	buffer_store_dword v1, off, s[0:3], 0 offset:96
	;; [unrolled: 1-line block ×4, first 2 shown]
.LBB83_107:
	s_or_b32 exec_lo, exec_lo, s6
	v_mov_b32_e32 v4, s22
	v_cmp_lt_u32_e64 s5, 5, v0
	s_clause 0x3
	buffer_load_dword v1, v4, s[0:3], 0 offen
	buffer_load_dword v2, v4, s[0:3], 0 offen offset:4
	buffer_load_dword v3, v4, s[0:3], 0 offen offset:8
	;; [unrolled: 1-line block ×3, first 2 shown]
	s_waitcnt vmcnt(0)
	ds_write_b128 v46, v[1:4]
	s_waitcnt lgkmcnt(0)
	s_waitcnt_vscnt null, 0x0
	s_barrier
	buffer_gl0_inv
	s_and_saveexec_b32 s6, s5
	s_cbranch_execz .LBB83_115
; %bb.108:
	ds_read_b128 v[1:4], v46
	s_andn2_b32 vcc_lo, exec_lo, s27
	s_cbranch_vccnz .LBB83_110
; %bb.109:
	s_clause 0x3
	buffer_load_dword v47, v45, s[0:3], 0 offen offset:8
	buffer_load_dword v48, v45, s[0:3], 0 offen offset:12
	buffer_load_dword v49, v45, s[0:3], 0 offen
	buffer_load_dword v50, v45, s[0:3], 0 offen offset:4
	s_waitcnt vmcnt(2) lgkmcnt(0)
	v_mul_f64 v[52:53], v[3:4], v[47:48]
	v_mul_f64 v[47:48], v[1:2], v[47:48]
	s_waitcnt vmcnt(0)
	v_fma_f64 v[1:2], v[1:2], v[49:50], -v[52:53]
	v_fma_f64 v[3:4], v[3:4], v[49:50], v[47:48]
.LBB83_110:
	s_and_saveexec_b32 s8, s4
	s_cbranch_execz .LBB83_114
; %bb.111:
	v_add_nc_u32_e32 v47, -6, v0
	s_movk_i32 s28, 0x1a0
	s_mov_b32 s4, 0
	s_mov_b32 s29, s21
	.p2align	6
.LBB83_112:                             ; =>This Inner Loop Header: Depth=1
	v_mov_b32_e32 v50, s29
	v_add_nc_u32_e32 v47, -1, v47
	s_add_i32 s29, s29, 16
	s_clause 0x3
	buffer_load_dword v48, v50, s[0:3], 0 offen offset:8
	buffer_load_dword v49, v50, s[0:3], 0 offen offset:12
	buffer_load_dword v56, v50, s[0:3], 0 offen
	buffer_load_dword v57, v50, s[0:3], 0 offen offset:4
	v_mov_b32_e32 v50, s28
	v_cmp_eq_u32_e32 vcc_lo, 0, v47
	s_add_i32 s28, s28, 16
	ds_read_b128 v[52:55], v50
	s_or_b32 s4, vcc_lo, s4
	s_waitcnt vmcnt(2) lgkmcnt(0)
	v_mul_f64 v[58:59], v[54:55], v[48:49]
	v_mul_f64 v[48:49], v[52:53], v[48:49]
	s_waitcnt vmcnt(0)
	v_fma_f64 v[52:53], v[52:53], v[56:57], -v[58:59]
	v_fma_f64 v[48:49], v[54:55], v[56:57], v[48:49]
	v_add_f64 v[1:2], v[1:2], v[52:53]
	v_add_f64 v[3:4], v[3:4], v[48:49]
	s_andn2_b32 exec_lo, exec_lo, s4
	s_cbranch_execnz .LBB83_112
; %bb.113:
	s_or_b32 exec_lo, exec_lo, s4
.LBB83_114:
	s_or_b32 exec_lo, exec_lo, s8
	v_mov_b32_e32 v47, 0
	ds_read_b128 v[47:50], v47 offset:80
	s_waitcnt lgkmcnt(0)
	v_mul_f64 v[52:53], v[3:4], v[49:50]
	v_mul_f64 v[49:50], v[1:2], v[49:50]
	v_fma_f64 v[1:2], v[1:2], v[47:48], -v[52:53]
	v_fma_f64 v[3:4], v[3:4], v[47:48], v[49:50]
	buffer_store_dword v2, off, s[0:3], 0 offset:84
	buffer_store_dword v1, off, s[0:3], 0 offset:80
	;; [unrolled: 1-line block ×4, first 2 shown]
.LBB83_115:
	s_or_b32 exec_lo, exec_lo, s6
	v_mov_b32_e32 v4, s23
	v_cmp_lt_u32_e64 s4, 4, v0
	s_clause 0x3
	buffer_load_dword v1, v4, s[0:3], 0 offen
	buffer_load_dword v2, v4, s[0:3], 0 offen offset:4
	buffer_load_dword v3, v4, s[0:3], 0 offen offset:8
	;; [unrolled: 1-line block ×3, first 2 shown]
	s_waitcnt vmcnt(0)
	ds_write_b128 v46, v[1:4]
	s_waitcnt lgkmcnt(0)
	s_waitcnt_vscnt null, 0x0
	s_barrier
	buffer_gl0_inv
	s_and_saveexec_b32 s6, s4
	s_cbranch_execz .LBB83_123
; %bb.116:
	ds_read_b128 v[1:4], v46
	s_andn2_b32 vcc_lo, exec_lo, s27
	s_cbranch_vccnz .LBB83_118
; %bb.117:
	s_clause 0x3
	buffer_load_dword v47, v45, s[0:3], 0 offen offset:8
	buffer_load_dword v48, v45, s[0:3], 0 offen offset:12
	buffer_load_dword v49, v45, s[0:3], 0 offen
	buffer_load_dword v50, v45, s[0:3], 0 offen offset:4
	s_waitcnt vmcnt(2) lgkmcnt(0)
	v_mul_f64 v[52:53], v[3:4], v[47:48]
	v_mul_f64 v[47:48], v[1:2], v[47:48]
	s_waitcnt vmcnt(0)
	v_fma_f64 v[1:2], v[1:2], v[49:50], -v[52:53]
	v_fma_f64 v[3:4], v[3:4], v[49:50], v[47:48]
.LBB83_118:
	s_and_saveexec_b32 s8, s5
	s_cbranch_execz .LBB83_122
; %bb.119:
	v_add_nc_u32_e32 v47, -5, v0
	s_movk_i32 s28, 0x190
	s_mov_b32 s5, 0
	s_mov_b32 s29, s22
	.p2align	6
.LBB83_120:                             ; =>This Inner Loop Header: Depth=1
	v_mov_b32_e32 v50, s29
	v_add_nc_u32_e32 v47, -1, v47
	s_add_i32 s29, s29, 16
	s_clause 0x3
	buffer_load_dword v48, v50, s[0:3], 0 offen offset:8
	buffer_load_dword v49, v50, s[0:3], 0 offen offset:12
	buffer_load_dword v56, v50, s[0:3], 0 offen
	buffer_load_dword v57, v50, s[0:3], 0 offen offset:4
	v_mov_b32_e32 v50, s28
	v_cmp_eq_u32_e32 vcc_lo, 0, v47
	s_add_i32 s28, s28, 16
	ds_read_b128 v[52:55], v50
	s_or_b32 s5, vcc_lo, s5
	s_waitcnt vmcnt(2) lgkmcnt(0)
	v_mul_f64 v[58:59], v[54:55], v[48:49]
	v_mul_f64 v[48:49], v[52:53], v[48:49]
	s_waitcnt vmcnt(0)
	v_fma_f64 v[52:53], v[52:53], v[56:57], -v[58:59]
	v_fma_f64 v[48:49], v[54:55], v[56:57], v[48:49]
	v_add_f64 v[1:2], v[1:2], v[52:53]
	v_add_f64 v[3:4], v[3:4], v[48:49]
	s_andn2_b32 exec_lo, exec_lo, s5
	s_cbranch_execnz .LBB83_120
; %bb.121:
	s_or_b32 exec_lo, exec_lo, s5
.LBB83_122:
	s_or_b32 exec_lo, exec_lo, s8
	v_mov_b32_e32 v47, 0
	ds_read_b128 v[47:50], v47 offset:64
	s_waitcnt lgkmcnt(0)
	v_mul_f64 v[52:53], v[3:4], v[49:50]
	v_mul_f64 v[49:50], v[1:2], v[49:50]
	v_fma_f64 v[1:2], v[1:2], v[47:48], -v[52:53]
	v_fma_f64 v[3:4], v[3:4], v[47:48], v[49:50]
	buffer_store_dword v2, off, s[0:3], 0 offset:68
	buffer_store_dword v1, off, s[0:3], 0 offset:64
	;; [unrolled: 1-line block ×4, first 2 shown]
.LBB83_123:
	s_or_b32 exec_lo, exec_lo, s6
	v_mov_b32_e32 v4, s24
	v_cmp_lt_u32_e64 s5, 3, v0
	s_clause 0x3
	buffer_load_dword v1, v4, s[0:3], 0 offen
	buffer_load_dword v2, v4, s[0:3], 0 offen offset:4
	buffer_load_dword v3, v4, s[0:3], 0 offen offset:8
	;; [unrolled: 1-line block ×3, first 2 shown]
	s_waitcnt vmcnt(0)
	ds_write_b128 v46, v[1:4]
	s_waitcnt lgkmcnt(0)
	s_waitcnt_vscnt null, 0x0
	s_barrier
	buffer_gl0_inv
	s_and_saveexec_b32 s6, s5
	s_cbranch_execz .LBB83_131
; %bb.124:
	ds_read_b128 v[1:4], v46
	s_andn2_b32 vcc_lo, exec_lo, s27
	s_cbranch_vccnz .LBB83_126
; %bb.125:
	s_clause 0x3
	buffer_load_dword v47, v45, s[0:3], 0 offen offset:8
	buffer_load_dword v48, v45, s[0:3], 0 offen offset:12
	buffer_load_dword v49, v45, s[0:3], 0 offen
	buffer_load_dword v50, v45, s[0:3], 0 offen offset:4
	s_waitcnt vmcnt(2) lgkmcnt(0)
	v_mul_f64 v[52:53], v[3:4], v[47:48]
	v_mul_f64 v[47:48], v[1:2], v[47:48]
	s_waitcnt vmcnt(0)
	v_fma_f64 v[1:2], v[1:2], v[49:50], -v[52:53]
	v_fma_f64 v[3:4], v[3:4], v[49:50], v[47:48]
.LBB83_126:
	s_and_saveexec_b32 s8, s4
	s_cbranch_execz .LBB83_130
; %bb.127:
	v_add_nc_u32_e32 v47, -4, v0
	s_movk_i32 s28, 0x180
	s_mov_b32 s4, 0
	s_mov_b32 s29, s23
	.p2align	6
.LBB83_128:                             ; =>This Inner Loop Header: Depth=1
	v_mov_b32_e32 v50, s29
	v_add_nc_u32_e32 v47, -1, v47
	s_add_i32 s29, s29, 16
	s_clause 0x3
	buffer_load_dword v48, v50, s[0:3], 0 offen offset:8
	buffer_load_dword v49, v50, s[0:3], 0 offen offset:12
	buffer_load_dword v56, v50, s[0:3], 0 offen
	buffer_load_dword v57, v50, s[0:3], 0 offen offset:4
	v_mov_b32_e32 v50, s28
	v_cmp_eq_u32_e32 vcc_lo, 0, v47
	s_add_i32 s28, s28, 16
	ds_read_b128 v[52:55], v50
	s_or_b32 s4, vcc_lo, s4
	s_waitcnt vmcnt(2) lgkmcnt(0)
	v_mul_f64 v[58:59], v[54:55], v[48:49]
	v_mul_f64 v[48:49], v[52:53], v[48:49]
	s_waitcnt vmcnt(0)
	v_fma_f64 v[52:53], v[52:53], v[56:57], -v[58:59]
	v_fma_f64 v[48:49], v[54:55], v[56:57], v[48:49]
	v_add_f64 v[1:2], v[1:2], v[52:53]
	v_add_f64 v[3:4], v[3:4], v[48:49]
	s_andn2_b32 exec_lo, exec_lo, s4
	s_cbranch_execnz .LBB83_128
; %bb.129:
	s_or_b32 exec_lo, exec_lo, s4
.LBB83_130:
	s_or_b32 exec_lo, exec_lo, s8
	v_mov_b32_e32 v47, 0
	ds_read_b128 v[47:50], v47 offset:48
	s_waitcnt lgkmcnt(0)
	v_mul_f64 v[52:53], v[3:4], v[49:50]
	v_mul_f64 v[49:50], v[1:2], v[49:50]
	v_fma_f64 v[1:2], v[1:2], v[47:48], -v[52:53]
	v_fma_f64 v[3:4], v[3:4], v[47:48], v[49:50]
	buffer_store_dword v2, off, s[0:3], 0 offset:52
	buffer_store_dword v1, off, s[0:3], 0 offset:48
	;; [unrolled: 1-line block ×4, first 2 shown]
.LBB83_131:
	s_or_b32 exec_lo, exec_lo, s6
	v_mov_b32_e32 v4, s25
	v_cmp_lt_u32_e64 s6, 2, v0
	s_clause 0x3
	buffer_load_dword v1, v4, s[0:3], 0 offen
	buffer_load_dword v2, v4, s[0:3], 0 offen offset:4
	buffer_load_dword v3, v4, s[0:3], 0 offen offset:8
	;; [unrolled: 1-line block ×3, first 2 shown]
	s_waitcnt vmcnt(0)
	ds_write_b128 v46, v[1:4]
	s_waitcnt lgkmcnt(0)
	s_waitcnt_vscnt null, 0x0
	s_barrier
	buffer_gl0_inv
	s_and_saveexec_b32 s4, s6
	s_cbranch_execz .LBB83_139
; %bb.132:
	ds_read_b128 v[1:4], v46
	s_andn2_b32 vcc_lo, exec_lo, s27
	s_cbranch_vccnz .LBB83_134
; %bb.133:
	s_clause 0x3
	buffer_load_dword v47, v45, s[0:3], 0 offen offset:8
	buffer_load_dword v48, v45, s[0:3], 0 offen offset:12
	buffer_load_dword v49, v45, s[0:3], 0 offen
	buffer_load_dword v50, v45, s[0:3], 0 offen offset:4
	s_waitcnt vmcnt(2) lgkmcnt(0)
	v_mul_f64 v[52:53], v[3:4], v[47:48]
	v_mul_f64 v[47:48], v[1:2], v[47:48]
	s_waitcnt vmcnt(0)
	v_fma_f64 v[1:2], v[1:2], v[49:50], -v[52:53]
	v_fma_f64 v[3:4], v[3:4], v[49:50], v[47:48]
.LBB83_134:
	s_and_saveexec_b32 s8, s5
	s_cbranch_execz .LBB83_138
; %bb.135:
	v_add_nc_u32_e32 v47, -3, v0
	s_movk_i32 s28, 0x170
	s_mov_b32 s5, 0
	s_mov_b32 s29, s24
	.p2align	6
.LBB83_136:                             ; =>This Inner Loop Header: Depth=1
	v_mov_b32_e32 v50, s29
	v_add_nc_u32_e32 v47, -1, v47
	s_add_i32 s29, s29, 16
	s_clause 0x3
	buffer_load_dword v48, v50, s[0:3], 0 offen offset:8
	buffer_load_dword v49, v50, s[0:3], 0 offen offset:12
	buffer_load_dword v56, v50, s[0:3], 0 offen
	buffer_load_dword v57, v50, s[0:3], 0 offen offset:4
	v_mov_b32_e32 v50, s28
	v_cmp_eq_u32_e32 vcc_lo, 0, v47
	s_add_i32 s28, s28, 16
	ds_read_b128 v[52:55], v50
	s_or_b32 s5, vcc_lo, s5
	s_waitcnt vmcnt(2) lgkmcnt(0)
	v_mul_f64 v[58:59], v[54:55], v[48:49]
	v_mul_f64 v[48:49], v[52:53], v[48:49]
	s_waitcnt vmcnt(0)
	v_fma_f64 v[52:53], v[52:53], v[56:57], -v[58:59]
	v_fma_f64 v[48:49], v[54:55], v[56:57], v[48:49]
	v_add_f64 v[1:2], v[1:2], v[52:53]
	v_add_f64 v[3:4], v[3:4], v[48:49]
	s_andn2_b32 exec_lo, exec_lo, s5
	s_cbranch_execnz .LBB83_136
; %bb.137:
	s_or_b32 exec_lo, exec_lo, s5
.LBB83_138:
	s_or_b32 exec_lo, exec_lo, s8
	v_mov_b32_e32 v47, 0
	ds_read_b128 v[47:50], v47 offset:32
	s_waitcnt lgkmcnt(0)
	v_mul_f64 v[52:53], v[3:4], v[49:50]
	v_mul_f64 v[49:50], v[1:2], v[49:50]
	v_fma_f64 v[1:2], v[1:2], v[47:48], -v[52:53]
	v_fma_f64 v[3:4], v[3:4], v[47:48], v[49:50]
	buffer_store_dword v2, off, s[0:3], 0 offset:36
	buffer_store_dword v1, off, s[0:3], 0 offset:32
	;; [unrolled: 1-line block ×4, first 2 shown]
.LBB83_139:
	s_or_b32 exec_lo, exec_lo, s4
	v_mov_b32_e32 v4, s26
	v_cmp_lt_u32_e64 s4, 1, v0
	s_clause 0x3
	buffer_load_dword v1, v4, s[0:3], 0 offen
	buffer_load_dword v2, v4, s[0:3], 0 offen offset:4
	buffer_load_dword v3, v4, s[0:3], 0 offen offset:8
	;; [unrolled: 1-line block ×3, first 2 shown]
	s_waitcnt vmcnt(0)
	ds_write_b128 v46, v[1:4]
	s_waitcnt lgkmcnt(0)
	s_waitcnt_vscnt null, 0x0
	s_barrier
	buffer_gl0_inv
	s_and_saveexec_b32 s5, s4
	s_cbranch_execz .LBB83_147
; %bb.140:
	ds_read_b128 v[1:4], v46
	s_andn2_b32 vcc_lo, exec_lo, s27
	s_cbranch_vccnz .LBB83_142
; %bb.141:
	s_clause 0x3
	buffer_load_dword v47, v45, s[0:3], 0 offen offset:8
	buffer_load_dword v48, v45, s[0:3], 0 offen offset:12
	buffer_load_dword v49, v45, s[0:3], 0 offen
	buffer_load_dword v50, v45, s[0:3], 0 offen offset:4
	s_waitcnt vmcnt(2) lgkmcnt(0)
	v_mul_f64 v[52:53], v[3:4], v[47:48]
	v_mul_f64 v[47:48], v[1:2], v[47:48]
	s_waitcnt vmcnt(0)
	v_fma_f64 v[1:2], v[1:2], v[49:50], -v[52:53]
	v_fma_f64 v[3:4], v[3:4], v[49:50], v[47:48]
.LBB83_142:
	s_and_saveexec_b32 s8, s6
	s_cbranch_execz .LBB83_146
; %bb.143:
	v_add_nc_u32_e32 v47, -2, v0
	s_movk_i32 s28, 0x160
	s_mov_b32 s6, 0
	s_mov_b32 s29, s25
	.p2align	6
.LBB83_144:                             ; =>This Inner Loop Header: Depth=1
	v_mov_b32_e32 v50, s29
	v_add_nc_u32_e32 v47, -1, v47
	s_add_i32 s29, s29, 16
	s_clause 0x3
	buffer_load_dword v48, v50, s[0:3], 0 offen offset:8
	buffer_load_dword v49, v50, s[0:3], 0 offen offset:12
	buffer_load_dword v56, v50, s[0:3], 0 offen
	buffer_load_dword v57, v50, s[0:3], 0 offen offset:4
	v_mov_b32_e32 v50, s28
	v_cmp_eq_u32_e32 vcc_lo, 0, v47
	s_add_i32 s28, s28, 16
	ds_read_b128 v[52:55], v50
	s_or_b32 s6, vcc_lo, s6
	s_waitcnt vmcnt(2) lgkmcnt(0)
	v_mul_f64 v[58:59], v[54:55], v[48:49]
	v_mul_f64 v[48:49], v[52:53], v[48:49]
	s_waitcnt vmcnt(0)
	v_fma_f64 v[52:53], v[52:53], v[56:57], -v[58:59]
	v_fma_f64 v[48:49], v[54:55], v[56:57], v[48:49]
	v_add_f64 v[1:2], v[1:2], v[52:53]
	v_add_f64 v[3:4], v[3:4], v[48:49]
	s_andn2_b32 exec_lo, exec_lo, s6
	s_cbranch_execnz .LBB83_144
; %bb.145:
	s_or_b32 exec_lo, exec_lo, s6
.LBB83_146:
	s_or_b32 exec_lo, exec_lo, s8
	v_mov_b32_e32 v47, 0
	ds_read_b128 v[47:50], v47 offset:16
	s_waitcnt lgkmcnt(0)
	v_mul_f64 v[52:53], v[3:4], v[49:50]
	v_mul_f64 v[49:50], v[1:2], v[49:50]
	v_fma_f64 v[1:2], v[1:2], v[47:48], -v[52:53]
	v_fma_f64 v[3:4], v[3:4], v[47:48], v[49:50]
	buffer_store_dword v2, off, s[0:3], 0 offset:20
	buffer_store_dword v1, off, s[0:3], 0 offset:16
	buffer_store_dword v4, off, s[0:3], 0 offset:28
	buffer_store_dword v3, off, s[0:3], 0 offset:24
.LBB83_147:
	s_or_b32 exec_lo, exec_lo, s5
	s_clause 0x3
	buffer_load_dword v1, off, s[0:3], 0
	buffer_load_dword v2, off, s[0:3], 0 offset:4
	buffer_load_dword v3, off, s[0:3], 0 offset:8
	;; [unrolled: 1-line block ×3, first 2 shown]
	s_mov_b32 s6, 0
	s_mov_b32 s5, 0
	s_mov_b32 s8, exec_lo
                                        ; implicit-def: $sgpr28
	s_waitcnt vmcnt(0)
	ds_write_b128 v46, v[1:4]
	s_waitcnt lgkmcnt(0)
	s_waitcnt_vscnt null, 0x0
	s_barrier
	buffer_gl0_inv
                                        ; implicit-def: $vgpr1_vgpr2
	v_cmpx_ne_u32_e32 0, v0
	s_cbranch_execz .LBB83_155
; %bb.148:
	ds_read_b128 v[1:4], v46
	s_andn2_b32 vcc_lo, exec_lo, s27
	s_cbranch_vccnz .LBB83_150
; %bb.149:
	s_clause 0x3
	buffer_load_dword v47, v45, s[0:3], 0 offen offset:8
	buffer_load_dword v48, v45, s[0:3], 0 offen offset:12
	buffer_load_dword v49, v45, s[0:3], 0 offen
	buffer_load_dword v50, v45, s[0:3], 0 offen offset:4
	s_waitcnt vmcnt(2) lgkmcnt(0)
	v_mul_f64 v[52:53], v[3:4], v[47:48]
	v_mul_f64 v[47:48], v[1:2], v[47:48]
	s_waitcnt vmcnt(0)
	v_fma_f64 v[1:2], v[1:2], v[49:50], -v[52:53]
	v_fma_f64 v[3:4], v[3:4], v[49:50], v[47:48]
.LBB83_150:
	s_and_saveexec_b32 s5, s4
	s_cbranch_execz .LBB83_154
; %bb.151:
	v_add_nc_u32_e32 v47, -1, v0
	s_movk_i32 s28, 0x150
	s_mov_b32 s4, 0
	s_mov_b32 s29, s26
	.p2align	6
.LBB83_152:                             ; =>This Inner Loop Header: Depth=1
	v_mov_b32_e32 v50, s29
	v_add_nc_u32_e32 v47, -1, v47
	s_add_i32 s29, s29, 16
	s_clause 0x3
	buffer_load_dword v48, v50, s[0:3], 0 offen offset:8
	buffer_load_dword v49, v50, s[0:3], 0 offen offset:12
	buffer_load_dword v56, v50, s[0:3], 0 offen
	buffer_load_dword v57, v50, s[0:3], 0 offen offset:4
	v_mov_b32_e32 v50, s28
	v_cmp_eq_u32_e32 vcc_lo, 0, v47
	s_add_i32 s28, s28, 16
	ds_read_b128 v[52:55], v50
	s_or_b32 s4, vcc_lo, s4
	s_waitcnt vmcnt(2) lgkmcnt(0)
	v_mul_f64 v[58:59], v[54:55], v[48:49]
	v_mul_f64 v[48:49], v[52:53], v[48:49]
	s_waitcnt vmcnt(0)
	v_fma_f64 v[52:53], v[52:53], v[56:57], -v[58:59]
	v_fma_f64 v[48:49], v[54:55], v[56:57], v[48:49]
	v_add_f64 v[1:2], v[1:2], v[52:53]
	v_add_f64 v[3:4], v[3:4], v[48:49]
	s_andn2_b32 exec_lo, exec_lo, s4
	s_cbranch_execnz .LBB83_152
; %bb.153:
	s_or_b32 exec_lo, exec_lo, s4
.LBB83_154:
	s_or_b32 exec_lo, exec_lo, s5
	v_mov_b32_e32 v47, 0
	s_mov_b32 s5, exec_lo
	s_or_b32 s28, 0, 8
	ds_read_b128 v[47:50], v47
	s_waitcnt lgkmcnt(0)
	v_mul_f64 v[52:53], v[3:4], v[49:50]
	v_mul_f64 v[49:50], v[1:2], v[49:50]
	v_fma_f64 v[52:53], v[1:2], v[47:48], -v[52:53]
	v_fma_f64 v[1:2], v[3:4], v[47:48], v[49:50]
	buffer_store_dword v53, off, s[0:3], 0 offset:4
	buffer_store_dword v52, off, s[0:3], 0
.LBB83_155:
	s_or_b32 exec_lo, exec_lo, s8
	s_and_b32 vcc_lo, exec_lo, s6
	s_cbranch_vccnz .LBB83_157
	s_branch .LBB83_304
.LBB83_156:
	s_mov_b32 s5, 0
                                        ; implicit-def: $vgpr1_vgpr2
                                        ; implicit-def: $sgpr28
	s_cbranch_execz .LBB83_304
.LBB83_157:
	v_mov_b32_e32 v4, s26
	v_cmp_eq_u32_e64 s4, 0, v0
	v_cndmask_b32_e64 v47, 0, 1, s27
	s_clause 0x3
	buffer_load_dword v1, v4, s[0:3], 0 offen
	buffer_load_dword v2, v4, s[0:3], 0 offen offset:4
	buffer_load_dword v3, v4, s[0:3], 0 offen offset:8
	;; [unrolled: 1-line block ×3, first 2 shown]
	s_waitcnt vmcnt(0)
	ds_write_b128 v46, v[1:4]
	s_waitcnt lgkmcnt(0)
	s_waitcnt_vscnt null, 0x0
	s_barrier
	buffer_gl0_inv
	s_and_saveexec_b32 s6, s4
	s_cbranch_execz .LBB83_161
; %bb.158:
	ds_read_b128 v[1:4], v46
	s_andn2_b32 vcc_lo, exec_lo, s27
	s_cbranch_vccnz .LBB83_160
; %bb.159:
	s_clause 0x3
	buffer_load_dword v48, v45, s[0:3], 0 offen offset:8
	buffer_load_dword v49, v45, s[0:3], 0 offen offset:12
	buffer_load_dword v52, v45, s[0:3], 0 offen
	buffer_load_dword v53, v45, s[0:3], 0 offen offset:4
	s_waitcnt vmcnt(2) lgkmcnt(0)
	v_mul_f64 v[54:55], v[3:4], v[48:49]
	v_mul_f64 v[48:49], v[1:2], v[48:49]
	s_waitcnt vmcnt(0)
	v_fma_f64 v[1:2], v[1:2], v[52:53], -v[54:55]
	v_fma_f64 v[3:4], v[3:4], v[52:53], v[48:49]
.LBB83_160:
	v_mov_b32_e32 v48, 0
	ds_read_b128 v[52:55], v48 offset:16
	s_waitcnt lgkmcnt(0)
	v_mul_f64 v[48:49], v[3:4], v[54:55]
	v_mul_f64 v[54:55], v[1:2], v[54:55]
	v_fma_f64 v[1:2], v[1:2], v[52:53], -v[48:49]
	v_fma_f64 v[3:4], v[3:4], v[52:53], v[54:55]
	buffer_store_dword v2, off, s[0:3], 0 offset:20
	buffer_store_dword v1, off, s[0:3], 0 offset:16
	;; [unrolled: 1-line block ×4, first 2 shown]
.LBB83_161:
	s_or_b32 exec_lo, exec_lo, s6
	v_mov_b32_e32 v4, s25
	s_mov_b32 s6, exec_lo
	s_clause 0x3
	buffer_load_dword v1, v4, s[0:3], 0 offen
	buffer_load_dword v2, v4, s[0:3], 0 offen offset:4
	buffer_load_dword v3, v4, s[0:3], 0 offen offset:8
	;; [unrolled: 1-line block ×3, first 2 shown]
	s_waitcnt vmcnt(0)
	ds_write_b128 v46, v[1:4]
	s_waitcnt lgkmcnt(0)
	s_waitcnt_vscnt null, 0x0
	s_barrier
	buffer_gl0_inv
	v_cmpx_gt_u32_e32 2, v0
	s_cbranch_execz .LBB83_167
; %bb.162:
	ds_read_b128 v[1:4], v46
	v_cmp_ne_u32_e32 vcc_lo, 1, v47
	s_cbranch_vccnz .LBB83_164
; %bb.163:
	s_clause 0x3
	buffer_load_dword v48, v45, s[0:3], 0 offen offset:8
	buffer_load_dword v49, v45, s[0:3], 0 offen offset:12
	buffer_load_dword v52, v45, s[0:3], 0 offen
	buffer_load_dword v53, v45, s[0:3], 0 offen offset:4
	s_waitcnt vmcnt(2) lgkmcnt(0)
	v_mul_f64 v[54:55], v[3:4], v[48:49]
	v_mul_f64 v[48:49], v[1:2], v[48:49]
	s_waitcnt vmcnt(0)
	v_fma_f64 v[1:2], v[1:2], v[52:53], -v[54:55]
	v_fma_f64 v[3:4], v[3:4], v[52:53], v[48:49]
.LBB83_164:
	s_and_saveexec_b32 s8, s4
	s_cbranch_execz .LBB83_166
; %bb.165:
	s_clause 0x3
	buffer_load_dword v48, off, s[0:3], 0 offset:24
	buffer_load_dword v49, off, s[0:3], 0 offset:28
	buffer_load_dword v56, off, s[0:3], 0 offset:16
	buffer_load_dword v57, off, s[0:3], 0 offset:20
	v_mov_b32_e32 v50, 0
	ds_read_b128 v[52:55], v50 offset:336
	s_waitcnt vmcnt(2) lgkmcnt(0)
	v_mul_f64 v[58:59], v[54:55], v[48:49]
	v_mul_f64 v[48:49], v[52:53], v[48:49]
	s_waitcnt vmcnt(0)
	v_fma_f64 v[52:53], v[52:53], v[56:57], -v[58:59]
	v_fma_f64 v[48:49], v[54:55], v[56:57], v[48:49]
	v_add_f64 v[1:2], v[1:2], v[52:53]
	v_add_f64 v[3:4], v[3:4], v[48:49]
.LBB83_166:
	s_or_b32 exec_lo, exec_lo, s8
	v_mov_b32_e32 v48, 0
	ds_read_b128 v[52:55], v48 offset:32
	s_waitcnt lgkmcnt(0)
	v_mul_f64 v[48:49], v[3:4], v[54:55]
	v_mul_f64 v[54:55], v[1:2], v[54:55]
	v_fma_f64 v[1:2], v[1:2], v[52:53], -v[48:49]
	v_fma_f64 v[3:4], v[3:4], v[52:53], v[54:55]
	buffer_store_dword v2, off, s[0:3], 0 offset:36
	buffer_store_dword v1, off, s[0:3], 0 offset:32
	;; [unrolled: 1-line block ×4, first 2 shown]
.LBB83_167:
	s_or_b32 exec_lo, exec_lo, s6
	v_mov_b32_e32 v4, s24
	s_mov_b32 s6, exec_lo
	s_clause 0x3
	buffer_load_dword v1, v4, s[0:3], 0 offen
	buffer_load_dword v2, v4, s[0:3], 0 offen offset:4
	buffer_load_dword v3, v4, s[0:3], 0 offen offset:8
	;; [unrolled: 1-line block ×3, first 2 shown]
	s_waitcnt vmcnt(0)
	ds_write_b128 v46, v[1:4]
	s_waitcnt lgkmcnt(0)
	s_waitcnt_vscnt null, 0x0
	s_barrier
	buffer_gl0_inv
	v_cmpx_gt_u32_e32 3, v0
	s_cbranch_execz .LBB83_175
; %bb.168:
	ds_read_b128 v[1:4], v46
	v_cmp_ne_u32_e32 vcc_lo, 1, v47
	s_cbranch_vccnz .LBB83_170
; %bb.169:
	s_clause 0x3
	buffer_load_dword v48, v45, s[0:3], 0 offen offset:8
	buffer_load_dword v49, v45, s[0:3], 0 offen offset:12
	buffer_load_dword v52, v45, s[0:3], 0 offen
	buffer_load_dword v53, v45, s[0:3], 0 offen offset:4
	s_waitcnt vmcnt(2) lgkmcnt(0)
	v_mul_f64 v[54:55], v[3:4], v[48:49]
	v_mul_f64 v[48:49], v[1:2], v[48:49]
	s_waitcnt vmcnt(0)
	v_fma_f64 v[1:2], v[1:2], v[52:53], -v[54:55]
	v_fma_f64 v[3:4], v[3:4], v[52:53], v[48:49]
.LBB83_170:
	s_mov_b32 s8, exec_lo
	v_cmpx_ne_u32_e32 2, v0
	s_cbranch_execz .LBB83_174
; %bb.171:
	s_clause 0x3
	buffer_load_dword v48, v45, s[0:3], 0 offen offset:24
	buffer_load_dword v49, v45, s[0:3], 0 offen offset:28
	;; [unrolled: 1-line block ×4, first 2 shown]
	ds_read_b128 v[52:55], v46 offset:16
	s_waitcnt vmcnt(2) lgkmcnt(0)
	v_mul_f64 v[58:59], v[54:55], v[48:49]
	v_mul_f64 v[48:49], v[52:53], v[48:49]
	s_waitcnt vmcnt(0)
	v_fma_f64 v[52:53], v[52:53], v[56:57], -v[58:59]
	v_fma_f64 v[48:49], v[54:55], v[56:57], v[48:49]
	v_add_f64 v[1:2], v[1:2], v[52:53]
	v_add_f64 v[3:4], v[3:4], v[48:49]
	s_and_saveexec_b32 s27, s4
	s_cbranch_execz .LBB83_173
; %bb.172:
	s_clause 0x3
	buffer_load_dword v48, off, s[0:3], 0 offset:40
	buffer_load_dword v49, off, s[0:3], 0 offset:44
	buffer_load_dword v56, off, s[0:3], 0 offset:32
	buffer_load_dword v57, off, s[0:3], 0 offset:36
	v_mov_b32_e32 v50, 0
	ds_read_b128 v[52:55], v50 offset:352
	s_waitcnt vmcnt(2) lgkmcnt(0)
	v_mul_f64 v[58:59], v[52:53], v[48:49]
	v_mul_f64 v[48:49], v[54:55], v[48:49]
	s_waitcnt vmcnt(0)
	v_fma_f64 v[54:55], v[54:55], v[56:57], v[58:59]
	v_fma_f64 v[48:49], v[52:53], v[56:57], -v[48:49]
	v_add_f64 v[3:4], v[3:4], v[54:55]
	v_add_f64 v[1:2], v[1:2], v[48:49]
.LBB83_173:
	s_or_b32 exec_lo, exec_lo, s27
.LBB83_174:
	s_or_b32 exec_lo, exec_lo, s8
	v_mov_b32_e32 v48, 0
	ds_read_b128 v[52:55], v48 offset:48
	s_waitcnt lgkmcnt(0)
	v_mul_f64 v[48:49], v[3:4], v[54:55]
	v_mul_f64 v[54:55], v[1:2], v[54:55]
	v_fma_f64 v[1:2], v[1:2], v[52:53], -v[48:49]
	v_fma_f64 v[3:4], v[3:4], v[52:53], v[54:55]
	buffer_store_dword v2, off, s[0:3], 0 offset:52
	buffer_store_dword v1, off, s[0:3], 0 offset:48
	;; [unrolled: 1-line block ×4, first 2 shown]
.LBB83_175:
	s_or_b32 exec_lo, exec_lo, s6
	v_mov_b32_e32 v4, s23
	s_mov_b32 s4, exec_lo
	s_clause 0x3
	buffer_load_dword v1, v4, s[0:3], 0 offen
	buffer_load_dword v2, v4, s[0:3], 0 offen offset:4
	buffer_load_dword v3, v4, s[0:3], 0 offen offset:8
	;; [unrolled: 1-line block ×3, first 2 shown]
	s_waitcnt vmcnt(0)
	ds_write_b128 v46, v[1:4]
	s_waitcnt lgkmcnt(0)
	s_waitcnt_vscnt null, 0x0
	s_barrier
	buffer_gl0_inv
	v_cmpx_gt_u32_e32 4, v0
	s_cbranch_execz .LBB83_183
; %bb.176:
	ds_read_b128 v[1:4], v46
	v_cmp_ne_u32_e32 vcc_lo, 1, v47
	s_cbranch_vccnz .LBB83_178
; %bb.177:
	s_clause 0x3
	buffer_load_dword v48, v45, s[0:3], 0 offen offset:8
	buffer_load_dword v49, v45, s[0:3], 0 offen offset:12
	buffer_load_dword v52, v45, s[0:3], 0 offen
	buffer_load_dword v53, v45, s[0:3], 0 offen offset:4
	s_waitcnt vmcnt(2) lgkmcnt(0)
	v_mul_f64 v[54:55], v[3:4], v[48:49]
	v_mul_f64 v[48:49], v[1:2], v[48:49]
	s_waitcnt vmcnt(0)
	v_fma_f64 v[1:2], v[1:2], v[52:53], -v[54:55]
	v_fma_f64 v[3:4], v[3:4], v[52:53], v[48:49]
.LBB83_178:
	s_mov_b32 s6, exec_lo
	v_cmpx_ne_u32_e32 3, v0
	s_cbranch_execz .LBB83_182
; %bb.179:
	v_add_nc_u32_e32 v48, 0x150, v51
	v_add3_u32 v49, 0, v51, 16
	v_mov_b32_e32 v50, v0
	s_mov_b32 s8, 0
	.p2align	6
.LBB83_180:                             ; =>This Inner Loop Header: Depth=1
	s_clause 0x3
	buffer_load_dword v56, v49, s[0:3], 0 offen offset:8
	buffer_load_dword v57, v49, s[0:3], 0 offen offset:12
	buffer_load_dword v58, v49, s[0:3], 0 offen
	buffer_load_dword v59, v49, s[0:3], 0 offen offset:4
	ds_read_b128 v[52:55], v48
	v_add_nc_u32_e32 v50, 1, v50
	v_add_nc_u32_e32 v48, 16, v48
	;; [unrolled: 1-line block ×3, first 2 shown]
	v_cmp_lt_u32_e32 vcc_lo, 2, v50
	s_or_b32 s8, vcc_lo, s8
	s_waitcnt vmcnt(2) lgkmcnt(0)
	v_mul_f64 v[60:61], v[54:55], v[56:57]
	v_mul_f64 v[56:57], v[52:53], v[56:57]
	s_waitcnt vmcnt(0)
	v_fma_f64 v[52:53], v[52:53], v[58:59], -v[60:61]
	v_fma_f64 v[54:55], v[54:55], v[58:59], v[56:57]
	v_add_f64 v[1:2], v[1:2], v[52:53]
	v_add_f64 v[3:4], v[3:4], v[54:55]
	s_andn2_b32 exec_lo, exec_lo, s8
	s_cbranch_execnz .LBB83_180
; %bb.181:
	s_or_b32 exec_lo, exec_lo, s8
.LBB83_182:
	s_or_b32 exec_lo, exec_lo, s6
	v_mov_b32_e32 v48, 0
	ds_read_b128 v[52:55], v48 offset:64
	s_waitcnt lgkmcnt(0)
	v_mul_f64 v[48:49], v[3:4], v[54:55]
	v_mul_f64 v[54:55], v[1:2], v[54:55]
	v_fma_f64 v[1:2], v[1:2], v[52:53], -v[48:49]
	v_fma_f64 v[3:4], v[3:4], v[52:53], v[54:55]
	buffer_store_dword v2, off, s[0:3], 0 offset:68
	buffer_store_dword v1, off, s[0:3], 0 offset:64
	;; [unrolled: 1-line block ×4, first 2 shown]
.LBB83_183:
	s_or_b32 exec_lo, exec_lo, s4
	v_mov_b32_e32 v4, s22
	s_mov_b32 s4, exec_lo
	s_clause 0x3
	buffer_load_dword v1, v4, s[0:3], 0 offen
	buffer_load_dword v2, v4, s[0:3], 0 offen offset:4
	buffer_load_dword v3, v4, s[0:3], 0 offen offset:8
	;; [unrolled: 1-line block ×3, first 2 shown]
	s_waitcnt vmcnt(0)
	ds_write_b128 v46, v[1:4]
	s_waitcnt lgkmcnt(0)
	s_waitcnt_vscnt null, 0x0
	s_barrier
	buffer_gl0_inv
	v_cmpx_gt_u32_e32 5, v0
	s_cbranch_execz .LBB83_191
; %bb.184:
	ds_read_b128 v[1:4], v46
	v_cmp_ne_u32_e32 vcc_lo, 1, v47
	s_cbranch_vccnz .LBB83_186
; %bb.185:
	s_clause 0x3
	buffer_load_dword v48, v45, s[0:3], 0 offen offset:8
	buffer_load_dword v49, v45, s[0:3], 0 offen offset:12
	buffer_load_dword v52, v45, s[0:3], 0 offen
	buffer_load_dword v53, v45, s[0:3], 0 offen offset:4
	s_waitcnt vmcnt(2) lgkmcnt(0)
	v_mul_f64 v[54:55], v[3:4], v[48:49]
	v_mul_f64 v[48:49], v[1:2], v[48:49]
	s_waitcnt vmcnt(0)
	v_fma_f64 v[1:2], v[1:2], v[52:53], -v[54:55]
	v_fma_f64 v[3:4], v[3:4], v[52:53], v[48:49]
.LBB83_186:
	s_mov_b32 s6, exec_lo
	v_cmpx_ne_u32_e32 4, v0
	s_cbranch_execz .LBB83_190
; %bb.187:
	v_add_nc_u32_e32 v48, 0x150, v51
	v_add3_u32 v49, 0, v51, 16
	v_mov_b32_e32 v50, v0
	s_mov_b32 s8, 0
	.p2align	6
.LBB83_188:                             ; =>This Inner Loop Header: Depth=1
	s_clause 0x3
	buffer_load_dword v56, v49, s[0:3], 0 offen offset:8
	buffer_load_dword v57, v49, s[0:3], 0 offen offset:12
	buffer_load_dword v58, v49, s[0:3], 0 offen
	buffer_load_dword v59, v49, s[0:3], 0 offen offset:4
	ds_read_b128 v[52:55], v48
	v_add_nc_u32_e32 v50, 1, v50
	v_add_nc_u32_e32 v48, 16, v48
	;; [unrolled: 1-line block ×3, first 2 shown]
	v_cmp_lt_u32_e32 vcc_lo, 3, v50
	s_or_b32 s8, vcc_lo, s8
	s_waitcnt vmcnt(2) lgkmcnt(0)
	v_mul_f64 v[60:61], v[54:55], v[56:57]
	v_mul_f64 v[56:57], v[52:53], v[56:57]
	s_waitcnt vmcnt(0)
	v_fma_f64 v[52:53], v[52:53], v[58:59], -v[60:61]
	v_fma_f64 v[54:55], v[54:55], v[58:59], v[56:57]
	v_add_f64 v[1:2], v[1:2], v[52:53]
	v_add_f64 v[3:4], v[3:4], v[54:55]
	s_andn2_b32 exec_lo, exec_lo, s8
	s_cbranch_execnz .LBB83_188
; %bb.189:
	s_or_b32 exec_lo, exec_lo, s8
.LBB83_190:
	s_or_b32 exec_lo, exec_lo, s6
	v_mov_b32_e32 v48, 0
	ds_read_b128 v[52:55], v48 offset:80
	s_waitcnt lgkmcnt(0)
	v_mul_f64 v[48:49], v[3:4], v[54:55]
	v_mul_f64 v[54:55], v[1:2], v[54:55]
	v_fma_f64 v[1:2], v[1:2], v[52:53], -v[48:49]
	v_fma_f64 v[3:4], v[3:4], v[52:53], v[54:55]
	buffer_store_dword v2, off, s[0:3], 0 offset:84
	buffer_store_dword v1, off, s[0:3], 0 offset:80
	buffer_store_dword v4, off, s[0:3], 0 offset:92
	buffer_store_dword v3, off, s[0:3], 0 offset:88
.LBB83_191:
	s_or_b32 exec_lo, exec_lo, s4
	v_mov_b32_e32 v4, s21
	s_mov_b32 s4, exec_lo
	s_clause 0x3
	buffer_load_dword v1, v4, s[0:3], 0 offen
	buffer_load_dword v2, v4, s[0:3], 0 offen offset:4
	buffer_load_dword v3, v4, s[0:3], 0 offen offset:8
	;; [unrolled: 1-line block ×3, first 2 shown]
	s_waitcnt vmcnt(0)
	ds_write_b128 v46, v[1:4]
	s_waitcnt lgkmcnt(0)
	s_waitcnt_vscnt null, 0x0
	s_barrier
	buffer_gl0_inv
	v_cmpx_gt_u32_e32 6, v0
	s_cbranch_execz .LBB83_199
; %bb.192:
	ds_read_b128 v[1:4], v46
	v_cmp_ne_u32_e32 vcc_lo, 1, v47
	s_cbranch_vccnz .LBB83_194
; %bb.193:
	s_clause 0x3
	buffer_load_dword v48, v45, s[0:3], 0 offen offset:8
	buffer_load_dword v49, v45, s[0:3], 0 offen offset:12
	buffer_load_dword v52, v45, s[0:3], 0 offen
	buffer_load_dword v53, v45, s[0:3], 0 offen offset:4
	s_waitcnt vmcnt(2) lgkmcnt(0)
	v_mul_f64 v[54:55], v[3:4], v[48:49]
	v_mul_f64 v[48:49], v[1:2], v[48:49]
	s_waitcnt vmcnt(0)
	v_fma_f64 v[1:2], v[1:2], v[52:53], -v[54:55]
	v_fma_f64 v[3:4], v[3:4], v[52:53], v[48:49]
.LBB83_194:
	s_mov_b32 s6, exec_lo
	v_cmpx_ne_u32_e32 5, v0
	s_cbranch_execz .LBB83_198
; %bb.195:
	v_add_nc_u32_e32 v48, 0x150, v51
	v_add3_u32 v49, 0, v51, 16
	v_mov_b32_e32 v50, v0
	s_mov_b32 s8, 0
	.p2align	6
.LBB83_196:                             ; =>This Inner Loop Header: Depth=1
	s_clause 0x3
	buffer_load_dword v56, v49, s[0:3], 0 offen offset:8
	buffer_load_dword v57, v49, s[0:3], 0 offen offset:12
	buffer_load_dword v58, v49, s[0:3], 0 offen
	buffer_load_dword v59, v49, s[0:3], 0 offen offset:4
	ds_read_b128 v[52:55], v48
	v_add_nc_u32_e32 v50, 1, v50
	v_add_nc_u32_e32 v48, 16, v48
	;; [unrolled: 1-line block ×3, first 2 shown]
	v_cmp_lt_u32_e32 vcc_lo, 4, v50
	s_or_b32 s8, vcc_lo, s8
	s_waitcnt vmcnt(2) lgkmcnt(0)
	v_mul_f64 v[60:61], v[54:55], v[56:57]
	v_mul_f64 v[56:57], v[52:53], v[56:57]
	s_waitcnt vmcnt(0)
	v_fma_f64 v[52:53], v[52:53], v[58:59], -v[60:61]
	v_fma_f64 v[54:55], v[54:55], v[58:59], v[56:57]
	v_add_f64 v[1:2], v[1:2], v[52:53]
	v_add_f64 v[3:4], v[3:4], v[54:55]
	s_andn2_b32 exec_lo, exec_lo, s8
	s_cbranch_execnz .LBB83_196
; %bb.197:
	s_or_b32 exec_lo, exec_lo, s8
.LBB83_198:
	s_or_b32 exec_lo, exec_lo, s6
	v_mov_b32_e32 v48, 0
	ds_read_b128 v[52:55], v48 offset:96
	s_waitcnt lgkmcnt(0)
	v_mul_f64 v[48:49], v[3:4], v[54:55]
	v_mul_f64 v[54:55], v[1:2], v[54:55]
	v_fma_f64 v[1:2], v[1:2], v[52:53], -v[48:49]
	v_fma_f64 v[3:4], v[3:4], v[52:53], v[54:55]
	buffer_store_dword v2, off, s[0:3], 0 offset:100
	buffer_store_dword v1, off, s[0:3], 0 offset:96
	;; [unrolled: 1-line block ×4, first 2 shown]
.LBB83_199:
	s_or_b32 exec_lo, exec_lo, s4
	v_mov_b32_e32 v4, s20
	s_mov_b32 s4, exec_lo
	s_clause 0x3
	buffer_load_dword v1, v4, s[0:3], 0 offen
	buffer_load_dword v2, v4, s[0:3], 0 offen offset:4
	buffer_load_dword v3, v4, s[0:3], 0 offen offset:8
	;; [unrolled: 1-line block ×3, first 2 shown]
	s_waitcnt vmcnt(0)
	ds_write_b128 v46, v[1:4]
	s_waitcnt lgkmcnt(0)
	s_waitcnt_vscnt null, 0x0
	s_barrier
	buffer_gl0_inv
	v_cmpx_gt_u32_e32 7, v0
	s_cbranch_execz .LBB83_207
; %bb.200:
	ds_read_b128 v[1:4], v46
	v_cmp_ne_u32_e32 vcc_lo, 1, v47
	s_cbranch_vccnz .LBB83_202
; %bb.201:
	s_clause 0x3
	buffer_load_dword v48, v45, s[0:3], 0 offen offset:8
	buffer_load_dword v49, v45, s[0:3], 0 offen offset:12
	buffer_load_dword v52, v45, s[0:3], 0 offen
	buffer_load_dword v53, v45, s[0:3], 0 offen offset:4
	s_waitcnt vmcnt(2) lgkmcnt(0)
	v_mul_f64 v[54:55], v[3:4], v[48:49]
	v_mul_f64 v[48:49], v[1:2], v[48:49]
	s_waitcnt vmcnt(0)
	v_fma_f64 v[1:2], v[1:2], v[52:53], -v[54:55]
	v_fma_f64 v[3:4], v[3:4], v[52:53], v[48:49]
.LBB83_202:
	s_mov_b32 s6, exec_lo
	v_cmpx_ne_u32_e32 6, v0
	s_cbranch_execz .LBB83_206
; %bb.203:
	v_add_nc_u32_e32 v48, 0x150, v51
	v_add3_u32 v49, 0, v51, 16
	v_mov_b32_e32 v50, v0
	s_mov_b32 s8, 0
	.p2align	6
.LBB83_204:                             ; =>This Inner Loop Header: Depth=1
	s_clause 0x3
	buffer_load_dword v56, v49, s[0:3], 0 offen offset:8
	buffer_load_dword v57, v49, s[0:3], 0 offen offset:12
	buffer_load_dword v58, v49, s[0:3], 0 offen
	buffer_load_dword v59, v49, s[0:3], 0 offen offset:4
	ds_read_b128 v[52:55], v48
	v_add_nc_u32_e32 v50, 1, v50
	v_add_nc_u32_e32 v48, 16, v48
	;; [unrolled: 1-line block ×3, first 2 shown]
	v_cmp_lt_u32_e32 vcc_lo, 5, v50
	s_or_b32 s8, vcc_lo, s8
	s_waitcnt vmcnt(2) lgkmcnt(0)
	v_mul_f64 v[60:61], v[54:55], v[56:57]
	v_mul_f64 v[56:57], v[52:53], v[56:57]
	s_waitcnt vmcnt(0)
	v_fma_f64 v[52:53], v[52:53], v[58:59], -v[60:61]
	v_fma_f64 v[54:55], v[54:55], v[58:59], v[56:57]
	v_add_f64 v[1:2], v[1:2], v[52:53]
	v_add_f64 v[3:4], v[3:4], v[54:55]
	s_andn2_b32 exec_lo, exec_lo, s8
	s_cbranch_execnz .LBB83_204
; %bb.205:
	s_or_b32 exec_lo, exec_lo, s8
.LBB83_206:
	s_or_b32 exec_lo, exec_lo, s6
	v_mov_b32_e32 v48, 0
	ds_read_b128 v[52:55], v48 offset:112
	s_waitcnt lgkmcnt(0)
	v_mul_f64 v[48:49], v[3:4], v[54:55]
	v_mul_f64 v[54:55], v[1:2], v[54:55]
	v_fma_f64 v[1:2], v[1:2], v[52:53], -v[48:49]
	v_fma_f64 v[3:4], v[3:4], v[52:53], v[54:55]
	buffer_store_dword v2, off, s[0:3], 0 offset:116
	buffer_store_dword v1, off, s[0:3], 0 offset:112
	;; [unrolled: 1-line block ×4, first 2 shown]
.LBB83_207:
	s_or_b32 exec_lo, exec_lo, s4
	v_mov_b32_e32 v4, s19
	s_mov_b32 s4, exec_lo
	s_clause 0x3
	buffer_load_dword v1, v4, s[0:3], 0 offen
	buffer_load_dword v2, v4, s[0:3], 0 offen offset:4
	buffer_load_dword v3, v4, s[0:3], 0 offen offset:8
	;; [unrolled: 1-line block ×3, first 2 shown]
	s_waitcnt vmcnt(0)
	ds_write_b128 v46, v[1:4]
	s_waitcnt lgkmcnt(0)
	s_waitcnt_vscnt null, 0x0
	s_barrier
	buffer_gl0_inv
	v_cmpx_gt_u32_e32 8, v0
	s_cbranch_execz .LBB83_215
; %bb.208:
	ds_read_b128 v[1:4], v46
	v_cmp_ne_u32_e32 vcc_lo, 1, v47
	s_cbranch_vccnz .LBB83_210
; %bb.209:
	s_clause 0x3
	buffer_load_dword v48, v45, s[0:3], 0 offen offset:8
	buffer_load_dword v49, v45, s[0:3], 0 offen offset:12
	buffer_load_dword v52, v45, s[0:3], 0 offen
	buffer_load_dword v53, v45, s[0:3], 0 offen offset:4
	s_waitcnt vmcnt(2) lgkmcnt(0)
	v_mul_f64 v[54:55], v[3:4], v[48:49]
	v_mul_f64 v[48:49], v[1:2], v[48:49]
	s_waitcnt vmcnt(0)
	v_fma_f64 v[1:2], v[1:2], v[52:53], -v[54:55]
	v_fma_f64 v[3:4], v[3:4], v[52:53], v[48:49]
.LBB83_210:
	s_mov_b32 s6, exec_lo
	v_cmpx_ne_u32_e32 7, v0
	s_cbranch_execz .LBB83_214
; %bb.211:
	v_add_nc_u32_e32 v48, 0x150, v51
	v_add3_u32 v49, 0, v51, 16
	v_mov_b32_e32 v50, v0
	s_mov_b32 s8, 0
	.p2align	6
.LBB83_212:                             ; =>This Inner Loop Header: Depth=1
	s_clause 0x3
	buffer_load_dword v56, v49, s[0:3], 0 offen offset:8
	buffer_load_dword v57, v49, s[0:3], 0 offen offset:12
	buffer_load_dword v58, v49, s[0:3], 0 offen
	buffer_load_dword v59, v49, s[0:3], 0 offen offset:4
	ds_read_b128 v[52:55], v48
	v_add_nc_u32_e32 v50, 1, v50
	v_add_nc_u32_e32 v48, 16, v48
	;; [unrolled: 1-line block ×3, first 2 shown]
	v_cmp_lt_u32_e32 vcc_lo, 6, v50
	s_or_b32 s8, vcc_lo, s8
	s_waitcnt vmcnt(2) lgkmcnt(0)
	v_mul_f64 v[60:61], v[54:55], v[56:57]
	v_mul_f64 v[56:57], v[52:53], v[56:57]
	s_waitcnt vmcnt(0)
	v_fma_f64 v[52:53], v[52:53], v[58:59], -v[60:61]
	v_fma_f64 v[54:55], v[54:55], v[58:59], v[56:57]
	v_add_f64 v[1:2], v[1:2], v[52:53]
	v_add_f64 v[3:4], v[3:4], v[54:55]
	s_andn2_b32 exec_lo, exec_lo, s8
	s_cbranch_execnz .LBB83_212
; %bb.213:
	s_or_b32 exec_lo, exec_lo, s8
.LBB83_214:
	s_or_b32 exec_lo, exec_lo, s6
	v_mov_b32_e32 v48, 0
	ds_read_b128 v[52:55], v48 offset:128
	s_waitcnt lgkmcnt(0)
	v_mul_f64 v[48:49], v[3:4], v[54:55]
	v_mul_f64 v[54:55], v[1:2], v[54:55]
	v_fma_f64 v[1:2], v[1:2], v[52:53], -v[48:49]
	v_fma_f64 v[3:4], v[3:4], v[52:53], v[54:55]
	buffer_store_dword v2, off, s[0:3], 0 offset:132
	buffer_store_dword v1, off, s[0:3], 0 offset:128
	;; [unrolled: 1-line block ×4, first 2 shown]
.LBB83_215:
	s_or_b32 exec_lo, exec_lo, s4
	v_mov_b32_e32 v4, s18
	s_mov_b32 s4, exec_lo
	s_clause 0x3
	buffer_load_dword v1, v4, s[0:3], 0 offen
	buffer_load_dword v2, v4, s[0:3], 0 offen offset:4
	buffer_load_dword v3, v4, s[0:3], 0 offen offset:8
	;; [unrolled: 1-line block ×3, first 2 shown]
	s_waitcnt vmcnt(0)
	ds_write_b128 v46, v[1:4]
	s_waitcnt lgkmcnt(0)
	s_waitcnt_vscnt null, 0x0
	s_barrier
	buffer_gl0_inv
	v_cmpx_gt_u32_e32 9, v0
	s_cbranch_execz .LBB83_223
; %bb.216:
	ds_read_b128 v[1:4], v46
	v_cmp_ne_u32_e32 vcc_lo, 1, v47
	s_cbranch_vccnz .LBB83_218
; %bb.217:
	s_clause 0x3
	buffer_load_dword v48, v45, s[0:3], 0 offen offset:8
	buffer_load_dword v49, v45, s[0:3], 0 offen offset:12
	buffer_load_dword v52, v45, s[0:3], 0 offen
	buffer_load_dword v53, v45, s[0:3], 0 offen offset:4
	s_waitcnt vmcnt(2) lgkmcnt(0)
	v_mul_f64 v[54:55], v[3:4], v[48:49]
	v_mul_f64 v[48:49], v[1:2], v[48:49]
	s_waitcnt vmcnt(0)
	v_fma_f64 v[1:2], v[1:2], v[52:53], -v[54:55]
	v_fma_f64 v[3:4], v[3:4], v[52:53], v[48:49]
.LBB83_218:
	s_mov_b32 s6, exec_lo
	v_cmpx_ne_u32_e32 8, v0
	s_cbranch_execz .LBB83_222
; %bb.219:
	v_add_nc_u32_e32 v48, 0x150, v51
	v_add3_u32 v49, 0, v51, 16
	v_mov_b32_e32 v50, v0
	s_mov_b32 s8, 0
	.p2align	6
.LBB83_220:                             ; =>This Inner Loop Header: Depth=1
	s_clause 0x3
	buffer_load_dword v56, v49, s[0:3], 0 offen offset:8
	buffer_load_dword v57, v49, s[0:3], 0 offen offset:12
	buffer_load_dword v58, v49, s[0:3], 0 offen
	buffer_load_dword v59, v49, s[0:3], 0 offen offset:4
	ds_read_b128 v[52:55], v48
	v_add_nc_u32_e32 v50, 1, v50
	v_add_nc_u32_e32 v48, 16, v48
	;; [unrolled: 1-line block ×3, first 2 shown]
	v_cmp_lt_u32_e32 vcc_lo, 7, v50
	s_or_b32 s8, vcc_lo, s8
	s_waitcnt vmcnt(2) lgkmcnt(0)
	v_mul_f64 v[60:61], v[54:55], v[56:57]
	v_mul_f64 v[56:57], v[52:53], v[56:57]
	s_waitcnt vmcnt(0)
	v_fma_f64 v[52:53], v[52:53], v[58:59], -v[60:61]
	v_fma_f64 v[54:55], v[54:55], v[58:59], v[56:57]
	v_add_f64 v[1:2], v[1:2], v[52:53]
	v_add_f64 v[3:4], v[3:4], v[54:55]
	s_andn2_b32 exec_lo, exec_lo, s8
	s_cbranch_execnz .LBB83_220
; %bb.221:
	s_or_b32 exec_lo, exec_lo, s8
.LBB83_222:
	s_or_b32 exec_lo, exec_lo, s6
	v_mov_b32_e32 v48, 0
	ds_read_b128 v[52:55], v48 offset:144
	s_waitcnt lgkmcnt(0)
	v_mul_f64 v[48:49], v[3:4], v[54:55]
	v_mul_f64 v[54:55], v[1:2], v[54:55]
	v_fma_f64 v[1:2], v[1:2], v[52:53], -v[48:49]
	v_fma_f64 v[3:4], v[3:4], v[52:53], v[54:55]
	buffer_store_dword v2, off, s[0:3], 0 offset:148
	buffer_store_dword v1, off, s[0:3], 0 offset:144
	;; [unrolled: 1-line block ×4, first 2 shown]
.LBB83_223:
	s_or_b32 exec_lo, exec_lo, s4
	v_mov_b32_e32 v4, s17
	s_mov_b32 s4, exec_lo
	s_clause 0x3
	buffer_load_dword v1, v4, s[0:3], 0 offen
	buffer_load_dword v2, v4, s[0:3], 0 offen offset:4
	buffer_load_dword v3, v4, s[0:3], 0 offen offset:8
	;; [unrolled: 1-line block ×3, first 2 shown]
	s_waitcnt vmcnt(0)
	ds_write_b128 v46, v[1:4]
	s_waitcnt lgkmcnt(0)
	s_waitcnt_vscnt null, 0x0
	s_barrier
	buffer_gl0_inv
	v_cmpx_gt_u32_e32 10, v0
	s_cbranch_execz .LBB83_231
; %bb.224:
	ds_read_b128 v[1:4], v46
	v_cmp_ne_u32_e32 vcc_lo, 1, v47
	s_cbranch_vccnz .LBB83_226
; %bb.225:
	s_clause 0x3
	buffer_load_dword v48, v45, s[0:3], 0 offen offset:8
	buffer_load_dword v49, v45, s[0:3], 0 offen offset:12
	buffer_load_dword v52, v45, s[0:3], 0 offen
	buffer_load_dword v53, v45, s[0:3], 0 offen offset:4
	s_waitcnt vmcnt(2) lgkmcnt(0)
	v_mul_f64 v[54:55], v[3:4], v[48:49]
	v_mul_f64 v[48:49], v[1:2], v[48:49]
	s_waitcnt vmcnt(0)
	v_fma_f64 v[1:2], v[1:2], v[52:53], -v[54:55]
	v_fma_f64 v[3:4], v[3:4], v[52:53], v[48:49]
.LBB83_226:
	s_mov_b32 s6, exec_lo
	v_cmpx_ne_u32_e32 9, v0
	s_cbranch_execz .LBB83_230
; %bb.227:
	v_add_nc_u32_e32 v48, 0x150, v51
	v_add3_u32 v49, 0, v51, 16
	v_mov_b32_e32 v50, v0
	s_mov_b32 s8, 0
	.p2align	6
.LBB83_228:                             ; =>This Inner Loop Header: Depth=1
	s_clause 0x3
	buffer_load_dword v56, v49, s[0:3], 0 offen offset:8
	buffer_load_dword v57, v49, s[0:3], 0 offen offset:12
	buffer_load_dword v58, v49, s[0:3], 0 offen
	buffer_load_dword v59, v49, s[0:3], 0 offen offset:4
	ds_read_b128 v[52:55], v48
	v_add_nc_u32_e32 v50, 1, v50
	v_add_nc_u32_e32 v48, 16, v48
	;; [unrolled: 1-line block ×3, first 2 shown]
	v_cmp_lt_u32_e32 vcc_lo, 8, v50
	s_or_b32 s8, vcc_lo, s8
	s_waitcnt vmcnt(2) lgkmcnt(0)
	v_mul_f64 v[60:61], v[54:55], v[56:57]
	v_mul_f64 v[56:57], v[52:53], v[56:57]
	s_waitcnt vmcnt(0)
	v_fma_f64 v[52:53], v[52:53], v[58:59], -v[60:61]
	v_fma_f64 v[54:55], v[54:55], v[58:59], v[56:57]
	v_add_f64 v[1:2], v[1:2], v[52:53]
	v_add_f64 v[3:4], v[3:4], v[54:55]
	s_andn2_b32 exec_lo, exec_lo, s8
	s_cbranch_execnz .LBB83_228
; %bb.229:
	s_or_b32 exec_lo, exec_lo, s8
.LBB83_230:
	s_or_b32 exec_lo, exec_lo, s6
	v_mov_b32_e32 v48, 0
	ds_read_b128 v[52:55], v48 offset:160
	s_waitcnt lgkmcnt(0)
	v_mul_f64 v[48:49], v[3:4], v[54:55]
	v_mul_f64 v[54:55], v[1:2], v[54:55]
	v_fma_f64 v[1:2], v[1:2], v[52:53], -v[48:49]
	v_fma_f64 v[3:4], v[3:4], v[52:53], v[54:55]
	buffer_store_dword v2, off, s[0:3], 0 offset:164
	buffer_store_dword v1, off, s[0:3], 0 offset:160
	;; [unrolled: 1-line block ×4, first 2 shown]
.LBB83_231:
	s_or_b32 exec_lo, exec_lo, s4
	v_mov_b32_e32 v4, s16
	s_mov_b32 s4, exec_lo
	s_clause 0x3
	buffer_load_dword v1, v4, s[0:3], 0 offen
	buffer_load_dword v2, v4, s[0:3], 0 offen offset:4
	buffer_load_dword v3, v4, s[0:3], 0 offen offset:8
	;; [unrolled: 1-line block ×3, first 2 shown]
	s_waitcnt vmcnt(0)
	ds_write_b128 v46, v[1:4]
	s_waitcnt lgkmcnt(0)
	s_waitcnt_vscnt null, 0x0
	s_barrier
	buffer_gl0_inv
	v_cmpx_gt_u32_e32 11, v0
	s_cbranch_execz .LBB83_239
; %bb.232:
	ds_read_b128 v[1:4], v46
	v_cmp_ne_u32_e32 vcc_lo, 1, v47
	s_cbranch_vccnz .LBB83_234
; %bb.233:
	s_clause 0x3
	buffer_load_dword v48, v45, s[0:3], 0 offen offset:8
	buffer_load_dword v49, v45, s[0:3], 0 offen offset:12
	buffer_load_dword v52, v45, s[0:3], 0 offen
	buffer_load_dword v53, v45, s[0:3], 0 offen offset:4
	s_waitcnt vmcnt(2) lgkmcnt(0)
	v_mul_f64 v[54:55], v[3:4], v[48:49]
	v_mul_f64 v[48:49], v[1:2], v[48:49]
	s_waitcnt vmcnt(0)
	v_fma_f64 v[1:2], v[1:2], v[52:53], -v[54:55]
	v_fma_f64 v[3:4], v[3:4], v[52:53], v[48:49]
.LBB83_234:
	s_mov_b32 s6, exec_lo
	v_cmpx_ne_u32_e32 10, v0
	s_cbranch_execz .LBB83_238
; %bb.235:
	v_add_nc_u32_e32 v48, 0x150, v51
	v_add3_u32 v49, 0, v51, 16
	v_mov_b32_e32 v50, v0
	s_mov_b32 s8, 0
	.p2align	6
.LBB83_236:                             ; =>This Inner Loop Header: Depth=1
	s_clause 0x3
	buffer_load_dword v56, v49, s[0:3], 0 offen offset:8
	buffer_load_dword v57, v49, s[0:3], 0 offen offset:12
	buffer_load_dword v58, v49, s[0:3], 0 offen
	buffer_load_dword v59, v49, s[0:3], 0 offen offset:4
	ds_read_b128 v[52:55], v48
	v_add_nc_u32_e32 v50, 1, v50
	v_add_nc_u32_e32 v48, 16, v48
	;; [unrolled: 1-line block ×3, first 2 shown]
	v_cmp_lt_u32_e32 vcc_lo, 9, v50
	s_or_b32 s8, vcc_lo, s8
	s_waitcnt vmcnt(2) lgkmcnt(0)
	v_mul_f64 v[60:61], v[54:55], v[56:57]
	v_mul_f64 v[56:57], v[52:53], v[56:57]
	s_waitcnt vmcnt(0)
	v_fma_f64 v[52:53], v[52:53], v[58:59], -v[60:61]
	v_fma_f64 v[54:55], v[54:55], v[58:59], v[56:57]
	v_add_f64 v[1:2], v[1:2], v[52:53]
	v_add_f64 v[3:4], v[3:4], v[54:55]
	s_andn2_b32 exec_lo, exec_lo, s8
	s_cbranch_execnz .LBB83_236
; %bb.237:
	s_or_b32 exec_lo, exec_lo, s8
.LBB83_238:
	s_or_b32 exec_lo, exec_lo, s6
	v_mov_b32_e32 v48, 0
	ds_read_b128 v[52:55], v48 offset:176
	s_waitcnt lgkmcnt(0)
	v_mul_f64 v[48:49], v[3:4], v[54:55]
	v_mul_f64 v[54:55], v[1:2], v[54:55]
	v_fma_f64 v[1:2], v[1:2], v[52:53], -v[48:49]
	v_fma_f64 v[3:4], v[3:4], v[52:53], v[54:55]
	buffer_store_dword v2, off, s[0:3], 0 offset:180
	buffer_store_dword v1, off, s[0:3], 0 offset:176
	;; [unrolled: 1-line block ×4, first 2 shown]
.LBB83_239:
	s_or_b32 exec_lo, exec_lo, s4
	v_mov_b32_e32 v4, s15
	s_mov_b32 s4, exec_lo
	s_clause 0x3
	buffer_load_dword v1, v4, s[0:3], 0 offen
	buffer_load_dword v2, v4, s[0:3], 0 offen offset:4
	buffer_load_dword v3, v4, s[0:3], 0 offen offset:8
	buffer_load_dword v4, v4, s[0:3], 0 offen offset:12
	s_waitcnt vmcnt(0)
	ds_write_b128 v46, v[1:4]
	s_waitcnt lgkmcnt(0)
	s_waitcnt_vscnt null, 0x0
	s_barrier
	buffer_gl0_inv
	v_cmpx_gt_u32_e32 12, v0
	s_cbranch_execz .LBB83_247
; %bb.240:
	ds_read_b128 v[1:4], v46
	v_cmp_ne_u32_e32 vcc_lo, 1, v47
	s_cbranch_vccnz .LBB83_242
; %bb.241:
	s_clause 0x3
	buffer_load_dword v48, v45, s[0:3], 0 offen offset:8
	buffer_load_dword v49, v45, s[0:3], 0 offen offset:12
	buffer_load_dword v52, v45, s[0:3], 0 offen
	buffer_load_dword v53, v45, s[0:3], 0 offen offset:4
	s_waitcnt vmcnt(2) lgkmcnt(0)
	v_mul_f64 v[54:55], v[3:4], v[48:49]
	v_mul_f64 v[48:49], v[1:2], v[48:49]
	s_waitcnt vmcnt(0)
	v_fma_f64 v[1:2], v[1:2], v[52:53], -v[54:55]
	v_fma_f64 v[3:4], v[3:4], v[52:53], v[48:49]
.LBB83_242:
	s_mov_b32 s6, exec_lo
	v_cmpx_ne_u32_e32 11, v0
	s_cbranch_execz .LBB83_246
; %bb.243:
	v_add_nc_u32_e32 v48, 0x150, v51
	v_add3_u32 v49, 0, v51, 16
	v_mov_b32_e32 v50, v0
	s_mov_b32 s8, 0
	.p2align	6
.LBB83_244:                             ; =>This Inner Loop Header: Depth=1
	s_clause 0x3
	buffer_load_dword v56, v49, s[0:3], 0 offen offset:8
	buffer_load_dword v57, v49, s[0:3], 0 offen offset:12
	buffer_load_dword v58, v49, s[0:3], 0 offen
	buffer_load_dword v59, v49, s[0:3], 0 offen offset:4
	ds_read_b128 v[52:55], v48
	v_add_nc_u32_e32 v50, 1, v50
	v_add_nc_u32_e32 v48, 16, v48
	;; [unrolled: 1-line block ×3, first 2 shown]
	v_cmp_lt_u32_e32 vcc_lo, 10, v50
	s_or_b32 s8, vcc_lo, s8
	s_waitcnt vmcnt(2) lgkmcnt(0)
	v_mul_f64 v[60:61], v[54:55], v[56:57]
	v_mul_f64 v[56:57], v[52:53], v[56:57]
	s_waitcnt vmcnt(0)
	v_fma_f64 v[52:53], v[52:53], v[58:59], -v[60:61]
	v_fma_f64 v[54:55], v[54:55], v[58:59], v[56:57]
	v_add_f64 v[1:2], v[1:2], v[52:53]
	v_add_f64 v[3:4], v[3:4], v[54:55]
	s_andn2_b32 exec_lo, exec_lo, s8
	s_cbranch_execnz .LBB83_244
; %bb.245:
	s_or_b32 exec_lo, exec_lo, s8
.LBB83_246:
	s_or_b32 exec_lo, exec_lo, s6
	v_mov_b32_e32 v48, 0
	ds_read_b128 v[52:55], v48 offset:192
	s_waitcnt lgkmcnt(0)
	v_mul_f64 v[48:49], v[3:4], v[54:55]
	v_mul_f64 v[54:55], v[1:2], v[54:55]
	v_fma_f64 v[1:2], v[1:2], v[52:53], -v[48:49]
	v_fma_f64 v[3:4], v[3:4], v[52:53], v[54:55]
	buffer_store_dword v2, off, s[0:3], 0 offset:196
	buffer_store_dword v1, off, s[0:3], 0 offset:192
	;; [unrolled: 1-line block ×4, first 2 shown]
.LBB83_247:
	s_or_b32 exec_lo, exec_lo, s4
	v_mov_b32_e32 v4, s14
	s_mov_b32 s4, exec_lo
	s_clause 0x3
	buffer_load_dword v1, v4, s[0:3], 0 offen
	buffer_load_dword v2, v4, s[0:3], 0 offen offset:4
	buffer_load_dword v3, v4, s[0:3], 0 offen offset:8
	;; [unrolled: 1-line block ×3, first 2 shown]
	s_waitcnt vmcnt(0)
	ds_write_b128 v46, v[1:4]
	s_waitcnt lgkmcnt(0)
	s_waitcnt_vscnt null, 0x0
	s_barrier
	buffer_gl0_inv
	v_cmpx_gt_u32_e32 13, v0
	s_cbranch_execz .LBB83_255
; %bb.248:
	ds_read_b128 v[1:4], v46
	v_cmp_ne_u32_e32 vcc_lo, 1, v47
	s_cbranch_vccnz .LBB83_250
; %bb.249:
	s_clause 0x3
	buffer_load_dword v48, v45, s[0:3], 0 offen offset:8
	buffer_load_dword v49, v45, s[0:3], 0 offen offset:12
	buffer_load_dword v52, v45, s[0:3], 0 offen
	buffer_load_dword v53, v45, s[0:3], 0 offen offset:4
	s_waitcnt vmcnt(2) lgkmcnt(0)
	v_mul_f64 v[54:55], v[3:4], v[48:49]
	v_mul_f64 v[48:49], v[1:2], v[48:49]
	s_waitcnt vmcnt(0)
	v_fma_f64 v[1:2], v[1:2], v[52:53], -v[54:55]
	v_fma_f64 v[3:4], v[3:4], v[52:53], v[48:49]
.LBB83_250:
	s_mov_b32 s6, exec_lo
	v_cmpx_ne_u32_e32 12, v0
	s_cbranch_execz .LBB83_254
; %bb.251:
	v_add_nc_u32_e32 v48, 0x150, v51
	v_add3_u32 v49, 0, v51, 16
	v_mov_b32_e32 v50, v0
	s_mov_b32 s8, 0
	.p2align	6
.LBB83_252:                             ; =>This Inner Loop Header: Depth=1
	s_clause 0x3
	buffer_load_dword v56, v49, s[0:3], 0 offen offset:8
	buffer_load_dword v57, v49, s[0:3], 0 offen offset:12
	buffer_load_dword v58, v49, s[0:3], 0 offen
	buffer_load_dword v59, v49, s[0:3], 0 offen offset:4
	ds_read_b128 v[52:55], v48
	v_add_nc_u32_e32 v50, 1, v50
	v_add_nc_u32_e32 v48, 16, v48
	;; [unrolled: 1-line block ×3, first 2 shown]
	v_cmp_lt_u32_e32 vcc_lo, 11, v50
	s_or_b32 s8, vcc_lo, s8
	s_waitcnt vmcnt(2) lgkmcnt(0)
	v_mul_f64 v[60:61], v[54:55], v[56:57]
	v_mul_f64 v[56:57], v[52:53], v[56:57]
	s_waitcnt vmcnt(0)
	v_fma_f64 v[52:53], v[52:53], v[58:59], -v[60:61]
	v_fma_f64 v[54:55], v[54:55], v[58:59], v[56:57]
	v_add_f64 v[1:2], v[1:2], v[52:53]
	v_add_f64 v[3:4], v[3:4], v[54:55]
	s_andn2_b32 exec_lo, exec_lo, s8
	s_cbranch_execnz .LBB83_252
; %bb.253:
	s_or_b32 exec_lo, exec_lo, s8
.LBB83_254:
	s_or_b32 exec_lo, exec_lo, s6
	v_mov_b32_e32 v48, 0
	ds_read_b128 v[52:55], v48 offset:208
	s_waitcnt lgkmcnt(0)
	v_mul_f64 v[48:49], v[3:4], v[54:55]
	v_mul_f64 v[54:55], v[1:2], v[54:55]
	v_fma_f64 v[1:2], v[1:2], v[52:53], -v[48:49]
	v_fma_f64 v[3:4], v[3:4], v[52:53], v[54:55]
	buffer_store_dword v2, off, s[0:3], 0 offset:212
	buffer_store_dword v1, off, s[0:3], 0 offset:208
	;; [unrolled: 1-line block ×4, first 2 shown]
.LBB83_255:
	s_or_b32 exec_lo, exec_lo, s4
	v_mov_b32_e32 v4, s13
	s_mov_b32 s4, exec_lo
	s_clause 0x3
	buffer_load_dword v1, v4, s[0:3], 0 offen
	buffer_load_dword v2, v4, s[0:3], 0 offen offset:4
	buffer_load_dword v3, v4, s[0:3], 0 offen offset:8
	;; [unrolled: 1-line block ×3, first 2 shown]
	s_waitcnt vmcnt(0)
	ds_write_b128 v46, v[1:4]
	s_waitcnt lgkmcnt(0)
	s_waitcnt_vscnt null, 0x0
	s_barrier
	buffer_gl0_inv
	v_cmpx_gt_u32_e32 14, v0
	s_cbranch_execz .LBB83_263
; %bb.256:
	ds_read_b128 v[1:4], v46
	v_cmp_ne_u32_e32 vcc_lo, 1, v47
	s_cbranch_vccnz .LBB83_258
; %bb.257:
	s_clause 0x3
	buffer_load_dword v48, v45, s[0:3], 0 offen offset:8
	buffer_load_dword v49, v45, s[0:3], 0 offen offset:12
	buffer_load_dword v52, v45, s[0:3], 0 offen
	buffer_load_dword v53, v45, s[0:3], 0 offen offset:4
	s_waitcnt vmcnt(2) lgkmcnt(0)
	v_mul_f64 v[54:55], v[3:4], v[48:49]
	v_mul_f64 v[48:49], v[1:2], v[48:49]
	s_waitcnt vmcnt(0)
	v_fma_f64 v[1:2], v[1:2], v[52:53], -v[54:55]
	v_fma_f64 v[3:4], v[3:4], v[52:53], v[48:49]
.LBB83_258:
	s_mov_b32 s6, exec_lo
	v_cmpx_ne_u32_e32 13, v0
	s_cbranch_execz .LBB83_262
; %bb.259:
	v_add_nc_u32_e32 v48, 0x150, v51
	v_add3_u32 v49, 0, v51, 16
	v_mov_b32_e32 v50, v0
	s_mov_b32 s8, 0
	.p2align	6
.LBB83_260:                             ; =>This Inner Loop Header: Depth=1
	s_clause 0x3
	buffer_load_dword v56, v49, s[0:3], 0 offen offset:8
	buffer_load_dword v57, v49, s[0:3], 0 offen offset:12
	buffer_load_dword v58, v49, s[0:3], 0 offen
	buffer_load_dword v59, v49, s[0:3], 0 offen offset:4
	ds_read_b128 v[52:55], v48
	v_add_nc_u32_e32 v50, 1, v50
	v_add_nc_u32_e32 v48, 16, v48
	v_add_nc_u32_e32 v49, 16, v49
	v_cmp_lt_u32_e32 vcc_lo, 12, v50
	s_or_b32 s8, vcc_lo, s8
	s_waitcnt vmcnt(2) lgkmcnt(0)
	v_mul_f64 v[60:61], v[54:55], v[56:57]
	v_mul_f64 v[56:57], v[52:53], v[56:57]
	s_waitcnt vmcnt(0)
	v_fma_f64 v[52:53], v[52:53], v[58:59], -v[60:61]
	v_fma_f64 v[54:55], v[54:55], v[58:59], v[56:57]
	v_add_f64 v[1:2], v[1:2], v[52:53]
	v_add_f64 v[3:4], v[3:4], v[54:55]
	s_andn2_b32 exec_lo, exec_lo, s8
	s_cbranch_execnz .LBB83_260
; %bb.261:
	s_or_b32 exec_lo, exec_lo, s8
.LBB83_262:
	s_or_b32 exec_lo, exec_lo, s6
	v_mov_b32_e32 v48, 0
	ds_read_b128 v[52:55], v48 offset:224
	s_waitcnt lgkmcnt(0)
	v_mul_f64 v[48:49], v[3:4], v[54:55]
	v_mul_f64 v[54:55], v[1:2], v[54:55]
	v_fma_f64 v[1:2], v[1:2], v[52:53], -v[48:49]
	v_fma_f64 v[3:4], v[3:4], v[52:53], v[54:55]
	buffer_store_dword v2, off, s[0:3], 0 offset:228
	buffer_store_dword v1, off, s[0:3], 0 offset:224
	;; [unrolled: 1-line block ×4, first 2 shown]
.LBB83_263:
	s_or_b32 exec_lo, exec_lo, s4
	v_mov_b32_e32 v4, s12
	s_mov_b32 s4, exec_lo
	s_clause 0x3
	buffer_load_dword v1, v4, s[0:3], 0 offen
	buffer_load_dword v2, v4, s[0:3], 0 offen offset:4
	buffer_load_dword v3, v4, s[0:3], 0 offen offset:8
	;; [unrolled: 1-line block ×3, first 2 shown]
	s_waitcnt vmcnt(0)
	ds_write_b128 v46, v[1:4]
	s_waitcnt lgkmcnt(0)
	s_waitcnt_vscnt null, 0x0
	s_barrier
	buffer_gl0_inv
	v_cmpx_gt_u32_e32 15, v0
	s_cbranch_execz .LBB83_271
; %bb.264:
	ds_read_b128 v[1:4], v46
	v_cmp_ne_u32_e32 vcc_lo, 1, v47
	s_cbranch_vccnz .LBB83_266
; %bb.265:
	s_clause 0x3
	buffer_load_dword v48, v45, s[0:3], 0 offen offset:8
	buffer_load_dword v49, v45, s[0:3], 0 offen offset:12
	buffer_load_dword v52, v45, s[0:3], 0 offen
	buffer_load_dword v53, v45, s[0:3], 0 offen offset:4
	s_waitcnt vmcnt(2) lgkmcnt(0)
	v_mul_f64 v[54:55], v[3:4], v[48:49]
	v_mul_f64 v[48:49], v[1:2], v[48:49]
	s_waitcnt vmcnt(0)
	v_fma_f64 v[1:2], v[1:2], v[52:53], -v[54:55]
	v_fma_f64 v[3:4], v[3:4], v[52:53], v[48:49]
.LBB83_266:
	s_mov_b32 s6, exec_lo
	v_cmpx_ne_u32_e32 14, v0
	s_cbranch_execz .LBB83_270
; %bb.267:
	v_add_nc_u32_e32 v48, 0x150, v51
	v_add3_u32 v49, 0, v51, 16
	v_mov_b32_e32 v50, v0
	s_mov_b32 s8, 0
	.p2align	6
.LBB83_268:                             ; =>This Inner Loop Header: Depth=1
	s_clause 0x3
	buffer_load_dword v56, v49, s[0:3], 0 offen offset:8
	buffer_load_dword v57, v49, s[0:3], 0 offen offset:12
	buffer_load_dword v58, v49, s[0:3], 0 offen
	buffer_load_dword v59, v49, s[0:3], 0 offen offset:4
	ds_read_b128 v[52:55], v48
	v_add_nc_u32_e32 v50, 1, v50
	v_add_nc_u32_e32 v48, 16, v48
	;; [unrolled: 1-line block ×3, first 2 shown]
	v_cmp_lt_u32_e32 vcc_lo, 13, v50
	s_or_b32 s8, vcc_lo, s8
	s_waitcnt vmcnt(2) lgkmcnt(0)
	v_mul_f64 v[60:61], v[54:55], v[56:57]
	v_mul_f64 v[56:57], v[52:53], v[56:57]
	s_waitcnt vmcnt(0)
	v_fma_f64 v[52:53], v[52:53], v[58:59], -v[60:61]
	v_fma_f64 v[54:55], v[54:55], v[58:59], v[56:57]
	v_add_f64 v[1:2], v[1:2], v[52:53]
	v_add_f64 v[3:4], v[3:4], v[54:55]
	s_andn2_b32 exec_lo, exec_lo, s8
	s_cbranch_execnz .LBB83_268
; %bb.269:
	s_or_b32 exec_lo, exec_lo, s8
.LBB83_270:
	s_or_b32 exec_lo, exec_lo, s6
	v_mov_b32_e32 v48, 0
	ds_read_b128 v[52:55], v48 offset:240
	s_waitcnt lgkmcnt(0)
	v_mul_f64 v[48:49], v[3:4], v[54:55]
	v_mul_f64 v[54:55], v[1:2], v[54:55]
	v_fma_f64 v[1:2], v[1:2], v[52:53], -v[48:49]
	v_fma_f64 v[3:4], v[3:4], v[52:53], v[54:55]
	buffer_store_dword v2, off, s[0:3], 0 offset:244
	buffer_store_dword v1, off, s[0:3], 0 offset:240
	;; [unrolled: 1-line block ×4, first 2 shown]
.LBB83_271:
	s_or_b32 exec_lo, exec_lo, s4
	v_mov_b32_e32 v4, s11
	s_mov_b32 s4, exec_lo
	s_clause 0x3
	buffer_load_dword v1, v4, s[0:3], 0 offen
	buffer_load_dword v2, v4, s[0:3], 0 offen offset:4
	buffer_load_dword v3, v4, s[0:3], 0 offen offset:8
	;; [unrolled: 1-line block ×3, first 2 shown]
	s_waitcnt vmcnt(0)
	ds_write_b128 v46, v[1:4]
	s_waitcnt lgkmcnt(0)
	s_waitcnt_vscnt null, 0x0
	s_barrier
	buffer_gl0_inv
	v_cmpx_gt_u32_e32 16, v0
	s_cbranch_execz .LBB83_279
; %bb.272:
	ds_read_b128 v[1:4], v46
	v_cmp_ne_u32_e32 vcc_lo, 1, v47
	s_cbranch_vccnz .LBB83_274
; %bb.273:
	s_clause 0x3
	buffer_load_dword v48, v45, s[0:3], 0 offen offset:8
	buffer_load_dword v49, v45, s[0:3], 0 offen offset:12
	buffer_load_dword v52, v45, s[0:3], 0 offen
	buffer_load_dword v53, v45, s[0:3], 0 offen offset:4
	s_waitcnt vmcnt(2) lgkmcnt(0)
	v_mul_f64 v[54:55], v[3:4], v[48:49]
	v_mul_f64 v[48:49], v[1:2], v[48:49]
	s_waitcnt vmcnt(0)
	v_fma_f64 v[1:2], v[1:2], v[52:53], -v[54:55]
	v_fma_f64 v[3:4], v[3:4], v[52:53], v[48:49]
.LBB83_274:
	s_mov_b32 s6, exec_lo
	v_cmpx_ne_u32_e32 15, v0
	s_cbranch_execz .LBB83_278
; %bb.275:
	v_add_nc_u32_e32 v48, 0x150, v51
	v_add3_u32 v49, 0, v51, 16
	v_mov_b32_e32 v50, v0
	s_mov_b32 s8, 0
	.p2align	6
.LBB83_276:                             ; =>This Inner Loop Header: Depth=1
	s_clause 0x3
	buffer_load_dword v56, v49, s[0:3], 0 offen offset:8
	buffer_load_dword v57, v49, s[0:3], 0 offen offset:12
	buffer_load_dword v58, v49, s[0:3], 0 offen
	buffer_load_dword v59, v49, s[0:3], 0 offen offset:4
	ds_read_b128 v[52:55], v48
	v_add_nc_u32_e32 v50, 1, v50
	v_add_nc_u32_e32 v48, 16, v48
	;; [unrolled: 1-line block ×3, first 2 shown]
	v_cmp_lt_u32_e32 vcc_lo, 14, v50
	s_or_b32 s8, vcc_lo, s8
	s_waitcnt vmcnt(2) lgkmcnt(0)
	v_mul_f64 v[60:61], v[54:55], v[56:57]
	v_mul_f64 v[56:57], v[52:53], v[56:57]
	s_waitcnt vmcnt(0)
	v_fma_f64 v[52:53], v[52:53], v[58:59], -v[60:61]
	v_fma_f64 v[54:55], v[54:55], v[58:59], v[56:57]
	v_add_f64 v[1:2], v[1:2], v[52:53]
	v_add_f64 v[3:4], v[3:4], v[54:55]
	s_andn2_b32 exec_lo, exec_lo, s8
	s_cbranch_execnz .LBB83_276
; %bb.277:
	s_or_b32 exec_lo, exec_lo, s8
.LBB83_278:
	s_or_b32 exec_lo, exec_lo, s6
	v_mov_b32_e32 v48, 0
	ds_read_b128 v[52:55], v48 offset:256
	s_waitcnt lgkmcnt(0)
	v_mul_f64 v[48:49], v[3:4], v[54:55]
	v_mul_f64 v[54:55], v[1:2], v[54:55]
	v_fma_f64 v[1:2], v[1:2], v[52:53], -v[48:49]
	v_fma_f64 v[3:4], v[3:4], v[52:53], v[54:55]
	buffer_store_dword v2, off, s[0:3], 0 offset:260
	buffer_store_dword v1, off, s[0:3], 0 offset:256
	;; [unrolled: 1-line block ×4, first 2 shown]
.LBB83_279:
	s_or_b32 exec_lo, exec_lo, s4
	v_mov_b32_e32 v4, s10
	s_mov_b32 s4, exec_lo
	s_clause 0x3
	buffer_load_dword v1, v4, s[0:3], 0 offen
	buffer_load_dword v2, v4, s[0:3], 0 offen offset:4
	buffer_load_dword v3, v4, s[0:3], 0 offen offset:8
	;; [unrolled: 1-line block ×3, first 2 shown]
	s_waitcnt vmcnt(0)
	ds_write_b128 v46, v[1:4]
	s_waitcnt lgkmcnt(0)
	s_waitcnt_vscnt null, 0x0
	s_barrier
	buffer_gl0_inv
	v_cmpx_gt_u32_e32 17, v0
	s_cbranch_execz .LBB83_287
; %bb.280:
	ds_read_b128 v[1:4], v46
	v_cmp_ne_u32_e32 vcc_lo, 1, v47
	s_cbranch_vccnz .LBB83_282
; %bb.281:
	s_clause 0x3
	buffer_load_dword v48, v45, s[0:3], 0 offen offset:8
	buffer_load_dword v49, v45, s[0:3], 0 offen offset:12
	buffer_load_dword v52, v45, s[0:3], 0 offen
	buffer_load_dword v53, v45, s[0:3], 0 offen offset:4
	s_waitcnt vmcnt(2) lgkmcnt(0)
	v_mul_f64 v[54:55], v[3:4], v[48:49]
	v_mul_f64 v[48:49], v[1:2], v[48:49]
	s_waitcnt vmcnt(0)
	v_fma_f64 v[1:2], v[1:2], v[52:53], -v[54:55]
	v_fma_f64 v[3:4], v[3:4], v[52:53], v[48:49]
.LBB83_282:
	s_mov_b32 s6, exec_lo
	v_cmpx_ne_u32_e32 16, v0
	s_cbranch_execz .LBB83_286
; %bb.283:
	v_add_nc_u32_e32 v48, 0x150, v51
	v_add3_u32 v49, 0, v51, 16
	v_mov_b32_e32 v50, v0
	s_mov_b32 s8, 0
	.p2align	6
.LBB83_284:                             ; =>This Inner Loop Header: Depth=1
	s_clause 0x3
	buffer_load_dword v56, v49, s[0:3], 0 offen offset:8
	buffer_load_dword v57, v49, s[0:3], 0 offen offset:12
	buffer_load_dword v58, v49, s[0:3], 0 offen
	buffer_load_dword v59, v49, s[0:3], 0 offen offset:4
	ds_read_b128 v[52:55], v48
	v_add_nc_u32_e32 v50, 1, v50
	v_add_nc_u32_e32 v48, 16, v48
	;; [unrolled: 1-line block ×3, first 2 shown]
	v_cmp_lt_u32_e32 vcc_lo, 15, v50
	s_or_b32 s8, vcc_lo, s8
	s_waitcnt vmcnt(2) lgkmcnt(0)
	v_mul_f64 v[60:61], v[54:55], v[56:57]
	v_mul_f64 v[56:57], v[52:53], v[56:57]
	s_waitcnt vmcnt(0)
	v_fma_f64 v[52:53], v[52:53], v[58:59], -v[60:61]
	v_fma_f64 v[54:55], v[54:55], v[58:59], v[56:57]
	v_add_f64 v[1:2], v[1:2], v[52:53]
	v_add_f64 v[3:4], v[3:4], v[54:55]
	s_andn2_b32 exec_lo, exec_lo, s8
	s_cbranch_execnz .LBB83_284
; %bb.285:
	s_or_b32 exec_lo, exec_lo, s8
.LBB83_286:
	s_or_b32 exec_lo, exec_lo, s6
	v_mov_b32_e32 v48, 0
	ds_read_b128 v[52:55], v48 offset:272
	s_waitcnt lgkmcnt(0)
	v_mul_f64 v[48:49], v[3:4], v[54:55]
	v_mul_f64 v[54:55], v[1:2], v[54:55]
	v_fma_f64 v[1:2], v[1:2], v[52:53], -v[48:49]
	v_fma_f64 v[3:4], v[3:4], v[52:53], v[54:55]
	buffer_store_dword v2, off, s[0:3], 0 offset:276
	buffer_store_dword v1, off, s[0:3], 0 offset:272
	;; [unrolled: 1-line block ×4, first 2 shown]
.LBB83_287:
	s_or_b32 exec_lo, exec_lo, s4
	v_mov_b32_e32 v4, s9
	v_cmp_gt_u32_e64 s4, 18, v0
	s_clause 0x3
	buffer_load_dword v1, v4, s[0:3], 0 offen
	buffer_load_dword v2, v4, s[0:3], 0 offen offset:4
	buffer_load_dword v3, v4, s[0:3], 0 offen offset:8
	buffer_load_dword v4, v4, s[0:3], 0 offen offset:12
	s_waitcnt vmcnt(0)
	ds_write_b128 v46, v[1:4]
	s_waitcnt lgkmcnt(0)
	s_waitcnt_vscnt null, 0x0
	s_barrier
	buffer_gl0_inv
	s_and_saveexec_b32 s6, s4
	s_cbranch_execz .LBB83_295
; %bb.288:
	ds_read_b128 v[1:4], v46
	v_cmp_ne_u32_e32 vcc_lo, 1, v47
	s_cbranch_vccnz .LBB83_290
; %bb.289:
	s_clause 0x3
	buffer_load_dword v48, v45, s[0:3], 0 offen offset:8
	buffer_load_dword v49, v45, s[0:3], 0 offen offset:12
	buffer_load_dword v52, v45, s[0:3], 0 offen
	buffer_load_dword v53, v45, s[0:3], 0 offen offset:4
	s_waitcnt vmcnt(2) lgkmcnt(0)
	v_mul_f64 v[54:55], v[3:4], v[48:49]
	v_mul_f64 v[48:49], v[1:2], v[48:49]
	s_waitcnt vmcnt(0)
	v_fma_f64 v[1:2], v[1:2], v[52:53], -v[54:55]
	v_fma_f64 v[3:4], v[3:4], v[52:53], v[48:49]
.LBB83_290:
	s_mov_b32 s8, exec_lo
	v_cmpx_ne_u32_e32 17, v0
	s_cbranch_execz .LBB83_294
; %bb.291:
	v_add_nc_u32_e32 v48, 0x150, v51
	v_add3_u32 v49, 0, v51, 16
	v_mov_b32_e32 v50, v0
	s_mov_b32 s27, 0
	.p2align	6
.LBB83_292:                             ; =>This Inner Loop Header: Depth=1
	s_clause 0x3
	buffer_load_dword v56, v49, s[0:3], 0 offen offset:8
	buffer_load_dword v57, v49, s[0:3], 0 offen offset:12
	buffer_load_dword v58, v49, s[0:3], 0 offen
	buffer_load_dword v59, v49, s[0:3], 0 offen offset:4
	ds_read_b128 v[52:55], v48
	v_add_nc_u32_e32 v50, 1, v50
	v_add_nc_u32_e32 v48, 16, v48
	;; [unrolled: 1-line block ×3, first 2 shown]
	v_cmp_lt_u32_e32 vcc_lo, 16, v50
	s_or_b32 s27, vcc_lo, s27
	s_waitcnt vmcnt(2) lgkmcnt(0)
	v_mul_f64 v[60:61], v[54:55], v[56:57]
	v_mul_f64 v[56:57], v[52:53], v[56:57]
	s_waitcnt vmcnt(0)
	v_fma_f64 v[52:53], v[52:53], v[58:59], -v[60:61]
	v_fma_f64 v[54:55], v[54:55], v[58:59], v[56:57]
	v_add_f64 v[1:2], v[1:2], v[52:53]
	v_add_f64 v[3:4], v[3:4], v[54:55]
	s_andn2_b32 exec_lo, exec_lo, s27
	s_cbranch_execnz .LBB83_292
; %bb.293:
	s_or_b32 exec_lo, exec_lo, s27
.LBB83_294:
	s_or_b32 exec_lo, exec_lo, s8
	v_mov_b32_e32 v48, 0
	ds_read_b128 v[52:55], v48 offset:288
	s_waitcnt lgkmcnt(0)
	v_mul_f64 v[48:49], v[3:4], v[54:55]
	v_mul_f64 v[54:55], v[1:2], v[54:55]
	v_fma_f64 v[1:2], v[1:2], v[52:53], -v[48:49]
	v_fma_f64 v[3:4], v[3:4], v[52:53], v[54:55]
	buffer_store_dword v2, off, s[0:3], 0 offset:292
	buffer_store_dword v1, off, s[0:3], 0 offset:288
	;; [unrolled: 1-line block ×4, first 2 shown]
.LBB83_295:
	s_or_b32 exec_lo, exec_lo, s6
	v_mov_b32_e32 v4, s7
	s_mov_b32 s6, exec_lo
                                        ; implicit-def: $sgpr28
	s_clause 0x3
	buffer_load_dword v1, v4, s[0:3], 0 offen
	buffer_load_dword v2, v4, s[0:3], 0 offen offset:4
	buffer_load_dword v3, v4, s[0:3], 0 offen offset:8
	;; [unrolled: 1-line block ×3, first 2 shown]
	s_waitcnt vmcnt(0)
	ds_write_b128 v46, v[1:4]
	s_waitcnt lgkmcnt(0)
	s_waitcnt_vscnt null, 0x0
	s_barrier
	buffer_gl0_inv
                                        ; implicit-def: $vgpr1_vgpr2
	v_cmpx_ne_u32_e32 19, v0
	s_cbranch_execz .LBB83_303
; %bb.296:
	ds_read_b128 v[1:4], v46
	v_cmp_ne_u32_e32 vcc_lo, 1, v47
	s_cbranch_vccnz .LBB83_298
; %bb.297:
	s_clause 0x3
	buffer_load_dword v46, v45, s[0:3], 0 offen offset:8
	buffer_load_dword v47, v45, s[0:3], 0 offen offset:12
	buffer_load_dword v48, v45, s[0:3], 0 offen
	buffer_load_dword v49, v45, s[0:3], 0 offen offset:4
	s_waitcnt vmcnt(2) lgkmcnt(0)
	v_mul_f64 v[52:53], v[3:4], v[46:47]
	v_mul_f64 v[45:46], v[1:2], v[46:47]
	s_waitcnt vmcnt(0)
	v_fma_f64 v[1:2], v[1:2], v[48:49], -v[52:53]
	v_fma_f64 v[3:4], v[3:4], v[48:49], v[45:46]
.LBB83_298:
	s_and_saveexec_b32 s8, s4
	s_cbranch_execz .LBB83_302
; %bb.299:
	v_add_nc_u32_e32 v45, 0x150, v51
	v_add3_u32 v46, 0, v51, 16
	s_mov_b32 s4, 0
	.p2align	6
.LBB83_300:                             ; =>This Inner Loop Header: Depth=1
	s_clause 0x3
	buffer_load_dword v51, v46, s[0:3], 0 offen offset:8
	buffer_load_dword v52, v46, s[0:3], 0 offen offset:12
	buffer_load_dword v53, v46, s[0:3], 0 offen
	buffer_load_dword v54, v46, s[0:3], 0 offen offset:4
	ds_read_b128 v[47:50], v45
	v_add_nc_u32_e32 v0, 1, v0
	v_add_nc_u32_e32 v45, 16, v45
	;; [unrolled: 1-line block ×3, first 2 shown]
	v_cmp_lt_u32_e32 vcc_lo, 17, v0
	s_or_b32 s4, vcc_lo, s4
	s_waitcnt vmcnt(2) lgkmcnt(0)
	v_mul_f64 v[55:56], v[49:50], v[51:52]
	v_mul_f64 v[51:52], v[47:48], v[51:52]
	s_waitcnt vmcnt(0)
	v_fma_f64 v[47:48], v[47:48], v[53:54], -v[55:56]
	v_fma_f64 v[49:50], v[49:50], v[53:54], v[51:52]
	v_add_f64 v[1:2], v[1:2], v[47:48]
	v_add_f64 v[3:4], v[3:4], v[49:50]
	s_andn2_b32 exec_lo, exec_lo, s4
	s_cbranch_execnz .LBB83_300
; %bb.301:
	s_or_b32 exec_lo, exec_lo, s4
.LBB83_302:
	s_or_b32 exec_lo, exec_lo, s8
	v_mov_b32_e32 v0, 0
	s_movk_i32 s28, 0x138
	s_or_b32 s5, s5, exec_lo
	ds_read_b128 v[45:48], v0 offset:304
	s_waitcnt lgkmcnt(0)
	v_mul_f64 v[49:50], v[3:4], v[47:48]
	v_mul_f64 v[47:48], v[1:2], v[47:48]
	v_fma_f64 v[49:50], v[1:2], v[45:46], -v[49:50]
	v_fma_f64 v[1:2], v[3:4], v[45:46], v[47:48]
	buffer_store_dword v50, off, s[0:3], 0 offset:308
	buffer_store_dword v49, off, s[0:3], 0 offset:304
.LBB83_303:
	s_or_b32 exec_lo, exec_lo, s6
.LBB83_304:
	s_and_saveexec_b32 s4, s5
	s_cbranch_execz .LBB83_306
; %bb.305:
	v_mov_b32_e32 v0, s28
	buffer_store_dword v2, v0, s[0:3], 0 offen offset:4
	buffer_store_dword v1, v0, s[0:3], 0 offen
.LBB83_306:
	s_or_b32 exec_lo, exec_lo, s4
	s_clause 0x3
	buffer_load_dword v0, off, s[0:3], 0
	buffer_load_dword v1, off, s[0:3], 0 offset:4
	buffer_load_dword v2, off, s[0:3], 0 offset:8
	buffer_load_dword v3, off, s[0:3], 0 offset:12
	v_mov_b32_e32 v4, s26
	s_waitcnt vmcnt(0)
	flat_store_dwordx4 v[5:6], v[0:3]
	s_clause 0x3
	buffer_load_dword v0, v4, s[0:3], 0 offen
	buffer_load_dword v1, v4, s[0:3], 0 offen offset:4
	buffer_load_dword v2, v4, s[0:3], 0 offen offset:8
	buffer_load_dword v3, v4, s[0:3], 0 offen offset:12
	v_mov_b32_e32 v4, s25
	s_waitcnt vmcnt(0)
	flat_store_dwordx4 v[7:8], v[0:3]
	s_clause 0x3
	buffer_load_dword v0, v4, s[0:3], 0 offen
	buffer_load_dword v1, v4, s[0:3], 0 offen offset:4
	buffer_load_dword v2, v4, s[0:3], 0 offen offset:8
	buffer_load_dword v3, v4, s[0:3], 0 offen offset:12
	;; [unrolled: 8-line block ×19, first 2 shown]
	s_waitcnt vmcnt(0)
	flat_store_dwordx4 v[43:44], v[0:3]
.LBB83_307:
	s_endpgm
	.section	.rodata,"a",@progbits
	.p2align	6, 0x0
	.amdhsa_kernel _ZN9rocsolver6v33100L18trti2_kernel_smallILi20E19rocblas_complex_numIdEPKPS3_EEv13rocblas_fill_17rocblas_diagonal_T1_iil
		.amdhsa_group_segment_fixed_size 640
		.amdhsa_private_segment_fixed_size 336
		.amdhsa_kernarg_size 32
		.amdhsa_user_sgpr_count 6
		.amdhsa_user_sgpr_private_segment_buffer 1
		.amdhsa_user_sgpr_dispatch_ptr 0
		.amdhsa_user_sgpr_queue_ptr 0
		.amdhsa_user_sgpr_kernarg_segment_ptr 1
		.amdhsa_user_sgpr_dispatch_id 0
		.amdhsa_user_sgpr_flat_scratch_init 0
		.amdhsa_user_sgpr_private_segment_size 0
		.amdhsa_wavefront_size32 1
		.amdhsa_uses_dynamic_stack 0
		.amdhsa_system_sgpr_private_segment_wavefront_offset 1
		.amdhsa_system_sgpr_workgroup_id_x 1
		.amdhsa_system_sgpr_workgroup_id_y 0
		.amdhsa_system_sgpr_workgroup_id_z 0
		.amdhsa_system_sgpr_workgroup_info 0
		.amdhsa_system_vgpr_workitem_id 0
		.amdhsa_next_free_vgpr 62
		.amdhsa_next_free_sgpr 35
		.amdhsa_reserve_vcc 1
		.amdhsa_reserve_flat_scratch 0
		.amdhsa_float_round_mode_32 0
		.amdhsa_float_round_mode_16_64 0
		.amdhsa_float_denorm_mode_32 3
		.amdhsa_float_denorm_mode_16_64 3
		.amdhsa_dx10_clamp 1
		.amdhsa_ieee_mode 1
		.amdhsa_fp16_overflow 0
		.amdhsa_workgroup_processor_mode 1
		.amdhsa_memory_ordered 1
		.amdhsa_forward_progress 1
		.amdhsa_shared_vgpr_count 0
		.amdhsa_exception_fp_ieee_invalid_op 0
		.amdhsa_exception_fp_denorm_src 0
		.amdhsa_exception_fp_ieee_div_zero 0
		.amdhsa_exception_fp_ieee_overflow 0
		.amdhsa_exception_fp_ieee_underflow 0
		.amdhsa_exception_fp_ieee_inexact 0
		.amdhsa_exception_int_div_zero 0
	.end_amdhsa_kernel
	.section	.text._ZN9rocsolver6v33100L18trti2_kernel_smallILi20E19rocblas_complex_numIdEPKPS3_EEv13rocblas_fill_17rocblas_diagonal_T1_iil,"axG",@progbits,_ZN9rocsolver6v33100L18trti2_kernel_smallILi20E19rocblas_complex_numIdEPKPS3_EEv13rocblas_fill_17rocblas_diagonal_T1_iil,comdat
.Lfunc_end83:
	.size	_ZN9rocsolver6v33100L18trti2_kernel_smallILi20E19rocblas_complex_numIdEPKPS3_EEv13rocblas_fill_17rocblas_diagonal_T1_iil, .Lfunc_end83-_ZN9rocsolver6v33100L18trti2_kernel_smallILi20E19rocblas_complex_numIdEPKPS3_EEv13rocblas_fill_17rocblas_diagonal_T1_iil
                                        ; -- End function
	.set _ZN9rocsolver6v33100L18trti2_kernel_smallILi20E19rocblas_complex_numIdEPKPS3_EEv13rocblas_fill_17rocblas_diagonal_T1_iil.num_vgpr, 62
	.set _ZN9rocsolver6v33100L18trti2_kernel_smallILi20E19rocblas_complex_numIdEPKPS3_EEv13rocblas_fill_17rocblas_diagonal_T1_iil.num_agpr, 0
	.set _ZN9rocsolver6v33100L18trti2_kernel_smallILi20E19rocblas_complex_numIdEPKPS3_EEv13rocblas_fill_17rocblas_diagonal_T1_iil.numbered_sgpr, 35
	.set _ZN9rocsolver6v33100L18trti2_kernel_smallILi20E19rocblas_complex_numIdEPKPS3_EEv13rocblas_fill_17rocblas_diagonal_T1_iil.num_named_barrier, 0
	.set _ZN9rocsolver6v33100L18trti2_kernel_smallILi20E19rocblas_complex_numIdEPKPS3_EEv13rocblas_fill_17rocblas_diagonal_T1_iil.private_seg_size, 336
	.set _ZN9rocsolver6v33100L18trti2_kernel_smallILi20E19rocblas_complex_numIdEPKPS3_EEv13rocblas_fill_17rocblas_diagonal_T1_iil.uses_vcc, 1
	.set _ZN9rocsolver6v33100L18trti2_kernel_smallILi20E19rocblas_complex_numIdEPKPS3_EEv13rocblas_fill_17rocblas_diagonal_T1_iil.uses_flat_scratch, 0
	.set _ZN9rocsolver6v33100L18trti2_kernel_smallILi20E19rocblas_complex_numIdEPKPS3_EEv13rocblas_fill_17rocblas_diagonal_T1_iil.has_dyn_sized_stack, 0
	.set _ZN9rocsolver6v33100L18trti2_kernel_smallILi20E19rocblas_complex_numIdEPKPS3_EEv13rocblas_fill_17rocblas_diagonal_T1_iil.has_recursion, 0
	.set _ZN9rocsolver6v33100L18trti2_kernel_smallILi20E19rocblas_complex_numIdEPKPS3_EEv13rocblas_fill_17rocblas_diagonal_T1_iil.has_indirect_call, 0
	.section	.AMDGPU.csdata,"",@progbits
; Kernel info:
; codeLenInByte = 19972
; TotalNumSgprs: 37
; NumVgprs: 62
; ScratchSize: 336
; MemoryBound: 0
; FloatMode: 240
; IeeeMode: 1
; LDSByteSize: 640 bytes/workgroup (compile time only)
; SGPRBlocks: 0
; VGPRBlocks: 7
; NumSGPRsForWavesPerEU: 37
; NumVGPRsForWavesPerEU: 62
; Occupancy: 16
; WaveLimiterHint : 1
; COMPUTE_PGM_RSRC2:SCRATCH_EN: 1
; COMPUTE_PGM_RSRC2:USER_SGPR: 6
; COMPUTE_PGM_RSRC2:TRAP_HANDLER: 0
; COMPUTE_PGM_RSRC2:TGID_X_EN: 1
; COMPUTE_PGM_RSRC2:TGID_Y_EN: 0
; COMPUTE_PGM_RSRC2:TGID_Z_EN: 0
; COMPUTE_PGM_RSRC2:TIDIG_COMP_CNT: 0
	.section	.text._ZN9rocsolver6v33100L18trti2_kernel_smallILi21E19rocblas_complex_numIdEPKPS3_EEv13rocblas_fill_17rocblas_diagonal_T1_iil,"axG",@progbits,_ZN9rocsolver6v33100L18trti2_kernel_smallILi21E19rocblas_complex_numIdEPKPS3_EEv13rocblas_fill_17rocblas_diagonal_T1_iil,comdat
	.globl	_ZN9rocsolver6v33100L18trti2_kernel_smallILi21E19rocblas_complex_numIdEPKPS3_EEv13rocblas_fill_17rocblas_diagonal_T1_iil ; -- Begin function _ZN9rocsolver6v33100L18trti2_kernel_smallILi21E19rocblas_complex_numIdEPKPS3_EEv13rocblas_fill_17rocblas_diagonal_T1_iil
	.p2align	8
	.type	_ZN9rocsolver6v33100L18trti2_kernel_smallILi21E19rocblas_complex_numIdEPKPS3_EEv13rocblas_fill_17rocblas_diagonal_T1_iil,@function
_ZN9rocsolver6v33100L18trti2_kernel_smallILi21E19rocblas_complex_numIdEPKPS3_EEv13rocblas_fill_17rocblas_diagonal_T1_iil: ; @_ZN9rocsolver6v33100L18trti2_kernel_smallILi21E19rocblas_complex_numIdEPKPS3_EEv13rocblas_fill_17rocblas_diagonal_T1_iil
; %bb.0:
	s_add_u32 s0, s0, s7
	s_addc_u32 s1, s1, 0
	s_mov_b32 s7, exec_lo
	v_cmpx_gt_u32_e32 21, v0
	s_cbranch_execz .LBB84_323
; %bb.1:
	s_clause 0x1
	s_load_dwordx2 s[12:13], s[4:5], 0x10
	s_load_dwordx4 s[8:11], s[4:5], 0x0
	s_ashr_i32 s7, s6, 31
	v_lshlrev_b32_e32 v53, 4, v0
	s_lshl_b64 s[4:5], s[6:7], 3
	s_movk_i32 s14, 0xd0
	s_movk_i32 s28, 0xe0
	;; [unrolled: 1-line block ×8, first 2 shown]
	s_waitcnt lgkmcnt(0)
	s_ashr_i32 s7, s12, 31
	s_add_u32 s4, s10, s4
	s_addc_u32 s5, s11, s5
	s_mov_b32 s6, s12
	s_load_dwordx2 s[4:5], s[4:5], 0x0
	s_lshl_b64 s[6:7], s[6:7], 4
	v_add3_u32 v11, s13, s13, v0
	s_movk_i32 s10, 0x90
	s_movk_i32 s11, 0xa0
	;; [unrolled: 1-line block ×3, first 2 shown]
	v_ashrrev_i32_e32 v12, 31, v11
	v_add_nc_u32_e32 v13, s13, v11
	v_lshlrev_b64 v[9:10], 4, v[11:12]
	v_ashrrev_i32_e32 v14, 31, v13
	v_add_nc_u32_e32 v15, s13, v13
	v_lshlrev_b64 v[11:12], 4, v[13:14]
	v_ashrrev_i32_e32 v16, 31, v15
	s_waitcnt lgkmcnt(0)
	s_add_u32 s4, s4, s6
	s_addc_u32 s5, s5, s7
	v_add_co_u32 v5, s6, s4, v53
	v_add_co_ci_u32_e64 v6, null, s5, 0, s6
	s_mov_b32 s6, s13
	s_ashr_i32 s7, s13, 31
	v_lshlrev_b64 v[13:14], 4, v[15:16]
	flat_load_dwordx4 v[1:4], v[5:6]
	s_lshl_b64 s[6:7], s[6:7], 4
	v_add_nc_u32_e32 v17, s13, v15
	v_add_co_u32 v7, vcc_lo, v5, s6
	v_add_co_ci_u32_e64 v8, null, s7, v6, vcc_lo
	v_add_co_u32 v9, vcc_lo, s4, v9
	v_add_co_ci_u32_e64 v10, null, s5, v10, vcc_lo
	;; [unrolled: 2-line block ×4, first 2 shown]
	v_ashrrev_i32_e32 v18, 31, v17
	v_add_nc_u32_e32 v19, s13, v17
	s_cmpk_lg_i32 s9, 0x84
	s_movk_i32 s6, 0x70
	s_movk_i32 s7, 0x80
	v_lshlrev_b64 v[15:16], 4, v[17:18]
	v_ashrrev_i32_e32 v20, 31, v19
	v_add_nc_u32_e32 v21, s13, v19
	s_cselect_b32 s27, -1, 0
	s_cmpk_eq_i32 s9, 0x84
	s_waitcnt vmcnt(0) lgkmcnt(0)
	buffer_store_dword v4, off, s[0:3], 0 offset:12
	buffer_store_dword v3, off, s[0:3], 0 offset:8
	;; [unrolled: 1-line block ×3, first 2 shown]
	buffer_store_dword v1, off, s[0:3], 0
	flat_load_dwordx4 v[1:4], v[7:8]
	v_add_co_u32 v15, vcc_lo, s4, v15
	v_add_co_ci_u32_e64 v16, null, s5, v16, vcc_lo
	v_lshlrev_b64 v[17:18], 4, v[19:20]
	v_ashrrev_i32_e32 v22, 31, v21
	v_add_nc_u32_e32 v23, s13, v21
	s_waitcnt vmcnt(0) lgkmcnt(0)
	buffer_store_dword v4, off, s[0:3], 0 offset:28
	buffer_store_dword v3, off, s[0:3], 0 offset:24
	buffer_store_dword v2, off, s[0:3], 0 offset:20
	buffer_store_dword v1, off, s[0:3], 0 offset:16
	flat_load_dwordx4 v[1:4], v[9:10]
	v_add_co_u32 v17, vcc_lo, s4, v17
	v_add_co_ci_u32_e64 v18, null, s5, v18, vcc_lo
	v_lshlrev_b64 v[19:20], 4, v[21:22]
	v_ashrrev_i32_e32 v24, 31, v23
	v_add_nc_u32_e32 v25, s13, v23
	s_waitcnt vmcnt(0) lgkmcnt(0)
	buffer_store_dword v4, off, s[0:3], 0 offset:44
	buffer_store_dword v3, off, s[0:3], 0 offset:40
	buffer_store_dword v2, off, s[0:3], 0 offset:36
	buffer_store_dword v1, off, s[0:3], 0 offset:32
	;; [unrolled: 11-line block ×12, first 2 shown]
	flat_load_dwordx4 v[1:4], v[31:32]
	v_add_co_u32 v39, vcc_lo, s4, v39
	v_add_co_ci_u32_e64 v40, null, s5, v40, vcc_lo
	v_lshlrev_b64 v[41:42], 4, v[43:44]
	v_ashrrev_i32_e32 v46, 31, v45
	s_waitcnt vmcnt(0) lgkmcnt(0)
	buffer_store_dword v4, off, s[0:3], 0 offset:220
	buffer_store_dword v3, off, s[0:3], 0 offset:216
	;; [unrolled: 1-line block ×4, first 2 shown]
	flat_load_dwordx4 v[1:4], v[33:34]
	v_add_co_u32 v41, vcc_lo, s4, v41
	v_add_co_ci_u32_e64 v42, null, s5, v42, vcc_lo
	v_lshlrev_b64 v[43:44], 4, v[45:46]
	v_add_nc_u32_e32 v45, s13, v45
	s_movk_i32 s13, 0xc0
	s_waitcnt vmcnt(0) lgkmcnt(0)
	buffer_store_dword v4, off, s[0:3], 0 offset:236
	buffer_store_dword v3, off, s[0:3], 0 offset:232
	;; [unrolled: 1-line block ×4, first 2 shown]
	flat_load_dwordx4 v[1:4], v[35:36]
	v_add_co_u32 v43, vcc_lo, s4, v43
	v_add_co_ci_u32_e64 v44, null, s5, v44, vcc_lo
	v_ashrrev_i32_e32 v46, 31, v45
	s_waitcnt vmcnt(0) lgkmcnt(0)
	buffer_store_dword v4, off, s[0:3], 0 offset:252
	buffer_store_dword v3, off, s[0:3], 0 offset:248
	;; [unrolled: 1-line block ×4, first 2 shown]
	flat_load_dwordx4 v[1:4], v[37:38]
	v_lshlrev_b64 v[45:46], 4, v[45:46]
	s_waitcnt vmcnt(0) lgkmcnt(0)
	buffer_store_dword v4, off, s[0:3], 0 offset:268
	buffer_store_dword v3, off, s[0:3], 0 offset:264
	;; [unrolled: 1-line block ×4, first 2 shown]
	flat_load_dwordx4 v[1:4], v[39:40]
	v_add_co_u32 v45, vcc_lo, s4, v45
	v_add_co_ci_u32_e64 v46, null, s5, v46, vcc_lo
	s_movk_i32 s4, 0x50
	s_movk_i32 s5, 0x60
	s_waitcnt vmcnt(0) lgkmcnt(0)
	buffer_store_dword v4, off, s[0:3], 0 offset:284
	buffer_store_dword v3, off, s[0:3], 0 offset:280
	buffer_store_dword v2, off, s[0:3], 0 offset:276
	buffer_store_dword v1, off, s[0:3], 0 offset:272
	flat_load_dwordx4 v[1:4], v[41:42]
	s_waitcnt vmcnt(0) lgkmcnt(0)
	buffer_store_dword v4, off, s[0:3], 0 offset:300
	buffer_store_dword v3, off, s[0:3], 0 offset:296
	buffer_store_dword v2, off, s[0:3], 0 offset:292
	buffer_store_dword v1, off, s[0:3], 0 offset:288
	flat_load_dwordx4 v[1:4], v[43:44]
	;; [unrolled: 6-line block ×3, first 2 shown]
	s_waitcnt vmcnt(0) lgkmcnt(0)
	buffer_store_dword v4, off, s[0:3], 0 offset:332
	buffer_store_dword v3, off, s[0:3], 0 offset:328
	;; [unrolled: 1-line block ×4, first 2 shown]
	s_cbranch_scc1 .LBB84_7
; %bb.2:
	v_lshl_add_u32 v54, v0, 4, 0
                                        ; implicit-def: $vgpr49_vgpr50
                                        ; implicit-def: $vgpr3_vgpr4
	s_clause 0x3
	buffer_load_dword v47, v54, s[0:3], 0 offen
	buffer_load_dword v48, v54, s[0:3], 0 offen offset:4
	buffer_load_dword v51, v54, s[0:3], 0 offen offset:8
	;; [unrolled: 1-line block ×3, first 2 shown]
	s_waitcnt vmcnt(0)
	v_cmp_ngt_f64_e64 s9, |v[47:48]|, |v[51:52]|
	s_and_saveexec_b32 s15, s9
	s_xor_b32 s9, exec_lo, s15
	s_cbranch_execz .LBB84_4
; %bb.3:
	v_div_scale_f64 v[1:2], null, v[51:52], v[51:52], v[47:48]
	v_div_scale_f64 v[55:56], vcc_lo, v[47:48], v[51:52], v[47:48]
	v_rcp_f64_e32 v[3:4], v[1:2]
	v_fma_f64 v[49:50], -v[1:2], v[3:4], 1.0
	v_fma_f64 v[3:4], v[3:4], v[49:50], v[3:4]
	v_fma_f64 v[49:50], -v[1:2], v[3:4], 1.0
	v_fma_f64 v[3:4], v[3:4], v[49:50], v[3:4]
	v_mul_f64 v[49:50], v[55:56], v[3:4]
	v_fma_f64 v[1:2], -v[1:2], v[49:50], v[55:56]
	v_div_fmas_f64 v[1:2], v[1:2], v[3:4], v[49:50]
	v_div_fixup_f64 v[1:2], v[1:2], v[51:52], v[47:48]
	v_fma_f64 v[3:4], v[47:48], v[1:2], v[51:52]
	v_div_scale_f64 v[47:48], null, v[3:4], v[3:4], 1.0
	v_div_scale_f64 v[55:56], vcc_lo, 1.0, v[3:4], 1.0
	v_rcp_f64_e32 v[49:50], v[47:48]
	v_fma_f64 v[51:52], -v[47:48], v[49:50], 1.0
	v_fma_f64 v[49:50], v[49:50], v[51:52], v[49:50]
	v_fma_f64 v[51:52], -v[47:48], v[49:50], 1.0
	v_fma_f64 v[49:50], v[49:50], v[51:52], v[49:50]
	v_mul_f64 v[51:52], v[55:56], v[49:50]
	v_fma_f64 v[47:48], -v[47:48], v[51:52], v[55:56]
	v_div_fmas_f64 v[47:48], v[47:48], v[49:50], v[51:52]
                                        ; implicit-def: $vgpr51_vgpr52
	v_div_fixup_f64 v[3:4], v[47:48], v[3:4], 1.0
                                        ; implicit-def: $vgpr47_vgpr48
	v_mul_f64 v[49:50], v[1:2], v[3:4]
	v_xor_b32_e32 v4, 0x80000000, v4
	v_xor_b32_e32 v2, 0x80000000, v50
	v_mov_b32_e32 v1, v49
.LBB84_4:
	s_andn2_saveexec_b32 s9, s9
	s_cbranch_execz .LBB84_6
; %bb.5:
	v_div_scale_f64 v[1:2], null, v[47:48], v[47:48], v[51:52]
	v_div_scale_f64 v[55:56], vcc_lo, v[51:52], v[47:48], v[51:52]
	v_rcp_f64_e32 v[3:4], v[1:2]
	v_fma_f64 v[49:50], -v[1:2], v[3:4], 1.0
	v_fma_f64 v[3:4], v[3:4], v[49:50], v[3:4]
	v_fma_f64 v[49:50], -v[1:2], v[3:4], 1.0
	v_fma_f64 v[3:4], v[3:4], v[49:50], v[3:4]
	v_mul_f64 v[49:50], v[55:56], v[3:4]
	v_fma_f64 v[1:2], -v[1:2], v[49:50], v[55:56]
	v_div_fmas_f64 v[1:2], v[1:2], v[3:4], v[49:50]
	v_div_fixup_f64 v[1:2], v[1:2], v[47:48], v[51:52]
	v_fma_f64 v[3:4], v[51:52], v[1:2], v[47:48]
	v_div_scale_f64 v[47:48], null, v[3:4], v[3:4], 1.0
	v_rcp_f64_e32 v[49:50], v[47:48]
	v_fma_f64 v[51:52], -v[47:48], v[49:50], 1.0
	v_fma_f64 v[49:50], v[49:50], v[51:52], v[49:50]
	v_fma_f64 v[51:52], -v[47:48], v[49:50], 1.0
	v_fma_f64 v[49:50], v[49:50], v[51:52], v[49:50]
	v_div_scale_f64 v[51:52], vcc_lo, 1.0, v[3:4], 1.0
	v_mul_f64 v[55:56], v[51:52], v[49:50]
	v_fma_f64 v[47:48], -v[47:48], v[55:56], v[51:52]
	v_div_fmas_f64 v[47:48], v[47:48], v[49:50], v[55:56]
	v_div_fixup_f64 v[49:50], v[47:48], v[3:4], 1.0
	v_mul_f64 v[3:4], v[1:2], -v[49:50]
	v_xor_b32_e32 v2, 0x80000000, v50
	v_mov_b32_e32 v1, v49
.LBB84_6:
	s_or_b32 exec_lo, exec_lo, s9
	buffer_store_dword v4, v54, s[0:3], 0 offen offset:12
	v_xor_b32_e32 v4, 0x80000000, v4
	buffer_store_dword v50, v54, s[0:3], 0 offen offset:4
	buffer_store_dword v49, v54, s[0:3], 0 offen
	buffer_store_dword v3, v54, s[0:3], 0 offen offset:8
	s_branch .LBB84_8
.LBB84_7:
	v_mov_b32_e32 v1, 0
	v_mov_b32_e32 v3, 0
	v_mov_b32_e32 v2, 0xbff00000
	v_mov_b32_e32 v4, 0
.LBB84_8:
	v_add_nc_u32_e32 v48, 0x150, v53
	v_mov_b32_e32 v47, v53
	s_mov_b32 s26, 16
	s_mov_b32 s25, 32
	;; [unrolled: 1-line block ×19, first 2 shown]
	s_cmpk_eq_i32 s8, 0x79
	ds_write_b128 v53, v[1:4]
	s_cbranch_scc1 .LBB84_164
; %bb.9:
	v_mov_b32_e32 v4, s7
	v_cmp_eq_u32_e64 s4, 20, v0
	s_clause 0x3
	buffer_load_dword v1, v4, s[0:3], 0 offen
	buffer_load_dword v2, v4, s[0:3], 0 offen offset:4
	buffer_load_dword v3, v4, s[0:3], 0 offen offset:8
	;; [unrolled: 1-line block ×3, first 2 shown]
	s_waitcnt vmcnt(0)
	ds_write_b128 v48, v[1:4]
	s_waitcnt lgkmcnt(0)
	s_waitcnt_vscnt null, 0x0
	s_barrier
	buffer_gl0_inv
	s_and_saveexec_b32 s5, s4
	s_cbranch_execz .LBB84_13
; %bb.10:
	ds_read_b128 v[1:4], v48
	s_andn2_b32 vcc_lo, exec_lo, s27
	s_cbranch_vccnz .LBB84_12
; %bb.11:
	s_clause 0x3
	buffer_load_dword v49, v47, s[0:3], 0 offen offset:8
	buffer_load_dword v50, v47, s[0:3], 0 offen offset:12
	buffer_load_dword v51, v47, s[0:3], 0 offen
	buffer_load_dword v52, v47, s[0:3], 0 offen offset:4
	s_waitcnt vmcnt(2) lgkmcnt(0)
	v_mul_f64 v[54:55], v[3:4], v[49:50]
	v_mul_f64 v[49:50], v[1:2], v[49:50]
	s_waitcnt vmcnt(0)
	v_fma_f64 v[1:2], v[1:2], v[51:52], -v[54:55]
	v_fma_f64 v[3:4], v[3:4], v[51:52], v[49:50]
.LBB84_12:
	v_mov_b32_e32 v49, 0
	ds_read_b128 v[49:52], v49 offset:304
	s_waitcnt lgkmcnt(0)
	v_mul_f64 v[54:55], v[3:4], v[51:52]
	v_mul_f64 v[51:52], v[1:2], v[51:52]
	v_fma_f64 v[1:2], v[1:2], v[49:50], -v[54:55]
	v_fma_f64 v[3:4], v[3:4], v[49:50], v[51:52]
	buffer_store_dword v2, off, s[0:3], 0 offset:308
	buffer_store_dword v1, off, s[0:3], 0 offset:304
	;; [unrolled: 1-line block ×4, first 2 shown]
.LBB84_13:
	s_or_b32 exec_lo, exec_lo, s5
	v_mov_b32_e32 v4, s9
	v_cmp_lt_u32_e64 s5, 18, v0
	s_clause 0x3
	buffer_load_dword v1, v4, s[0:3], 0 offen
	buffer_load_dword v2, v4, s[0:3], 0 offen offset:4
	buffer_load_dword v3, v4, s[0:3], 0 offen offset:8
	;; [unrolled: 1-line block ×3, first 2 shown]
	s_waitcnt vmcnt(0)
	ds_write_b128 v48, v[1:4]
	s_waitcnt lgkmcnt(0)
	s_waitcnt_vscnt null, 0x0
	s_barrier
	buffer_gl0_inv
	s_and_saveexec_b32 s8, s5
	s_cbranch_execz .LBB84_19
; %bb.14:
	ds_read_b128 v[1:4], v48
	s_andn2_b32 vcc_lo, exec_lo, s27
	s_cbranch_vccnz .LBB84_16
; %bb.15:
	s_clause 0x3
	buffer_load_dword v49, v47, s[0:3], 0 offen offset:8
	buffer_load_dword v50, v47, s[0:3], 0 offen offset:12
	buffer_load_dword v51, v47, s[0:3], 0 offen
	buffer_load_dword v52, v47, s[0:3], 0 offen offset:4
	s_waitcnt vmcnt(2) lgkmcnt(0)
	v_mul_f64 v[54:55], v[3:4], v[49:50]
	v_mul_f64 v[49:50], v[1:2], v[49:50]
	s_waitcnt vmcnt(0)
	v_fma_f64 v[1:2], v[1:2], v[51:52], -v[54:55]
	v_fma_f64 v[3:4], v[3:4], v[51:52], v[49:50]
.LBB84_16:
	s_and_saveexec_b32 s28, s4
	s_cbranch_execz .LBB84_18
; %bb.17:
	s_clause 0x3
	buffer_load_dword v54, off, s[0:3], 0 offset:312
	buffer_load_dword v55, off, s[0:3], 0 offset:316
	;; [unrolled: 1-line block ×4, first 2 shown]
	v_mov_b32_e32 v49, 0
	ds_read_b128 v[49:52], v49 offset:640
	s_waitcnt vmcnt(2) lgkmcnt(0)
	v_mul_f64 v[58:59], v[49:50], v[54:55]
	v_mul_f64 v[54:55], v[51:52], v[54:55]
	s_waitcnt vmcnt(0)
	v_fma_f64 v[51:52], v[51:52], v[56:57], v[58:59]
	v_fma_f64 v[49:50], v[49:50], v[56:57], -v[54:55]
	v_add_f64 v[3:4], v[3:4], v[51:52]
	v_add_f64 v[1:2], v[1:2], v[49:50]
.LBB84_18:
	s_or_b32 exec_lo, exec_lo, s28
	v_mov_b32_e32 v49, 0
	ds_read_b128 v[49:52], v49 offset:288
	s_waitcnt lgkmcnt(0)
	v_mul_f64 v[54:55], v[3:4], v[51:52]
	v_mul_f64 v[51:52], v[1:2], v[51:52]
	v_fma_f64 v[1:2], v[1:2], v[49:50], -v[54:55]
	v_fma_f64 v[3:4], v[3:4], v[49:50], v[51:52]
	buffer_store_dword v2, off, s[0:3], 0 offset:292
	buffer_store_dword v1, off, s[0:3], 0 offset:288
	;; [unrolled: 1-line block ×4, first 2 shown]
.LBB84_19:
	s_or_b32 exec_lo, exec_lo, s8
	v_mov_b32_e32 v4, s10
	v_cmp_lt_u32_e64 s4, 17, v0
	s_clause 0x3
	buffer_load_dword v1, v4, s[0:3], 0 offen
	buffer_load_dword v2, v4, s[0:3], 0 offen offset:4
	buffer_load_dword v3, v4, s[0:3], 0 offen offset:8
	;; [unrolled: 1-line block ×3, first 2 shown]
	s_waitcnt vmcnt(0)
	ds_write_b128 v48, v[1:4]
	s_waitcnt lgkmcnt(0)
	s_waitcnt_vscnt null, 0x0
	s_barrier
	buffer_gl0_inv
	s_and_saveexec_b32 s8, s4
	s_cbranch_execz .LBB84_27
; %bb.20:
	ds_read_b128 v[1:4], v48
	s_andn2_b32 vcc_lo, exec_lo, s27
	s_cbranch_vccnz .LBB84_22
; %bb.21:
	s_clause 0x3
	buffer_load_dword v49, v47, s[0:3], 0 offen offset:8
	buffer_load_dword v50, v47, s[0:3], 0 offen offset:12
	buffer_load_dword v51, v47, s[0:3], 0 offen
	buffer_load_dword v52, v47, s[0:3], 0 offen offset:4
	s_waitcnt vmcnt(2) lgkmcnt(0)
	v_mul_f64 v[54:55], v[3:4], v[49:50]
	v_mul_f64 v[49:50], v[1:2], v[49:50]
	s_waitcnt vmcnt(0)
	v_fma_f64 v[1:2], v[1:2], v[51:52], -v[54:55]
	v_fma_f64 v[3:4], v[3:4], v[51:52], v[49:50]
.LBB84_22:
	s_and_saveexec_b32 s28, s5
	s_cbranch_execz .LBB84_26
; %bb.23:
	v_subrev_nc_u32_e32 v49, 18, v0
	s_movk_i32 s29, 0x270
	s_mov_b32 s5, 0
	s_mov_b32 s30, s9
	.p2align	6
.LBB84_24:                              ; =>This Inner Loop Header: Depth=1
	v_mov_b32_e32 v52, s30
	v_add_nc_u32_e32 v49, -1, v49
	s_add_i32 s30, s30, 16
	s_clause 0x3
	buffer_load_dword v50, v52, s[0:3], 0 offen offset:8
	buffer_load_dword v51, v52, s[0:3], 0 offen offset:12
	buffer_load_dword v58, v52, s[0:3], 0 offen
	buffer_load_dword v59, v52, s[0:3], 0 offen offset:4
	v_mov_b32_e32 v52, s29
	v_cmp_eq_u32_e32 vcc_lo, 0, v49
	s_add_i32 s29, s29, 16
	ds_read_b128 v[54:57], v52
	s_or_b32 s5, vcc_lo, s5
	s_waitcnt vmcnt(2) lgkmcnt(0)
	v_mul_f64 v[60:61], v[56:57], v[50:51]
	v_mul_f64 v[50:51], v[54:55], v[50:51]
	s_waitcnt vmcnt(0)
	v_fma_f64 v[54:55], v[54:55], v[58:59], -v[60:61]
	v_fma_f64 v[50:51], v[56:57], v[58:59], v[50:51]
	v_add_f64 v[1:2], v[1:2], v[54:55]
	v_add_f64 v[3:4], v[3:4], v[50:51]
	s_andn2_b32 exec_lo, exec_lo, s5
	s_cbranch_execnz .LBB84_24
; %bb.25:
	s_or_b32 exec_lo, exec_lo, s5
.LBB84_26:
	s_or_b32 exec_lo, exec_lo, s28
	v_mov_b32_e32 v49, 0
	ds_read_b128 v[49:52], v49 offset:272
	s_waitcnt lgkmcnt(0)
	v_mul_f64 v[54:55], v[3:4], v[51:52]
	v_mul_f64 v[51:52], v[1:2], v[51:52]
	v_fma_f64 v[1:2], v[1:2], v[49:50], -v[54:55]
	v_fma_f64 v[3:4], v[3:4], v[49:50], v[51:52]
	buffer_store_dword v2, off, s[0:3], 0 offset:276
	buffer_store_dword v1, off, s[0:3], 0 offset:272
	;; [unrolled: 1-line block ×4, first 2 shown]
.LBB84_27:
	s_or_b32 exec_lo, exec_lo, s8
	v_mov_b32_e32 v4, s11
	v_cmp_lt_u32_e64 s5, 16, v0
	s_clause 0x3
	buffer_load_dword v1, v4, s[0:3], 0 offen
	buffer_load_dword v2, v4, s[0:3], 0 offen offset:4
	buffer_load_dword v3, v4, s[0:3], 0 offen offset:8
	;; [unrolled: 1-line block ×3, first 2 shown]
	s_waitcnt vmcnt(0)
	ds_write_b128 v48, v[1:4]
	s_waitcnt lgkmcnt(0)
	s_waitcnt_vscnt null, 0x0
	s_barrier
	buffer_gl0_inv
	s_and_saveexec_b32 s8, s5
	s_cbranch_execz .LBB84_35
; %bb.28:
	ds_read_b128 v[1:4], v48
	s_andn2_b32 vcc_lo, exec_lo, s27
	s_cbranch_vccnz .LBB84_30
; %bb.29:
	s_clause 0x3
	buffer_load_dword v49, v47, s[0:3], 0 offen offset:8
	buffer_load_dword v50, v47, s[0:3], 0 offen offset:12
	buffer_load_dword v51, v47, s[0:3], 0 offen
	buffer_load_dword v52, v47, s[0:3], 0 offen offset:4
	s_waitcnt vmcnt(2) lgkmcnt(0)
	v_mul_f64 v[54:55], v[3:4], v[49:50]
	v_mul_f64 v[49:50], v[1:2], v[49:50]
	s_waitcnt vmcnt(0)
	v_fma_f64 v[1:2], v[1:2], v[51:52], -v[54:55]
	v_fma_f64 v[3:4], v[3:4], v[51:52], v[49:50]
.LBB84_30:
	s_and_saveexec_b32 s28, s4
	s_cbranch_execz .LBB84_34
; %bb.31:
	v_subrev_nc_u32_e32 v49, 17, v0
	s_movk_i32 s29, 0x260
	s_mov_b32 s4, 0
	s_mov_b32 s30, s10
	.p2align	6
.LBB84_32:                              ; =>This Inner Loop Header: Depth=1
	v_mov_b32_e32 v52, s30
	v_add_nc_u32_e32 v49, -1, v49
	s_add_i32 s30, s30, 16
	s_clause 0x3
	buffer_load_dword v50, v52, s[0:3], 0 offen offset:8
	buffer_load_dword v51, v52, s[0:3], 0 offen offset:12
	buffer_load_dword v58, v52, s[0:3], 0 offen
	buffer_load_dword v59, v52, s[0:3], 0 offen offset:4
	v_mov_b32_e32 v52, s29
	v_cmp_eq_u32_e32 vcc_lo, 0, v49
	s_add_i32 s29, s29, 16
	ds_read_b128 v[54:57], v52
	s_or_b32 s4, vcc_lo, s4
	s_waitcnt vmcnt(2) lgkmcnt(0)
	v_mul_f64 v[60:61], v[56:57], v[50:51]
	v_mul_f64 v[50:51], v[54:55], v[50:51]
	s_waitcnt vmcnt(0)
	v_fma_f64 v[54:55], v[54:55], v[58:59], -v[60:61]
	v_fma_f64 v[50:51], v[56:57], v[58:59], v[50:51]
	v_add_f64 v[1:2], v[1:2], v[54:55]
	v_add_f64 v[3:4], v[3:4], v[50:51]
	s_andn2_b32 exec_lo, exec_lo, s4
	s_cbranch_execnz .LBB84_32
; %bb.33:
	s_or_b32 exec_lo, exec_lo, s4
.LBB84_34:
	s_or_b32 exec_lo, exec_lo, s28
	v_mov_b32_e32 v49, 0
	ds_read_b128 v[49:52], v49 offset:256
	s_waitcnt lgkmcnt(0)
	v_mul_f64 v[54:55], v[3:4], v[51:52]
	v_mul_f64 v[51:52], v[1:2], v[51:52]
	v_fma_f64 v[1:2], v[1:2], v[49:50], -v[54:55]
	v_fma_f64 v[3:4], v[3:4], v[49:50], v[51:52]
	buffer_store_dword v2, off, s[0:3], 0 offset:260
	buffer_store_dword v1, off, s[0:3], 0 offset:256
	;; [unrolled: 1-line block ×4, first 2 shown]
.LBB84_35:
	s_or_b32 exec_lo, exec_lo, s8
	v_mov_b32_e32 v4, s12
	v_cmp_lt_u32_e64 s4, 15, v0
	s_clause 0x3
	buffer_load_dword v1, v4, s[0:3], 0 offen
	buffer_load_dword v2, v4, s[0:3], 0 offen offset:4
	buffer_load_dword v3, v4, s[0:3], 0 offen offset:8
	;; [unrolled: 1-line block ×3, first 2 shown]
	s_waitcnt vmcnt(0)
	ds_write_b128 v48, v[1:4]
	s_waitcnt lgkmcnt(0)
	s_waitcnt_vscnt null, 0x0
	s_barrier
	buffer_gl0_inv
	s_and_saveexec_b32 s8, s4
	s_cbranch_execz .LBB84_43
; %bb.36:
	ds_read_b128 v[1:4], v48
	s_andn2_b32 vcc_lo, exec_lo, s27
	s_cbranch_vccnz .LBB84_38
; %bb.37:
	s_clause 0x3
	buffer_load_dword v49, v47, s[0:3], 0 offen offset:8
	buffer_load_dword v50, v47, s[0:3], 0 offen offset:12
	buffer_load_dword v51, v47, s[0:3], 0 offen
	buffer_load_dword v52, v47, s[0:3], 0 offen offset:4
	s_waitcnt vmcnt(2) lgkmcnt(0)
	v_mul_f64 v[54:55], v[3:4], v[49:50]
	v_mul_f64 v[49:50], v[1:2], v[49:50]
	s_waitcnt vmcnt(0)
	v_fma_f64 v[1:2], v[1:2], v[51:52], -v[54:55]
	v_fma_f64 v[3:4], v[3:4], v[51:52], v[49:50]
.LBB84_38:
	s_and_saveexec_b32 s28, s5
	s_cbranch_execz .LBB84_42
; %bb.39:
	v_add_nc_u32_e32 v49, -16, v0
	s_movk_i32 s29, 0x250
	s_mov_b32 s5, 0
	s_mov_b32 s30, s11
	.p2align	6
.LBB84_40:                              ; =>This Inner Loop Header: Depth=1
	v_mov_b32_e32 v52, s30
	v_add_nc_u32_e32 v49, -1, v49
	s_add_i32 s30, s30, 16
	s_clause 0x3
	buffer_load_dword v50, v52, s[0:3], 0 offen offset:8
	buffer_load_dword v51, v52, s[0:3], 0 offen offset:12
	buffer_load_dword v58, v52, s[0:3], 0 offen
	buffer_load_dword v59, v52, s[0:3], 0 offen offset:4
	v_mov_b32_e32 v52, s29
	v_cmp_eq_u32_e32 vcc_lo, 0, v49
	s_add_i32 s29, s29, 16
	ds_read_b128 v[54:57], v52
	s_or_b32 s5, vcc_lo, s5
	s_waitcnt vmcnt(2) lgkmcnt(0)
	v_mul_f64 v[60:61], v[56:57], v[50:51]
	v_mul_f64 v[50:51], v[54:55], v[50:51]
	s_waitcnt vmcnt(0)
	v_fma_f64 v[54:55], v[54:55], v[58:59], -v[60:61]
	v_fma_f64 v[50:51], v[56:57], v[58:59], v[50:51]
	v_add_f64 v[1:2], v[1:2], v[54:55]
	v_add_f64 v[3:4], v[3:4], v[50:51]
	s_andn2_b32 exec_lo, exec_lo, s5
	s_cbranch_execnz .LBB84_40
; %bb.41:
	s_or_b32 exec_lo, exec_lo, s5
.LBB84_42:
	s_or_b32 exec_lo, exec_lo, s28
	v_mov_b32_e32 v49, 0
	ds_read_b128 v[49:52], v49 offset:240
	s_waitcnt lgkmcnt(0)
	v_mul_f64 v[54:55], v[3:4], v[51:52]
	v_mul_f64 v[51:52], v[1:2], v[51:52]
	v_fma_f64 v[1:2], v[1:2], v[49:50], -v[54:55]
	v_fma_f64 v[3:4], v[3:4], v[49:50], v[51:52]
	buffer_store_dword v2, off, s[0:3], 0 offset:244
	buffer_store_dword v1, off, s[0:3], 0 offset:240
	;; [unrolled: 1-line block ×4, first 2 shown]
.LBB84_43:
	s_or_b32 exec_lo, exec_lo, s8
	v_mov_b32_e32 v4, s13
	v_cmp_lt_u32_e64 s5, 14, v0
	s_clause 0x3
	buffer_load_dword v1, v4, s[0:3], 0 offen
	buffer_load_dword v2, v4, s[0:3], 0 offen offset:4
	buffer_load_dword v3, v4, s[0:3], 0 offen offset:8
	;; [unrolled: 1-line block ×3, first 2 shown]
	s_waitcnt vmcnt(0)
	ds_write_b128 v48, v[1:4]
	s_waitcnt lgkmcnt(0)
	s_waitcnt_vscnt null, 0x0
	s_barrier
	buffer_gl0_inv
	s_and_saveexec_b32 s8, s5
	s_cbranch_execz .LBB84_51
; %bb.44:
	ds_read_b128 v[1:4], v48
	s_andn2_b32 vcc_lo, exec_lo, s27
	s_cbranch_vccnz .LBB84_46
; %bb.45:
	s_clause 0x3
	buffer_load_dword v49, v47, s[0:3], 0 offen offset:8
	buffer_load_dword v50, v47, s[0:3], 0 offen offset:12
	buffer_load_dword v51, v47, s[0:3], 0 offen
	buffer_load_dword v52, v47, s[0:3], 0 offen offset:4
	s_waitcnt vmcnt(2) lgkmcnt(0)
	v_mul_f64 v[54:55], v[3:4], v[49:50]
	v_mul_f64 v[49:50], v[1:2], v[49:50]
	s_waitcnt vmcnt(0)
	v_fma_f64 v[1:2], v[1:2], v[51:52], -v[54:55]
	v_fma_f64 v[3:4], v[3:4], v[51:52], v[49:50]
.LBB84_46:
	s_and_saveexec_b32 s28, s4
	s_cbranch_execz .LBB84_50
; %bb.47:
	v_add_nc_u32_e32 v49, -15, v0
	s_movk_i32 s29, 0x240
	s_mov_b32 s4, 0
	s_mov_b32 s30, s12
	.p2align	6
.LBB84_48:                              ; =>This Inner Loop Header: Depth=1
	v_mov_b32_e32 v52, s30
	v_add_nc_u32_e32 v49, -1, v49
	s_add_i32 s30, s30, 16
	s_clause 0x3
	buffer_load_dword v50, v52, s[0:3], 0 offen offset:8
	buffer_load_dword v51, v52, s[0:3], 0 offen offset:12
	buffer_load_dword v58, v52, s[0:3], 0 offen
	buffer_load_dword v59, v52, s[0:3], 0 offen offset:4
	v_mov_b32_e32 v52, s29
	v_cmp_eq_u32_e32 vcc_lo, 0, v49
	s_add_i32 s29, s29, 16
	ds_read_b128 v[54:57], v52
	s_or_b32 s4, vcc_lo, s4
	s_waitcnt vmcnt(2) lgkmcnt(0)
	v_mul_f64 v[60:61], v[56:57], v[50:51]
	v_mul_f64 v[50:51], v[54:55], v[50:51]
	s_waitcnt vmcnt(0)
	v_fma_f64 v[54:55], v[54:55], v[58:59], -v[60:61]
	v_fma_f64 v[50:51], v[56:57], v[58:59], v[50:51]
	v_add_f64 v[1:2], v[1:2], v[54:55]
	v_add_f64 v[3:4], v[3:4], v[50:51]
	s_andn2_b32 exec_lo, exec_lo, s4
	s_cbranch_execnz .LBB84_48
; %bb.49:
	s_or_b32 exec_lo, exec_lo, s4
.LBB84_50:
	s_or_b32 exec_lo, exec_lo, s28
	v_mov_b32_e32 v49, 0
	ds_read_b128 v[49:52], v49 offset:224
	s_waitcnt lgkmcnt(0)
	v_mul_f64 v[54:55], v[3:4], v[51:52]
	v_mul_f64 v[51:52], v[1:2], v[51:52]
	v_fma_f64 v[1:2], v[1:2], v[49:50], -v[54:55]
	v_fma_f64 v[3:4], v[3:4], v[49:50], v[51:52]
	buffer_store_dword v2, off, s[0:3], 0 offset:228
	buffer_store_dword v1, off, s[0:3], 0 offset:224
	;; [unrolled: 1-line block ×4, first 2 shown]
.LBB84_51:
	s_or_b32 exec_lo, exec_lo, s8
	v_mov_b32_e32 v4, s14
	v_cmp_lt_u32_e64 s4, 13, v0
	s_clause 0x3
	buffer_load_dword v1, v4, s[0:3], 0 offen
	buffer_load_dword v2, v4, s[0:3], 0 offen offset:4
	buffer_load_dword v3, v4, s[0:3], 0 offen offset:8
	;; [unrolled: 1-line block ×3, first 2 shown]
	s_waitcnt vmcnt(0)
	ds_write_b128 v48, v[1:4]
	s_waitcnt lgkmcnt(0)
	s_waitcnt_vscnt null, 0x0
	s_barrier
	buffer_gl0_inv
	s_and_saveexec_b32 s8, s4
	s_cbranch_execz .LBB84_59
; %bb.52:
	ds_read_b128 v[1:4], v48
	s_andn2_b32 vcc_lo, exec_lo, s27
	s_cbranch_vccnz .LBB84_54
; %bb.53:
	s_clause 0x3
	buffer_load_dword v49, v47, s[0:3], 0 offen offset:8
	buffer_load_dword v50, v47, s[0:3], 0 offen offset:12
	buffer_load_dword v51, v47, s[0:3], 0 offen
	buffer_load_dword v52, v47, s[0:3], 0 offen offset:4
	s_waitcnt vmcnt(2) lgkmcnt(0)
	v_mul_f64 v[54:55], v[3:4], v[49:50]
	v_mul_f64 v[49:50], v[1:2], v[49:50]
	s_waitcnt vmcnt(0)
	v_fma_f64 v[1:2], v[1:2], v[51:52], -v[54:55]
	v_fma_f64 v[3:4], v[3:4], v[51:52], v[49:50]
.LBB84_54:
	s_and_saveexec_b32 s28, s5
	s_cbranch_execz .LBB84_58
; %bb.55:
	v_add_nc_u32_e32 v49, -14, v0
	s_movk_i32 s29, 0x230
	s_mov_b32 s5, 0
	s_mov_b32 s30, s13
	.p2align	6
.LBB84_56:                              ; =>This Inner Loop Header: Depth=1
	v_mov_b32_e32 v52, s30
	v_add_nc_u32_e32 v49, -1, v49
	s_add_i32 s30, s30, 16
	s_clause 0x3
	buffer_load_dword v50, v52, s[0:3], 0 offen offset:8
	buffer_load_dword v51, v52, s[0:3], 0 offen offset:12
	buffer_load_dword v58, v52, s[0:3], 0 offen
	buffer_load_dword v59, v52, s[0:3], 0 offen offset:4
	v_mov_b32_e32 v52, s29
	v_cmp_eq_u32_e32 vcc_lo, 0, v49
	s_add_i32 s29, s29, 16
	ds_read_b128 v[54:57], v52
	s_or_b32 s5, vcc_lo, s5
	s_waitcnt vmcnt(2) lgkmcnt(0)
	v_mul_f64 v[60:61], v[56:57], v[50:51]
	v_mul_f64 v[50:51], v[54:55], v[50:51]
	s_waitcnt vmcnt(0)
	v_fma_f64 v[54:55], v[54:55], v[58:59], -v[60:61]
	v_fma_f64 v[50:51], v[56:57], v[58:59], v[50:51]
	v_add_f64 v[1:2], v[1:2], v[54:55]
	v_add_f64 v[3:4], v[3:4], v[50:51]
	s_andn2_b32 exec_lo, exec_lo, s5
	s_cbranch_execnz .LBB84_56
; %bb.57:
	s_or_b32 exec_lo, exec_lo, s5
.LBB84_58:
	s_or_b32 exec_lo, exec_lo, s28
	v_mov_b32_e32 v49, 0
	ds_read_b128 v[49:52], v49 offset:208
	s_waitcnt lgkmcnt(0)
	v_mul_f64 v[54:55], v[3:4], v[51:52]
	v_mul_f64 v[51:52], v[1:2], v[51:52]
	v_fma_f64 v[1:2], v[1:2], v[49:50], -v[54:55]
	v_fma_f64 v[3:4], v[3:4], v[49:50], v[51:52]
	buffer_store_dword v2, off, s[0:3], 0 offset:212
	buffer_store_dword v1, off, s[0:3], 0 offset:208
	;; [unrolled: 1-line block ×4, first 2 shown]
.LBB84_59:
	s_or_b32 exec_lo, exec_lo, s8
	v_mov_b32_e32 v4, s15
	v_cmp_lt_u32_e64 s5, 12, v0
	s_clause 0x3
	buffer_load_dword v1, v4, s[0:3], 0 offen
	buffer_load_dword v2, v4, s[0:3], 0 offen offset:4
	buffer_load_dword v3, v4, s[0:3], 0 offen offset:8
	;; [unrolled: 1-line block ×3, first 2 shown]
	s_waitcnt vmcnt(0)
	ds_write_b128 v48, v[1:4]
	s_waitcnt lgkmcnt(0)
	s_waitcnt_vscnt null, 0x0
	s_barrier
	buffer_gl0_inv
	s_and_saveexec_b32 s8, s5
	s_cbranch_execz .LBB84_67
; %bb.60:
	ds_read_b128 v[1:4], v48
	s_andn2_b32 vcc_lo, exec_lo, s27
	s_cbranch_vccnz .LBB84_62
; %bb.61:
	s_clause 0x3
	buffer_load_dword v49, v47, s[0:3], 0 offen offset:8
	buffer_load_dword v50, v47, s[0:3], 0 offen offset:12
	buffer_load_dword v51, v47, s[0:3], 0 offen
	buffer_load_dword v52, v47, s[0:3], 0 offen offset:4
	s_waitcnt vmcnt(2) lgkmcnt(0)
	v_mul_f64 v[54:55], v[3:4], v[49:50]
	v_mul_f64 v[49:50], v[1:2], v[49:50]
	s_waitcnt vmcnt(0)
	v_fma_f64 v[1:2], v[1:2], v[51:52], -v[54:55]
	v_fma_f64 v[3:4], v[3:4], v[51:52], v[49:50]
.LBB84_62:
	s_and_saveexec_b32 s28, s4
	s_cbranch_execz .LBB84_66
; %bb.63:
	v_add_nc_u32_e32 v49, -13, v0
	s_movk_i32 s29, 0x220
	s_mov_b32 s4, 0
	s_mov_b32 s30, s14
	.p2align	6
.LBB84_64:                              ; =>This Inner Loop Header: Depth=1
	v_mov_b32_e32 v52, s30
	v_add_nc_u32_e32 v49, -1, v49
	s_add_i32 s30, s30, 16
	s_clause 0x3
	buffer_load_dword v50, v52, s[0:3], 0 offen offset:8
	buffer_load_dword v51, v52, s[0:3], 0 offen offset:12
	buffer_load_dword v58, v52, s[0:3], 0 offen
	buffer_load_dword v59, v52, s[0:3], 0 offen offset:4
	v_mov_b32_e32 v52, s29
	v_cmp_eq_u32_e32 vcc_lo, 0, v49
	s_add_i32 s29, s29, 16
	ds_read_b128 v[54:57], v52
	s_or_b32 s4, vcc_lo, s4
	s_waitcnt vmcnt(2) lgkmcnt(0)
	v_mul_f64 v[60:61], v[56:57], v[50:51]
	v_mul_f64 v[50:51], v[54:55], v[50:51]
	s_waitcnt vmcnt(0)
	v_fma_f64 v[54:55], v[54:55], v[58:59], -v[60:61]
	v_fma_f64 v[50:51], v[56:57], v[58:59], v[50:51]
	v_add_f64 v[1:2], v[1:2], v[54:55]
	v_add_f64 v[3:4], v[3:4], v[50:51]
	s_andn2_b32 exec_lo, exec_lo, s4
	s_cbranch_execnz .LBB84_64
; %bb.65:
	s_or_b32 exec_lo, exec_lo, s4
.LBB84_66:
	s_or_b32 exec_lo, exec_lo, s28
	v_mov_b32_e32 v49, 0
	ds_read_b128 v[49:52], v49 offset:192
	s_waitcnt lgkmcnt(0)
	v_mul_f64 v[54:55], v[3:4], v[51:52]
	v_mul_f64 v[51:52], v[1:2], v[51:52]
	v_fma_f64 v[1:2], v[1:2], v[49:50], -v[54:55]
	v_fma_f64 v[3:4], v[3:4], v[49:50], v[51:52]
	buffer_store_dword v2, off, s[0:3], 0 offset:196
	buffer_store_dword v1, off, s[0:3], 0 offset:192
	;; [unrolled: 1-line block ×4, first 2 shown]
.LBB84_67:
	s_or_b32 exec_lo, exec_lo, s8
	v_mov_b32_e32 v4, s16
	v_cmp_lt_u32_e64 s4, 11, v0
	s_clause 0x3
	buffer_load_dword v1, v4, s[0:3], 0 offen
	buffer_load_dword v2, v4, s[0:3], 0 offen offset:4
	buffer_load_dword v3, v4, s[0:3], 0 offen offset:8
	;; [unrolled: 1-line block ×3, first 2 shown]
	s_waitcnt vmcnt(0)
	ds_write_b128 v48, v[1:4]
	s_waitcnt lgkmcnt(0)
	s_waitcnt_vscnt null, 0x0
	s_barrier
	buffer_gl0_inv
	s_and_saveexec_b32 s8, s4
	s_cbranch_execz .LBB84_75
; %bb.68:
	ds_read_b128 v[1:4], v48
	s_andn2_b32 vcc_lo, exec_lo, s27
	s_cbranch_vccnz .LBB84_70
; %bb.69:
	s_clause 0x3
	buffer_load_dword v49, v47, s[0:3], 0 offen offset:8
	buffer_load_dword v50, v47, s[0:3], 0 offen offset:12
	buffer_load_dword v51, v47, s[0:3], 0 offen
	buffer_load_dword v52, v47, s[0:3], 0 offen offset:4
	s_waitcnt vmcnt(2) lgkmcnt(0)
	v_mul_f64 v[54:55], v[3:4], v[49:50]
	v_mul_f64 v[49:50], v[1:2], v[49:50]
	s_waitcnt vmcnt(0)
	v_fma_f64 v[1:2], v[1:2], v[51:52], -v[54:55]
	v_fma_f64 v[3:4], v[3:4], v[51:52], v[49:50]
.LBB84_70:
	s_and_saveexec_b32 s28, s5
	s_cbranch_execz .LBB84_74
; %bb.71:
	v_add_nc_u32_e32 v49, -12, v0
	s_movk_i32 s29, 0x210
	s_mov_b32 s5, 0
	s_mov_b32 s30, s15
	.p2align	6
.LBB84_72:                              ; =>This Inner Loop Header: Depth=1
	v_mov_b32_e32 v52, s30
	v_add_nc_u32_e32 v49, -1, v49
	s_add_i32 s30, s30, 16
	s_clause 0x3
	buffer_load_dword v50, v52, s[0:3], 0 offen offset:8
	buffer_load_dword v51, v52, s[0:3], 0 offen offset:12
	buffer_load_dword v58, v52, s[0:3], 0 offen
	buffer_load_dword v59, v52, s[0:3], 0 offen offset:4
	v_mov_b32_e32 v52, s29
	v_cmp_eq_u32_e32 vcc_lo, 0, v49
	s_add_i32 s29, s29, 16
	ds_read_b128 v[54:57], v52
	s_or_b32 s5, vcc_lo, s5
	s_waitcnt vmcnt(2) lgkmcnt(0)
	v_mul_f64 v[60:61], v[56:57], v[50:51]
	v_mul_f64 v[50:51], v[54:55], v[50:51]
	s_waitcnt vmcnt(0)
	v_fma_f64 v[54:55], v[54:55], v[58:59], -v[60:61]
	v_fma_f64 v[50:51], v[56:57], v[58:59], v[50:51]
	v_add_f64 v[1:2], v[1:2], v[54:55]
	v_add_f64 v[3:4], v[3:4], v[50:51]
	s_andn2_b32 exec_lo, exec_lo, s5
	s_cbranch_execnz .LBB84_72
; %bb.73:
	s_or_b32 exec_lo, exec_lo, s5
.LBB84_74:
	s_or_b32 exec_lo, exec_lo, s28
	v_mov_b32_e32 v49, 0
	ds_read_b128 v[49:52], v49 offset:176
	s_waitcnt lgkmcnt(0)
	v_mul_f64 v[54:55], v[3:4], v[51:52]
	v_mul_f64 v[51:52], v[1:2], v[51:52]
	v_fma_f64 v[1:2], v[1:2], v[49:50], -v[54:55]
	v_fma_f64 v[3:4], v[3:4], v[49:50], v[51:52]
	buffer_store_dword v2, off, s[0:3], 0 offset:180
	buffer_store_dword v1, off, s[0:3], 0 offset:176
	;; [unrolled: 1-line block ×4, first 2 shown]
.LBB84_75:
	s_or_b32 exec_lo, exec_lo, s8
	v_mov_b32_e32 v4, s17
	v_cmp_lt_u32_e64 s5, 10, v0
	s_clause 0x3
	buffer_load_dword v1, v4, s[0:3], 0 offen
	buffer_load_dword v2, v4, s[0:3], 0 offen offset:4
	buffer_load_dword v3, v4, s[0:3], 0 offen offset:8
	;; [unrolled: 1-line block ×3, first 2 shown]
	s_waitcnt vmcnt(0)
	ds_write_b128 v48, v[1:4]
	s_waitcnt lgkmcnt(0)
	s_waitcnt_vscnt null, 0x0
	s_barrier
	buffer_gl0_inv
	s_and_saveexec_b32 s8, s5
	s_cbranch_execz .LBB84_83
; %bb.76:
	ds_read_b128 v[1:4], v48
	s_andn2_b32 vcc_lo, exec_lo, s27
	s_cbranch_vccnz .LBB84_78
; %bb.77:
	s_clause 0x3
	buffer_load_dword v49, v47, s[0:3], 0 offen offset:8
	buffer_load_dword v50, v47, s[0:3], 0 offen offset:12
	buffer_load_dword v51, v47, s[0:3], 0 offen
	buffer_load_dword v52, v47, s[0:3], 0 offen offset:4
	s_waitcnt vmcnt(2) lgkmcnt(0)
	v_mul_f64 v[54:55], v[3:4], v[49:50]
	v_mul_f64 v[49:50], v[1:2], v[49:50]
	s_waitcnt vmcnt(0)
	v_fma_f64 v[1:2], v[1:2], v[51:52], -v[54:55]
	v_fma_f64 v[3:4], v[3:4], v[51:52], v[49:50]
.LBB84_78:
	s_and_saveexec_b32 s28, s4
	s_cbranch_execz .LBB84_82
; %bb.79:
	v_add_nc_u32_e32 v49, -11, v0
	s_movk_i32 s29, 0x200
	s_mov_b32 s4, 0
	s_mov_b32 s30, s16
	.p2align	6
.LBB84_80:                              ; =>This Inner Loop Header: Depth=1
	v_mov_b32_e32 v52, s30
	v_add_nc_u32_e32 v49, -1, v49
	s_add_i32 s30, s30, 16
	s_clause 0x3
	buffer_load_dword v50, v52, s[0:3], 0 offen offset:8
	buffer_load_dword v51, v52, s[0:3], 0 offen offset:12
	buffer_load_dword v58, v52, s[0:3], 0 offen
	buffer_load_dword v59, v52, s[0:3], 0 offen offset:4
	v_mov_b32_e32 v52, s29
	v_cmp_eq_u32_e32 vcc_lo, 0, v49
	s_add_i32 s29, s29, 16
	ds_read_b128 v[54:57], v52
	s_or_b32 s4, vcc_lo, s4
	s_waitcnt vmcnt(2) lgkmcnt(0)
	v_mul_f64 v[60:61], v[56:57], v[50:51]
	v_mul_f64 v[50:51], v[54:55], v[50:51]
	s_waitcnt vmcnt(0)
	v_fma_f64 v[54:55], v[54:55], v[58:59], -v[60:61]
	v_fma_f64 v[50:51], v[56:57], v[58:59], v[50:51]
	v_add_f64 v[1:2], v[1:2], v[54:55]
	v_add_f64 v[3:4], v[3:4], v[50:51]
	s_andn2_b32 exec_lo, exec_lo, s4
	s_cbranch_execnz .LBB84_80
; %bb.81:
	s_or_b32 exec_lo, exec_lo, s4
.LBB84_82:
	s_or_b32 exec_lo, exec_lo, s28
	v_mov_b32_e32 v49, 0
	ds_read_b128 v[49:52], v49 offset:160
	s_waitcnt lgkmcnt(0)
	v_mul_f64 v[54:55], v[3:4], v[51:52]
	v_mul_f64 v[51:52], v[1:2], v[51:52]
	v_fma_f64 v[1:2], v[1:2], v[49:50], -v[54:55]
	v_fma_f64 v[3:4], v[3:4], v[49:50], v[51:52]
	buffer_store_dword v2, off, s[0:3], 0 offset:164
	buffer_store_dword v1, off, s[0:3], 0 offset:160
	;; [unrolled: 1-line block ×4, first 2 shown]
.LBB84_83:
	s_or_b32 exec_lo, exec_lo, s8
	v_mov_b32_e32 v4, s18
	v_cmp_lt_u32_e64 s4, 9, v0
	s_clause 0x3
	buffer_load_dword v1, v4, s[0:3], 0 offen
	buffer_load_dword v2, v4, s[0:3], 0 offen offset:4
	buffer_load_dword v3, v4, s[0:3], 0 offen offset:8
	;; [unrolled: 1-line block ×3, first 2 shown]
	s_waitcnt vmcnt(0)
	ds_write_b128 v48, v[1:4]
	s_waitcnt lgkmcnt(0)
	s_waitcnt_vscnt null, 0x0
	s_barrier
	buffer_gl0_inv
	s_and_saveexec_b32 s8, s4
	s_cbranch_execz .LBB84_91
; %bb.84:
	ds_read_b128 v[1:4], v48
	s_andn2_b32 vcc_lo, exec_lo, s27
	s_cbranch_vccnz .LBB84_86
; %bb.85:
	s_clause 0x3
	buffer_load_dword v49, v47, s[0:3], 0 offen offset:8
	buffer_load_dword v50, v47, s[0:3], 0 offen offset:12
	buffer_load_dword v51, v47, s[0:3], 0 offen
	buffer_load_dword v52, v47, s[0:3], 0 offen offset:4
	s_waitcnt vmcnt(2) lgkmcnt(0)
	v_mul_f64 v[54:55], v[3:4], v[49:50]
	v_mul_f64 v[49:50], v[1:2], v[49:50]
	s_waitcnt vmcnt(0)
	v_fma_f64 v[1:2], v[1:2], v[51:52], -v[54:55]
	v_fma_f64 v[3:4], v[3:4], v[51:52], v[49:50]
.LBB84_86:
	s_and_saveexec_b32 s28, s5
	s_cbranch_execz .LBB84_90
; %bb.87:
	v_add_nc_u32_e32 v49, -10, v0
	s_movk_i32 s29, 0x1f0
	s_mov_b32 s5, 0
	s_mov_b32 s30, s17
	.p2align	6
.LBB84_88:                              ; =>This Inner Loop Header: Depth=1
	v_mov_b32_e32 v52, s30
	v_add_nc_u32_e32 v49, -1, v49
	s_add_i32 s30, s30, 16
	s_clause 0x3
	buffer_load_dword v50, v52, s[0:3], 0 offen offset:8
	buffer_load_dword v51, v52, s[0:3], 0 offen offset:12
	buffer_load_dword v58, v52, s[0:3], 0 offen
	buffer_load_dword v59, v52, s[0:3], 0 offen offset:4
	v_mov_b32_e32 v52, s29
	v_cmp_eq_u32_e32 vcc_lo, 0, v49
	s_add_i32 s29, s29, 16
	ds_read_b128 v[54:57], v52
	s_or_b32 s5, vcc_lo, s5
	s_waitcnt vmcnt(2) lgkmcnt(0)
	v_mul_f64 v[60:61], v[56:57], v[50:51]
	v_mul_f64 v[50:51], v[54:55], v[50:51]
	s_waitcnt vmcnt(0)
	v_fma_f64 v[54:55], v[54:55], v[58:59], -v[60:61]
	v_fma_f64 v[50:51], v[56:57], v[58:59], v[50:51]
	v_add_f64 v[1:2], v[1:2], v[54:55]
	v_add_f64 v[3:4], v[3:4], v[50:51]
	s_andn2_b32 exec_lo, exec_lo, s5
	s_cbranch_execnz .LBB84_88
; %bb.89:
	s_or_b32 exec_lo, exec_lo, s5
.LBB84_90:
	s_or_b32 exec_lo, exec_lo, s28
	v_mov_b32_e32 v49, 0
	ds_read_b128 v[49:52], v49 offset:144
	s_waitcnt lgkmcnt(0)
	v_mul_f64 v[54:55], v[3:4], v[51:52]
	v_mul_f64 v[51:52], v[1:2], v[51:52]
	v_fma_f64 v[1:2], v[1:2], v[49:50], -v[54:55]
	v_fma_f64 v[3:4], v[3:4], v[49:50], v[51:52]
	buffer_store_dword v2, off, s[0:3], 0 offset:148
	buffer_store_dword v1, off, s[0:3], 0 offset:144
	;; [unrolled: 1-line block ×4, first 2 shown]
.LBB84_91:
	s_or_b32 exec_lo, exec_lo, s8
	v_mov_b32_e32 v4, s19
	v_cmp_lt_u32_e64 s5, 8, v0
	s_clause 0x3
	buffer_load_dword v1, v4, s[0:3], 0 offen
	buffer_load_dword v2, v4, s[0:3], 0 offen offset:4
	buffer_load_dword v3, v4, s[0:3], 0 offen offset:8
	;; [unrolled: 1-line block ×3, first 2 shown]
	s_waitcnt vmcnt(0)
	ds_write_b128 v48, v[1:4]
	s_waitcnt lgkmcnt(0)
	s_waitcnt_vscnt null, 0x0
	s_barrier
	buffer_gl0_inv
	s_and_saveexec_b32 s8, s5
	s_cbranch_execz .LBB84_99
; %bb.92:
	ds_read_b128 v[1:4], v48
	s_andn2_b32 vcc_lo, exec_lo, s27
	s_cbranch_vccnz .LBB84_94
; %bb.93:
	s_clause 0x3
	buffer_load_dword v49, v47, s[0:3], 0 offen offset:8
	buffer_load_dword v50, v47, s[0:3], 0 offen offset:12
	buffer_load_dword v51, v47, s[0:3], 0 offen
	buffer_load_dword v52, v47, s[0:3], 0 offen offset:4
	s_waitcnt vmcnt(2) lgkmcnt(0)
	v_mul_f64 v[54:55], v[3:4], v[49:50]
	v_mul_f64 v[49:50], v[1:2], v[49:50]
	s_waitcnt vmcnt(0)
	v_fma_f64 v[1:2], v[1:2], v[51:52], -v[54:55]
	v_fma_f64 v[3:4], v[3:4], v[51:52], v[49:50]
.LBB84_94:
	s_and_saveexec_b32 s28, s4
	s_cbranch_execz .LBB84_98
; %bb.95:
	v_add_nc_u32_e32 v49, -9, v0
	s_movk_i32 s29, 0x1e0
	s_mov_b32 s4, 0
	s_mov_b32 s30, s18
	.p2align	6
.LBB84_96:                              ; =>This Inner Loop Header: Depth=1
	v_mov_b32_e32 v52, s30
	v_add_nc_u32_e32 v49, -1, v49
	s_add_i32 s30, s30, 16
	s_clause 0x3
	buffer_load_dword v50, v52, s[0:3], 0 offen offset:8
	buffer_load_dword v51, v52, s[0:3], 0 offen offset:12
	buffer_load_dword v58, v52, s[0:3], 0 offen
	buffer_load_dword v59, v52, s[0:3], 0 offen offset:4
	v_mov_b32_e32 v52, s29
	v_cmp_eq_u32_e32 vcc_lo, 0, v49
	s_add_i32 s29, s29, 16
	ds_read_b128 v[54:57], v52
	s_or_b32 s4, vcc_lo, s4
	s_waitcnt vmcnt(2) lgkmcnt(0)
	v_mul_f64 v[60:61], v[56:57], v[50:51]
	v_mul_f64 v[50:51], v[54:55], v[50:51]
	s_waitcnt vmcnt(0)
	v_fma_f64 v[54:55], v[54:55], v[58:59], -v[60:61]
	v_fma_f64 v[50:51], v[56:57], v[58:59], v[50:51]
	v_add_f64 v[1:2], v[1:2], v[54:55]
	v_add_f64 v[3:4], v[3:4], v[50:51]
	s_andn2_b32 exec_lo, exec_lo, s4
	s_cbranch_execnz .LBB84_96
; %bb.97:
	s_or_b32 exec_lo, exec_lo, s4
.LBB84_98:
	s_or_b32 exec_lo, exec_lo, s28
	v_mov_b32_e32 v49, 0
	ds_read_b128 v[49:52], v49 offset:128
	s_waitcnt lgkmcnt(0)
	v_mul_f64 v[54:55], v[3:4], v[51:52]
	v_mul_f64 v[51:52], v[1:2], v[51:52]
	v_fma_f64 v[1:2], v[1:2], v[49:50], -v[54:55]
	v_fma_f64 v[3:4], v[3:4], v[49:50], v[51:52]
	buffer_store_dword v2, off, s[0:3], 0 offset:132
	buffer_store_dword v1, off, s[0:3], 0 offset:128
	;; [unrolled: 1-line block ×4, first 2 shown]
.LBB84_99:
	s_or_b32 exec_lo, exec_lo, s8
	v_mov_b32_e32 v4, s20
	v_cmp_lt_u32_e64 s4, 7, v0
	s_clause 0x3
	buffer_load_dword v1, v4, s[0:3], 0 offen
	buffer_load_dword v2, v4, s[0:3], 0 offen offset:4
	buffer_load_dword v3, v4, s[0:3], 0 offen offset:8
	;; [unrolled: 1-line block ×3, first 2 shown]
	s_waitcnt vmcnt(0)
	ds_write_b128 v48, v[1:4]
	s_waitcnt lgkmcnt(0)
	s_waitcnt_vscnt null, 0x0
	s_barrier
	buffer_gl0_inv
	s_and_saveexec_b32 s8, s4
	s_cbranch_execz .LBB84_107
; %bb.100:
	ds_read_b128 v[1:4], v48
	s_andn2_b32 vcc_lo, exec_lo, s27
	s_cbranch_vccnz .LBB84_102
; %bb.101:
	s_clause 0x3
	buffer_load_dword v49, v47, s[0:3], 0 offen offset:8
	buffer_load_dword v50, v47, s[0:3], 0 offen offset:12
	buffer_load_dword v51, v47, s[0:3], 0 offen
	buffer_load_dword v52, v47, s[0:3], 0 offen offset:4
	s_waitcnt vmcnt(2) lgkmcnt(0)
	v_mul_f64 v[54:55], v[3:4], v[49:50]
	v_mul_f64 v[49:50], v[1:2], v[49:50]
	s_waitcnt vmcnt(0)
	v_fma_f64 v[1:2], v[1:2], v[51:52], -v[54:55]
	v_fma_f64 v[3:4], v[3:4], v[51:52], v[49:50]
.LBB84_102:
	s_and_saveexec_b32 s28, s5
	s_cbranch_execz .LBB84_106
; %bb.103:
	v_add_nc_u32_e32 v49, -8, v0
	s_movk_i32 s29, 0x1d0
	s_mov_b32 s5, 0
	s_mov_b32 s30, s19
	.p2align	6
.LBB84_104:                             ; =>This Inner Loop Header: Depth=1
	v_mov_b32_e32 v52, s30
	v_add_nc_u32_e32 v49, -1, v49
	s_add_i32 s30, s30, 16
	s_clause 0x3
	buffer_load_dword v50, v52, s[0:3], 0 offen offset:8
	buffer_load_dword v51, v52, s[0:3], 0 offen offset:12
	buffer_load_dword v58, v52, s[0:3], 0 offen
	buffer_load_dword v59, v52, s[0:3], 0 offen offset:4
	v_mov_b32_e32 v52, s29
	v_cmp_eq_u32_e32 vcc_lo, 0, v49
	s_add_i32 s29, s29, 16
	ds_read_b128 v[54:57], v52
	s_or_b32 s5, vcc_lo, s5
	s_waitcnt vmcnt(2) lgkmcnt(0)
	v_mul_f64 v[60:61], v[56:57], v[50:51]
	v_mul_f64 v[50:51], v[54:55], v[50:51]
	s_waitcnt vmcnt(0)
	v_fma_f64 v[54:55], v[54:55], v[58:59], -v[60:61]
	v_fma_f64 v[50:51], v[56:57], v[58:59], v[50:51]
	v_add_f64 v[1:2], v[1:2], v[54:55]
	v_add_f64 v[3:4], v[3:4], v[50:51]
	s_andn2_b32 exec_lo, exec_lo, s5
	s_cbranch_execnz .LBB84_104
; %bb.105:
	s_or_b32 exec_lo, exec_lo, s5
.LBB84_106:
	s_or_b32 exec_lo, exec_lo, s28
	v_mov_b32_e32 v49, 0
	ds_read_b128 v[49:52], v49 offset:112
	s_waitcnt lgkmcnt(0)
	v_mul_f64 v[54:55], v[3:4], v[51:52]
	v_mul_f64 v[51:52], v[1:2], v[51:52]
	v_fma_f64 v[1:2], v[1:2], v[49:50], -v[54:55]
	v_fma_f64 v[3:4], v[3:4], v[49:50], v[51:52]
	buffer_store_dword v2, off, s[0:3], 0 offset:116
	buffer_store_dword v1, off, s[0:3], 0 offset:112
	;; [unrolled: 1-line block ×4, first 2 shown]
.LBB84_107:
	s_or_b32 exec_lo, exec_lo, s8
	v_mov_b32_e32 v4, s21
	v_cmp_lt_u32_e64 s5, 6, v0
	s_clause 0x3
	buffer_load_dword v1, v4, s[0:3], 0 offen
	buffer_load_dword v2, v4, s[0:3], 0 offen offset:4
	buffer_load_dword v3, v4, s[0:3], 0 offen offset:8
	buffer_load_dword v4, v4, s[0:3], 0 offen offset:12
	s_waitcnt vmcnt(0)
	ds_write_b128 v48, v[1:4]
	s_waitcnt lgkmcnt(0)
	s_waitcnt_vscnt null, 0x0
	s_barrier
	buffer_gl0_inv
	s_and_saveexec_b32 s8, s5
	s_cbranch_execz .LBB84_115
; %bb.108:
	ds_read_b128 v[1:4], v48
	s_andn2_b32 vcc_lo, exec_lo, s27
	s_cbranch_vccnz .LBB84_110
; %bb.109:
	s_clause 0x3
	buffer_load_dword v49, v47, s[0:3], 0 offen offset:8
	buffer_load_dword v50, v47, s[0:3], 0 offen offset:12
	buffer_load_dword v51, v47, s[0:3], 0 offen
	buffer_load_dword v52, v47, s[0:3], 0 offen offset:4
	s_waitcnt vmcnt(2) lgkmcnt(0)
	v_mul_f64 v[54:55], v[3:4], v[49:50]
	v_mul_f64 v[49:50], v[1:2], v[49:50]
	s_waitcnt vmcnt(0)
	v_fma_f64 v[1:2], v[1:2], v[51:52], -v[54:55]
	v_fma_f64 v[3:4], v[3:4], v[51:52], v[49:50]
.LBB84_110:
	s_and_saveexec_b32 s28, s4
	s_cbranch_execz .LBB84_114
; %bb.111:
	v_add_nc_u32_e32 v49, -7, v0
	s_movk_i32 s29, 0x1c0
	s_mov_b32 s4, 0
	s_mov_b32 s30, s20
	.p2align	6
.LBB84_112:                             ; =>This Inner Loop Header: Depth=1
	v_mov_b32_e32 v52, s30
	v_add_nc_u32_e32 v49, -1, v49
	s_add_i32 s30, s30, 16
	s_clause 0x3
	buffer_load_dword v50, v52, s[0:3], 0 offen offset:8
	buffer_load_dword v51, v52, s[0:3], 0 offen offset:12
	buffer_load_dword v58, v52, s[0:3], 0 offen
	buffer_load_dword v59, v52, s[0:3], 0 offen offset:4
	v_mov_b32_e32 v52, s29
	v_cmp_eq_u32_e32 vcc_lo, 0, v49
	s_add_i32 s29, s29, 16
	ds_read_b128 v[54:57], v52
	s_or_b32 s4, vcc_lo, s4
	s_waitcnt vmcnt(2) lgkmcnt(0)
	v_mul_f64 v[60:61], v[56:57], v[50:51]
	v_mul_f64 v[50:51], v[54:55], v[50:51]
	s_waitcnt vmcnt(0)
	v_fma_f64 v[54:55], v[54:55], v[58:59], -v[60:61]
	v_fma_f64 v[50:51], v[56:57], v[58:59], v[50:51]
	v_add_f64 v[1:2], v[1:2], v[54:55]
	v_add_f64 v[3:4], v[3:4], v[50:51]
	s_andn2_b32 exec_lo, exec_lo, s4
	s_cbranch_execnz .LBB84_112
; %bb.113:
	s_or_b32 exec_lo, exec_lo, s4
.LBB84_114:
	s_or_b32 exec_lo, exec_lo, s28
	v_mov_b32_e32 v49, 0
	ds_read_b128 v[49:52], v49 offset:96
	s_waitcnt lgkmcnt(0)
	v_mul_f64 v[54:55], v[3:4], v[51:52]
	v_mul_f64 v[51:52], v[1:2], v[51:52]
	v_fma_f64 v[1:2], v[1:2], v[49:50], -v[54:55]
	v_fma_f64 v[3:4], v[3:4], v[49:50], v[51:52]
	buffer_store_dword v2, off, s[0:3], 0 offset:100
	buffer_store_dword v1, off, s[0:3], 0 offset:96
	;; [unrolled: 1-line block ×4, first 2 shown]
.LBB84_115:
	s_or_b32 exec_lo, exec_lo, s8
	v_mov_b32_e32 v4, s22
	v_cmp_lt_u32_e64 s4, 5, v0
	s_clause 0x3
	buffer_load_dword v1, v4, s[0:3], 0 offen
	buffer_load_dword v2, v4, s[0:3], 0 offen offset:4
	buffer_load_dword v3, v4, s[0:3], 0 offen offset:8
	;; [unrolled: 1-line block ×3, first 2 shown]
	s_waitcnt vmcnt(0)
	ds_write_b128 v48, v[1:4]
	s_waitcnt lgkmcnt(0)
	s_waitcnt_vscnt null, 0x0
	s_barrier
	buffer_gl0_inv
	s_and_saveexec_b32 s8, s4
	s_cbranch_execz .LBB84_123
; %bb.116:
	ds_read_b128 v[1:4], v48
	s_andn2_b32 vcc_lo, exec_lo, s27
	s_cbranch_vccnz .LBB84_118
; %bb.117:
	s_clause 0x3
	buffer_load_dword v49, v47, s[0:3], 0 offen offset:8
	buffer_load_dword v50, v47, s[0:3], 0 offen offset:12
	buffer_load_dword v51, v47, s[0:3], 0 offen
	buffer_load_dword v52, v47, s[0:3], 0 offen offset:4
	s_waitcnt vmcnt(2) lgkmcnt(0)
	v_mul_f64 v[54:55], v[3:4], v[49:50]
	v_mul_f64 v[49:50], v[1:2], v[49:50]
	s_waitcnt vmcnt(0)
	v_fma_f64 v[1:2], v[1:2], v[51:52], -v[54:55]
	v_fma_f64 v[3:4], v[3:4], v[51:52], v[49:50]
.LBB84_118:
	s_and_saveexec_b32 s28, s5
	s_cbranch_execz .LBB84_122
; %bb.119:
	v_add_nc_u32_e32 v49, -6, v0
	s_movk_i32 s29, 0x1b0
	s_mov_b32 s5, 0
	s_mov_b32 s30, s21
	.p2align	6
.LBB84_120:                             ; =>This Inner Loop Header: Depth=1
	v_mov_b32_e32 v52, s30
	v_add_nc_u32_e32 v49, -1, v49
	s_add_i32 s30, s30, 16
	s_clause 0x3
	buffer_load_dword v50, v52, s[0:3], 0 offen offset:8
	buffer_load_dword v51, v52, s[0:3], 0 offen offset:12
	buffer_load_dword v58, v52, s[0:3], 0 offen
	buffer_load_dword v59, v52, s[0:3], 0 offen offset:4
	v_mov_b32_e32 v52, s29
	v_cmp_eq_u32_e32 vcc_lo, 0, v49
	s_add_i32 s29, s29, 16
	ds_read_b128 v[54:57], v52
	s_or_b32 s5, vcc_lo, s5
	s_waitcnt vmcnt(2) lgkmcnt(0)
	v_mul_f64 v[60:61], v[56:57], v[50:51]
	v_mul_f64 v[50:51], v[54:55], v[50:51]
	s_waitcnt vmcnt(0)
	v_fma_f64 v[54:55], v[54:55], v[58:59], -v[60:61]
	v_fma_f64 v[50:51], v[56:57], v[58:59], v[50:51]
	v_add_f64 v[1:2], v[1:2], v[54:55]
	v_add_f64 v[3:4], v[3:4], v[50:51]
	s_andn2_b32 exec_lo, exec_lo, s5
	s_cbranch_execnz .LBB84_120
; %bb.121:
	s_or_b32 exec_lo, exec_lo, s5
.LBB84_122:
	s_or_b32 exec_lo, exec_lo, s28
	v_mov_b32_e32 v49, 0
	ds_read_b128 v[49:52], v49 offset:80
	s_waitcnt lgkmcnt(0)
	v_mul_f64 v[54:55], v[3:4], v[51:52]
	v_mul_f64 v[51:52], v[1:2], v[51:52]
	v_fma_f64 v[1:2], v[1:2], v[49:50], -v[54:55]
	v_fma_f64 v[3:4], v[3:4], v[49:50], v[51:52]
	buffer_store_dword v2, off, s[0:3], 0 offset:84
	buffer_store_dword v1, off, s[0:3], 0 offset:80
	;; [unrolled: 1-line block ×4, first 2 shown]
.LBB84_123:
	s_or_b32 exec_lo, exec_lo, s8
	v_mov_b32_e32 v4, s23
	v_cmp_lt_u32_e64 s5, 4, v0
	s_clause 0x3
	buffer_load_dword v1, v4, s[0:3], 0 offen
	buffer_load_dword v2, v4, s[0:3], 0 offen offset:4
	buffer_load_dword v3, v4, s[0:3], 0 offen offset:8
	;; [unrolled: 1-line block ×3, first 2 shown]
	s_waitcnt vmcnt(0)
	ds_write_b128 v48, v[1:4]
	s_waitcnt lgkmcnt(0)
	s_waitcnt_vscnt null, 0x0
	s_barrier
	buffer_gl0_inv
	s_and_saveexec_b32 s8, s5
	s_cbranch_execz .LBB84_131
; %bb.124:
	ds_read_b128 v[1:4], v48
	s_andn2_b32 vcc_lo, exec_lo, s27
	s_cbranch_vccnz .LBB84_126
; %bb.125:
	s_clause 0x3
	buffer_load_dword v49, v47, s[0:3], 0 offen offset:8
	buffer_load_dword v50, v47, s[0:3], 0 offen offset:12
	buffer_load_dword v51, v47, s[0:3], 0 offen
	buffer_load_dword v52, v47, s[0:3], 0 offen offset:4
	s_waitcnt vmcnt(2) lgkmcnt(0)
	v_mul_f64 v[54:55], v[3:4], v[49:50]
	v_mul_f64 v[49:50], v[1:2], v[49:50]
	s_waitcnt vmcnt(0)
	v_fma_f64 v[1:2], v[1:2], v[51:52], -v[54:55]
	v_fma_f64 v[3:4], v[3:4], v[51:52], v[49:50]
.LBB84_126:
	s_and_saveexec_b32 s28, s4
	s_cbranch_execz .LBB84_130
; %bb.127:
	v_add_nc_u32_e32 v49, -5, v0
	s_movk_i32 s29, 0x1a0
	s_mov_b32 s4, 0
	s_mov_b32 s30, s22
	.p2align	6
.LBB84_128:                             ; =>This Inner Loop Header: Depth=1
	v_mov_b32_e32 v52, s30
	v_add_nc_u32_e32 v49, -1, v49
	s_add_i32 s30, s30, 16
	s_clause 0x3
	buffer_load_dword v50, v52, s[0:3], 0 offen offset:8
	buffer_load_dword v51, v52, s[0:3], 0 offen offset:12
	buffer_load_dword v58, v52, s[0:3], 0 offen
	buffer_load_dword v59, v52, s[0:3], 0 offen offset:4
	v_mov_b32_e32 v52, s29
	v_cmp_eq_u32_e32 vcc_lo, 0, v49
	s_add_i32 s29, s29, 16
	ds_read_b128 v[54:57], v52
	s_or_b32 s4, vcc_lo, s4
	s_waitcnt vmcnt(2) lgkmcnt(0)
	v_mul_f64 v[60:61], v[56:57], v[50:51]
	v_mul_f64 v[50:51], v[54:55], v[50:51]
	s_waitcnt vmcnt(0)
	v_fma_f64 v[54:55], v[54:55], v[58:59], -v[60:61]
	v_fma_f64 v[50:51], v[56:57], v[58:59], v[50:51]
	v_add_f64 v[1:2], v[1:2], v[54:55]
	v_add_f64 v[3:4], v[3:4], v[50:51]
	s_andn2_b32 exec_lo, exec_lo, s4
	s_cbranch_execnz .LBB84_128
; %bb.129:
	s_or_b32 exec_lo, exec_lo, s4
.LBB84_130:
	s_or_b32 exec_lo, exec_lo, s28
	v_mov_b32_e32 v49, 0
	ds_read_b128 v[49:52], v49 offset:64
	s_waitcnt lgkmcnt(0)
	v_mul_f64 v[54:55], v[3:4], v[51:52]
	v_mul_f64 v[51:52], v[1:2], v[51:52]
	v_fma_f64 v[1:2], v[1:2], v[49:50], -v[54:55]
	v_fma_f64 v[3:4], v[3:4], v[49:50], v[51:52]
	buffer_store_dword v2, off, s[0:3], 0 offset:68
	buffer_store_dword v1, off, s[0:3], 0 offset:64
	;; [unrolled: 1-line block ×4, first 2 shown]
.LBB84_131:
	s_or_b32 exec_lo, exec_lo, s8
	v_mov_b32_e32 v4, s24
	v_cmp_lt_u32_e64 s4, 3, v0
	s_clause 0x3
	buffer_load_dword v1, v4, s[0:3], 0 offen
	buffer_load_dword v2, v4, s[0:3], 0 offen offset:4
	buffer_load_dword v3, v4, s[0:3], 0 offen offset:8
	;; [unrolled: 1-line block ×3, first 2 shown]
	s_waitcnt vmcnt(0)
	ds_write_b128 v48, v[1:4]
	s_waitcnt lgkmcnt(0)
	s_waitcnt_vscnt null, 0x0
	s_barrier
	buffer_gl0_inv
	s_and_saveexec_b32 s8, s4
	s_cbranch_execz .LBB84_139
; %bb.132:
	ds_read_b128 v[1:4], v48
	s_andn2_b32 vcc_lo, exec_lo, s27
	s_cbranch_vccnz .LBB84_134
; %bb.133:
	s_clause 0x3
	buffer_load_dword v49, v47, s[0:3], 0 offen offset:8
	buffer_load_dword v50, v47, s[0:3], 0 offen offset:12
	buffer_load_dword v51, v47, s[0:3], 0 offen
	buffer_load_dword v52, v47, s[0:3], 0 offen offset:4
	s_waitcnt vmcnt(2) lgkmcnt(0)
	v_mul_f64 v[54:55], v[3:4], v[49:50]
	v_mul_f64 v[49:50], v[1:2], v[49:50]
	s_waitcnt vmcnt(0)
	v_fma_f64 v[1:2], v[1:2], v[51:52], -v[54:55]
	v_fma_f64 v[3:4], v[3:4], v[51:52], v[49:50]
.LBB84_134:
	s_and_saveexec_b32 s28, s5
	s_cbranch_execz .LBB84_138
; %bb.135:
	v_add_nc_u32_e32 v49, -4, v0
	s_movk_i32 s29, 0x190
	s_mov_b32 s5, 0
	s_mov_b32 s30, s23
	.p2align	6
.LBB84_136:                             ; =>This Inner Loop Header: Depth=1
	v_mov_b32_e32 v52, s30
	v_add_nc_u32_e32 v49, -1, v49
	s_add_i32 s30, s30, 16
	s_clause 0x3
	buffer_load_dword v50, v52, s[0:3], 0 offen offset:8
	buffer_load_dword v51, v52, s[0:3], 0 offen offset:12
	buffer_load_dword v58, v52, s[0:3], 0 offen
	buffer_load_dword v59, v52, s[0:3], 0 offen offset:4
	v_mov_b32_e32 v52, s29
	v_cmp_eq_u32_e32 vcc_lo, 0, v49
	s_add_i32 s29, s29, 16
	ds_read_b128 v[54:57], v52
	s_or_b32 s5, vcc_lo, s5
	s_waitcnt vmcnt(2) lgkmcnt(0)
	v_mul_f64 v[60:61], v[56:57], v[50:51]
	v_mul_f64 v[50:51], v[54:55], v[50:51]
	s_waitcnt vmcnt(0)
	v_fma_f64 v[54:55], v[54:55], v[58:59], -v[60:61]
	v_fma_f64 v[50:51], v[56:57], v[58:59], v[50:51]
	v_add_f64 v[1:2], v[1:2], v[54:55]
	v_add_f64 v[3:4], v[3:4], v[50:51]
	s_andn2_b32 exec_lo, exec_lo, s5
	s_cbranch_execnz .LBB84_136
; %bb.137:
	s_or_b32 exec_lo, exec_lo, s5
.LBB84_138:
	s_or_b32 exec_lo, exec_lo, s28
	v_mov_b32_e32 v49, 0
	ds_read_b128 v[49:52], v49 offset:48
	s_waitcnt lgkmcnt(0)
	v_mul_f64 v[54:55], v[3:4], v[51:52]
	v_mul_f64 v[51:52], v[1:2], v[51:52]
	v_fma_f64 v[1:2], v[1:2], v[49:50], -v[54:55]
	v_fma_f64 v[3:4], v[3:4], v[49:50], v[51:52]
	buffer_store_dword v2, off, s[0:3], 0 offset:52
	buffer_store_dword v1, off, s[0:3], 0 offset:48
	;; [unrolled: 1-line block ×4, first 2 shown]
.LBB84_139:
	s_or_b32 exec_lo, exec_lo, s8
	v_mov_b32_e32 v4, s25
	v_cmp_lt_u32_e64 s5, 2, v0
	s_clause 0x3
	buffer_load_dword v1, v4, s[0:3], 0 offen
	buffer_load_dword v2, v4, s[0:3], 0 offen offset:4
	buffer_load_dword v3, v4, s[0:3], 0 offen offset:8
	;; [unrolled: 1-line block ×3, first 2 shown]
	s_waitcnt vmcnt(0)
	ds_write_b128 v48, v[1:4]
	s_waitcnt lgkmcnt(0)
	s_waitcnt_vscnt null, 0x0
	s_barrier
	buffer_gl0_inv
	s_and_saveexec_b32 s8, s5
	s_cbranch_execz .LBB84_147
; %bb.140:
	ds_read_b128 v[1:4], v48
	s_andn2_b32 vcc_lo, exec_lo, s27
	s_cbranch_vccnz .LBB84_142
; %bb.141:
	s_clause 0x3
	buffer_load_dword v49, v47, s[0:3], 0 offen offset:8
	buffer_load_dword v50, v47, s[0:3], 0 offen offset:12
	buffer_load_dword v51, v47, s[0:3], 0 offen
	buffer_load_dword v52, v47, s[0:3], 0 offen offset:4
	s_waitcnt vmcnt(2) lgkmcnt(0)
	v_mul_f64 v[54:55], v[3:4], v[49:50]
	v_mul_f64 v[49:50], v[1:2], v[49:50]
	s_waitcnt vmcnt(0)
	v_fma_f64 v[1:2], v[1:2], v[51:52], -v[54:55]
	v_fma_f64 v[3:4], v[3:4], v[51:52], v[49:50]
.LBB84_142:
	s_and_saveexec_b32 s28, s4
	s_cbranch_execz .LBB84_146
; %bb.143:
	v_add_nc_u32_e32 v49, -3, v0
	s_movk_i32 s29, 0x180
	s_mov_b32 s4, 0
	s_mov_b32 s30, s24
	.p2align	6
.LBB84_144:                             ; =>This Inner Loop Header: Depth=1
	v_mov_b32_e32 v52, s30
	v_add_nc_u32_e32 v49, -1, v49
	s_add_i32 s30, s30, 16
	s_clause 0x3
	buffer_load_dword v50, v52, s[0:3], 0 offen offset:8
	buffer_load_dword v51, v52, s[0:3], 0 offen offset:12
	buffer_load_dword v58, v52, s[0:3], 0 offen
	buffer_load_dword v59, v52, s[0:3], 0 offen offset:4
	v_mov_b32_e32 v52, s29
	v_cmp_eq_u32_e32 vcc_lo, 0, v49
	s_add_i32 s29, s29, 16
	ds_read_b128 v[54:57], v52
	s_or_b32 s4, vcc_lo, s4
	s_waitcnt vmcnt(2) lgkmcnt(0)
	v_mul_f64 v[60:61], v[56:57], v[50:51]
	v_mul_f64 v[50:51], v[54:55], v[50:51]
	s_waitcnt vmcnt(0)
	v_fma_f64 v[54:55], v[54:55], v[58:59], -v[60:61]
	v_fma_f64 v[50:51], v[56:57], v[58:59], v[50:51]
	v_add_f64 v[1:2], v[1:2], v[54:55]
	v_add_f64 v[3:4], v[3:4], v[50:51]
	s_andn2_b32 exec_lo, exec_lo, s4
	s_cbranch_execnz .LBB84_144
; %bb.145:
	s_or_b32 exec_lo, exec_lo, s4
.LBB84_146:
	s_or_b32 exec_lo, exec_lo, s28
	v_mov_b32_e32 v49, 0
	ds_read_b128 v[49:52], v49 offset:32
	s_waitcnt lgkmcnt(0)
	v_mul_f64 v[54:55], v[3:4], v[51:52]
	v_mul_f64 v[51:52], v[1:2], v[51:52]
	v_fma_f64 v[1:2], v[1:2], v[49:50], -v[54:55]
	v_fma_f64 v[3:4], v[3:4], v[49:50], v[51:52]
	buffer_store_dword v2, off, s[0:3], 0 offset:36
	buffer_store_dword v1, off, s[0:3], 0 offset:32
	;; [unrolled: 1-line block ×4, first 2 shown]
.LBB84_147:
	s_or_b32 exec_lo, exec_lo, s8
	v_mov_b32_e32 v4, s26
	v_cmp_lt_u32_e64 s4, 1, v0
	s_clause 0x3
	buffer_load_dword v1, v4, s[0:3], 0 offen
	buffer_load_dword v2, v4, s[0:3], 0 offen offset:4
	buffer_load_dword v3, v4, s[0:3], 0 offen offset:8
	;; [unrolled: 1-line block ×3, first 2 shown]
	s_waitcnt vmcnt(0)
	ds_write_b128 v48, v[1:4]
	s_waitcnt lgkmcnt(0)
	s_waitcnt_vscnt null, 0x0
	s_barrier
	buffer_gl0_inv
	s_and_saveexec_b32 s8, s4
	s_cbranch_execz .LBB84_155
; %bb.148:
	ds_read_b128 v[1:4], v48
	s_andn2_b32 vcc_lo, exec_lo, s27
	s_cbranch_vccnz .LBB84_150
; %bb.149:
	s_clause 0x3
	buffer_load_dword v49, v47, s[0:3], 0 offen offset:8
	buffer_load_dword v50, v47, s[0:3], 0 offen offset:12
	buffer_load_dword v51, v47, s[0:3], 0 offen
	buffer_load_dword v52, v47, s[0:3], 0 offen offset:4
	s_waitcnt vmcnt(2) lgkmcnt(0)
	v_mul_f64 v[54:55], v[3:4], v[49:50]
	v_mul_f64 v[49:50], v[1:2], v[49:50]
	s_waitcnt vmcnt(0)
	v_fma_f64 v[1:2], v[1:2], v[51:52], -v[54:55]
	v_fma_f64 v[3:4], v[3:4], v[51:52], v[49:50]
.LBB84_150:
	s_and_saveexec_b32 s28, s5
	s_cbranch_execz .LBB84_154
; %bb.151:
	v_add_nc_u32_e32 v49, -2, v0
	s_movk_i32 s29, 0x170
	s_mov_b32 s5, 0
	s_mov_b32 s30, s25
	.p2align	6
.LBB84_152:                             ; =>This Inner Loop Header: Depth=1
	v_mov_b32_e32 v52, s30
	v_add_nc_u32_e32 v49, -1, v49
	s_add_i32 s30, s30, 16
	s_clause 0x3
	buffer_load_dword v50, v52, s[0:3], 0 offen offset:8
	buffer_load_dword v51, v52, s[0:3], 0 offen offset:12
	buffer_load_dword v58, v52, s[0:3], 0 offen
	buffer_load_dword v59, v52, s[0:3], 0 offen offset:4
	v_mov_b32_e32 v52, s29
	v_cmp_eq_u32_e32 vcc_lo, 0, v49
	s_add_i32 s29, s29, 16
	ds_read_b128 v[54:57], v52
	s_or_b32 s5, vcc_lo, s5
	s_waitcnt vmcnt(2) lgkmcnt(0)
	v_mul_f64 v[60:61], v[56:57], v[50:51]
	v_mul_f64 v[50:51], v[54:55], v[50:51]
	s_waitcnt vmcnt(0)
	v_fma_f64 v[54:55], v[54:55], v[58:59], -v[60:61]
	v_fma_f64 v[50:51], v[56:57], v[58:59], v[50:51]
	v_add_f64 v[1:2], v[1:2], v[54:55]
	v_add_f64 v[3:4], v[3:4], v[50:51]
	s_andn2_b32 exec_lo, exec_lo, s5
	s_cbranch_execnz .LBB84_152
; %bb.153:
	s_or_b32 exec_lo, exec_lo, s5
.LBB84_154:
	s_or_b32 exec_lo, exec_lo, s28
	v_mov_b32_e32 v49, 0
	ds_read_b128 v[49:52], v49 offset:16
	s_waitcnt lgkmcnt(0)
	v_mul_f64 v[54:55], v[3:4], v[51:52]
	v_mul_f64 v[51:52], v[1:2], v[51:52]
	v_fma_f64 v[1:2], v[1:2], v[49:50], -v[54:55]
	v_fma_f64 v[3:4], v[3:4], v[49:50], v[51:52]
	buffer_store_dword v2, off, s[0:3], 0 offset:20
	buffer_store_dword v1, off, s[0:3], 0 offset:16
	;; [unrolled: 1-line block ×4, first 2 shown]
.LBB84_155:
	s_or_b32 exec_lo, exec_lo, s8
	s_clause 0x3
	buffer_load_dword v1, off, s[0:3], 0
	buffer_load_dword v2, off, s[0:3], 0 offset:4
	buffer_load_dword v3, off, s[0:3], 0 offset:8
	;; [unrolled: 1-line block ×3, first 2 shown]
	s_mov_b32 s8, 0
	s_mov_b32 s5, 0
	s_mov_b32 s28, exec_lo
                                        ; implicit-def: $sgpr29
	s_waitcnt vmcnt(0)
	ds_write_b128 v48, v[1:4]
	s_waitcnt lgkmcnt(0)
	s_waitcnt_vscnt null, 0x0
	s_barrier
	buffer_gl0_inv
                                        ; implicit-def: $vgpr1_vgpr2
	v_cmpx_ne_u32_e32 0, v0
	s_cbranch_execz .LBB84_163
; %bb.156:
	ds_read_b128 v[1:4], v48
	s_andn2_b32 vcc_lo, exec_lo, s27
	s_cbranch_vccnz .LBB84_158
; %bb.157:
	s_clause 0x3
	buffer_load_dword v49, v47, s[0:3], 0 offen offset:8
	buffer_load_dword v50, v47, s[0:3], 0 offen offset:12
	buffer_load_dword v51, v47, s[0:3], 0 offen
	buffer_load_dword v52, v47, s[0:3], 0 offen offset:4
	s_waitcnt vmcnt(2) lgkmcnt(0)
	v_mul_f64 v[54:55], v[3:4], v[49:50]
	v_mul_f64 v[49:50], v[1:2], v[49:50]
	s_waitcnt vmcnt(0)
	v_fma_f64 v[1:2], v[1:2], v[51:52], -v[54:55]
	v_fma_f64 v[3:4], v[3:4], v[51:52], v[49:50]
.LBB84_158:
	s_and_saveexec_b32 s5, s4
	s_cbranch_execz .LBB84_162
; %bb.159:
	v_add_nc_u32_e32 v49, -1, v0
	s_movk_i32 s29, 0x160
	s_mov_b32 s4, 0
	s_mov_b32 s30, s26
	.p2align	6
.LBB84_160:                             ; =>This Inner Loop Header: Depth=1
	v_mov_b32_e32 v52, s30
	v_add_nc_u32_e32 v49, -1, v49
	s_add_i32 s30, s30, 16
	s_clause 0x3
	buffer_load_dword v50, v52, s[0:3], 0 offen offset:8
	buffer_load_dword v51, v52, s[0:3], 0 offen offset:12
	buffer_load_dword v58, v52, s[0:3], 0 offen
	buffer_load_dword v59, v52, s[0:3], 0 offen offset:4
	v_mov_b32_e32 v52, s29
	v_cmp_eq_u32_e32 vcc_lo, 0, v49
	s_add_i32 s29, s29, 16
	ds_read_b128 v[54:57], v52
	s_or_b32 s4, vcc_lo, s4
	s_waitcnt vmcnt(2) lgkmcnt(0)
	v_mul_f64 v[60:61], v[56:57], v[50:51]
	v_mul_f64 v[50:51], v[54:55], v[50:51]
	s_waitcnt vmcnt(0)
	v_fma_f64 v[54:55], v[54:55], v[58:59], -v[60:61]
	v_fma_f64 v[50:51], v[56:57], v[58:59], v[50:51]
	v_add_f64 v[1:2], v[1:2], v[54:55]
	v_add_f64 v[3:4], v[3:4], v[50:51]
	s_andn2_b32 exec_lo, exec_lo, s4
	s_cbranch_execnz .LBB84_160
; %bb.161:
	s_or_b32 exec_lo, exec_lo, s4
.LBB84_162:
	s_or_b32 exec_lo, exec_lo, s5
	v_mov_b32_e32 v49, 0
	s_mov_b32 s5, exec_lo
	s_or_b32 s29, 0, 8
	ds_read_b128 v[49:52], v49
	s_waitcnt lgkmcnt(0)
	v_mul_f64 v[54:55], v[3:4], v[51:52]
	v_mul_f64 v[51:52], v[1:2], v[51:52]
	v_fma_f64 v[54:55], v[1:2], v[49:50], -v[54:55]
	v_fma_f64 v[1:2], v[3:4], v[49:50], v[51:52]
	buffer_store_dword v55, off, s[0:3], 0 offset:4
	buffer_store_dword v54, off, s[0:3], 0
.LBB84_163:
	s_or_b32 exec_lo, exec_lo, s28
	s_and_b32 vcc_lo, exec_lo, s8
	s_cbranch_vccnz .LBB84_165
	s_branch .LBB84_320
.LBB84_164:
	s_mov_b32 s5, 0
                                        ; implicit-def: $vgpr1_vgpr2
                                        ; implicit-def: $sgpr29
	s_cbranch_execz .LBB84_320
.LBB84_165:
	v_mov_b32_e32 v4, s26
	v_cmp_eq_u32_e64 s4, 0, v0
	v_cndmask_b32_e64 v49, 0, 1, s27
	s_clause 0x3
	buffer_load_dword v1, v4, s[0:3], 0 offen
	buffer_load_dword v2, v4, s[0:3], 0 offen offset:4
	buffer_load_dword v3, v4, s[0:3], 0 offen offset:8
	;; [unrolled: 1-line block ×3, first 2 shown]
	s_waitcnt vmcnt(0)
	ds_write_b128 v48, v[1:4]
	s_waitcnt lgkmcnt(0)
	s_waitcnt_vscnt null, 0x0
	s_barrier
	buffer_gl0_inv
	s_and_saveexec_b32 s8, s4
	s_cbranch_execz .LBB84_169
; %bb.166:
	ds_read_b128 v[1:4], v48
	s_andn2_b32 vcc_lo, exec_lo, s27
	s_cbranch_vccnz .LBB84_168
; %bb.167:
	s_clause 0x3
	buffer_load_dword v50, v47, s[0:3], 0 offen offset:8
	buffer_load_dword v51, v47, s[0:3], 0 offen offset:12
	buffer_load_dword v54, v47, s[0:3], 0 offen
	buffer_load_dword v55, v47, s[0:3], 0 offen offset:4
	s_waitcnt vmcnt(2) lgkmcnt(0)
	v_mul_f64 v[56:57], v[3:4], v[50:51]
	v_mul_f64 v[50:51], v[1:2], v[50:51]
	s_waitcnt vmcnt(0)
	v_fma_f64 v[1:2], v[1:2], v[54:55], -v[56:57]
	v_fma_f64 v[3:4], v[3:4], v[54:55], v[50:51]
.LBB84_168:
	v_mov_b32_e32 v50, 0
	ds_read_b128 v[54:57], v50 offset:16
	s_waitcnt lgkmcnt(0)
	v_mul_f64 v[50:51], v[3:4], v[56:57]
	v_mul_f64 v[56:57], v[1:2], v[56:57]
	v_fma_f64 v[1:2], v[1:2], v[54:55], -v[50:51]
	v_fma_f64 v[3:4], v[3:4], v[54:55], v[56:57]
	buffer_store_dword v2, off, s[0:3], 0 offset:20
	buffer_store_dword v1, off, s[0:3], 0 offset:16
	;; [unrolled: 1-line block ×4, first 2 shown]
.LBB84_169:
	s_or_b32 exec_lo, exec_lo, s8
	v_mov_b32_e32 v4, s25
	s_mov_b32 s8, exec_lo
	s_clause 0x3
	buffer_load_dword v1, v4, s[0:3], 0 offen
	buffer_load_dword v2, v4, s[0:3], 0 offen offset:4
	buffer_load_dword v3, v4, s[0:3], 0 offen offset:8
	;; [unrolled: 1-line block ×3, first 2 shown]
	s_waitcnt vmcnt(0)
	ds_write_b128 v48, v[1:4]
	s_waitcnt lgkmcnt(0)
	s_waitcnt_vscnt null, 0x0
	s_barrier
	buffer_gl0_inv
	v_cmpx_gt_u32_e32 2, v0
	s_cbranch_execz .LBB84_175
; %bb.170:
	ds_read_b128 v[1:4], v48
	v_cmp_ne_u32_e32 vcc_lo, 1, v49
	s_cbranch_vccnz .LBB84_172
; %bb.171:
	s_clause 0x3
	buffer_load_dword v50, v47, s[0:3], 0 offen offset:8
	buffer_load_dword v51, v47, s[0:3], 0 offen offset:12
	buffer_load_dword v54, v47, s[0:3], 0 offen
	buffer_load_dword v55, v47, s[0:3], 0 offen offset:4
	s_waitcnt vmcnt(2) lgkmcnt(0)
	v_mul_f64 v[56:57], v[3:4], v[50:51]
	v_mul_f64 v[50:51], v[1:2], v[50:51]
	s_waitcnt vmcnt(0)
	v_fma_f64 v[1:2], v[1:2], v[54:55], -v[56:57]
	v_fma_f64 v[3:4], v[3:4], v[54:55], v[50:51]
.LBB84_172:
	s_and_saveexec_b32 s27, s4
	s_cbranch_execz .LBB84_174
; %bb.173:
	s_clause 0x3
	buffer_load_dword v50, off, s[0:3], 0 offset:24
	buffer_load_dword v51, off, s[0:3], 0 offset:28
	;; [unrolled: 1-line block ×4, first 2 shown]
	v_mov_b32_e32 v52, 0
	ds_read_b128 v[54:57], v52 offset:352
	s_waitcnt vmcnt(2) lgkmcnt(0)
	v_mul_f64 v[60:61], v[56:57], v[50:51]
	v_mul_f64 v[50:51], v[54:55], v[50:51]
	s_waitcnt vmcnt(0)
	v_fma_f64 v[54:55], v[54:55], v[58:59], -v[60:61]
	v_fma_f64 v[50:51], v[56:57], v[58:59], v[50:51]
	v_add_f64 v[1:2], v[1:2], v[54:55]
	v_add_f64 v[3:4], v[3:4], v[50:51]
.LBB84_174:
	s_or_b32 exec_lo, exec_lo, s27
	v_mov_b32_e32 v50, 0
	ds_read_b128 v[54:57], v50 offset:32
	s_waitcnt lgkmcnt(0)
	v_mul_f64 v[50:51], v[3:4], v[56:57]
	v_mul_f64 v[56:57], v[1:2], v[56:57]
	v_fma_f64 v[1:2], v[1:2], v[54:55], -v[50:51]
	v_fma_f64 v[3:4], v[3:4], v[54:55], v[56:57]
	buffer_store_dword v2, off, s[0:3], 0 offset:36
	buffer_store_dword v1, off, s[0:3], 0 offset:32
	;; [unrolled: 1-line block ×4, first 2 shown]
.LBB84_175:
	s_or_b32 exec_lo, exec_lo, s8
	v_mov_b32_e32 v4, s24
	s_mov_b32 s8, exec_lo
	s_clause 0x3
	buffer_load_dword v1, v4, s[0:3], 0 offen
	buffer_load_dword v2, v4, s[0:3], 0 offen offset:4
	buffer_load_dword v3, v4, s[0:3], 0 offen offset:8
	;; [unrolled: 1-line block ×3, first 2 shown]
	s_waitcnt vmcnt(0)
	ds_write_b128 v48, v[1:4]
	s_waitcnt lgkmcnt(0)
	s_waitcnt_vscnt null, 0x0
	s_barrier
	buffer_gl0_inv
	v_cmpx_gt_u32_e32 3, v0
	s_cbranch_execz .LBB84_183
; %bb.176:
	ds_read_b128 v[1:4], v48
	v_cmp_ne_u32_e32 vcc_lo, 1, v49
	s_cbranch_vccnz .LBB84_178
; %bb.177:
	s_clause 0x3
	buffer_load_dword v50, v47, s[0:3], 0 offen offset:8
	buffer_load_dword v51, v47, s[0:3], 0 offen offset:12
	buffer_load_dword v54, v47, s[0:3], 0 offen
	buffer_load_dword v55, v47, s[0:3], 0 offen offset:4
	s_waitcnt vmcnt(2) lgkmcnt(0)
	v_mul_f64 v[56:57], v[3:4], v[50:51]
	v_mul_f64 v[50:51], v[1:2], v[50:51]
	s_waitcnt vmcnt(0)
	v_fma_f64 v[1:2], v[1:2], v[54:55], -v[56:57]
	v_fma_f64 v[3:4], v[3:4], v[54:55], v[50:51]
.LBB84_178:
	s_mov_b32 s27, exec_lo
	v_cmpx_ne_u32_e32 2, v0
	s_cbranch_execz .LBB84_182
; %bb.179:
	s_clause 0x3
	buffer_load_dword v50, v47, s[0:3], 0 offen offset:24
	buffer_load_dword v51, v47, s[0:3], 0 offen offset:28
	;; [unrolled: 1-line block ×4, first 2 shown]
	ds_read_b128 v[54:57], v48 offset:16
	s_waitcnt vmcnt(2) lgkmcnt(0)
	v_mul_f64 v[60:61], v[56:57], v[50:51]
	v_mul_f64 v[50:51], v[54:55], v[50:51]
	s_waitcnt vmcnt(0)
	v_fma_f64 v[54:55], v[54:55], v[58:59], -v[60:61]
	v_fma_f64 v[50:51], v[56:57], v[58:59], v[50:51]
	v_add_f64 v[1:2], v[1:2], v[54:55]
	v_add_f64 v[3:4], v[3:4], v[50:51]
	s_and_saveexec_b32 s28, s4
	s_cbranch_execz .LBB84_181
; %bb.180:
	s_clause 0x3
	buffer_load_dword v50, off, s[0:3], 0 offset:40
	buffer_load_dword v51, off, s[0:3], 0 offset:44
	;; [unrolled: 1-line block ×4, first 2 shown]
	v_mov_b32_e32 v52, 0
	ds_read_b128 v[54:57], v52 offset:368
	s_waitcnt vmcnt(2) lgkmcnt(0)
	v_mul_f64 v[60:61], v[54:55], v[50:51]
	v_mul_f64 v[50:51], v[56:57], v[50:51]
	s_waitcnt vmcnt(0)
	v_fma_f64 v[56:57], v[56:57], v[58:59], v[60:61]
	v_fma_f64 v[50:51], v[54:55], v[58:59], -v[50:51]
	v_add_f64 v[3:4], v[3:4], v[56:57]
	v_add_f64 v[1:2], v[1:2], v[50:51]
.LBB84_181:
	s_or_b32 exec_lo, exec_lo, s28
.LBB84_182:
	s_or_b32 exec_lo, exec_lo, s27
	v_mov_b32_e32 v50, 0
	ds_read_b128 v[54:57], v50 offset:48
	s_waitcnt lgkmcnt(0)
	v_mul_f64 v[50:51], v[3:4], v[56:57]
	v_mul_f64 v[56:57], v[1:2], v[56:57]
	v_fma_f64 v[1:2], v[1:2], v[54:55], -v[50:51]
	v_fma_f64 v[3:4], v[3:4], v[54:55], v[56:57]
	buffer_store_dword v2, off, s[0:3], 0 offset:52
	buffer_store_dword v1, off, s[0:3], 0 offset:48
	;; [unrolled: 1-line block ×4, first 2 shown]
.LBB84_183:
	s_or_b32 exec_lo, exec_lo, s8
	v_mov_b32_e32 v4, s23
	s_mov_b32 s4, exec_lo
	s_clause 0x3
	buffer_load_dword v1, v4, s[0:3], 0 offen
	buffer_load_dword v2, v4, s[0:3], 0 offen offset:4
	buffer_load_dword v3, v4, s[0:3], 0 offen offset:8
	;; [unrolled: 1-line block ×3, first 2 shown]
	s_waitcnt vmcnt(0)
	ds_write_b128 v48, v[1:4]
	s_waitcnt lgkmcnt(0)
	s_waitcnt_vscnt null, 0x0
	s_barrier
	buffer_gl0_inv
	v_cmpx_gt_u32_e32 4, v0
	s_cbranch_execz .LBB84_191
; %bb.184:
	ds_read_b128 v[1:4], v48
	v_cmp_ne_u32_e32 vcc_lo, 1, v49
	s_cbranch_vccnz .LBB84_186
; %bb.185:
	s_clause 0x3
	buffer_load_dword v50, v47, s[0:3], 0 offen offset:8
	buffer_load_dword v51, v47, s[0:3], 0 offen offset:12
	buffer_load_dword v54, v47, s[0:3], 0 offen
	buffer_load_dword v55, v47, s[0:3], 0 offen offset:4
	s_waitcnt vmcnt(2) lgkmcnt(0)
	v_mul_f64 v[56:57], v[3:4], v[50:51]
	v_mul_f64 v[50:51], v[1:2], v[50:51]
	s_waitcnt vmcnt(0)
	v_fma_f64 v[1:2], v[1:2], v[54:55], -v[56:57]
	v_fma_f64 v[3:4], v[3:4], v[54:55], v[50:51]
.LBB84_186:
	s_mov_b32 s8, exec_lo
	v_cmpx_ne_u32_e32 3, v0
	s_cbranch_execz .LBB84_190
; %bb.187:
	v_add_nc_u32_e32 v50, 0x160, v53
	v_add3_u32 v51, 0, v53, 16
	v_mov_b32_e32 v52, v0
	s_mov_b32 s27, 0
	.p2align	6
.LBB84_188:                             ; =>This Inner Loop Header: Depth=1
	s_clause 0x3
	buffer_load_dword v58, v51, s[0:3], 0 offen offset:8
	buffer_load_dword v59, v51, s[0:3], 0 offen offset:12
	buffer_load_dword v60, v51, s[0:3], 0 offen
	buffer_load_dword v61, v51, s[0:3], 0 offen offset:4
	ds_read_b128 v[54:57], v50
	v_add_nc_u32_e32 v52, 1, v52
	v_add_nc_u32_e32 v50, 16, v50
	;; [unrolled: 1-line block ×3, first 2 shown]
	v_cmp_lt_u32_e32 vcc_lo, 2, v52
	s_or_b32 s27, vcc_lo, s27
	s_waitcnt vmcnt(2) lgkmcnt(0)
	v_mul_f64 v[62:63], v[56:57], v[58:59]
	v_mul_f64 v[58:59], v[54:55], v[58:59]
	s_waitcnt vmcnt(0)
	v_fma_f64 v[54:55], v[54:55], v[60:61], -v[62:63]
	v_fma_f64 v[56:57], v[56:57], v[60:61], v[58:59]
	v_add_f64 v[1:2], v[1:2], v[54:55]
	v_add_f64 v[3:4], v[3:4], v[56:57]
	s_andn2_b32 exec_lo, exec_lo, s27
	s_cbranch_execnz .LBB84_188
; %bb.189:
	s_or_b32 exec_lo, exec_lo, s27
.LBB84_190:
	s_or_b32 exec_lo, exec_lo, s8
	v_mov_b32_e32 v50, 0
	ds_read_b128 v[54:57], v50 offset:64
	s_waitcnt lgkmcnt(0)
	v_mul_f64 v[50:51], v[3:4], v[56:57]
	v_mul_f64 v[56:57], v[1:2], v[56:57]
	v_fma_f64 v[1:2], v[1:2], v[54:55], -v[50:51]
	v_fma_f64 v[3:4], v[3:4], v[54:55], v[56:57]
	buffer_store_dword v2, off, s[0:3], 0 offset:68
	buffer_store_dword v1, off, s[0:3], 0 offset:64
	;; [unrolled: 1-line block ×4, first 2 shown]
.LBB84_191:
	s_or_b32 exec_lo, exec_lo, s4
	v_mov_b32_e32 v4, s22
	s_mov_b32 s4, exec_lo
	s_clause 0x3
	buffer_load_dword v1, v4, s[0:3], 0 offen
	buffer_load_dword v2, v4, s[0:3], 0 offen offset:4
	buffer_load_dword v3, v4, s[0:3], 0 offen offset:8
	;; [unrolled: 1-line block ×3, first 2 shown]
	s_waitcnt vmcnt(0)
	ds_write_b128 v48, v[1:4]
	s_waitcnt lgkmcnt(0)
	s_waitcnt_vscnt null, 0x0
	s_barrier
	buffer_gl0_inv
	v_cmpx_gt_u32_e32 5, v0
	s_cbranch_execz .LBB84_199
; %bb.192:
	ds_read_b128 v[1:4], v48
	v_cmp_ne_u32_e32 vcc_lo, 1, v49
	s_cbranch_vccnz .LBB84_194
; %bb.193:
	s_clause 0x3
	buffer_load_dword v50, v47, s[0:3], 0 offen offset:8
	buffer_load_dword v51, v47, s[0:3], 0 offen offset:12
	buffer_load_dword v54, v47, s[0:3], 0 offen
	buffer_load_dword v55, v47, s[0:3], 0 offen offset:4
	s_waitcnt vmcnt(2) lgkmcnt(0)
	v_mul_f64 v[56:57], v[3:4], v[50:51]
	v_mul_f64 v[50:51], v[1:2], v[50:51]
	s_waitcnt vmcnt(0)
	v_fma_f64 v[1:2], v[1:2], v[54:55], -v[56:57]
	v_fma_f64 v[3:4], v[3:4], v[54:55], v[50:51]
.LBB84_194:
	s_mov_b32 s8, exec_lo
	v_cmpx_ne_u32_e32 4, v0
	s_cbranch_execz .LBB84_198
; %bb.195:
	v_add_nc_u32_e32 v50, 0x160, v53
	v_add3_u32 v51, 0, v53, 16
	v_mov_b32_e32 v52, v0
	s_mov_b32 s27, 0
	.p2align	6
.LBB84_196:                             ; =>This Inner Loop Header: Depth=1
	s_clause 0x3
	buffer_load_dword v58, v51, s[0:3], 0 offen offset:8
	buffer_load_dword v59, v51, s[0:3], 0 offen offset:12
	buffer_load_dword v60, v51, s[0:3], 0 offen
	buffer_load_dword v61, v51, s[0:3], 0 offen offset:4
	ds_read_b128 v[54:57], v50
	v_add_nc_u32_e32 v52, 1, v52
	v_add_nc_u32_e32 v50, 16, v50
	;; [unrolled: 1-line block ×3, first 2 shown]
	v_cmp_lt_u32_e32 vcc_lo, 3, v52
	s_or_b32 s27, vcc_lo, s27
	s_waitcnt vmcnt(2) lgkmcnt(0)
	v_mul_f64 v[62:63], v[56:57], v[58:59]
	v_mul_f64 v[58:59], v[54:55], v[58:59]
	s_waitcnt vmcnt(0)
	v_fma_f64 v[54:55], v[54:55], v[60:61], -v[62:63]
	v_fma_f64 v[56:57], v[56:57], v[60:61], v[58:59]
	v_add_f64 v[1:2], v[1:2], v[54:55]
	v_add_f64 v[3:4], v[3:4], v[56:57]
	s_andn2_b32 exec_lo, exec_lo, s27
	s_cbranch_execnz .LBB84_196
; %bb.197:
	s_or_b32 exec_lo, exec_lo, s27
.LBB84_198:
	s_or_b32 exec_lo, exec_lo, s8
	v_mov_b32_e32 v50, 0
	ds_read_b128 v[54:57], v50 offset:80
	s_waitcnt lgkmcnt(0)
	v_mul_f64 v[50:51], v[3:4], v[56:57]
	v_mul_f64 v[56:57], v[1:2], v[56:57]
	v_fma_f64 v[1:2], v[1:2], v[54:55], -v[50:51]
	v_fma_f64 v[3:4], v[3:4], v[54:55], v[56:57]
	buffer_store_dword v2, off, s[0:3], 0 offset:84
	buffer_store_dword v1, off, s[0:3], 0 offset:80
	;; [unrolled: 1-line block ×4, first 2 shown]
.LBB84_199:
	s_or_b32 exec_lo, exec_lo, s4
	v_mov_b32_e32 v4, s21
	s_mov_b32 s4, exec_lo
	s_clause 0x3
	buffer_load_dword v1, v4, s[0:3], 0 offen
	buffer_load_dword v2, v4, s[0:3], 0 offen offset:4
	buffer_load_dword v3, v4, s[0:3], 0 offen offset:8
	;; [unrolled: 1-line block ×3, first 2 shown]
	s_waitcnt vmcnt(0)
	ds_write_b128 v48, v[1:4]
	s_waitcnt lgkmcnt(0)
	s_waitcnt_vscnt null, 0x0
	s_barrier
	buffer_gl0_inv
	v_cmpx_gt_u32_e32 6, v0
	s_cbranch_execz .LBB84_207
; %bb.200:
	ds_read_b128 v[1:4], v48
	v_cmp_ne_u32_e32 vcc_lo, 1, v49
	s_cbranch_vccnz .LBB84_202
; %bb.201:
	s_clause 0x3
	buffer_load_dword v50, v47, s[0:3], 0 offen offset:8
	buffer_load_dword v51, v47, s[0:3], 0 offen offset:12
	buffer_load_dword v54, v47, s[0:3], 0 offen
	buffer_load_dword v55, v47, s[0:3], 0 offen offset:4
	s_waitcnt vmcnt(2) lgkmcnt(0)
	v_mul_f64 v[56:57], v[3:4], v[50:51]
	v_mul_f64 v[50:51], v[1:2], v[50:51]
	s_waitcnt vmcnt(0)
	v_fma_f64 v[1:2], v[1:2], v[54:55], -v[56:57]
	v_fma_f64 v[3:4], v[3:4], v[54:55], v[50:51]
.LBB84_202:
	s_mov_b32 s8, exec_lo
	v_cmpx_ne_u32_e32 5, v0
	s_cbranch_execz .LBB84_206
; %bb.203:
	v_add_nc_u32_e32 v50, 0x160, v53
	v_add3_u32 v51, 0, v53, 16
	v_mov_b32_e32 v52, v0
	s_mov_b32 s27, 0
	.p2align	6
.LBB84_204:                             ; =>This Inner Loop Header: Depth=1
	s_clause 0x3
	buffer_load_dword v58, v51, s[0:3], 0 offen offset:8
	buffer_load_dword v59, v51, s[0:3], 0 offen offset:12
	buffer_load_dword v60, v51, s[0:3], 0 offen
	buffer_load_dword v61, v51, s[0:3], 0 offen offset:4
	ds_read_b128 v[54:57], v50
	v_add_nc_u32_e32 v52, 1, v52
	v_add_nc_u32_e32 v50, 16, v50
	;; [unrolled: 1-line block ×3, first 2 shown]
	v_cmp_lt_u32_e32 vcc_lo, 4, v52
	s_or_b32 s27, vcc_lo, s27
	s_waitcnt vmcnt(2) lgkmcnt(0)
	v_mul_f64 v[62:63], v[56:57], v[58:59]
	v_mul_f64 v[58:59], v[54:55], v[58:59]
	s_waitcnt vmcnt(0)
	v_fma_f64 v[54:55], v[54:55], v[60:61], -v[62:63]
	v_fma_f64 v[56:57], v[56:57], v[60:61], v[58:59]
	v_add_f64 v[1:2], v[1:2], v[54:55]
	v_add_f64 v[3:4], v[3:4], v[56:57]
	s_andn2_b32 exec_lo, exec_lo, s27
	s_cbranch_execnz .LBB84_204
; %bb.205:
	s_or_b32 exec_lo, exec_lo, s27
.LBB84_206:
	s_or_b32 exec_lo, exec_lo, s8
	v_mov_b32_e32 v50, 0
	ds_read_b128 v[54:57], v50 offset:96
	s_waitcnt lgkmcnt(0)
	v_mul_f64 v[50:51], v[3:4], v[56:57]
	v_mul_f64 v[56:57], v[1:2], v[56:57]
	v_fma_f64 v[1:2], v[1:2], v[54:55], -v[50:51]
	v_fma_f64 v[3:4], v[3:4], v[54:55], v[56:57]
	buffer_store_dword v2, off, s[0:3], 0 offset:100
	buffer_store_dword v1, off, s[0:3], 0 offset:96
	;; [unrolled: 1-line block ×4, first 2 shown]
.LBB84_207:
	s_or_b32 exec_lo, exec_lo, s4
	v_mov_b32_e32 v4, s20
	s_mov_b32 s4, exec_lo
	s_clause 0x3
	buffer_load_dword v1, v4, s[0:3], 0 offen
	buffer_load_dword v2, v4, s[0:3], 0 offen offset:4
	buffer_load_dword v3, v4, s[0:3], 0 offen offset:8
	;; [unrolled: 1-line block ×3, first 2 shown]
	s_waitcnt vmcnt(0)
	ds_write_b128 v48, v[1:4]
	s_waitcnt lgkmcnt(0)
	s_waitcnt_vscnt null, 0x0
	s_barrier
	buffer_gl0_inv
	v_cmpx_gt_u32_e32 7, v0
	s_cbranch_execz .LBB84_215
; %bb.208:
	ds_read_b128 v[1:4], v48
	v_cmp_ne_u32_e32 vcc_lo, 1, v49
	s_cbranch_vccnz .LBB84_210
; %bb.209:
	s_clause 0x3
	buffer_load_dword v50, v47, s[0:3], 0 offen offset:8
	buffer_load_dword v51, v47, s[0:3], 0 offen offset:12
	buffer_load_dword v54, v47, s[0:3], 0 offen
	buffer_load_dword v55, v47, s[0:3], 0 offen offset:4
	s_waitcnt vmcnt(2) lgkmcnt(0)
	v_mul_f64 v[56:57], v[3:4], v[50:51]
	v_mul_f64 v[50:51], v[1:2], v[50:51]
	s_waitcnt vmcnt(0)
	v_fma_f64 v[1:2], v[1:2], v[54:55], -v[56:57]
	v_fma_f64 v[3:4], v[3:4], v[54:55], v[50:51]
.LBB84_210:
	s_mov_b32 s8, exec_lo
	v_cmpx_ne_u32_e32 6, v0
	s_cbranch_execz .LBB84_214
; %bb.211:
	v_add_nc_u32_e32 v50, 0x160, v53
	v_add3_u32 v51, 0, v53, 16
	v_mov_b32_e32 v52, v0
	s_mov_b32 s27, 0
	.p2align	6
.LBB84_212:                             ; =>This Inner Loop Header: Depth=1
	s_clause 0x3
	buffer_load_dword v58, v51, s[0:3], 0 offen offset:8
	buffer_load_dword v59, v51, s[0:3], 0 offen offset:12
	buffer_load_dword v60, v51, s[0:3], 0 offen
	buffer_load_dword v61, v51, s[0:3], 0 offen offset:4
	ds_read_b128 v[54:57], v50
	v_add_nc_u32_e32 v52, 1, v52
	v_add_nc_u32_e32 v50, 16, v50
	;; [unrolled: 1-line block ×3, first 2 shown]
	v_cmp_lt_u32_e32 vcc_lo, 5, v52
	s_or_b32 s27, vcc_lo, s27
	s_waitcnt vmcnt(2) lgkmcnt(0)
	v_mul_f64 v[62:63], v[56:57], v[58:59]
	v_mul_f64 v[58:59], v[54:55], v[58:59]
	s_waitcnt vmcnt(0)
	v_fma_f64 v[54:55], v[54:55], v[60:61], -v[62:63]
	v_fma_f64 v[56:57], v[56:57], v[60:61], v[58:59]
	v_add_f64 v[1:2], v[1:2], v[54:55]
	v_add_f64 v[3:4], v[3:4], v[56:57]
	s_andn2_b32 exec_lo, exec_lo, s27
	s_cbranch_execnz .LBB84_212
; %bb.213:
	s_or_b32 exec_lo, exec_lo, s27
.LBB84_214:
	s_or_b32 exec_lo, exec_lo, s8
	v_mov_b32_e32 v50, 0
	ds_read_b128 v[54:57], v50 offset:112
	s_waitcnt lgkmcnt(0)
	v_mul_f64 v[50:51], v[3:4], v[56:57]
	v_mul_f64 v[56:57], v[1:2], v[56:57]
	v_fma_f64 v[1:2], v[1:2], v[54:55], -v[50:51]
	v_fma_f64 v[3:4], v[3:4], v[54:55], v[56:57]
	buffer_store_dword v2, off, s[0:3], 0 offset:116
	buffer_store_dword v1, off, s[0:3], 0 offset:112
	;; [unrolled: 1-line block ×4, first 2 shown]
.LBB84_215:
	s_or_b32 exec_lo, exec_lo, s4
	v_mov_b32_e32 v4, s19
	s_mov_b32 s4, exec_lo
	s_clause 0x3
	buffer_load_dword v1, v4, s[0:3], 0 offen
	buffer_load_dword v2, v4, s[0:3], 0 offen offset:4
	buffer_load_dword v3, v4, s[0:3], 0 offen offset:8
	;; [unrolled: 1-line block ×3, first 2 shown]
	s_waitcnt vmcnt(0)
	ds_write_b128 v48, v[1:4]
	s_waitcnt lgkmcnt(0)
	s_waitcnt_vscnt null, 0x0
	s_barrier
	buffer_gl0_inv
	v_cmpx_gt_u32_e32 8, v0
	s_cbranch_execz .LBB84_223
; %bb.216:
	ds_read_b128 v[1:4], v48
	v_cmp_ne_u32_e32 vcc_lo, 1, v49
	s_cbranch_vccnz .LBB84_218
; %bb.217:
	s_clause 0x3
	buffer_load_dword v50, v47, s[0:3], 0 offen offset:8
	buffer_load_dword v51, v47, s[0:3], 0 offen offset:12
	buffer_load_dword v54, v47, s[0:3], 0 offen
	buffer_load_dword v55, v47, s[0:3], 0 offen offset:4
	s_waitcnt vmcnt(2) lgkmcnt(0)
	v_mul_f64 v[56:57], v[3:4], v[50:51]
	v_mul_f64 v[50:51], v[1:2], v[50:51]
	s_waitcnt vmcnt(0)
	v_fma_f64 v[1:2], v[1:2], v[54:55], -v[56:57]
	v_fma_f64 v[3:4], v[3:4], v[54:55], v[50:51]
.LBB84_218:
	s_mov_b32 s8, exec_lo
	v_cmpx_ne_u32_e32 7, v0
	s_cbranch_execz .LBB84_222
; %bb.219:
	v_add_nc_u32_e32 v50, 0x160, v53
	v_add3_u32 v51, 0, v53, 16
	v_mov_b32_e32 v52, v0
	s_mov_b32 s27, 0
	.p2align	6
.LBB84_220:                             ; =>This Inner Loop Header: Depth=1
	s_clause 0x3
	buffer_load_dword v58, v51, s[0:3], 0 offen offset:8
	buffer_load_dword v59, v51, s[0:3], 0 offen offset:12
	buffer_load_dword v60, v51, s[0:3], 0 offen
	buffer_load_dword v61, v51, s[0:3], 0 offen offset:4
	ds_read_b128 v[54:57], v50
	v_add_nc_u32_e32 v52, 1, v52
	v_add_nc_u32_e32 v50, 16, v50
	v_add_nc_u32_e32 v51, 16, v51
	v_cmp_lt_u32_e32 vcc_lo, 6, v52
	s_or_b32 s27, vcc_lo, s27
	s_waitcnt vmcnt(2) lgkmcnt(0)
	v_mul_f64 v[62:63], v[56:57], v[58:59]
	v_mul_f64 v[58:59], v[54:55], v[58:59]
	s_waitcnt vmcnt(0)
	v_fma_f64 v[54:55], v[54:55], v[60:61], -v[62:63]
	v_fma_f64 v[56:57], v[56:57], v[60:61], v[58:59]
	v_add_f64 v[1:2], v[1:2], v[54:55]
	v_add_f64 v[3:4], v[3:4], v[56:57]
	s_andn2_b32 exec_lo, exec_lo, s27
	s_cbranch_execnz .LBB84_220
; %bb.221:
	s_or_b32 exec_lo, exec_lo, s27
.LBB84_222:
	s_or_b32 exec_lo, exec_lo, s8
	v_mov_b32_e32 v50, 0
	ds_read_b128 v[54:57], v50 offset:128
	s_waitcnt lgkmcnt(0)
	v_mul_f64 v[50:51], v[3:4], v[56:57]
	v_mul_f64 v[56:57], v[1:2], v[56:57]
	v_fma_f64 v[1:2], v[1:2], v[54:55], -v[50:51]
	v_fma_f64 v[3:4], v[3:4], v[54:55], v[56:57]
	buffer_store_dword v2, off, s[0:3], 0 offset:132
	buffer_store_dword v1, off, s[0:3], 0 offset:128
	;; [unrolled: 1-line block ×4, first 2 shown]
.LBB84_223:
	s_or_b32 exec_lo, exec_lo, s4
	v_mov_b32_e32 v4, s18
	s_mov_b32 s4, exec_lo
	s_clause 0x3
	buffer_load_dword v1, v4, s[0:3], 0 offen
	buffer_load_dword v2, v4, s[0:3], 0 offen offset:4
	buffer_load_dword v3, v4, s[0:3], 0 offen offset:8
	;; [unrolled: 1-line block ×3, first 2 shown]
	s_waitcnt vmcnt(0)
	ds_write_b128 v48, v[1:4]
	s_waitcnt lgkmcnt(0)
	s_waitcnt_vscnt null, 0x0
	s_barrier
	buffer_gl0_inv
	v_cmpx_gt_u32_e32 9, v0
	s_cbranch_execz .LBB84_231
; %bb.224:
	ds_read_b128 v[1:4], v48
	v_cmp_ne_u32_e32 vcc_lo, 1, v49
	s_cbranch_vccnz .LBB84_226
; %bb.225:
	s_clause 0x3
	buffer_load_dword v50, v47, s[0:3], 0 offen offset:8
	buffer_load_dword v51, v47, s[0:3], 0 offen offset:12
	buffer_load_dword v54, v47, s[0:3], 0 offen
	buffer_load_dword v55, v47, s[0:3], 0 offen offset:4
	s_waitcnt vmcnt(2) lgkmcnt(0)
	v_mul_f64 v[56:57], v[3:4], v[50:51]
	v_mul_f64 v[50:51], v[1:2], v[50:51]
	s_waitcnt vmcnt(0)
	v_fma_f64 v[1:2], v[1:2], v[54:55], -v[56:57]
	v_fma_f64 v[3:4], v[3:4], v[54:55], v[50:51]
.LBB84_226:
	s_mov_b32 s8, exec_lo
	v_cmpx_ne_u32_e32 8, v0
	s_cbranch_execz .LBB84_230
; %bb.227:
	v_add_nc_u32_e32 v50, 0x160, v53
	v_add3_u32 v51, 0, v53, 16
	v_mov_b32_e32 v52, v0
	s_mov_b32 s27, 0
	.p2align	6
.LBB84_228:                             ; =>This Inner Loop Header: Depth=1
	s_clause 0x3
	buffer_load_dword v58, v51, s[0:3], 0 offen offset:8
	buffer_load_dword v59, v51, s[0:3], 0 offen offset:12
	buffer_load_dword v60, v51, s[0:3], 0 offen
	buffer_load_dword v61, v51, s[0:3], 0 offen offset:4
	ds_read_b128 v[54:57], v50
	v_add_nc_u32_e32 v52, 1, v52
	v_add_nc_u32_e32 v50, 16, v50
	;; [unrolled: 1-line block ×3, first 2 shown]
	v_cmp_lt_u32_e32 vcc_lo, 7, v52
	s_or_b32 s27, vcc_lo, s27
	s_waitcnt vmcnt(2) lgkmcnt(0)
	v_mul_f64 v[62:63], v[56:57], v[58:59]
	v_mul_f64 v[58:59], v[54:55], v[58:59]
	s_waitcnt vmcnt(0)
	v_fma_f64 v[54:55], v[54:55], v[60:61], -v[62:63]
	v_fma_f64 v[56:57], v[56:57], v[60:61], v[58:59]
	v_add_f64 v[1:2], v[1:2], v[54:55]
	v_add_f64 v[3:4], v[3:4], v[56:57]
	s_andn2_b32 exec_lo, exec_lo, s27
	s_cbranch_execnz .LBB84_228
; %bb.229:
	s_or_b32 exec_lo, exec_lo, s27
.LBB84_230:
	s_or_b32 exec_lo, exec_lo, s8
	v_mov_b32_e32 v50, 0
	ds_read_b128 v[54:57], v50 offset:144
	s_waitcnt lgkmcnt(0)
	v_mul_f64 v[50:51], v[3:4], v[56:57]
	v_mul_f64 v[56:57], v[1:2], v[56:57]
	v_fma_f64 v[1:2], v[1:2], v[54:55], -v[50:51]
	v_fma_f64 v[3:4], v[3:4], v[54:55], v[56:57]
	buffer_store_dword v2, off, s[0:3], 0 offset:148
	buffer_store_dword v1, off, s[0:3], 0 offset:144
	;; [unrolled: 1-line block ×4, first 2 shown]
.LBB84_231:
	s_or_b32 exec_lo, exec_lo, s4
	v_mov_b32_e32 v4, s17
	s_mov_b32 s4, exec_lo
	s_clause 0x3
	buffer_load_dword v1, v4, s[0:3], 0 offen
	buffer_load_dword v2, v4, s[0:3], 0 offen offset:4
	buffer_load_dword v3, v4, s[0:3], 0 offen offset:8
	;; [unrolled: 1-line block ×3, first 2 shown]
	s_waitcnt vmcnt(0)
	ds_write_b128 v48, v[1:4]
	s_waitcnt lgkmcnt(0)
	s_waitcnt_vscnt null, 0x0
	s_barrier
	buffer_gl0_inv
	v_cmpx_gt_u32_e32 10, v0
	s_cbranch_execz .LBB84_239
; %bb.232:
	ds_read_b128 v[1:4], v48
	v_cmp_ne_u32_e32 vcc_lo, 1, v49
	s_cbranch_vccnz .LBB84_234
; %bb.233:
	s_clause 0x3
	buffer_load_dword v50, v47, s[0:3], 0 offen offset:8
	buffer_load_dword v51, v47, s[0:3], 0 offen offset:12
	buffer_load_dword v54, v47, s[0:3], 0 offen
	buffer_load_dword v55, v47, s[0:3], 0 offen offset:4
	s_waitcnt vmcnt(2) lgkmcnt(0)
	v_mul_f64 v[56:57], v[3:4], v[50:51]
	v_mul_f64 v[50:51], v[1:2], v[50:51]
	s_waitcnt vmcnt(0)
	v_fma_f64 v[1:2], v[1:2], v[54:55], -v[56:57]
	v_fma_f64 v[3:4], v[3:4], v[54:55], v[50:51]
.LBB84_234:
	s_mov_b32 s8, exec_lo
	v_cmpx_ne_u32_e32 9, v0
	s_cbranch_execz .LBB84_238
; %bb.235:
	v_add_nc_u32_e32 v50, 0x160, v53
	v_add3_u32 v51, 0, v53, 16
	v_mov_b32_e32 v52, v0
	s_mov_b32 s27, 0
	.p2align	6
.LBB84_236:                             ; =>This Inner Loop Header: Depth=1
	s_clause 0x3
	buffer_load_dword v58, v51, s[0:3], 0 offen offset:8
	buffer_load_dword v59, v51, s[0:3], 0 offen offset:12
	buffer_load_dword v60, v51, s[0:3], 0 offen
	buffer_load_dword v61, v51, s[0:3], 0 offen offset:4
	ds_read_b128 v[54:57], v50
	v_add_nc_u32_e32 v52, 1, v52
	v_add_nc_u32_e32 v50, 16, v50
	;; [unrolled: 1-line block ×3, first 2 shown]
	v_cmp_lt_u32_e32 vcc_lo, 8, v52
	s_or_b32 s27, vcc_lo, s27
	s_waitcnt vmcnt(2) lgkmcnt(0)
	v_mul_f64 v[62:63], v[56:57], v[58:59]
	v_mul_f64 v[58:59], v[54:55], v[58:59]
	s_waitcnt vmcnt(0)
	v_fma_f64 v[54:55], v[54:55], v[60:61], -v[62:63]
	v_fma_f64 v[56:57], v[56:57], v[60:61], v[58:59]
	v_add_f64 v[1:2], v[1:2], v[54:55]
	v_add_f64 v[3:4], v[3:4], v[56:57]
	s_andn2_b32 exec_lo, exec_lo, s27
	s_cbranch_execnz .LBB84_236
; %bb.237:
	s_or_b32 exec_lo, exec_lo, s27
.LBB84_238:
	s_or_b32 exec_lo, exec_lo, s8
	v_mov_b32_e32 v50, 0
	ds_read_b128 v[54:57], v50 offset:160
	s_waitcnt lgkmcnt(0)
	v_mul_f64 v[50:51], v[3:4], v[56:57]
	v_mul_f64 v[56:57], v[1:2], v[56:57]
	v_fma_f64 v[1:2], v[1:2], v[54:55], -v[50:51]
	v_fma_f64 v[3:4], v[3:4], v[54:55], v[56:57]
	buffer_store_dword v2, off, s[0:3], 0 offset:164
	buffer_store_dword v1, off, s[0:3], 0 offset:160
	;; [unrolled: 1-line block ×4, first 2 shown]
.LBB84_239:
	s_or_b32 exec_lo, exec_lo, s4
	v_mov_b32_e32 v4, s16
	s_mov_b32 s4, exec_lo
	s_clause 0x3
	buffer_load_dword v1, v4, s[0:3], 0 offen
	buffer_load_dword v2, v4, s[0:3], 0 offen offset:4
	buffer_load_dword v3, v4, s[0:3], 0 offen offset:8
	;; [unrolled: 1-line block ×3, first 2 shown]
	s_waitcnt vmcnt(0)
	ds_write_b128 v48, v[1:4]
	s_waitcnt lgkmcnt(0)
	s_waitcnt_vscnt null, 0x0
	s_barrier
	buffer_gl0_inv
	v_cmpx_gt_u32_e32 11, v0
	s_cbranch_execz .LBB84_247
; %bb.240:
	ds_read_b128 v[1:4], v48
	v_cmp_ne_u32_e32 vcc_lo, 1, v49
	s_cbranch_vccnz .LBB84_242
; %bb.241:
	s_clause 0x3
	buffer_load_dword v50, v47, s[0:3], 0 offen offset:8
	buffer_load_dword v51, v47, s[0:3], 0 offen offset:12
	buffer_load_dword v54, v47, s[0:3], 0 offen
	buffer_load_dword v55, v47, s[0:3], 0 offen offset:4
	s_waitcnt vmcnt(2) lgkmcnt(0)
	v_mul_f64 v[56:57], v[3:4], v[50:51]
	v_mul_f64 v[50:51], v[1:2], v[50:51]
	s_waitcnt vmcnt(0)
	v_fma_f64 v[1:2], v[1:2], v[54:55], -v[56:57]
	v_fma_f64 v[3:4], v[3:4], v[54:55], v[50:51]
.LBB84_242:
	s_mov_b32 s8, exec_lo
	v_cmpx_ne_u32_e32 10, v0
	s_cbranch_execz .LBB84_246
; %bb.243:
	v_add_nc_u32_e32 v50, 0x160, v53
	v_add3_u32 v51, 0, v53, 16
	v_mov_b32_e32 v52, v0
	s_mov_b32 s27, 0
	.p2align	6
.LBB84_244:                             ; =>This Inner Loop Header: Depth=1
	s_clause 0x3
	buffer_load_dword v58, v51, s[0:3], 0 offen offset:8
	buffer_load_dword v59, v51, s[0:3], 0 offen offset:12
	buffer_load_dword v60, v51, s[0:3], 0 offen
	buffer_load_dword v61, v51, s[0:3], 0 offen offset:4
	ds_read_b128 v[54:57], v50
	v_add_nc_u32_e32 v52, 1, v52
	v_add_nc_u32_e32 v50, 16, v50
	;; [unrolled: 1-line block ×3, first 2 shown]
	v_cmp_lt_u32_e32 vcc_lo, 9, v52
	s_or_b32 s27, vcc_lo, s27
	s_waitcnt vmcnt(2) lgkmcnt(0)
	v_mul_f64 v[62:63], v[56:57], v[58:59]
	v_mul_f64 v[58:59], v[54:55], v[58:59]
	s_waitcnt vmcnt(0)
	v_fma_f64 v[54:55], v[54:55], v[60:61], -v[62:63]
	v_fma_f64 v[56:57], v[56:57], v[60:61], v[58:59]
	v_add_f64 v[1:2], v[1:2], v[54:55]
	v_add_f64 v[3:4], v[3:4], v[56:57]
	s_andn2_b32 exec_lo, exec_lo, s27
	s_cbranch_execnz .LBB84_244
; %bb.245:
	s_or_b32 exec_lo, exec_lo, s27
.LBB84_246:
	s_or_b32 exec_lo, exec_lo, s8
	v_mov_b32_e32 v50, 0
	ds_read_b128 v[54:57], v50 offset:176
	s_waitcnt lgkmcnt(0)
	v_mul_f64 v[50:51], v[3:4], v[56:57]
	v_mul_f64 v[56:57], v[1:2], v[56:57]
	v_fma_f64 v[1:2], v[1:2], v[54:55], -v[50:51]
	v_fma_f64 v[3:4], v[3:4], v[54:55], v[56:57]
	buffer_store_dword v2, off, s[0:3], 0 offset:180
	buffer_store_dword v1, off, s[0:3], 0 offset:176
	;; [unrolled: 1-line block ×4, first 2 shown]
.LBB84_247:
	s_or_b32 exec_lo, exec_lo, s4
	v_mov_b32_e32 v4, s15
	s_mov_b32 s4, exec_lo
	s_clause 0x3
	buffer_load_dword v1, v4, s[0:3], 0 offen
	buffer_load_dword v2, v4, s[0:3], 0 offen offset:4
	buffer_load_dword v3, v4, s[0:3], 0 offen offset:8
	;; [unrolled: 1-line block ×3, first 2 shown]
	s_waitcnt vmcnt(0)
	ds_write_b128 v48, v[1:4]
	s_waitcnt lgkmcnt(0)
	s_waitcnt_vscnt null, 0x0
	s_barrier
	buffer_gl0_inv
	v_cmpx_gt_u32_e32 12, v0
	s_cbranch_execz .LBB84_255
; %bb.248:
	ds_read_b128 v[1:4], v48
	v_cmp_ne_u32_e32 vcc_lo, 1, v49
	s_cbranch_vccnz .LBB84_250
; %bb.249:
	s_clause 0x3
	buffer_load_dword v50, v47, s[0:3], 0 offen offset:8
	buffer_load_dword v51, v47, s[0:3], 0 offen offset:12
	buffer_load_dword v54, v47, s[0:3], 0 offen
	buffer_load_dword v55, v47, s[0:3], 0 offen offset:4
	s_waitcnt vmcnt(2) lgkmcnt(0)
	v_mul_f64 v[56:57], v[3:4], v[50:51]
	v_mul_f64 v[50:51], v[1:2], v[50:51]
	s_waitcnt vmcnt(0)
	v_fma_f64 v[1:2], v[1:2], v[54:55], -v[56:57]
	v_fma_f64 v[3:4], v[3:4], v[54:55], v[50:51]
.LBB84_250:
	s_mov_b32 s8, exec_lo
	v_cmpx_ne_u32_e32 11, v0
	s_cbranch_execz .LBB84_254
; %bb.251:
	v_add_nc_u32_e32 v50, 0x160, v53
	v_add3_u32 v51, 0, v53, 16
	v_mov_b32_e32 v52, v0
	s_mov_b32 s27, 0
	.p2align	6
.LBB84_252:                             ; =>This Inner Loop Header: Depth=1
	s_clause 0x3
	buffer_load_dword v58, v51, s[0:3], 0 offen offset:8
	buffer_load_dword v59, v51, s[0:3], 0 offen offset:12
	buffer_load_dword v60, v51, s[0:3], 0 offen
	buffer_load_dword v61, v51, s[0:3], 0 offen offset:4
	ds_read_b128 v[54:57], v50
	v_add_nc_u32_e32 v52, 1, v52
	v_add_nc_u32_e32 v50, 16, v50
	;; [unrolled: 1-line block ×3, first 2 shown]
	v_cmp_lt_u32_e32 vcc_lo, 10, v52
	s_or_b32 s27, vcc_lo, s27
	s_waitcnt vmcnt(2) lgkmcnt(0)
	v_mul_f64 v[62:63], v[56:57], v[58:59]
	v_mul_f64 v[58:59], v[54:55], v[58:59]
	s_waitcnt vmcnt(0)
	v_fma_f64 v[54:55], v[54:55], v[60:61], -v[62:63]
	v_fma_f64 v[56:57], v[56:57], v[60:61], v[58:59]
	v_add_f64 v[1:2], v[1:2], v[54:55]
	v_add_f64 v[3:4], v[3:4], v[56:57]
	s_andn2_b32 exec_lo, exec_lo, s27
	s_cbranch_execnz .LBB84_252
; %bb.253:
	s_or_b32 exec_lo, exec_lo, s27
.LBB84_254:
	s_or_b32 exec_lo, exec_lo, s8
	v_mov_b32_e32 v50, 0
	ds_read_b128 v[54:57], v50 offset:192
	s_waitcnt lgkmcnt(0)
	v_mul_f64 v[50:51], v[3:4], v[56:57]
	v_mul_f64 v[56:57], v[1:2], v[56:57]
	v_fma_f64 v[1:2], v[1:2], v[54:55], -v[50:51]
	v_fma_f64 v[3:4], v[3:4], v[54:55], v[56:57]
	buffer_store_dword v2, off, s[0:3], 0 offset:196
	buffer_store_dword v1, off, s[0:3], 0 offset:192
	;; [unrolled: 1-line block ×4, first 2 shown]
.LBB84_255:
	s_or_b32 exec_lo, exec_lo, s4
	v_mov_b32_e32 v4, s14
	s_mov_b32 s4, exec_lo
	s_clause 0x3
	buffer_load_dword v1, v4, s[0:3], 0 offen
	buffer_load_dword v2, v4, s[0:3], 0 offen offset:4
	buffer_load_dword v3, v4, s[0:3], 0 offen offset:8
	;; [unrolled: 1-line block ×3, first 2 shown]
	s_waitcnt vmcnt(0)
	ds_write_b128 v48, v[1:4]
	s_waitcnt lgkmcnt(0)
	s_waitcnt_vscnt null, 0x0
	s_barrier
	buffer_gl0_inv
	v_cmpx_gt_u32_e32 13, v0
	s_cbranch_execz .LBB84_263
; %bb.256:
	ds_read_b128 v[1:4], v48
	v_cmp_ne_u32_e32 vcc_lo, 1, v49
	s_cbranch_vccnz .LBB84_258
; %bb.257:
	s_clause 0x3
	buffer_load_dword v50, v47, s[0:3], 0 offen offset:8
	buffer_load_dword v51, v47, s[0:3], 0 offen offset:12
	buffer_load_dword v54, v47, s[0:3], 0 offen
	buffer_load_dword v55, v47, s[0:3], 0 offen offset:4
	s_waitcnt vmcnt(2) lgkmcnt(0)
	v_mul_f64 v[56:57], v[3:4], v[50:51]
	v_mul_f64 v[50:51], v[1:2], v[50:51]
	s_waitcnt vmcnt(0)
	v_fma_f64 v[1:2], v[1:2], v[54:55], -v[56:57]
	v_fma_f64 v[3:4], v[3:4], v[54:55], v[50:51]
.LBB84_258:
	s_mov_b32 s8, exec_lo
	v_cmpx_ne_u32_e32 12, v0
	s_cbranch_execz .LBB84_262
; %bb.259:
	v_add_nc_u32_e32 v50, 0x160, v53
	v_add3_u32 v51, 0, v53, 16
	v_mov_b32_e32 v52, v0
	s_mov_b32 s27, 0
	.p2align	6
.LBB84_260:                             ; =>This Inner Loop Header: Depth=1
	s_clause 0x3
	buffer_load_dword v58, v51, s[0:3], 0 offen offset:8
	buffer_load_dword v59, v51, s[0:3], 0 offen offset:12
	buffer_load_dword v60, v51, s[0:3], 0 offen
	buffer_load_dword v61, v51, s[0:3], 0 offen offset:4
	ds_read_b128 v[54:57], v50
	v_add_nc_u32_e32 v52, 1, v52
	v_add_nc_u32_e32 v50, 16, v50
	;; [unrolled: 1-line block ×3, first 2 shown]
	v_cmp_lt_u32_e32 vcc_lo, 11, v52
	s_or_b32 s27, vcc_lo, s27
	s_waitcnt vmcnt(2) lgkmcnt(0)
	v_mul_f64 v[62:63], v[56:57], v[58:59]
	v_mul_f64 v[58:59], v[54:55], v[58:59]
	s_waitcnt vmcnt(0)
	v_fma_f64 v[54:55], v[54:55], v[60:61], -v[62:63]
	v_fma_f64 v[56:57], v[56:57], v[60:61], v[58:59]
	v_add_f64 v[1:2], v[1:2], v[54:55]
	v_add_f64 v[3:4], v[3:4], v[56:57]
	s_andn2_b32 exec_lo, exec_lo, s27
	s_cbranch_execnz .LBB84_260
; %bb.261:
	s_or_b32 exec_lo, exec_lo, s27
.LBB84_262:
	s_or_b32 exec_lo, exec_lo, s8
	v_mov_b32_e32 v50, 0
	ds_read_b128 v[54:57], v50 offset:208
	s_waitcnt lgkmcnt(0)
	v_mul_f64 v[50:51], v[3:4], v[56:57]
	v_mul_f64 v[56:57], v[1:2], v[56:57]
	v_fma_f64 v[1:2], v[1:2], v[54:55], -v[50:51]
	v_fma_f64 v[3:4], v[3:4], v[54:55], v[56:57]
	buffer_store_dword v2, off, s[0:3], 0 offset:212
	buffer_store_dword v1, off, s[0:3], 0 offset:208
	;; [unrolled: 1-line block ×4, first 2 shown]
.LBB84_263:
	s_or_b32 exec_lo, exec_lo, s4
	v_mov_b32_e32 v4, s13
	s_mov_b32 s4, exec_lo
	s_clause 0x3
	buffer_load_dword v1, v4, s[0:3], 0 offen
	buffer_load_dword v2, v4, s[0:3], 0 offen offset:4
	buffer_load_dword v3, v4, s[0:3], 0 offen offset:8
	;; [unrolled: 1-line block ×3, first 2 shown]
	s_waitcnt vmcnt(0)
	ds_write_b128 v48, v[1:4]
	s_waitcnt lgkmcnt(0)
	s_waitcnt_vscnt null, 0x0
	s_barrier
	buffer_gl0_inv
	v_cmpx_gt_u32_e32 14, v0
	s_cbranch_execz .LBB84_271
; %bb.264:
	ds_read_b128 v[1:4], v48
	v_cmp_ne_u32_e32 vcc_lo, 1, v49
	s_cbranch_vccnz .LBB84_266
; %bb.265:
	s_clause 0x3
	buffer_load_dword v50, v47, s[0:3], 0 offen offset:8
	buffer_load_dword v51, v47, s[0:3], 0 offen offset:12
	buffer_load_dword v54, v47, s[0:3], 0 offen
	buffer_load_dword v55, v47, s[0:3], 0 offen offset:4
	s_waitcnt vmcnt(2) lgkmcnt(0)
	v_mul_f64 v[56:57], v[3:4], v[50:51]
	v_mul_f64 v[50:51], v[1:2], v[50:51]
	s_waitcnt vmcnt(0)
	v_fma_f64 v[1:2], v[1:2], v[54:55], -v[56:57]
	v_fma_f64 v[3:4], v[3:4], v[54:55], v[50:51]
.LBB84_266:
	s_mov_b32 s8, exec_lo
	v_cmpx_ne_u32_e32 13, v0
	s_cbranch_execz .LBB84_270
; %bb.267:
	v_add_nc_u32_e32 v50, 0x160, v53
	v_add3_u32 v51, 0, v53, 16
	v_mov_b32_e32 v52, v0
	s_mov_b32 s27, 0
	.p2align	6
.LBB84_268:                             ; =>This Inner Loop Header: Depth=1
	s_clause 0x3
	buffer_load_dword v58, v51, s[0:3], 0 offen offset:8
	buffer_load_dword v59, v51, s[0:3], 0 offen offset:12
	buffer_load_dword v60, v51, s[0:3], 0 offen
	buffer_load_dword v61, v51, s[0:3], 0 offen offset:4
	ds_read_b128 v[54:57], v50
	v_add_nc_u32_e32 v52, 1, v52
	v_add_nc_u32_e32 v50, 16, v50
	;; [unrolled: 1-line block ×3, first 2 shown]
	v_cmp_lt_u32_e32 vcc_lo, 12, v52
	s_or_b32 s27, vcc_lo, s27
	s_waitcnt vmcnt(2) lgkmcnt(0)
	v_mul_f64 v[62:63], v[56:57], v[58:59]
	v_mul_f64 v[58:59], v[54:55], v[58:59]
	s_waitcnt vmcnt(0)
	v_fma_f64 v[54:55], v[54:55], v[60:61], -v[62:63]
	v_fma_f64 v[56:57], v[56:57], v[60:61], v[58:59]
	v_add_f64 v[1:2], v[1:2], v[54:55]
	v_add_f64 v[3:4], v[3:4], v[56:57]
	s_andn2_b32 exec_lo, exec_lo, s27
	s_cbranch_execnz .LBB84_268
; %bb.269:
	s_or_b32 exec_lo, exec_lo, s27
.LBB84_270:
	s_or_b32 exec_lo, exec_lo, s8
	v_mov_b32_e32 v50, 0
	ds_read_b128 v[54:57], v50 offset:224
	s_waitcnt lgkmcnt(0)
	v_mul_f64 v[50:51], v[3:4], v[56:57]
	v_mul_f64 v[56:57], v[1:2], v[56:57]
	v_fma_f64 v[1:2], v[1:2], v[54:55], -v[50:51]
	v_fma_f64 v[3:4], v[3:4], v[54:55], v[56:57]
	buffer_store_dword v2, off, s[0:3], 0 offset:228
	buffer_store_dword v1, off, s[0:3], 0 offset:224
	;; [unrolled: 1-line block ×4, first 2 shown]
.LBB84_271:
	s_or_b32 exec_lo, exec_lo, s4
	v_mov_b32_e32 v4, s12
	s_mov_b32 s4, exec_lo
	s_clause 0x3
	buffer_load_dword v1, v4, s[0:3], 0 offen
	buffer_load_dword v2, v4, s[0:3], 0 offen offset:4
	buffer_load_dword v3, v4, s[0:3], 0 offen offset:8
	;; [unrolled: 1-line block ×3, first 2 shown]
	s_waitcnt vmcnt(0)
	ds_write_b128 v48, v[1:4]
	s_waitcnt lgkmcnt(0)
	s_waitcnt_vscnt null, 0x0
	s_barrier
	buffer_gl0_inv
	v_cmpx_gt_u32_e32 15, v0
	s_cbranch_execz .LBB84_279
; %bb.272:
	ds_read_b128 v[1:4], v48
	v_cmp_ne_u32_e32 vcc_lo, 1, v49
	s_cbranch_vccnz .LBB84_274
; %bb.273:
	s_clause 0x3
	buffer_load_dword v50, v47, s[0:3], 0 offen offset:8
	buffer_load_dword v51, v47, s[0:3], 0 offen offset:12
	buffer_load_dword v54, v47, s[0:3], 0 offen
	buffer_load_dword v55, v47, s[0:3], 0 offen offset:4
	s_waitcnt vmcnt(2) lgkmcnt(0)
	v_mul_f64 v[56:57], v[3:4], v[50:51]
	v_mul_f64 v[50:51], v[1:2], v[50:51]
	s_waitcnt vmcnt(0)
	v_fma_f64 v[1:2], v[1:2], v[54:55], -v[56:57]
	v_fma_f64 v[3:4], v[3:4], v[54:55], v[50:51]
.LBB84_274:
	s_mov_b32 s8, exec_lo
	v_cmpx_ne_u32_e32 14, v0
	s_cbranch_execz .LBB84_278
; %bb.275:
	v_add_nc_u32_e32 v50, 0x160, v53
	v_add3_u32 v51, 0, v53, 16
	v_mov_b32_e32 v52, v0
	s_mov_b32 s27, 0
	.p2align	6
.LBB84_276:                             ; =>This Inner Loop Header: Depth=1
	s_clause 0x3
	buffer_load_dword v58, v51, s[0:3], 0 offen offset:8
	buffer_load_dword v59, v51, s[0:3], 0 offen offset:12
	buffer_load_dword v60, v51, s[0:3], 0 offen
	buffer_load_dword v61, v51, s[0:3], 0 offen offset:4
	ds_read_b128 v[54:57], v50
	v_add_nc_u32_e32 v52, 1, v52
	v_add_nc_u32_e32 v50, 16, v50
	;; [unrolled: 1-line block ×3, first 2 shown]
	v_cmp_lt_u32_e32 vcc_lo, 13, v52
	s_or_b32 s27, vcc_lo, s27
	s_waitcnt vmcnt(2) lgkmcnt(0)
	v_mul_f64 v[62:63], v[56:57], v[58:59]
	v_mul_f64 v[58:59], v[54:55], v[58:59]
	s_waitcnt vmcnt(0)
	v_fma_f64 v[54:55], v[54:55], v[60:61], -v[62:63]
	v_fma_f64 v[56:57], v[56:57], v[60:61], v[58:59]
	v_add_f64 v[1:2], v[1:2], v[54:55]
	v_add_f64 v[3:4], v[3:4], v[56:57]
	s_andn2_b32 exec_lo, exec_lo, s27
	s_cbranch_execnz .LBB84_276
; %bb.277:
	s_or_b32 exec_lo, exec_lo, s27
.LBB84_278:
	s_or_b32 exec_lo, exec_lo, s8
	v_mov_b32_e32 v50, 0
	ds_read_b128 v[54:57], v50 offset:240
	s_waitcnt lgkmcnt(0)
	v_mul_f64 v[50:51], v[3:4], v[56:57]
	v_mul_f64 v[56:57], v[1:2], v[56:57]
	v_fma_f64 v[1:2], v[1:2], v[54:55], -v[50:51]
	v_fma_f64 v[3:4], v[3:4], v[54:55], v[56:57]
	buffer_store_dword v2, off, s[0:3], 0 offset:244
	buffer_store_dword v1, off, s[0:3], 0 offset:240
	;; [unrolled: 1-line block ×4, first 2 shown]
.LBB84_279:
	s_or_b32 exec_lo, exec_lo, s4
	v_mov_b32_e32 v4, s11
	s_mov_b32 s4, exec_lo
	s_clause 0x3
	buffer_load_dword v1, v4, s[0:3], 0 offen
	buffer_load_dword v2, v4, s[0:3], 0 offen offset:4
	buffer_load_dword v3, v4, s[0:3], 0 offen offset:8
	;; [unrolled: 1-line block ×3, first 2 shown]
	s_waitcnt vmcnt(0)
	ds_write_b128 v48, v[1:4]
	s_waitcnt lgkmcnt(0)
	s_waitcnt_vscnt null, 0x0
	s_barrier
	buffer_gl0_inv
	v_cmpx_gt_u32_e32 16, v0
	s_cbranch_execz .LBB84_287
; %bb.280:
	ds_read_b128 v[1:4], v48
	v_cmp_ne_u32_e32 vcc_lo, 1, v49
	s_cbranch_vccnz .LBB84_282
; %bb.281:
	s_clause 0x3
	buffer_load_dword v50, v47, s[0:3], 0 offen offset:8
	buffer_load_dword v51, v47, s[0:3], 0 offen offset:12
	buffer_load_dword v54, v47, s[0:3], 0 offen
	buffer_load_dword v55, v47, s[0:3], 0 offen offset:4
	s_waitcnt vmcnt(2) lgkmcnt(0)
	v_mul_f64 v[56:57], v[3:4], v[50:51]
	v_mul_f64 v[50:51], v[1:2], v[50:51]
	s_waitcnt vmcnt(0)
	v_fma_f64 v[1:2], v[1:2], v[54:55], -v[56:57]
	v_fma_f64 v[3:4], v[3:4], v[54:55], v[50:51]
.LBB84_282:
	s_mov_b32 s8, exec_lo
	v_cmpx_ne_u32_e32 15, v0
	s_cbranch_execz .LBB84_286
; %bb.283:
	v_add_nc_u32_e32 v50, 0x160, v53
	v_add3_u32 v51, 0, v53, 16
	v_mov_b32_e32 v52, v0
	s_mov_b32 s27, 0
	.p2align	6
.LBB84_284:                             ; =>This Inner Loop Header: Depth=1
	s_clause 0x3
	buffer_load_dword v58, v51, s[0:3], 0 offen offset:8
	buffer_load_dword v59, v51, s[0:3], 0 offen offset:12
	buffer_load_dword v60, v51, s[0:3], 0 offen
	buffer_load_dword v61, v51, s[0:3], 0 offen offset:4
	ds_read_b128 v[54:57], v50
	v_add_nc_u32_e32 v52, 1, v52
	v_add_nc_u32_e32 v50, 16, v50
	;; [unrolled: 1-line block ×3, first 2 shown]
	v_cmp_lt_u32_e32 vcc_lo, 14, v52
	s_or_b32 s27, vcc_lo, s27
	s_waitcnt vmcnt(2) lgkmcnt(0)
	v_mul_f64 v[62:63], v[56:57], v[58:59]
	v_mul_f64 v[58:59], v[54:55], v[58:59]
	s_waitcnt vmcnt(0)
	v_fma_f64 v[54:55], v[54:55], v[60:61], -v[62:63]
	v_fma_f64 v[56:57], v[56:57], v[60:61], v[58:59]
	v_add_f64 v[1:2], v[1:2], v[54:55]
	v_add_f64 v[3:4], v[3:4], v[56:57]
	s_andn2_b32 exec_lo, exec_lo, s27
	s_cbranch_execnz .LBB84_284
; %bb.285:
	s_or_b32 exec_lo, exec_lo, s27
.LBB84_286:
	s_or_b32 exec_lo, exec_lo, s8
	v_mov_b32_e32 v50, 0
	ds_read_b128 v[54:57], v50 offset:256
	s_waitcnt lgkmcnt(0)
	v_mul_f64 v[50:51], v[3:4], v[56:57]
	v_mul_f64 v[56:57], v[1:2], v[56:57]
	v_fma_f64 v[1:2], v[1:2], v[54:55], -v[50:51]
	v_fma_f64 v[3:4], v[3:4], v[54:55], v[56:57]
	buffer_store_dword v2, off, s[0:3], 0 offset:260
	buffer_store_dword v1, off, s[0:3], 0 offset:256
	buffer_store_dword v4, off, s[0:3], 0 offset:268
	buffer_store_dword v3, off, s[0:3], 0 offset:264
.LBB84_287:
	s_or_b32 exec_lo, exec_lo, s4
	v_mov_b32_e32 v4, s10
	s_mov_b32 s4, exec_lo
	s_clause 0x3
	buffer_load_dword v1, v4, s[0:3], 0 offen
	buffer_load_dword v2, v4, s[0:3], 0 offen offset:4
	buffer_load_dword v3, v4, s[0:3], 0 offen offset:8
	;; [unrolled: 1-line block ×3, first 2 shown]
	s_waitcnt vmcnt(0)
	ds_write_b128 v48, v[1:4]
	s_waitcnt lgkmcnt(0)
	s_waitcnt_vscnt null, 0x0
	s_barrier
	buffer_gl0_inv
	v_cmpx_gt_u32_e32 17, v0
	s_cbranch_execz .LBB84_295
; %bb.288:
	ds_read_b128 v[1:4], v48
	v_cmp_ne_u32_e32 vcc_lo, 1, v49
	s_cbranch_vccnz .LBB84_290
; %bb.289:
	s_clause 0x3
	buffer_load_dword v50, v47, s[0:3], 0 offen offset:8
	buffer_load_dword v51, v47, s[0:3], 0 offen offset:12
	buffer_load_dword v54, v47, s[0:3], 0 offen
	buffer_load_dword v55, v47, s[0:3], 0 offen offset:4
	s_waitcnt vmcnt(2) lgkmcnt(0)
	v_mul_f64 v[56:57], v[3:4], v[50:51]
	v_mul_f64 v[50:51], v[1:2], v[50:51]
	s_waitcnt vmcnt(0)
	v_fma_f64 v[1:2], v[1:2], v[54:55], -v[56:57]
	v_fma_f64 v[3:4], v[3:4], v[54:55], v[50:51]
.LBB84_290:
	s_mov_b32 s8, exec_lo
	v_cmpx_ne_u32_e32 16, v0
	s_cbranch_execz .LBB84_294
; %bb.291:
	v_add_nc_u32_e32 v50, 0x160, v53
	v_add3_u32 v51, 0, v53, 16
	v_mov_b32_e32 v52, v0
	s_mov_b32 s27, 0
	.p2align	6
.LBB84_292:                             ; =>This Inner Loop Header: Depth=1
	s_clause 0x3
	buffer_load_dword v58, v51, s[0:3], 0 offen offset:8
	buffer_load_dword v59, v51, s[0:3], 0 offen offset:12
	buffer_load_dword v60, v51, s[0:3], 0 offen
	buffer_load_dword v61, v51, s[0:3], 0 offen offset:4
	ds_read_b128 v[54:57], v50
	v_add_nc_u32_e32 v52, 1, v52
	v_add_nc_u32_e32 v50, 16, v50
	;; [unrolled: 1-line block ×3, first 2 shown]
	v_cmp_lt_u32_e32 vcc_lo, 15, v52
	s_or_b32 s27, vcc_lo, s27
	s_waitcnt vmcnt(2) lgkmcnt(0)
	v_mul_f64 v[62:63], v[56:57], v[58:59]
	v_mul_f64 v[58:59], v[54:55], v[58:59]
	s_waitcnt vmcnt(0)
	v_fma_f64 v[54:55], v[54:55], v[60:61], -v[62:63]
	v_fma_f64 v[56:57], v[56:57], v[60:61], v[58:59]
	v_add_f64 v[1:2], v[1:2], v[54:55]
	v_add_f64 v[3:4], v[3:4], v[56:57]
	s_andn2_b32 exec_lo, exec_lo, s27
	s_cbranch_execnz .LBB84_292
; %bb.293:
	s_or_b32 exec_lo, exec_lo, s27
.LBB84_294:
	s_or_b32 exec_lo, exec_lo, s8
	v_mov_b32_e32 v50, 0
	ds_read_b128 v[54:57], v50 offset:272
	s_waitcnt lgkmcnt(0)
	v_mul_f64 v[50:51], v[3:4], v[56:57]
	v_mul_f64 v[56:57], v[1:2], v[56:57]
	v_fma_f64 v[1:2], v[1:2], v[54:55], -v[50:51]
	v_fma_f64 v[3:4], v[3:4], v[54:55], v[56:57]
	buffer_store_dword v2, off, s[0:3], 0 offset:276
	buffer_store_dword v1, off, s[0:3], 0 offset:272
	;; [unrolled: 1-line block ×4, first 2 shown]
.LBB84_295:
	s_or_b32 exec_lo, exec_lo, s4
	v_mov_b32_e32 v4, s9
	s_mov_b32 s4, exec_lo
	s_clause 0x3
	buffer_load_dword v1, v4, s[0:3], 0 offen
	buffer_load_dword v2, v4, s[0:3], 0 offen offset:4
	buffer_load_dword v3, v4, s[0:3], 0 offen offset:8
	buffer_load_dword v4, v4, s[0:3], 0 offen offset:12
	s_waitcnt vmcnt(0)
	ds_write_b128 v48, v[1:4]
	s_waitcnt lgkmcnt(0)
	s_waitcnt_vscnt null, 0x0
	s_barrier
	buffer_gl0_inv
	v_cmpx_gt_u32_e32 18, v0
	s_cbranch_execz .LBB84_303
; %bb.296:
	ds_read_b128 v[1:4], v48
	v_cmp_ne_u32_e32 vcc_lo, 1, v49
	s_cbranch_vccnz .LBB84_298
; %bb.297:
	s_clause 0x3
	buffer_load_dword v50, v47, s[0:3], 0 offen offset:8
	buffer_load_dword v51, v47, s[0:3], 0 offen offset:12
	buffer_load_dword v54, v47, s[0:3], 0 offen
	buffer_load_dword v55, v47, s[0:3], 0 offen offset:4
	s_waitcnt vmcnt(2) lgkmcnt(0)
	v_mul_f64 v[56:57], v[3:4], v[50:51]
	v_mul_f64 v[50:51], v[1:2], v[50:51]
	s_waitcnt vmcnt(0)
	v_fma_f64 v[1:2], v[1:2], v[54:55], -v[56:57]
	v_fma_f64 v[3:4], v[3:4], v[54:55], v[50:51]
.LBB84_298:
	s_mov_b32 s8, exec_lo
	v_cmpx_ne_u32_e32 17, v0
	s_cbranch_execz .LBB84_302
; %bb.299:
	v_add_nc_u32_e32 v50, 0x160, v53
	v_add3_u32 v51, 0, v53, 16
	v_mov_b32_e32 v52, v0
	s_mov_b32 s27, 0
	.p2align	6
.LBB84_300:                             ; =>This Inner Loop Header: Depth=1
	s_clause 0x3
	buffer_load_dword v58, v51, s[0:3], 0 offen offset:8
	buffer_load_dword v59, v51, s[0:3], 0 offen offset:12
	buffer_load_dword v60, v51, s[0:3], 0 offen
	buffer_load_dword v61, v51, s[0:3], 0 offen offset:4
	ds_read_b128 v[54:57], v50
	v_add_nc_u32_e32 v52, 1, v52
	v_add_nc_u32_e32 v50, 16, v50
	v_add_nc_u32_e32 v51, 16, v51
	v_cmp_lt_u32_e32 vcc_lo, 16, v52
	s_or_b32 s27, vcc_lo, s27
	s_waitcnt vmcnt(2) lgkmcnt(0)
	v_mul_f64 v[62:63], v[56:57], v[58:59]
	v_mul_f64 v[58:59], v[54:55], v[58:59]
	s_waitcnt vmcnt(0)
	v_fma_f64 v[54:55], v[54:55], v[60:61], -v[62:63]
	v_fma_f64 v[56:57], v[56:57], v[60:61], v[58:59]
	v_add_f64 v[1:2], v[1:2], v[54:55]
	v_add_f64 v[3:4], v[3:4], v[56:57]
	s_andn2_b32 exec_lo, exec_lo, s27
	s_cbranch_execnz .LBB84_300
; %bb.301:
	s_or_b32 exec_lo, exec_lo, s27
.LBB84_302:
	s_or_b32 exec_lo, exec_lo, s8
	v_mov_b32_e32 v50, 0
	ds_read_b128 v[54:57], v50 offset:288
	s_waitcnt lgkmcnt(0)
	v_mul_f64 v[50:51], v[3:4], v[56:57]
	v_mul_f64 v[56:57], v[1:2], v[56:57]
	v_fma_f64 v[1:2], v[1:2], v[54:55], -v[50:51]
	v_fma_f64 v[3:4], v[3:4], v[54:55], v[56:57]
	buffer_store_dword v2, off, s[0:3], 0 offset:292
	buffer_store_dword v1, off, s[0:3], 0 offset:288
	;; [unrolled: 1-line block ×4, first 2 shown]
.LBB84_303:
	s_or_b32 exec_lo, exec_lo, s4
	v_mov_b32_e32 v4, s7
	v_cmp_gt_u32_e64 s4, 19, v0
	s_clause 0x3
	buffer_load_dword v1, v4, s[0:3], 0 offen
	buffer_load_dword v2, v4, s[0:3], 0 offen offset:4
	buffer_load_dword v3, v4, s[0:3], 0 offen offset:8
	;; [unrolled: 1-line block ×3, first 2 shown]
	s_waitcnt vmcnt(0)
	ds_write_b128 v48, v[1:4]
	s_waitcnt lgkmcnt(0)
	s_waitcnt_vscnt null, 0x0
	s_barrier
	buffer_gl0_inv
	s_and_saveexec_b32 s8, s4
	s_cbranch_execz .LBB84_311
; %bb.304:
	ds_read_b128 v[1:4], v48
	v_cmp_ne_u32_e32 vcc_lo, 1, v49
	s_cbranch_vccnz .LBB84_306
; %bb.305:
	s_clause 0x3
	buffer_load_dword v50, v47, s[0:3], 0 offen offset:8
	buffer_load_dword v51, v47, s[0:3], 0 offen offset:12
	buffer_load_dword v54, v47, s[0:3], 0 offen
	buffer_load_dword v55, v47, s[0:3], 0 offen offset:4
	s_waitcnt vmcnt(2) lgkmcnt(0)
	v_mul_f64 v[56:57], v[3:4], v[50:51]
	v_mul_f64 v[50:51], v[1:2], v[50:51]
	s_waitcnt vmcnt(0)
	v_fma_f64 v[1:2], v[1:2], v[54:55], -v[56:57]
	v_fma_f64 v[3:4], v[3:4], v[54:55], v[50:51]
.LBB84_306:
	s_mov_b32 s27, exec_lo
	v_cmpx_ne_u32_e32 18, v0
	s_cbranch_execz .LBB84_310
; %bb.307:
	v_add_nc_u32_e32 v50, 0x160, v53
	v_add3_u32 v51, 0, v53, 16
	v_mov_b32_e32 v52, v0
	s_mov_b32 s28, 0
	.p2align	6
.LBB84_308:                             ; =>This Inner Loop Header: Depth=1
	s_clause 0x3
	buffer_load_dword v58, v51, s[0:3], 0 offen offset:8
	buffer_load_dword v59, v51, s[0:3], 0 offen offset:12
	buffer_load_dword v60, v51, s[0:3], 0 offen
	buffer_load_dword v61, v51, s[0:3], 0 offen offset:4
	ds_read_b128 v[54:57], v50
	v_add_nc_u32_e32 v52, 1, v52
	v_add_nc_u32_e32 v50, 16, v50
	;; [unrolled: 1-line block ×3, first 2 shown]
	v_cmp_lt_u32_e32 vcc_lo, 17, v52
	s_or_b32 s28, vcc_lo, s28
	s_waitcnt vmcnt(2) lgkmcnt(0)
	v_mul_f64 v[62:63], v[56:57], v[58:59]
	v_mul_f64 v[58:59], v[54:55], v[58:59]
	s_waitcnt vmcnt(0)
	v_fma_f64 v[54:55], v[54:55], v[60:61], -v[62:63]
	v_fma_f64 v[56:57], v[56:57], v[60:61], v[58:59]
	v_add_f64 v[1:2], v[1:2], v[54:55]
	v_add_f64 v[3:4], v[3:4], v[56:57]
	s_andn2_b32 exec_lo, exec_lo, s28
	s_cbranch_execnz .LBB84_308
; %bb.309:
	s_or_b32 exec_lo, exec_lo, s28
.LBB84_310:
	s_or_b32 exec_lo, exec_lo, s27
	v_mov_b32_e32 v50, 0
	ds_read_b128 v[54:57], v50 offset:304
	s_waitcnt lgkmcnt(0)
	v_mul_f64 v[50:51], v[3:4], v[56:57]
	v_mul_f64 v[56:57], v[1:2], v[56:57]
	v_fma_f64 v[1:2], v[1:2], v[54:55], -v[50:51]
	v_fma_f64 v[3:4], v[3:4], v[54:55], v[56:57]
	buffer_store_dword v2, off, s[0:3], 0 offset:308
	buffer_store_dword v1, off, s[0:3], 0 offset:304
	;; [unrolled: 1-line block ×4, first 2 shown]
.LBB84_311:
	s_or_b32 exec_lo, exec_lo, s8
	v_mov_b32_e32 v4, s6
	s_mov_b32 s8, exec_lo
                                        ; implicit-def: $sgpr29
	s_clause 0x3
	buffer_load_dword v1, v4, s[0:3], 0 offen
	buffer_load_dword v2, v4, s[0:3], 0 offen offset:4
	buffer_load_dword v3, v4, s[0:3], 0 offen offset:8
	buffer_load_dword v4, v4, s[0:3], 0 offen offset:12
	s_waitcnt vmcnt(0)
	ds_write_b128 v48, v[1:4]
	s_waitcnt lgkmcnt(0)
	s_waitcnt_vscnt null, 0x0
	s_barrier
	buffer_gl0_inv
                                        ; implicit-def: $vgpr1_vgpr2
	v_cmpx_ne_u32_e32 20, v0
	s_cbranch_execz .LBB84_319
; %bb.312:
	ds_read_b128 v[1:4], v48
	v_cmp_ne_u32_e32 vcc_lo, 1, v49
	s_cbranch_vccnz .LBB84_314
; %bb.313:
	s_clause 0x3
	buffer_load_dword v48, v47, s[0:3], 0 offen offset:8
	buffer_load_dword v49, v47, s[0:3], 0 offen offset:12
	buffer_load_dword v50, v47, s[0:3], 0 offen
	buffer_load_dword v51, v47, s[0:3], 0 offen offset:4
	s_waitcnt vmcnt(2) lgkmcnt(0)
	v_mul_f64 v[54:55], v[3:4], v[48:49]
	v_mul_f64 v[47:48], v[1:2], v[48:49]
	s_waitcnt vmcnt(0)
	v_fma_f64 v[1:2], v[1:2], v[50:51], -v[54:55]
	v_fma_f64 v[3:4], v[3:4], v[50:51], v[47:48]
.LBB84_314:
	s_and_saveexec_b32 s27, s4
	s_cbranch_execz .LBB84_318
; %bb.315:
	v_add_nc_u32_e32 v47, 0x160, v53
	v_add3_u32 v48, 0, v53, 16
	s_mov_b32 s4, 0
	.p2align	6
.LBB84_316:                             ; =>This Inner Loop Header: Depth=1
	s_clause 0x3
	buffer_load_dword v53, v48, s[0:3], 0 offen offset:8
	buffer_load_dword v54, v48, s[0:3], 0 offen offset:12
	buffer_load_dword v55, v48, s[0:3], 0 offen
	buffer_load_dword v56, v48, s[0:3], 0 offen offset:4
	ds_read_b128 v[49:52], v47
	v_add_nc_u32_e32 v0, 1, v0
	v_add_nc_u32_e32 v47, 16, v47
	;; [unrolled: 1-line block ×3, first 2 shown]
	v_cmp_lt_u32_e32 vcc_lo, 18, v0
	s_or_b32 s4, vcc_lo, s4
	s_waitcnt vmcnt(2) lgkmcnt(0)
	v_mul_f64 v[57:58], v[51:52], v[53:54]
	v_mul_f64 v[53:54], v[49:50], v[53:54]
	s_waitcnt vmcnt(0)
	v_fma_f64 v[49:50], v[49:50], v[55:56], -v[57:58]
	v_fma_f64 v[51:52], v[51:52], v[55:56], v[53:54]
	v_add_f64 v[1:2], v[1:2], v[49:50]
	v_add_f64 v[3:4], v[3:4], v[51:52]
	s_andn2_b32 exec_lo, exec_lo, s4
	s_cbranch_execnz .LBB84_316
; %bb.317:
	s_or_b32 exec_lo, exec_lo, s4
.LBB84_318:
	s_or_b32 exec_lo, exec_lo, s27
	v_mov_b32_e32 v0, 0
	s_movk_i32 s29, 0x148
	s_or_b32 s5, s5, exec_lo
	ds_read_b128 v[47:50], v0 offset:320
	s_waitcnt lgkmcnt(0)
	v_mul_f64 v[51:52], v[3:4], v[49:50]
	v_mul_f64 v[49:50], v[1:2], v[49:50]
	v_fma_f64 v[51:52], v[1:2], v[47:48], -v[51:52]
	v_fma_f64 v[1:2], v[3:4], v[47:48], v[49:50]
	buffer_store_dword v52, off, s[0:3], 0 offset:324
	buffer_store_dword v51, off, s[0:3], 0 offset:320
.LBB84_319:
	s_or_b32 exec_lo, exec_lo, s8
.LBB84_320:
	s_and_saveexec_b32 s4, s5
	s_cbranch_execz .LBB84_322
; %bb.321:
	v_mov_b32_e32 v0, s29
	buffer_store_dword v2, v0, s[0:3], 0 offen offset:4
	buffer_store_dword v1, v0, s[0:3], 0 offen
.LBB84_322:
	s_or_b32 exec_lo, exec_lo, s4
	s_clause 0x3
	buffer_load_dword v0, off, s[0:3], 0
	buffer_load_dword v1, off, s[0:3], 0 offset:4
	buffer_load_dword v2, off, s[0:3], 0 offset:8
	;; [unrolled: 1-line block ×3, first 2 shown]
	v_mov_b32_e32 v4, s26
	s_waitcnt vmcnt(0)
	flat_store_dwordx4 v[5:6], v[0:3]
	s_clause 0x3
	buffer_load_dword v0, v4, s[0:3], 0 offen
	buffer_load_dword v1, v4, s[0:3], 0 offen offset:4
	buffer_load_dword v2, v4, s[0:3], 0 offen offset:8
	buffer_load_dword v3, v4, s[0:3], 0 offen offset:12
	v_mov_b32_e32 v4, s25
	s_waitcnt vmcnt(0)
	flat_store_dwordx4 v[7:8], v[0:3]
	s_clause 0x3
	buffer_load_dword v0, v4, s[0:3], 0 offen
	buffer_load_dword v1, v4, s[0:3], 0 offen offset:4
	buffer_load_dword v2, v4, s[0:3], 0 offen offset:8
	buffer_load_dword v3, v4, s[0:3], 0 offen offset:12
	;; [unrolled: 8-line block ×20, first 2 shown]
	s_waitcnt vmcnt(0)
	flat_store_dwordx4 v[45:46], v[0:3]
.LBB84_323:
	s_endpgm
	.section	.rodata,"a",@progbits
	.p2align	6, 0x0
	.amdhsa_kernel _ZN9rocsolver6v33100L18trti2_kernel_smallILi21E19rocblas_complex_numIdEPKPS3_EEv13rocblas_fill_17rocblas_diagonal_T1_iil
		.amdhsa_group_segment_fixed_size 672
		.amdhsa_private_segment_fixed_size 352
		.amdhsa_kernarg_size 32
		.amdhsa_user_sgpr_count 6
		.amdhsa_user_sgpr_private_segment_buffer 1
		.amdhsa_user_sgpr_dispatch_ptr 0
		.amdhsa_user_sgpr_queue_ptr 0
		.amdhsa_user_sgpr_kernarg_segment_ptr 1
		.amdhsa_user_sgpr_dispatch_id 0
		.amdhsa_user_sgpr_flat_scratch_init 0
		.amdhsa_user_sgpr_private_segment_size 0
		.amdhsa_wavefront_size32 1
		.amdhsa_uses_dynamic_stack 0
		.amdhsa_system_sgpr_private_segment_wavefront_offset 1
		.amdhsa_system_sgpr_workgroup_id_x 1
		.amdhsa_system_sgpr_workgroup_id_y 0
		.amdhsa_system_sgpr_workgroup_id_z 0
		.amdhsa_system_sgpr_workgroup_info 0
		.amdhsa_system_vgpr_workitem_id 0
		.amdhsa_next_free_vgpr 64
		.amdhsa_next_free_sgpr 36
		.amdhsa_reserve_vcc 1
		.amdhsa_reserve_flat_scratch 0
		.amdhsa_float_round_mode_32 0
		.amdhsa_float_round_mode_16_64 0
		.amdhsa_float_denorm_mode_32 3
		.amdhsa_float_denorm_mode_16_64 3
		.amdhsa_dx10_clamp 1
		.amdhsa_ieee_mode 1
		.amdhsa_fp16_overflow 0
		.amdhsa_workgroup_processor_mode 1
		.amdhsa_memory_ordered 1
		.amdhsa_forward_progress 1
		.amdhsa_shared_vgpr_count 0
		.amdhsa_exception_fp_ieee_invalid_op 0
		.amdhsa_exception_fp_denorm_src 0
		.amdhsa_exception_fp_ieee_div_zero 0
		.amdhsa_exception_fp_ieee_overflow 0
		.amdhsa_exception_fp_ieee_underflow 0
		.amdhsa_exception_fp_ieee_inexact 0
		.amdhsa_exception_int_div_zero 0
	.end_amdhsa_kernel
	.section	.text._ZN9rocsolver6v33100L18trti2_kernel_smallILi21E19rocblas_complex_numIdEPKPS3_EEv13rocblas_fill_17rocblas_diagonal_T1_iil,"axG",@progbits,_ZN9rocsolver6v33100L18trti2_kernel_smallILi21E19rocblas_complex_numIdEPKPS3_EEv13rocblas_fill_17rocblas_diagonal_T1_iil,comdat
.Lfunc_end84:
	.size	_ZN9rocsolver6v33100L18trti2_kernel_smallILi21E19rocblas_complex_numIdEPKPS3_EEv13rocblas_fill_17rocblas_diagonal_T1_iil, .Lfunc_end84-_ZN9rocsolver6v33100L18trti2_kernel_smallILi21E19rocblas_complex_numIdEPKPS3_EEv13rocblas_fill_17rocblas_diagonal_T1_iil
                                        ; -- End function
	.set _ZN9rocsolver6v33100L18trti2_kernel_smallILi21E19rocblas_complex_numIdEPKPS3_EEv13rocblas_fill_17rocblas_diagonal_T1_iil.num_vgpr, 64
	.set _ZN9rocsolver6v33100L18trti2_kernel_smallILi21E19rocblas_complex_numIdEPKPS3_EEv13rocblas_fill_17rocblas_diagonal_T1_iil.num_agpr, 0
	.set _ZN9rocsolver6v33100L18trti2_kernel_smallILi21E19rocblas_complex_numIdEPKPS3_EEv13rocblas_fill_17rocblas_diagonal_T1_iil.numbered_sgpr, 36
	.set _ZN9rocsolver6v33100L18trti2_kernel_smallILi21E19rocblas_complex_numIdEPKPS3_EEv13rocblas_fill_17rocblas_diagonal_T1_iil.num_named_barrier, 0
	.set _ZN9rocsolver6v33100L18trti2_kernel_smallILi21E19rocblas_complex_numIdEPKPS3_EEv13rocblas_fill_17rocblas_diagonal_T1_iil.private_seg_size, 352
	.set _ZN9rocsolver6v33100L18trti2_kernel_smallILi21E19rocblas_complex_numIdEPKPS3_EEv13rocblas_fill_17rocblas_diagonal_T1_iil.uses_vcc, 1
	.set _ZN9rocsolver6v33100L18trti2_kernel_smallILi21E19rocblas_complex_numIdEPKPS3_EEv13rocblas_fill_17rocblas_diagonal_T1_iil.uses_flat_scratch, 0
	.set _ZN9rocsolver6v33100L18trti2_kernel_smallILi21E19rocblas_complex_numIdEPKPS3_EEv13rocblas_fill_17rocblas_diagonal_T1_iil.has_dyn_sized_stack, 0
	.set _ZN9rocsolver6v33100L18trti2_kernel_smallILi21E19rocblas_complex_numIdEPKPS3_EEv13rocblas_fill_17rocblas_diagonal_T1_iil.has_recursion, 0
	.set _ZN9rocsolver6v33100L18trti2_kernel_smallILi21E19rocblas_complex_numIdEPKPS3_EEv13rocblas_fill_17rocblas_diagonal_T1_iil.has_indirect_call, 0
	.section	.AMDGPU.csdata,"",@progbits
; Kernel info:
; codeLenInByte = 20984
; TotalNumSgprs: 38
; NumVgprs: 64
; ScratchSize: 352
; MemoryBound: 0
; FloatMode: 240
; IeeeMode: 1
; LDSByteSize: 672 bytes/workgroup (compile time only)
; SGPRBlocks: 0
; VGPRBlocks: 7
; NumSGPRsForWavesPerEU: 38
; NumVGPRsForWavesPerEU: 64
; Occupancy: 16
; WaveLimiterHint : 1
; COMPUTE_PGM_RSRC2:SCRATCH_EN: 1
; COMPUTE_PGM_RSRC2:USER_SGPR: 6
; COMPUTE_PGM_RSRC2:TRAP_HANDLER: 0
; COMPUTE_PGM_RSRC2:TGID_X_EN: 1
; COMPUTE_PGM_RSRC2:TGID_Y_EN: 0
; COMPUTE_PGM_RSRC2:TGID_Z_EN: 0
; COMPUTE_PGM_RSRC2:TIDIG_COMP_CNT: 0
	.section	.text._ZN9rocsolver6v33100L18trti2_kernel_smallILi22E19rocblas_complex_numIdEPKPS3_EEv13rocblas_fill_17rocblas_diagonal_T1_iil,"axG",@progbits,_ZN9rocsolver6v33100L18trti2_kernel_smallILi22E19rocblas_complex_numIdEPKPS3_EEv13rocblas_fill_17rocblas_diagonal_T1_iil,comdat
	.globl	_ZN9rocsolver6v33100L18trti2_kernel_smallILi22E19rocblas_complex_numIdEPKPS3_EEv13rocblas_fill_17rocblas_diagonal_T1_iil ; -- Begin function _ZN9rocsolver6v33100L18trti2_kernel_smallILi22E19rocblas_complex_numIdEPKPS3_EEv13rocblas_fill_17rocblas_diagonal_T1_iil
	.p2align	8
	.type	_ZN9rocsolver6v33100L18trti2_kernel_smallILi22E19rocblas_complex_numIdEPKPS3_EEv13rocblas_fill_17rocblas_diagonal_T1_iil,@function
_ZN9rocsolver6v33100L18trti2_kernel_smallILi22E19rocblas_complex_numIdEPKPS3_EEv13rocblas_fill_17rocblas_diagonal_T1_iil: ; @_ZN9rocsolver6v33100L18trti2_kernel_smallILi22E19rocblas_complex_numIdEPKPS3_EEv13rocblas_fill_17rocblas_diagonal_T1_iil
; %bb.0:
	s_add_u32 s0, s0, s7
	s_addc_u32 s1, s1, 0
	s_mov_b32 s7, exec_lo
	v_cmpx_gt_u32_e32 22, v0
	s_cbranch_execz .LBB85_339
; %bb.1:
	s_clause 0x1
	s_load_dwordx2 s[12:13], s[4:5], 0x10
	s_load_dwordx4 s[8:11], s[4:5], 0x0
	s_ashr_i32 s7, s6, 31
	v_lshlrev_b32_e32 v55, 4, v0
	s_lshl_b64 s[4:5], s[6:7], 3
	s_movk_i32 s14, 0xd0
	s_movk_i32 s15, 0xe0
	;; [unrolled: 1-line block ×9, first 2 shown]
	s_waitcnt lgkmcnt(0)
	s_ashr_i32 s7, s12, 31
	s_add_u32 s4, s10, s4
	s_addc_u32 s5, s11, s5
	s_mov_b32 s6, s12
	s_load_dwordx2 s[4:5], s[4:5], 0x0
	s_lshl_b64 s[6:7], s[6:7], 4
	v_add3_u32 v11, s13, s13, v0
	s_movk_i32 s10, 0x90
	s_movk_i32 s11, 0xa0
	;; [unrolled: 1-line block ×3, first 2 shown]
	v_ashrrev_i32_e32 v12, 31, v11
	v_add_nc_u32_e32 v13, s13, v11
	v_lshlrev_b64 v[9:10], 4, v[11:12]
	v_ashrrev_i32_e32 v14, 31, v13
	v_add_nc_u32_e32 v15, s13, v13
	v_lshlrev_b64 v[11:12], 4, v[13:14]
	v_ashrrev_i32_e32 v16, 31, v15
	s_waitcnt lgkmcnt(0)
	s_add_u32 s4, s4, s6
	s_addc_u32 s5, s5, s7
	v_add_co_u32 v5, s6, s4, v55
	v_add_co_ci_u32_e64 v6, null, s5, 0, s6
	s_mov_b32 s6, s13
	s_ashr_i32 s7, s13, 31
	v_lshlrev_b64 v[13:14], 4, v[15:16]
	flat_load_dwordx4 v[1:4], v[5:6]
	s_lshl_b64 s[6:7], s[6:7], 4
	v_add_nc_u32_e32 v17, s13, v15
	v_add_co_u32 v7, vcc_lo, v5, s6
	v_add_co_ci_u32_e64 v8, null, s7, v6, vcc_lo
	v_add_co_u32 v9, vcc_lo, s4, v9
	v_add_co_ci_u32_e64 v10, null, s5, v10, vcc_lo
	;; [unrolled: 2-line block ×4, first 2 shown]
	v_ashrrev_i32_e32 v18, 31, v17
	v_add_nc_u32_e32 v19, s13, v17
	s_cmpk_lg_i32 s9, 0x84
	s_movk_i32 s6, 0x70
	s_movk_i32 s7, 0x80
	v_lshlrev_b64 v[15:16], 4, v[17:18]
	v_ashrrev_i32_e32 v20, 31, v19
	v_add_nc_u32_e32 v21, s13, v19
	s_cselect_b32 s29, -1, 0
	s_cmpk_eq_i32 s9, 0x84
	s_waitcnt vmcnt(0) lgkmcnt(0)
	buffer_store_dword v4, off, s[0:3], 0 offset:12
	buffer_store_dword v3, off, s[0:3], 0 offset:8
	;; [unrolled: 1-line block ×3, first 2 shown]
	buffer_store_dword v1, off, s[0:3], 0
	flat_load_dwordx4 v[1:4], v[7:8]
	v_add_co_u32 v15, vcc_lo, s4, v15
	v_add_co_ci_u32_e64 v16, null, s5, v16, vcc_lo
	v_lshlrev_b64 v[17:18], 4, v[19:20]
	v_ashrrev_i32_e32 v22, 31, v21
	v_add_nc_u32_e32 v23, s13, v21
	s_waitcnt vmcnt(0) lgkmcnt(0)
	buffer_store_dword v4, off, s[0:3], 0 offset:28
	buffer_store_dword v3, off, s[0:3], 0 offset:24
	buffer_store_dword v2, off, s[0:3], 0 offset:20
	buffer_store_dword v1, off, s[0:3], 0 offset:16
	flat_load_dwordx4 v[1:4], v[9:10]
	v_add_co_u32 v17, vcc_lo, s4, v17
	v_add_co_ci_u32_e64 v18, null, s5, v18, vcc_lo
	v_lshlrev_b64 v[19:20], 4, v[21:22]
	v_ashrrev_i32_e32 v24, 31, v23
	v_add_nc_u32_e32 v25, s13, v23
	s_waitcnt vmcnt(0) lgkmcnt(0)
	buffer_store_dword v4, off, s[0:3], 0 offset:44
	buffer_store_dword v3, off, s[0:3], 0 offset:40
	buffer_store_dword v2, off, s[0:3], 0 offset:36
	buffer_store_dword v1, off, s[0:3], 0 offset:32
	;; [unrolled: 11-line block ×13, first 2 shown]
	flat_load_dwordx4 v[1:4], v[33:34]
	v_add_co_u32 v41, vcc_lo, s4, v41
	v_add_co_ci_u32_e64 v42, null, s5, v42, vcc_lo
	v_lshlrev_b64 v[43:44], 4, v[45:46]
	v_ashrrev_i32_e32 v48, 31, v47
	s_waitcnt vmcnt(0) lgkmcnt(0)
	buffer_store_dword v4, off, s[0:3], 0 offset:236
	buffer_store_dword v3, off, s[0:3], 0 offset:232
	;; [unrolled: 1-line block ×4, first 2 shown]
	flat_load_dwordx4 v[1:4], v[35:36]
	v_add_co_u32 v43, vcc_lo, s4, v43
	v_add_co_ci_u32_e64 v44, null, s5, v44, vcc_lo
	v_lshlrev_b64 v[45:46], 4, v[47:48]
	v_add_nc_u32_e32 v47, s13, v47
	s_movk_i32 s13, 0xc0
	s_waitcnt vmcnt(0) lgkmcnt(0)
	buffer_store_dword v4, off, s[0:3], 0 offset:252
	buffer_store_dword v3, off, s[0:3], 0 offset:248
	;; [unrolled: 1-line block ×4, first 2 shown]
	flat_load_dwordx4 v[1:4], v[37:38]
	v_add_co_u32 v45, vcc_lo, s4, v45
	v_add_co_ci_u32_e64 v46, null, s5, v46, vcc_lo
	v_ashrrev_i32_e32 v48, 31, v47
	s_waitcnt vmcnt(0) lgkmcnt(0)
	buffer_store_dword v4, off, s[0:3], 0 offset:268
	buffer_store_dword v3, off, s[0:3], 0 offset:264
	;; [unrolled: 1-line block ×4, first 2 shown]
	flat_load_dwordx4 v[1:4], v[39:40]
	v_lshlrev_b64 v[47:48], 4, v[47:48]
	s_waitcnt vmcnt(0) lgkmcnt(0)
	buffer_store_dword v4, off, s[0:3], 0 offset:284
	buffer_store_dword v3, off, s[0:3], 0 offset:280
	;; [unrolled: 1-line block ×4, first 2 shown]
	flat_load_dwordx4 v[1:4], v[41:42]
	v_add_co_u32 v47, vcc_lo, s4, v47
	v_add_co_ci_u32_e64 v48, null, s5, v48, vcc_lo
	s_movk_i32 s4, 0x50
	s_movk_i32 s5, 0x60
	s_waitcnt vmcnt(0) lgkmcnt(0)
	buffer_store_dword v4, off, s[0:3], 0 offset:300
	buffer_store_dword v3, off, s[0:3], 0 offset:296
	buffer_store_dword v2, off, s[0:3], 0 offset:292
	buffer_store_dword v1, off, s[0:3], 0 offset:288
	flat_load_dwordx4 v[1:4], v[43:44]
	s_waitcnt vmcnt(0) lgkmcnt(0)
	buffer_store_dword v4, off, s[0:3], 0 offset:316
	buffer_store_dword v3, off, s[0:3], 0 offset:312
	buffer_store_dword v2, off, s[0:3], 0 offset:308
	buffer_store_dword v1, off, s[0:3], 0 offset:304
	flat_load_dwordx4 v[1:4], v[45:46]
	;; [unrolled: 6-line block ×3, first 2 shown]
	s_waitcnt vmcnt(0) lgkmcnt(0)
	buffer_store_dword v4, off, s[0:3], 0 offset:348
	buffer_store_dword v3, off, s[0:3], 0 offset:344
	;; [unrolled: 1-line block ×4, first 2 shown]
	s_cbranch_scc1 .LBB85_7
; %bb.2:
	v_lshl_add_u32 v56, v0, 4, 0
                                        ; implicit-def: $vgpr51_vgpr52
                                        ; implicit-def: $vgpr3_vgpr4
	s_clause 0x3
	buffer_load_dword v49, v56, s[0:3], 0 offen
	buffer_load_dword v50, v56, s[0:3], 0 offen offset:4
	buffer_load_dword v53, v56, s[0:3], 0 offen offset:8
	;; [unrolled: 1-line block ×3, first 2 shown]
	s_waitcnt vmcnt(0)
	v_cmp_ngt_f64_e64 s9, |v[49:50]|, |v[53:54]|
	s_and_saveexec_b32 s16, s9
	s_xor_b32 s9, exec_lo, s16
	s_cbranch_execz .LBB85_4
; %bb.3:
	v_div_scale_f64 v[1:2], null, v[53:54], v[53:54], v[49:50]
	v_div_scale_f64 v[57:58], vcc_lo, v[49:50], v[53:54], v[49:50]
	v_rcp_f64_e32 v[3:4], v[1:2]
	v_fma_f64 v[51:52], -v[1:2], v[3:4], 1.0
	v_fma_f64 v[3:4], v[3:4], v[51:52], v[3:4]
	v_fma_f64 v[51:52], -v[1:2], v[3:4], 1.0
	v_fma_f64 v[3:4], v[3:4], v[51:52], v[3:4]
	v_mul_f64 v[51:52], v[57:58], v[3:4]
	v_fma_f64 v[1:2], -v[1:2], v[51:52], v[57:58]
	v_div_fmas_f64 v[1:2], v[1:2], v[3:4], v[51:52]
	v_div_fixup_f64 v[1:2], v[1:2], v[53:54], v[49:50]
	v_fma_f64 v[3:4], v[49:50], v[1:2], v[53:54]
	v_div_scale_f64 v[49:50], null, v[3:4], v[3:4], 1.0
	v_div_scale_f64 v[57:58], vcc_lo, 1.0, v[3:4], 1.0
	v_rcp_f64_e32 v[51:52], v[49:50]
	v_fma_f64 v[53:54], -v[49:50], v[51:52], 1.0
	v_fma_f64 v[51:52], v[51:52], v[53:54], v[51:52]
	v_fma_f64 v[53:54], -v[49:50], v[51:52], 1.0
	v_fma_f64 v[51:52], v[51:52], v[53:54], v[51:52]
	v_mul_f64 v[53:54], v[57:58], v[51:52]
	v_fma_f64 v[49:50], -v[49:50], v[53:54], v[57:58]
	v_div_fmas_f64 v[49:50], v[49:50], v[51:52], v[53:54]
                                        ; implicit-def: $vgpr53_vgpr54
	v_div_fixup_f64 v[3:4], v[49:50], v[3:4], 1.0
                                        ; implicit-def: $vgpr49_vgpr50
	v_mul_f64 v[51:52], v[1:2], v[3:4]
	v_xor_b32_e32 v4, 0x80000000, v4
	v_xor_b32_e32 v2, 0x80000000, v52
	v_mov_b32_e32 v1, v51
.LBB85_4:
	s_andn2_saveexec_b32 s9, s9
	s_cbranch_execz .LBB85_6
; %bb.5:
	v_div_scale_f64 v[1:2], null, v[49:50], v[49:50], v[53:54]
	v_div_scale_f64 v[57:58], vcc_lo, v[53:54], v[49:50], v[53:54]
	v_rcp_f64_e32 v[3:4], v[1:2]
	v_fma_f64 v[51:52], -v[1:2], v[3:4], 1.0
	v_fma_f64 v[3:4], v[3:4], v[51:52], v[3:4]
	v_fma_f64 v[51:52], -v[1:2], v[3:4], 1.0
	v_fma_f64 v[3:4], v[3:4], v[51:52], v[3:4]
	v_mul_f64 v[51:52], v[57:58], v[3:4]
	v_fma_f64 v[1:2], -v[1:2], v[51:52], v[57:58]
	v_div_fmas_f64 v[1:2], v[1:2], v[3:4], v[51:52]
	v_div_fixup_f64 v[1:2], v[1:2], v[49:50], v[53:54]
	v_fma_f64 v[3:4], v[53:54], v[1:2], v[49:50]
	v_div_scale_f64 v[49:50], null, v[3:4], v[3:4], 1.0
	v_rcp_f64_e32 v[51:52], v[49:50]
	v_fma_f64 v[53:54], -v[49:50], v[51:52], 1.0
	v_fma_f64 v[51:52], v[51:52], v[53:54], v[51:52]
	v_fma_f64 v[53:54], -v[49:50], v[51:52], 1.0
	v_fma_f64 v[51:52], v[51:52], v[53:54], v[51:52]
	v_div_scale_f64 v[53:54], vcc_lo, 1.0, v[3:4], 1.0
	v_mul_f64 v[57:58], v[53:54], v[51:52]
	v_fma_f64 v[49:50], -v[49:50], v[57:58], v[53:54]
	v_div_fmas_f64 v[49:50], v[49:50], v[51:52], v[57:58]
	v_div_fixup_f64 v[51:52], v[49:50], v[3:4], 1.0
	v_mul_f64 v[3:4], v[1:2], -v[51:52]
	v_xor_b32_e32 v2, 0x80000000, v52
	v_mov_b32_e32 v1, v51
.LBB85_6:
	s_or_b32 exec_lo, exec_lo, s9
	buffer_store_dword v4, v56, s[0:3], 0 offen offset:12
	v_xor_b32_e32 v4, 0x80000000, v4
	buffer_store_dword v52, v56, s[0:3], 0 offen offset:4
	buffer_store_dword v51, v56, s[0:3], 0 offen
	buffer_store_dword v3, v56, s[0:3], 0 offen offset:8
	s_branch .LBB85_8
.LBB85_7:
	v_mov_b32_e32 v1, 0
	v_mov_b32_e32 v3, 0
	;; [unrolled: 1-line block ×4, first 2 shown]
.LBB85_8:
	v_add_nc_u32_e32 v50, 0x160, v55
	v_mov_b32_e32 v49, v55
	s_mov_b32 s28, 16
	s_mov_b32 s27, 32
	;; [unrolled: 1-line block ×20, first 2 shown]
	s_cmpk_eq_i32 s8, 0x79
	ds_write_b128 v55, v[1:4]
	s_cbranch_scc1 .LBB85_172
; %bb.9:
	v_mov_b32_e32 v4, s9
	v_cmp_eq_u32_e64 s4, 21, v0
	s_clause 0x3
	buffer_load_dword v1, v4, s[0:3], 0 offen
	buffer_load_dword v2, v4, s[0:3], 0 offen offset:4
	buffer_load_dword v3, v4, s[0:3], 0 offen offset:8
	;; [unrolled: 1-line block ×3, first 2 shown]
	s_waitcnt vmcnt(0)
	ds_write_b128 v50, v[1:4]
	s_waitcnt lgkmcnt(0)
	s_waitcnt_vscnt null, 0x0
	s_barrier
	buffer_gl0_inv
	s_and_saveexec_b32 s5, s4
	s_cbranch_execz .LBB85_13
; %bb.10:
	ds_read_b128 v[1:4], v50
	s_andn2_b32 vcc_lo, exec_lo, s29
	s_cbranch_vccnz .LBB85_12
; %bb.11:
	s_clause 0x3
	buffer_load_dword v51, v49, s[0:3], 0 offen offset:8
	buffer_load_dword v52, v49, s[0:3], 0 offen offset:12
	buffer_load_dword v53, v49, s[0:3], 0 offen
	buffer_load_dword v54, v49, s[0:3], 0 offen offset:4
	s_waitcnt vmcnt(2) lgkmcnt(0)
	v_mul_f64 v[56:57], v[3:4], v[51:52]
	v_mul_f64 v[51:52], v[1:2], v[51:52]
	s_waitcnt vmcnt(0)
	v_fma_f64 v[1:2], v[1:2], v[53:54], -v[56:57]
	v_fma_f64 v[3:4], v[3:4], v[53:54], v[51:52]
.LBB85_12:
	v_mov_b32_e32 v51, 0
	ds_read_b128 v[51:54], v51 offset:320
	s_waitcnt lgkmcnt(0)
	v_mul_f64 v[56:57], v[3:4], v[53:54]
	v_mul_f64 v[53:54], v[1:2], v[53:54]
	v_fma_f64 v[1:2], v[1:2], v[51:52], -v[56:57]
	v_fma_f64 v[3:4], v[3:4], v[51:52], v[53:54]
	buffer_store_dword v2, off, s[0:3], 0 offset:324
	buffer_store_dword v1, off, s[0:3], 0 offset:320
	;; [unrolled: 1-line block ×4, first 2 shown]
.LBB85_13:
	s_or_b32 exec_lo, exec_lo, s5
	v_mov_b32_e32 v4, s10
	v_cmp_lt_u32_e64 s5, 19, v0
	s_clause 0x3
	buffer_load_dword v1, v4, s[0:3], 0 offen
	buffer_load_dword v2, v4, s[0:3], 0 offen offset:4
	buffer_load_dword v3, v4, s[0:3], 0 offen offset:8
	;; [unrolled: 1-line block ×3, first 2 shown]
	s_waitcnt vmcnt(0)
	ds_write_b128 v50, v[1:4]
	s_waitcnt lgkmcnt(0)
	s_waitcnt_vscnt null, 0x0
	s_barrier
	buffer_gl0_inv
	s_and_saveexec_b32 s6, s5
	s_cbranch_execz .LBB85_19
; %bb.14:
	ds_read_b128 v[1:4], v50
	s_andn2_b32 vcc_lo, exec_lo, s29
	s_cbranch_vccnz .LBB85_16
; %bb.15:
	s_clause 0x3
	buffer_load_dword v51, v49, s[0:3], 0 offen offset:8
	buffer_load_dword v52, v49, s[0:3], 0 offen offset:12
	buffer_load_dword v53, v49, s[0:3], 0 offen
	buffer_load_dword v54, v49, s[0:3], 0 offen offset:4
	s_waitcnt vmcnt(2) lgkmcnt(0)
	v_mul_f64 v[56:57], v[3:4], v[51:52]
	v_mul_f64 v[51:52], v[1:2], v[51:52]
	s_waitcnt vmcnt(0)
	v_fma_f64 v[1:2], v[1:2], v[53:54], -v[56:57]
	v_fma_f64 v[3:4], v[3:4], v[53:54], v[51:52]
.LBB85_16:
	s_and_saveexec_b32 s8, s4
	s_cbranch_execz .LBB85_18
; %bb.17:
	s_clause 0x3
	buffer_load_dword v56, off, s[0:3], 0 offset:328
	buffer_load_dword v57, off, s[0:3], 0 offset:332
	;; [unrolled: 1-line block ×4, first 2 shown]
	v_mov_b32_e32 v51, 0
	ds_read_b128 v[51:54], v51 offset:672
	s_waitcnt vmcnt(2) lgkmcnt(0)
	v_mul_f64 v[60:61], v[51:52], v[56:57]
	v_mul_f64 v[56:57], v[53:54], v[56:57]
	s_waitcnt vmcnt(0)
	v_fma_f64 v[53:54], v[53:54], v[58:59], v[60:61]
	v_fma_f64 v[51:52], v[51:52], v[58:59], -v[56:57]
	v_add_f64 v[3:4], v[3:4], v[53:54]
	v_add_f64 v[1:2], v[1:2], v[51:52]
.LBB85_18:
	s_or_b32 exec_lo, exec_lo, s8
	v_mov_b32_e32 v51, 0
	ds_read_b128 v[51:54], v51 offset:304
	s_waitcnt lgkmcnt(0)
	v_mul_f64 v[56:57], v[3:4], v[53:54]
	v_mul_f64 v[53:54], v[1:2], v[53:54]
	v_fma_f64 v[1:2], v[1:2], v[51:52], -v[56:57]
	v_fma_f64 v[3:4], v[3:4], v[51:52], v[53:54]
	buffer_store_dword v2, off, s[0:3], 0 offset:308
	buffer_store_dword v1, off, s[0:3], 0 offset:304
	;; [unrolled: 1-line block ×4, first 2 shown]
.LBB85_19:
	s_or_b32 exec_lo, exec_lo, s6
	v_mov_b32_e32 v4, s11
	v_cmp_lt_u32_e64 s4, 18, v0
	s_clause 0x3
	buffer_load_dword v1, v4, s[0:3], 0 offen
	buffer_load_dword v2, v4, s[0:3], 0 offen offset:4
	buffer_load_dword v3, v4, s[0:3], 0 offen offset:8
	;; [unrolled: 1-line block ×3, first 2 shown]
	s_waitcnt vmcnt(0)
	ds_write_b128 v50, v[1:4]
	s_waitcnt lgkmcnt(0)
	s_waitcnt_vscnt null, 0x0
	s_barrier
	buffer_gl0_inv
	s_and_saveexec_b32 s6, s4
	s_cbranch_execz .LBB85_27
; %bb.20:
	ds_read_b128 v[1:4], v50
	s_andn2_b32 vcc_lo, exec_lo, s29
	s_cbranch_vccnz .LBB85_22
; %bb.21:
	s_clause 0x3
	buffer_load_dword v51, v49, s[0:3], 0 offen offset:8
	buffer_load_dword v52, v49, s[0:3], 0 offen offset:12
	buffer_load_dword v53, v49, s[0:3], 0 offen
	buffer_load_dword v54, v49, s[0:3], 0 offen offset:4
	s_waitcnt vmcnt(2) lgkmcnt(0)
	v_mul_f64 v[56:57], v[3:4], v[51:52]
	v_mul_f64 v[51:52], v[1:2], v[51:52]
	s_waitcnt vmcnt(0)
	v_fma_f64 v[1:2], v[1:2], v[53:54], -v[56:57]
	v_fma_f64 v[3:4], v[3:4], v[53:54], v[51:52]
.LBB85_22:
	s_and_saveexec_b32 s8, s5
	s_cbranch_execz .LBB85_26
; %bb.23:
	v_subrev_nc_u32_e32 v51, 19, v0
	s_movk_i32 s30, 0x290
	s_mov_b32 s5, 0
	s_mov_b32 s31, s10
	.p2align	6
.LBB85_24:                              ; =>This Inner Loop Header: Depth=1
	v_mov_b32_e32 v54, s31
	v_add_nc_u32_e32 v51, -1, v51
	s_add_i32 s31, s31, 16
	s_clause 0x3
	buffer_load_dword v52, v54, s[0:3], 0 offen offset:8
	buffer_load_dword v53, v54, s[0:3], 0 offen offset:12
	buffer_load_dword v60, v54, s[0:3], 0 offen
	buffer_load_dword v61, v54, s[0:3], 0 offen offset:4
	v_mov_b32_e32 v54, s30
	v_cmp_eq_u32_e32 vcc_lo, 0, v51
	s_add_i32 s30, s30, 16
	ds_read_b128 v[56:59], v54
	s_or_b32 s5, vcc_lo, s5
	s_waitcnt vmcnt(2) lgkmcnt(0)
	v_mul_f64 v[62:63], v[58:59], v[52:53]
	v_mul_f64 v[52:53], v[56:57], v[52:53]
	s_waitcnt vmcnt(0)
	v_fma_f64 v[56:57], v[56:57], v[60:61], -v[62:63]
	v_fma_f64 v[52:53], v[58:59], v[60:61], v[52:53]
	v_add_f64 v[1:2], v[1:2], v[56:57]
	v_add_f64 v[3:4], v[3:4], v[52:53]
	s_andn2_b32 exec_lo, exec_lo, s5
	s_cbranch_execnz .LBB85_24
; %bb.25:
	s_or_b32 exec_lo, exec_lo, s5
.LBB85_26:
	s_or_b32 exec_lo, exec_lo, s8
	v_mov_b32_e32 v51, 0
	ds_read_b128 v[51:54], v51 offset:288
	s_waitcnt lgkmcnt(0)
	v_mul_f64 v[56:57], v[3:4], v[53:54]
	v_mul_f64 v[53:54], v[1:2], v[53:54]
	v_fma_f64 v[1:2], v[1:2], v[51:52], -v[56:57]
	v_fma_f64 v[3:4], v[3:4], v[51:52], v[53:54]
	buffer_store_dword v2, off, s[0:3], 0 offset:292
	buffer_store_dword v1, off, s[0:3], 0 offset:288
	;; [unrolled: 1-line block ×4, first 2 shown]
.LBB85_27:
	s_or_b32 exec_lo, exec_lo, s6
	v_mov_b32_e32 v4, s12
	v_cmp_lt_u32_e64 s5, 17, v0
	s_clause 0x3
	buffer_load_dword v1, v4, s[0:3], 0 offen
	buffer_load_dword v2, v4, s[0:3], 0 offen offset:4
	buffer_load_dword v3, v4, s[0:3], 0 offen offset:8
	;; [unrolled: 1-line block ×3, first 2 shown]
	s_waitcnt vmcnt(0)
	ds_write_b128 v50, v[1:4]
	s_waitcnt lgkmcnt(0)
	s_waitcnt_vscnt null, 0x0
	s_barrier
	buffer_gl0_inv
	s_and_saveexec_b32 s6, s5
	s_cbranch_execz .LBB85_35
; %bb.28:
	ds_read_b128 v[1:4], v50
	s_andn2_b32 vcc_lo, exec_lo, s29
	s_cbranch_vccnz .LBB85_30
; %bb.29:
	s_clause 0x3
	buffer_load_dword v51, v49, s[0:3], 0 offen offset:8
	buffer_load_dword v52, v49, s[0:3], 0 offen offset:12
	buffer_load_dword v53, v49, s[0:3], 0 offen
	buffer_load_dword v54, v49, s[0:3], 0 offen offset:4
	s_waitcnt vmcnt(2) lgkmcnt(0)
	v_mul_f64 v[56:57], v[3:4], v[51:52]
	v_mul_f64 v[51:52], v[1:2], v[51:52]
	s_waitcnt vmcnt(0)
	v_fma_f64 v[1:2], v[1:2], v[53:54], -v[56:57]
	v_fma_f64 v[3:4], v[3:4], v[53:54], v[51:52]
.LBB85_30:
	s_and_saveexec_b32 s8, s4
	s_cbranch_execz .LBB85_34
; %bb.31:
	v_subrev_nc_u32_e32 v51, 18, v0
	s_movk_i32 s30, 0x280
	s_mov_b32 s4, 0
	s_mov_b32 s31, s11
	.p2align	6
.LBB85_32:                              ; =>This Inner Loop Header: Depth=1
	v_mov_b32_e32 v54, s31
	v_add_nc_u32_e32 v51, -1, v51
	s_add_i32 s31, s31, 16
	s_clause 0x3
	buffer_load_dword v52, v54, s[0:3], 0 offen offset:8
	buffer_load_dword v53, v54, s[0:3], 0 offen offset:12
	buffer_load_dword v60, v54, s[0:3], 0 offen
	buffer_load_dword v61, v54, s[0:3], 0 offen offset:4
	v_mov_b32_e32 v54, s30
	v_cmp_eq_u32_e32 vcc_lo, 0, v51
	s_add_i32 s30, s30, 16
	ds_read_b128 v[56:59], v54
	s_or_b32 s4, vcc_lo, s4
	s_waitcnt vmcnt(2) lgkmcnt(0)
	v_mul_f64 v[62:63], v[58:59], v[52:53]
	v_mul_f64 v[52:53], v[56:57], v[52:53]
	s_waitcnt vmcnt(0)
	v_fma_f64 v[56:57], v[56:57], v[60:61], -v[62:63]
	v_fma_f64 v[52:53], v[58:59], v[60:61], v[52:53]
	v_add_f64 v[1:2], v[1:2], v[56:57]
	v_add_f64 v[3:4], v[3:4], v[52:53]
	s_andn2_b32 exec_lo, exec_lo, s4
	s_cbranch_execnz .LBB85_32
; %bb.33:
	s_or_b32 exec_lo, exec_lo, s4
.LBB85_34:
	s_or_b32 exec_lo, exec_lo, s8
	v_mov_b32_e32 v51, 0
	ds_read_b128 v[51:54], v51 offset:272
	s_waitcnt lgkmcnt(0)
	v_mul_f64 v[56:57], v[3:4], v[53:54]
	v_mul_f64 v[53:54], v[1:2], v[53:54]
	v_fma_f64 v[1:2], v[1:2], v[51:52], -v[56:57]
	v_fma_f64 v[3:4], v[3:4], v[51:52], v[53:54]
	buffer_store_dword v2, off, s[0:3], 0 offset:276
	buffer_store_dword v1, off, s[0:3], 0 offset:272
	;; [unrolled: 1-line block ×4, first 2 shown]
.LBB85_35:
	s_or_b32 exec_lo, exec_lo, s6
	v_mov_b32_e32 v4, s13
	v_cmp_lt_u32_e64 s4, 16, v0
	s_clause 0x3
	buffer_load_dword v1, v4, s[0:3], 0 offen
	buffer_load_dword v2, v4, s[0:3], 0 offen offset:4
	buffer_load_dword v3, v4, s[0:3], 0 offen offset:8
	;; [unrolled: 1-line block ×3, first 2 shown]
	s_waitcnt vmcnt(0)
	ds_write_b128 v50, v[1:4]
	s_waitcnt lgkmcnt(0)
	s_waitcnt_vscnt null, 0x0
	s_barrier
	buffer_gl0_inv
	s_and_saveexec_b32 s6, s4
	s_cbranch_execz .LBB85_43
; %bb.36:
	ds_read_b128 v[1:4], v50
	s_andn2_b32 vcc_lo, exec_lo, s29
	s_cbranch_vccnz .LBB85_38
; %bb.37:
	s_clause 0x3
	buffer_load_dword v51, v49, s[0:3], 0 offen offset:8
	buffer_load_dword v52, v49, s[0:3], 0 offen offset:12
	buffer_load_dword v53, v49, s[0:3], 0 offen
	buffer_load_dword v54, v49, s[0:3], 0 offen offset:4
	s_waitcnt vmcnt(2) lgkmcnt(0)
	v_mul_f64 v[56:57], v[3:4], v[51:52]
	v_mul_f64 v[51:52], v[1:2], v[51:52]
	s_waitcnt vmcnt(0)
	v_fma_f64 v[1:2], v[1:2], v[53:54], -v[56:57]
	v_fma_f64 v[3:4], v[3:4], v[53:54], v[51:52]
.LBB85_38:
	s_and_saveexec_b32 s8, s5
	s_cbranch_execz .LBB85_42
; %bb.39:
	v_subrev_nc_u32_e32 v51, 17, v0
	s_movk_i32 s30, 0x270
	s_mov_b32 s5, 0
	s_mov_b32 s31, s12
	.p2align	6
.LBB85_40:                              ; =>This Inner Loop Header: Depth=1
	v_mov_b32_e32 v54, s31
	v_add_nc_u32_e32 v51, -1, v51
	s_add_i32 s31, s31, 16
	s_clause 0x3
	buffer_load_dword v52, v54, s[0:3], 0 offen offset:8
	buffer_load_dword v53, v54, s[0:3], 0 offen offset:12
	buffer_load_dword v60, v54, s[0:3], 0 offen
	buffer_load_dword v61, v54, s[0:3], 0 offen offset:4
	v_mov_b32_e32 v54, s30
	v_cmp_eq_u32_e32 vcc_lo, 0, v51
	s_add_i32 s30, s30, 16
	ds_read_b128 v[56:59], v54
	s_or_b32 s5, vcc_lo, s5
	s_waitcnt vmcnt(2) lgkmcnt(0)
	v_mul_f64 v[62:63], v[58:59], v[52:53]
	v_mul_f64 v[52:53], v[56:57], v[52:53]
	s_waitcnt vmcnt(0)
	v_fma_f64 v[56:57], v[56:57], v[60:61], -v[62:63]
	v_fma_f64 v[52:53], v[58:59], v[60:61], v[52:53]
	v_add_f64 v[1:2], v[1:2], v[56:57]
	v_add_f64 v[3:4], v[3:4], v[52:53]
	s_andn2_b32 exec_lo, exec_lo, s5
	s_cbranch_execnz .LBB85_40
; %bb.41:
	s_or_b32 exec_lo, exec_lo, s5
.LBB85_42:
	s_or_b32 exec_lo, exec_lo, s8
	v_mov_b32_e32 v51, 0
	ds_read_b128 v[51:54], v51 offset:256
	s_waitcnt lgkmcnt(0)
	v_mul_f64 v[56:57], v[3:4], v[53:54]
	v_mul_f64 v[53:54], v[1:2], v[53:54]
	v_fma_f64 v[1:2], v[1:2], v[51:52], -v[56:57]
	v_fma_f64 v[3:4], v[3:4], v[51:52], v[53:54]
	buffer_store_dword v2, off, s[0:3], 0 offset:260
	buffer_store_dword v1, off, s[0:3], 0 offset:256
	;; [unrolled: 1-line block ×4, first 2 shown]
.LBB85_43:
	s_or_b32 exec_lo, exec_lo, s6
	v_mov_b32_e32 v4, s14
	v_cmp_lt_u32_e64 s5, 15, v0
	s_clause 0x3
	buffer_load_dword v1, v4, s[0:3], 0 offen
	buffer_load_dword v2, v4, s[0:3], 0 offen offset:4
	buffer_load_dword v3, v4, s[0:3], 0 offen offset:8
	;; [unrolled: 1-line block ×3, first 2 shown]
	s_waitcnt vmcnt(0)
	ds_write_b128 v50, v[1:4]
	s_waitcnt lgkmcnt(0)
	s_waitcnt_vscnt null, 0x0
	s_barrier
	buffer_gl0_inv
	s_and_saveexec_b32 s6, s5
	s_cbranch_execz .LBB85_51
; %bb.44:
	ds_read_b128 v[1:4], v50
	s_andn2_b32 vcc_lo, exec_lo, s29
	s_cbranch_vccnz .LBB85_46
; %bb.45:
	s_clause 0x3
	buffer_load_dword v51, v49, s[0:3], 0 offen offset:8
	buffer_load_dword v52, v49, s[0:3], 0 offen offset:12
	buffer_load_dword v53, v49, s[0:3], 0 offen
	buffer_load_dword v54, v49, s[0:3], 0 offen offset:4
	s_waitcnt vmcnt(2) lgkmcnt(0)
	v_mul_f64 v[56:57], v[3:4], v[51:52]
	v_mul_f64 v[51:52], v[1:2], v[51:52]
	s_waitcnt vmcnt(0)
	v_fma_f64 v[1:2], v[1:2], v[53:54], -v[56:57]
	v_fma_f64 v[3:4], v[3:4], v[53:54], v[51:52]
.LBB85_46:
	s_and_saveexec_b32 s8, s4
	s_cbranch_execz .LBB85_50
; %bb.47:
	v_add_nc_u32_e32 v51, -16, v0
	s_movk_i32 s30, 0x260
	s_mov_b32 s4, 0
	s_mov_b32 s31, s13
	.p2align	6
.LBB85_48:                              ; =>This Inner Loop Header: Depth=1
	v_mov_b32_e32 v54, s31
	v_add_nc_u32_e32 v51, -1, v51
	s_add_i32 s31, s31, 16
	s_clause 0x3
	buffer_load_dword v52, v54, s[0:3], 0 offen offset:8
	buffer_load_dword v53, v54, s[0:3], 0 offen offset:12
	buffer_load_dword v60, v54, s[0:3], 0 offen
	buffer_load_dword v61, v54, s[0:3], 0 offen offset:4
	v_mov_b32_e32 v54, s30
	v_cmp_eq_u32_e32 vcc_lo, 0, v51
	s_add_i32 s30, s30, 16
	ds_read_b128 v[56:59], v54
	s_or_b32 s4, vcc_lo, s4
	s_waitcnt vmcnt(2) lgkmcnt(0)
	v_mul_f64 v[62:63], v[58:59], v[52:53]
	v_mul_f64 v[52:53], v[56:57], v[52:53]
	s_waitcnt vmcnt(0)
	v_fma_f64 v[56:57], v[56:57], v[60:61], -v[62:63]
	v_fma_f64 v[52:53], v[58:59], v[60:61], v[52:53]
	v_add_f64 v[1:2], v[1:2], v[56:57]
	v_add_f64 v[3:4], v[3:4], v[52:53]
	s_andn2_b32 exec_lo, exec_lo, s4
	s_cbranch_execnz .LBB85_48
; %bb.49:
	s_or_b32 exec_lo, exec_lo, s4
.LBB85_50:
	s_or_b32 exec_lo, exec_lo, s8
	v_mov_b32_e32 v51, 0
	ds_read_b128 v[51:54], v51 offset:240
	s_waitcnt lgkmcnt(0)
	v_mul_f64 v[56:57], v[3:4], v[53:54]
	v_mul_f64 v[53:54], v[1:2], v[53:54]
	v_fma_f64 v[1:2], v[1:2], v[51:52], -v[56:57]
	v_fma_f64 v[3:4], v[3:4], v[51:52], v[53:54]
	buffer_store_dword v2, off, s[0:3], 0 offset:244
	buffer_store_dword v1, off, s[0:3], 0 offset:240
	;; [unrolled: 1-line block ×4, first 2 shown]
.LBB85_51:
	s_or_b32 exec_lo, exec_lo, s6
	v_mov_b32_e32 v4, s15
	v_cmp_lt_u32_e64 s4, 14, v0
	s_clause 0x3
	buffer_load_dword v1, v4, s[0:3], 0 offen
	buffer_load_dword v2, v4, s[0:3], 0 offen offset:4
	buffer_load_dword v3, v4, s[0:3], 0 offen offset:8
	;; [unrolled: 1-line block ×3, first 2 shown]
	s_waitcnt vmcnt(0)
	ds_write_b128 v50, v[1:4]
	s_waitcnt lgkmcnt(0)
	s_waitcnt_vscnt null, 0x0
	s_barrier
	buffer_gl0_inv
	s_and_saveexec_b32 s6, s4
	s_cbranch_execz .LBB85_59
; %bb.52:
	ds_read_b128 v[1:4], v50
	s_andn2_b32 vcc_lo, exec_lo, s29
	s_cbranch_vccnz .LBB85_54
; %bb.53:
	s_clause 0x3
	buffer_load_dword v51, v49, s[0:3], 0 offen offset:8
	buffer_load_dword v52, v49, s[0:3], 0 offen offset:12
	buffer_load_dword v53, v49, s[0:3], 0 offen
	buffer_load_dword v54, v49, s[0:3], 0 offen offset:4
	s_waitcnt vmcnt(2) lgkmcnt(0)
	v_mul_f64 v[56:57], v[3:4], v[51:52]
	v_mul_f64 v[51:52], v[1:2], v[51:52]
	s_waitcnt vmcnt(0)
	v_fma_f64 v[1:2], v[1:2], v[53:54], -v[56:57]
	v_fma_f64 v[3:4], v[3:4], v[53:54], v[51:52]
.LBB85_54:
	s_and_saveexec_b32 s8, s5
	s_cbranch_execz .LBB85_58
; %bb.55:
	v_add_nc_u32_e32 v51, -15, v0
	s_movk_i32 s30, 0x250
	s_mov_b32 s5, 0
	s_mov_b32 s31, s14
	.p2align	6
.LBB85_56:                              ; =>This Inner Loop Header: Depth=1
	v_mov_b32_e32 v54, s31
	v_add_nc_u32_e32 v51, -1, v51
	s_add_i32 s31, s31, 16
	s_clause 0x3
	buffer_load_dword v52, v54, s[0:3], 0 offen offset:8
	buffer_load_dword v53, v54, s[0:3], 0 offen offset:12
	buffer_load_dword v60, v54, s[0:3], 0 offen
	buffer_load_dword v61, v54, s[0:3], 0 offen offset:4
	v_mov_b32_e32 v54, s30
	v_cmp_eq_u32_e32 vcc_lo, 0, v51
	s_add_i32 s30, s30, 16
	ds_read_b128 v[56:59], v54
	s_or_b32 s5, vcc_lo, s5
	s_waitcnt vmcnt(2) lgkmcnt(0)
	v_mul_f64 v[62:63], v[58:59], v[52:53]
	v_mul_f64 v[52:53], v[56:57], v[52:53]
	s_waitcnt vmcnt(0)
	v_fma_f64 v[56:57], v[56:57], v[60:61], -v[62:63]
	v_fma_f64 v[52:53], v[58:59], v[60:61], v[52:53]
	v_add_f64 v[1:2], v[1:2], v[56:57]
	v_add_f64 v[3:4], v[3:4], v[52:53]
	s_andn2_b32 exec_lo, exec_lo, s5
	s_cbranch_execnz .LBB85_56
; %bb.57:
	s_or_b32 exec_lo, exec_lo, s5
.LBB85_58:
	s_or_b32 exec_lo, exec_lo, s8
	v_mov_b32_e32 v51, 0
	ds_read_b128 v[51:54], v51 offset:224
	s_waitcnt lgkmcnt(0)
	v_mul_f64 v[56:57], v[3:4], v[53:54]
	v_mul_f64 v[53:54], v[1:2], v[53:54]
	v_fma_f64 v[1:2], v[1:2], v[51:52], -v[56:57]
	v_fma_f64 v[3:4], v[3:4], v[51:52], v[53:54]
	buffer_store_dword v2, off, s[0:3], 0 offset:228
	buffer_store_dword v1, off, s[0:3], 0 offset:224
	;; [unrolled: 1-line block ×4, first 2 shown]
.LBB85_59:
	s_or_b32 exec_lo, exec_lo, s6
	v_mov_b32_e32 v4, s16
	v_cmp_lt_u32_e64 s5, 13, v0
	s_clause 0x3
	buffer_load_dword v1, v4, s[0:3], 0 offen
	buffer_load_dword v2, v4, s[0:3], 0 offen offset:4
	buffer_load_dword v3, v4, s[0:3], 0 offen offset:8
	buffer_load_dword v4, v4, s[0:3], 0 offen offset:12
	s_waitcnt vmcnt(0)
	ds_write_b128 v50, v[1:4]
	s_waitcnt lgkmcnt(0)
	s_waitcnt_vscnt null, 0x0
	s_barrier
	buffer_gl0_inv
	s_and_saveexec_b32 s6, s5
	s_cbranch_execz .LBB85_67
; %bb.60:
	ds_read_b128 v[1:4], v50
	s_andn2_b32 vcc_lo, exec_lo, s29
	s_cbranch_vccnz .LBB85_62
; %bb.61:
	s_clause 0x3
	buffer_load_dword v51, v49, s[0:3], 0 offen offset:8
	buffer_load_dword v52, v49, s[0:3], 0 offen offset:12
	buffer_load_dword v53, v49, s[0:3], 0 offen
	buffer_load_dword v54, v49, s[0:3], 0 offen offset:4
	s_waitcnt vmcnt(2) lgkmcnt(0)
	v_mul_f64 v[56:57], v[3:4], v[51:52]
	v_mul_f64 v[51:52], v[1:2], v[51:52]
	s_waitcnt vmcnt(0)
	v_fma_f64 v[1:2], v[1:2], v[53:54], -v[56:57]
	v_fma_f64 v[3:4], v[3:4], v[53:54], v[51:52]
.LBB85_62:
	s_and_saveexec_b32 s8, s4
	s_cbranch_execz .LBB85_66
; %bb.63:
	v_add_nc_u32_e32 v51, -14, v0
	s_movk_i32 s30, 0x240
	s_mov_b32 s4, 0
	s_mov_b32 s31, s15
	.p2align	6
.LBB85_64:                              ; =>This Inner Loop Header: Depth=1
	v_mov_b32_e32 v54, s31
	v_add_nc_u32_e32 v51, -1, v51
	s_add_i32 s31, s31, 16
	s_clause 0x3
	buffer_load_dword v52, v54, s[0:3], 0 offen offset:8
	buffer_load_dword v53, v54, s[0:3], 0 offen offset:12
	buffer_load_dword v60, v54, s[0:3], 0 offen
	buffer_load_dword v61, v54, s[0:3], 0 offen offset:4
	v_mov_b32_e32 v54, s30
	v_cmp_eq_u32_e32 vcc_lo, 0, v51
	s_add_i32 s30, s30, 16
	ds_read_b128 v[56:59], v54
	s_or_b32 s4, vcc_lo, s4
	s_waitcnt vmcnt(2) lgkmcnt(0)
	v_mul_f64 v[62:63], v[58:59], v[52:53]
	v_mul_f64 v[52:53], v[56:57], v[52:53]
	s_waitcnt vmcnt(0)
	v_fma_f64 v[56:57], v[56:57], v[60:61], -v[62:63]
	v_fma_f64 v[52:53], v[58:59], v[60:61], v[52:53]
	v_add_f64 v[1:2], v[1:2], v[56:57]
	v_add_f64 v[3:4], v[3:4], v[52:53]
	s_andn2_b32 exec_lo, exec_lo, s4
	s_cbranch_execnz .LBB85_64
; %bb.65:
	s_or_b32 exec_lo, exec_lo, s4
.LBB85_66:
	s_or_b32 exec_lo, exec_lo, s8
	v_mov_b32_e32 v51, 0
	ds_read_b128 v[51:54], v51 offset:208
	s_waitcnt lgkmcnt(0)
	v_mul_f64 v[56:57], v[3:4], v[53:54]
	v_mul_f64 v[53:54], v[1:2], v[53:54]
	v_fma_f64 v[1:2], v[1:2], v[51:52], -v[56:57]
	v_fma_f64 v[3:4], v[3:4], v[51:52], v[53:54]
	buffer_store_dword v2, off, s[0:3], 0 offset:212
	buffer_store_dword v1, off, s[0:3], 0 offset:208
	buffer_store_dword v4, off, s[0:3], 0 offset:220
	buffer_store_dword v3, off, s[0:3], 0 offset:216
.LBB85_67:
	s_or_b32 exec_lo, exec_lo, s6
	v_mov_b32_e32 v4, s17
	v_cmp_lt_u32_e64 s4, 12, v0
	s_clause 0x3
	buffer_load_dword v1, v4, s[0:3], 0 offen
	buffer_load_dword v2, v4, s[0:3], 0 offen offset:4
	buffer_load_dword v3, v4, s[0:3], 0 offen offset:8
	;; [unrolled: 1-line block ×3, first 2 shown]
	s_waitcnt vmcnt(0)
	ds_write_b128 v50, v[1:4]
	s_waitcnt lgkmcnt(0)
	s_waitcnt_vscnt null, 0x0
	s_barrier
	buffer_gl0_inv
	s_and_saveexec_b32 s6, s4
	s_cbranch_execz .LBB85_75
; %bb.68:
	ds_read_b128 v[1:4], v50
	s_andn2_b32 vcc_lo, exec_lo, s29
	s_cbranch_vccnz .LBB85_70
; %bb.69:
	s_clause 0x3
	buffer_load_dword v51, v49, s[0:3], 0 offen offset:8
	buffer_load_dword v52, v49, s[0:3], 0 offen offset:12
	buffer_load_dword v53, v49, s[0:3], 0 offen
	buffer_load_dword v54, v49, s[0:3], 0 offen offset:4
	s_waitcnt vmcnt(2) lgkmcnt(0)
	v_mul_f64 v[56:57], v[3:4], v[51:52]
	v_mul_f64 v[51:52], v[1:2], v[51:52]
	s_waitcnt vmcnt(0)
	v_fma_f64 v[1:2], v[1:2], v[53:54], -v[56:57]
	v_fma_f64 v[3:4], v[3:4], v[53:54], v[51:52]
.LBB85_70:
	s_and_saveexec_b32 s8, s5
	s_cbranch_execz .LBB85_74
; %bb.71:
	v_add_nc_u32_e32 v51, -13, v0
	s_movk_i32 s30, 0x230
	s_mov_b32 s5, 0
	s_mov_b32 s31, s16
	.p2align	6
.LBB85_72:                              ; =>This Inner Loop Header: Depth=1
	v_mov_b32_e32 v54, s31
	v_add_nc_u32_e32 v51, -1, v51
	s_add_i32 s31, s31, 16
	s_clause 0x3
	buffer_load_dword v52, v54, s[0:3], 0 offen offset:8
	buffer_load_dword v53, v54, s[0:3], 0 offen offset:12
	buffer_load_dword v60, v54, s[0:3], 0 offen
	buffer_load_dword v61, v54, s[0:3], 0 offen offset:4
	v_mov_b32_e32 v54, s30
	v_cmp_eq_u32_e32 vcc_lo, 0, v51
	s_add_i32 s30, s30, 16
	ds_read_b128 v[56:59], v54
	s_or_b32 s5, vcc_lo, s5
	s_waitcnt vmcnt(2) lgkmcnt(0)
	v_mul_f64 v[62:63], v[58:59], v[52:53]
	v_mul_f64 v[52:53], v[56:57], v[52:53]
	s_waitcnt vmcnt(0)
	v_fma_f64 v[56:57], v[56:57], v[60:61], -v[62:63]
	v_fma_f64 v[52:53], v[58:59], v[60:61], v[52:53]
	v_add_f64 v[1:2], v[1:2], v[56:57]
	v_add_f64 v[3:4], v[3:4], v[52:53]
	s_andn2_b32 exec_lo, exec_lo, s5
	s_cbranch_execnz .LBB85_72
; %bb.73:
	s_or_b32 exec_lo, exec_lo, s5
.LBB85_74:
	s_or_b32 exec_lo, exec_lo, s8
	v_mov_b32_e32 v51, 0
	ds_read_b128 v[51:54], v51 offset:192
	s_waitcnt lgkmcnt(0)
	v_mul_f64 v[56:57], v[3:4], v[53:54]
	v_mul_f64 v[53:54], v[1:2], v[53:54]
	v_fma_f64 v[1:2], v[1:2], v[51:52], -v[56:57]
	v_fma_f64 v[3:4], v[3:4], v[51:52], v[53:54]
	buffer_store_dword v2, off, s[0:3], 0 offset:196
	buffer_store_dword v1, off, s[0:3], 0 offset:192
	;; [unrolled: 1-line block ×4, first 2 shown]
.LBB85_75:
	s_or_b32 exec_lo, exec_lo, s6
	v_mov_b32_e32 v4, s18
	v_cmp_lt_u32_e64 s5, 11, v0
	s_clause 0x3
	buffer_load_dword v1, v4, s[0:3], 0 offen
	buffer_load_dword v2, v4, s[0:3], 0 offen offset:4
	buffer_load_dword v3, v4, s[0:3], 0 offen offset:8
	;; [unrolled: 1-line block ×3, first 2 shown]
	s_waitcnt vmcnt(0)
	ds_write_b128 v50, v[1:4]
	s_waitcnt lgkmcnt(0)
	s_waitcnt_vscnt null, 0x0
	s_barrier
	buffer_gl0_inv
	s_and_saveexec_b32 s6, s5
	s_cbranch_execz .LBB85_83
; %bb.76:
	ds_read_b128 v[1:4], v50
	s_andn2_b32 vcc_lo, exec_lo, s29
	s_cbranch_vccnz .LBB85_78
; %bb.77:
	s_clause 0x3
	buffer_load_dword v51, v49, s[0:3], 0 offen offset:8
	buffer_load_dword v52, v49, s[0:3], 0 offen offset:12
	buffer_load_dword v53, v49, s[0:3], 0 offen
	buffer_load_dword v54, v49, s[0:3], 0 offen offset:4
	s_waitcnt vmcnt(2) lgkmcnt(0)
	v_mul_f64 v[56:57], v[3:4], v[51:52]
	v_mul_f64 v[51:52], v[1:2], v[51:52]
	s_waitcnt vmcnt(0)
	v_fma_f64 v[1:2], v[1:2], v[53:54], -v[56:57]
	v_fma_f64 v[3:4], v[3:4], v[53:54], v[51:52]
.LBB85_78:
	s_and_saveexec_b32 s8, s4
	s_cbranch_execz .LBB85_82
; %bb.79:
	v_add_nc_u32_e32 v51, -12, v0
	s_movk_i32 s30, 0x220
	s_mov_b32 s4, 0
	s_mov_b32 s31, s17
	.p2align	6
.LBB85_80:                              ; =>This Inner Loop Header: Depth=1
	v_mov_b32_e32 v54, s31
	v_add_nc_u32_e32 v51, -1, v51
	s_add_i32 s31, s31, 16
	s_clause 0x3
	buffer_load_dword v52, v54, s[0:3], 0 offen offset:8
	buffer_load_dword v53, v54, s[0:3], 0 offen offset:12
	buffer_load_dword v60, v54, s[0:3], 0 offen
	buffer_load_dword v61, v54, s[0:3], 0 offen offset:4
	v_mov_b32_e32 v54, s30
	v_cmp_eq_u32_e32 vcc_lo, 0, v51
	s_add_i32 s30, s30, 16
	ds_read_b128 v[56:59], v54
	s_or_b32 s4, vcc_lo, s4
	s_waitcnt vmcnt(2) lgkmcnt(0)
	v_mul_f64 v[62:63], v[58:59], v[52:53]
	v_mul_f64 v[52:53], v[56:57], v[52:53]
	s_waitcnt vmcnt(0)
	v_fma_f64 v[56:57], v[56:57], v[60:61], -v[62:63]
	v_fma_f64 v[52:53], v[58:59], v[60:61], v[52:53]
	v_add_f64 v[1:2], v[1:2], v[56:57]
	v_add_f64 v[3:4], v[3:4], v[52:53]
	s_andn2_b32 exec_lo, exec_lo, s4
	s_cbranch_execnz .LBB85_80
; %bb.81:
	s_or_b32 exec_lo, exec_lo, s4
.LBB85_82:
	s_or_b32 exec_lo, exec_lo, s8
	v_mov_b32_e32 v51, 0
	ds_read_b128 v[51:54], v51 offset:176
	s_waitcnt lgkmcnt(0)
	v_mul_f64 v[56:57], v[3:4], v[53:54]
	v_mul_f64 v[53:54], v[1:2], v[53:54]
	v_fma_f64 v[1:2], v[1:2], v[51:52], -v[56:57]
	v_fma_f64 v[3:4], v[3:4], v[51:52], v[53:54]
	buffer_store_dword v2, off, s[0:3], 0 offset:180
	buffer_store_dword v1, off, s[0:3], 0 offset:176
	;; [unrolled: 1-line block ×4, first 2 shown]
.LBB85_83:
	s_or_b32 exec_lo, exec_lo, s6
	v_mov_b32_e32 v4, s19
	v_cmp_lt_u32_e64 s4, 10, v0
	s_clause 0x3
	buffer_load_dword v1, v4, s[0:3], 0 offen
	buffer_load_dword v2, v4, s[0:3], 0 offen offset:4
	buffer_load_dword v3, v4, s[0:3], 0 offen offset:8
	;; [unrolled: 1-line block ×3, first 2 shown]
	s_waitcnt vmcnt(0)
	ds_write_b128 v50, v[1:4]
	s_waitcnt lgkmcnt(0)
	s_waitcnt_vscnt null, 0x0
	s_barrier
	buffer_gl0_inv
	s_and_saveexec_b32 s6, s4
	s_cbranch_execz .LBB85_91
; %bb.84:
	ds_read_b128 v[1:4], v50
	s_andn2_b32 vcc_lo, exec_lo, s29
	s_cbranch_vccnz .LBB85_86
; %bb.85:
	s_clause 0x3
	buffer_load_dword v51, v49, s[0:3], 0 offen offset:8
	buffer_load_dword v52, v49, s[0:3], 0 offen offset:12
	buffer_load_dword v53, v49, s[0:3], 0 offen
	buffer_load_dword v54, v49, s[0:3], 0 offen offset:4
	s_waitcnt vmcnt(2) lgkmcnt(0)
	v_mul_f64 v[56:57], v[3:4], v[51:52]
	v_mul_f64 v[51:52], v[1:2], v[51:52]
	s_waitcnt vmcnt(0)
	v_fma_f64 v[1:2], v[1:2], v[53:54], -v[56:57]
	v_fma_f64 v[3:4], v[3:4], v[53:54], v[51:52]
.LBB85_86:
	s_and_saveexec_b32 s8, s5
	s_cbranch_execz .LBB85_90
; %bb.87:
	v_add_nc_u32_e32 v51, -11, v0
	s_movk_i32 s30, 0x210
	s_mov_b32 s5, 0
	s_mov_b32 s31, s18
	.p2align	6
.LBB85_88:                              ; =>This Inner Loop Header: Depth=1
	v_mov_b32_e32 v54, s31
	v_add_nc_u32_e32 v51, -1, v51
	s_add_i32 s31, s31, 16
	s_clause 0x3
	buffer_load_dword v52, v54, s[0:3], 0 offen offset:8
	buffer_load_dword v53, v54, s[0:3], 0 offen offset:12
	buffer_load_dword v60, v54, s[0:3], 0 offen
	buffer_load_dword v61, v54, s[0:3], 0 offen offset:4
	v_mov_b32_e32 v54, s30
	v_cmp_eq_u32_e32 vcc_lo, 0, v51
	s_add_i32 s30, s30, 16
	ds_read_b128 v[56:59], v54
	s_or_b32 s5, vcc_lo, s5
	s_waitcnt vmcnt(2) lgkmcnt(0)
	v_mul_f64 v[62:63], v[58:59], v[52:53]
	v_mul_f64 v[52:53], v[56:57], v[52:53]
	s_waitcnt vmcnt(0)
	v_fma_f64 v[56:57], v[56:57], v[60:61], -v[62:63]
	v_fma_f64 v[52:53], v[58:59], v[60:61], v[52:53]
	v_add_f64 v[1:2], v[1:2], v[56:57]
	v_add_f64 v[3:4], v[3:4], v[52:53]
	s_andn2_b32 exec_lo, exec_lo, s5
	s_cbranch_execnz .LBB85_88
; %bb.89:
	s_or_b32 exec_lo, exec_lo, s5
.LBB85_90:
	s_or_b32 exec_lo, exec_lo, s8
	v_mov_b32_e32 v51, 0
	ds_read_b128 v[51:54], v51 offset:160
	s_waitcnt lgkmcnt(0)
	v_mul_f64 v[56:57], v[3:4], v[53:54]
	v_mul_f64 v[53:54], v[1:2], v[53:54]
	v_fma_f64 v[1:2], v[1:2], v[51:52], -v[56:57]
	v_fma_f64 v[3:4], v[3:4], v[51:52], v[53:54]
	buffer_store_dword v2, off, s[0:3], 0 offset:164
	buffer_store_dword v1, off, s[0:3], 0 offset:160
	buffer_store_dword v4, off, s[0:3], 0 offset:172
	buffer_store_dword v3, off, s[0:3], 0 offset:168
.LBB85_91:
	s_or_b32 exec_lo, exec_lo, s6
	v_mov_b32_e32 v4, s20
	v_cmp_lt_u32_e64 s5, 9, v0
	s_clause 0x3
	buffer_load_dword v1, v4, s[0:3], 0 offen
	buffer_load_dword v2, v4, s[0:3], 0 offen offset:4
	buffer_load_dword v3, v4, s[0:3], 0 offen offset:8
	;; [unrolled: 1-line block ×3, first 2 shown]
	s_waitcnt vmcnt(0)
	ds_write_b128 v50, v[1:4]
	s_waitcnt lgkmcnt(0)
	s_waitcnt_vscnt null, 0x0
	s_barrier
	buffer_gl0_inv
	s_and_saveexec_b32 s6, s5
	s_cbranch_execz .LBB85_99
; %bb.92:
	ds_read_b128 v[1:4], v50
	s_andn2_b32 vcc_lo, exec_lo, s29
	s_cbranch_vccnz .LBB85_94
; %bb.93:
	s_clause 0x3
	buffer_load_dword v51, v49, s[0:3], 0 offen offset:8
	buffer_load_dword v52, v49, s[0:3], 0 offen offset:12
	buffer_load_dword v53, v49, s[0:3], 0 offen
	buffer_load_dword v54, v49, s[0:3], 0 offen offset:4
	s_waitcnt vmcnt(2) lgkmcnt(0)
	v_mul_f64 v[56:57], v[3:4], v[51:52]
	v_mul_f64 v[51:52], v[1:2], v[51:52]
	s_waitcnt vmcnt(0)
	v_fma_f64 v[1:2], v[1:2], v[53:54], -v[56:57]
	v_fma_f64 v[3:4], v[3:4], v[53:54], v[51:52]
.LBB85_94:
	s_and_saveexec_b32 s8, s4
	s_cbranch_execz .LBB85_98
; %bb.95:
	v_add_nc_u32_e32 v51, -10, v0
	s_movk_i32 s30, 0x200
	s_mov_b32 s4, 0
	s_mov_b32 s31, s19
	.p2align	6
.LBB85_96:                              ; =>This Inner Loop Header: Depth=1
	v_mov_b32_e32 v54, s31
	v_add_nc_u32_e32 v51, -1, v51
	s_add_i32 s31, s31, 16
	s_clause 0x3
	buffer_load_dword v52, v54, s[0:3], 0 offen offset:8
	buffer_load_dword v53, v54, s[0:3], 0 offen offset:12
	buffer_load_dword v60, v54, s[0:3], 0 offen
	buffer_load_dword v61, v54, s[0:3], 0 offen offset:4
	v_mov_b32_e32 v54, s30
	v_cmp_eq_u32_e32 vcc_lo, 0, v51
	s_add_i32 s30, s30, 16
	ds_read_b128 v[56:59], v54
	s_or_b32 s4, vcc_lo, s4
	s_waitcnt vmcnt(2) lgkmcnt(0)
	v_mul_f64 v[62:63], v[58:59], v[52:53]
	v_mul_f64 v[52:53], v[56:57], v[52:53]
	s_waitcnt vmcnt(0)
	v_fma_f64 v[56:57], v[56:57], v[60:61], -v[62:63]
	v_fma_f64 v[52:53], v[58:59], v[60:61], v[52:53]
	v_add_f64 v[1:2], v[1:2], v[56:57]
	v_add_f64 v[3:4], v[3:4], v[52:53]
	s_andn2_b32 exec_lo, exec_lo, s4
	s_cbranch_execnz .LBB85_96
; %bb.97:
	s_or_b32 exec_lo, exec_lo, s4
.LBB85_98:
	s_or_b32 exec_lo, exec_lo, s8
	v_mov_b32_e32 v51, 0
	ds_read_b128 v[51:54], v51 offset:144
	s_waitcnt lgkmcnt(0)
	v_mul_f64 v[56:57], v[3:4], v[53:54]
	v_mul_f64 v[53:54], v[1:2], v[53:54]
	v_fma_f64 v[1:2], v[1:2], v[51:52], -v[56:57]
	v_fma_f64 v[3:4], v[3:4], v[51:52], v[53:54]
	buffer_store_dword v2, off, s[0:3], 0 offset:148
	buffer_store_dword v1, off, s[0:3], 0 offset:144
	;; [unrolled: 1-line block ×4, first 2 shown]
.LBB85_99:
	s_or_b32 exec_lo, exec_lo, s6
	v_mov_b32_e32 v4, s21
	v_cmp_lt_u32_e64 s4, 8, v0
	s_clause 0x3
	buffer_load_dword v1, v4, s[0:3], 0 offen
	buffer_load_dword v2, v4, s[0:3], 0 offen offset:4
	buffer_load_dword v3, v4, s[0:3], 0 offen offset:8
	buffer_load_dword v4, v4, s[0:3], 0 offen offset:12
	s_waitcnt vmcnt(0)
	ds_write_b128 v50, v[1:4]
	s_waitcnt lgkmcnt(0)
	s_waitcnt_vscnt null, 0x0
	s_barrier
	buffer_gl0_inv
	s_and_saveexec_b32 s6, s4
	s_cbranch_execz .LBB85_107
; %bb.100:
	ds_read_b128 v[1:4], v50
	s_andn2_b32 vcc_lo, exec_lo, s29
	s_cbranch_vccnz .LBB85_102
; %bb.101:
	s_clause 0x3
	buffer_load_dword v51, v49, s[0:3], 0 offen offset:8
	buffer_load_dword v52, v49, s[0:3], 0 offen offset:12
	buffer_load_dword v53, v49, s[0:3], 0 offen
	buffer_load_dword v54, v49, s[0:3], 0 offen offset:4
	s_waitcnt vmcnt(2) lgkmcnt(0)
	v_mul_f64 v[56:57], v[3:4], v[51:52]
	v_mul_f64 v[51:52], v[1:2], v[51:52]
	s_waitcnt vmcnt(0)
	v_fma_f64 v[1:2], v[1:2], v[53:54], -v[56:57]
	v_fma_f64 v[3:4], v[3:4], v[53:54], v[51:52]
.LBB85_102:
	s_and_saveexec_b32 s8, s5
	s_cbranch_execz .LBB85_106
; %bb.103:
	v_add_nc_u32_e32 v51, -9, v0
	s_movk_i32 s30, 0x1f0
	s_mov_b32 s5, 0
	s_mov_b32 s31, s20
	.p2align	6
.LBB85_104:                             ; =>This Inner Loop Header: Depth=1
	v_mov_b32_e32 v54, s31
	v_add_nc_u32_e32 v51, -1, v51
	s_add_i32 s31, s31, 16
	s_clause 0x3
	buffer_load_dword v52, v54, s[0:3], 0 offen offset:8
	buffer_load_dword v53, v54, s[0:3], 0 offen offset:12
	buffer_load_dword v60, v54, s[0:3], 0 offen
	buffer_load_dword v61, v54, s[0:3], 0 offen offset:4
	v_mov_b32_e32 v54, s30
	v_cmp_eq_u32_e32 vcc_lo, 0, v51
	s_add_i32 s30, s30, 16
	ds_read_b128 v[56:59], v54
	s_or_b32 s5, vcc_lo, s5
	s_waitcnt vmcnt(2) lgkmcnt(0)
	v_mul_f64 v[62:63], v[58:59], v[52:53]
	v_mul_f64 v[52:53], v[56:57], v[52:53]
	s_waitcnt vmcnt(0)
	v_fma_f64 v[56:57], v[56:57], v[60:61], -v[62:63]
	v_fma_f64 v[52:53], v[58:59], v[60:61], v[52:53]
	v_add_f64 v[1:2], v[1:2], v[56:57]
	v_add_f64 v[3:4], v[3:4], v[52:53]
	s_andn2_b32 exec_lo, exec_lo, s5
	s_cbranch_execnz .LBB85_104
; %bb.105:
	s_or_b32 exec_lo, exec_lo, s5
.LBB85_106:
	s_or_b32 exec_lo, exec_lo, s8
	v_mov_b32_e32 v51, 0
	ds_read_b128 v[51:54], v51 offset:128
	s_waitcnt lgkmcnt(0)
	v_mul_f64 v[56:57], v[3:4], v[53:54]
	v_mul_f64 v[53:54], v[1:2], v[53:54]
	v_fma_f64 v[1:2], v[1:2], v[51:52], -v[56:57]
	v_fma_f64 v[3:4], v[3:4], v[51:52], v[53:54]
	buffer_store_dword v2, off, s[0:3], 0 offset:132
	buffer_store_dword v1, off, s[0:3], 0 offset:128
	;; [unrolled: 1-line block ×4, first 2 shown]
.LBB85_107:
	s_or_b32 exec_lo, exec_lo, s6
	v_mov_b32_e32 v4, s22
	v_cmp_lt_u32_e64 s5, 7, v0
	s_clause 0x3
	buffer_load_dword v1, v4, s[0:3], 0 offen
	buffer_load_dword v2, v4, s[0:3], 0 offen offset:4
	buffer_load_dword v3, v4, s[0:3], 0 offen offset:8
	;; [unrolled: 1-line block ×3, first 2 shown]
	s_waitcnt vmcnt(0)
	ds_write_b128 v50, v[1:4]
	s_waitcnt lgkmcnt(0)
	s_waitcnt_vscnt null, 0x0
	s_barrier
	buffer_gl0_inv
	s_and_saveexec_b32 s6, s5
	s_cbranch_execz .LBB85_115
; %bb.108:
	ds_read_b128 v[1:4], v50
	s_andn2_b32 vcc_lo, exec_lo, s29
	s_cbranch_vccnz .LBB85_110
; %bb.109:
	s_clause 0x3
	buffer_load_dword v51, v49, s[0:3], 0 offen offset:8
	buffer_load_dword v52, v49, s[0:3], 0 offen offset:12
	buffer_load_dword v53, v49, s[0:3], 0 offen
	buffer_load_dword v54, v49, s[0:3], 0 offen offset:4
	s_waitcnt vmcnt(2) lgkmcnt(0)
	v_mul_f64 v[56:57], v[3:4], v[51:52]
	v_mul_f64 v[51:52], v[1:2], v[51:52]
	s_waitcnt vmcnt(0)
	v_fma_f64 v[1:2], v[1:2], v[53:54], -v[56:57]
	v_fma_f64 v[3:4], v[3:4], v[53:54], v[51:52]
.LBB85_110:
	s_and_saveexec_b32 s8, s4
	s_cbranch_execz .LBB85_114
; %bb.111:
	v_add_nc_u32_e32 v51, -8, v0
	s_movk_i32 s30, 0x1e0
	s_mov_b32 s4, 0
	s_mov_b32 s31, s21
	.p2align	6
.LBB85_112:                             ; =>This Inner Loop Header: Depth=1
	v_mov_b32_e32 v54, s31
	v_add_nc_u32_e32 v51, -1, v51
	s_add_i32 s31, s31, 16
	s_clause 0x3
	buffer_load_dword v52, v54, s[0:3], 0 offen offset:8
	buffer_load_dword v53, v54, s[0:3], 0 offen offset:12
	buffer_load_dword v60, v54, s[0:3], 0 offen
	buffer_load_dword v61, v54, s[0:3], 0 offen offset:4
	v_mov_b32_e32 v54, s30
	v_cmp_eq_u32_e32 vcc_lo, 0, v51
	s_add_i32 s30, s30, 16
	ds_read_b128 v[56:59], v54
	s_or_b32 s4, vcc_lo, s4
	s_waitcnt vmcnt(2) lgkmcnt(0)
	v_mul_f64 v[62:63], v[58:59], v[52:53]
	v_mul_f64 v[52:53], v[56:57], v[52:53]
	s_waitcnt vmcnt(0)
	v_fma_f64 v[56:57], v[56:57], v[60:61], -v[62:63]
	v_fma_f64 v[52:53], v[58:59], v[60:61], v[52:53]
	v_add_f64 v[1:2], v[1:2], v[56:57]
	v_add_f64 v[3:4], v[3:4], v[52:53]
	s_andn2_b32 exec_lo, exec_lo, s4
	s_cbranch_execnz .LBB85_112
; %bb.113:
	s_or_b32 exec_lo, exec_lo, s4
.LBB85_114:
	s_or_b32 exec_lo, exec_lo, s8
	v_mov_b32_e32 v51, 0
	ds_read_b128 v[51:54], v51 offset:112
	s_waitcnt lgkmcnt(0)
	v_mul_f64 v[56:57], v[3:4], v[53:54]
	v_mul_f64 v[53:54], v[1:2], v[53:54]
	v_fma_f64 v[1:2], v[1:2], v[51:52], -v[56:57]
	v_fma_f64 v[3:4], v[3:4], v[51:52], v[53:54]
	buffer_store_dword v2, off, s[0:3], 0 offset:116
	buffer_store_dword v1, off, s[0:3], 0 offset:112
	;; [unrolled: 1-line block ×4, first 2 shown]
.LBB85_115:
	s_or_b32 exec_lo, exec_lo, s6
	v_mov_b32_e32 v4, s23
	v_cmp_lt_u32_e64 s4, 6, v0
	s_clause 0x3
	buffer_load_dword v1, v4, s[0:3], 0 offen
	buffer_load_dword v2, v4, s[0:3], 0 offen offset:4
	buffer_load_dword v3, v4, s[0:3], 0 offen offset:8
	;; [unrolled: 1-line block ×3, first 2 shown]
	s_waitcnt vmcnt(0)
	ds_write_b128 v50, v[1:4]
	s_waitcnt lgkmcnt(0)
	s_waitcnt_vscnt null, 0x0
	s_barrier
	buffer_gl0_inv
	s_and_saveexec_b32 s6, s4
	s_cbranch_execz .LBB85_123
; %bb.116:
	ds_read_b128 v[1:4], v50
	s_andn2_b32 vcc_lo, exec_lo, s29
	s_cbranch_vccnz .LBB85_118
; %bb.117:
	s_clause 0x3
	buffer_load_dword v51, v49, s[0:3], 0 offen offset:8
	buffer_load_dword v52, v49, s[0:3], 0 offen offset:12
	buffer_load_dword v53, v49, s[0:3], 0 offen
	buffer_load_dword v54, v49, s[0:3], 0 offen offset:4
	s_waitcnt vmcnt(2) lgkmcnt(0)
	v_mul_f64 v[56:57], v[3:4], v[51:52]
	v_mul_f64 v[51:52], v[1:2], v[51:52]
	s_waitcnt vmcnt(0)
	v_fma_f64 v[1:2], v[1:2], v[53:54], -v[56:57]
	v_fma_f64 v[3:4], v[3:4], v[53:54], v[51:52]
.LBB85_118:
	s_and_saveexec_b32 s8, s5
	s_cbranch_execz .LBB85_122
; %bb.119:
	v_add_nc_u32_e32 v51, -7, v0
	s_movk_i32 s30, 0x1d0
	s_mov_b32 s5, 0
	s_mov_b32 s31, s22
	.p2align	6
.LBB85_120:                             ; =>This Inner Loop Header: Depth=1
	v_mov_b32_e32 v54, s31
	v_add_nc_u32_e32 v51, -1, v51
	s_add_i32 s31, s31, 16
	s_clause 0x3
	buffer_load_dword v52, v54, s[0:3], 0 offen offset:8
	buffer_load_dword v53, v54, s[0:3], 0 offen offset:12
	buffer_load_dword v60, v54, s[0:3], 0 offen
	buffer_load_dword v61, v54, s[0:3], 0 offen offset:4
	v_mov_b32_e32 v54, s30
	v_cmp_eq_u32_e32 vcc_lo, 0, v51
	s_add_i32 s30, s30, 16
	ds_read_b128 v[56:59], v54
	s_or_b32 s5, vcc_lo, s5
	s_waitcnt vmcnt(2) lgkmcnt(0)
	v_mul_f64 v[62:63], v[58:59], v[52:53]
	v_mul_f64 v[52:53], v[56:57], v[52:53]
	s_waitcnt vmcnt(0)
	v_fma_f64 v[56:57], v[56:57], v[60:61], -v[62:63]
	v_fma_f64 v[52:53], v[58:59], v[60:61], v[52:53]
	v_add_f64 v[1:2], v[1:2], v[56:57]
	v_add_f64 v[3:4], v[3:4], v[52:53]
	s_andn2_b32 exec_lo, exec_lo, s5
	s_cbranch_execnz .LBB85_120
; %bb.121:
	s_or_b32 exec_lo, exec_lo, s5
.LBB85_122:
	s_or_b32 exec_lo, exec_lo, s8
	v_mov_b32_e32 v51, 0
	ds_read_b128 v[51:54], v51 offset:96
	s_waitcnt lgkmcnt(0)
	v_mul_f64 v[56:57], v[3:4], v[53:54]
	v_mul_f64 v[53:54], v[1:2], v[53:54]
	v_fma_f64 v[1:2], v[1:2], v[51:52], -v[56:57]
	v_fma_f64 v[3:4], v[3:4], v[51:52], v[53:54]
	buffer_store_dword v2, off, s[0:3], 0 offset:100
	buffer_store_dword v1, off, s[0:3], 0 offset:96
	;; [unrolled: 1-line block ×4, first 2 shown]
.LBB85_123:
	s_or_b32 exec_lo, exec_lo, s6
	v_mov_b32_e32 v4, s24
	v_cmp_lt_u32_e64 s5, 5, v0
	s_clause 0x3
	buffer_load_dword v1, v4, s[0:3], 0 offen
	buffer_load_dword v2, v4, s[0:3], 0 offen offset:4
	buffer_load_dword v3, v4, s[0:3], 0 offen offset:8
	;; [unrolled: 1-line block ×3, first 2 shown]
	s_waitcnt vmcnt(0)
	ds_write_b128 v50, v[1:4]
	s_waitcnt lgkmcnt(0)
	s_waitcnt_vscnt null, 0x0
	s_barrier
	buffer_gl0_inv
	s_and_saveexec_b32 s6, s5
	s_cbranch_execz .LBB85_131
; %bb.124:
	ds_read_b128 v[1:4], v50
	s_andn2_b32 vcc_lo, exec_lo, s29
	s_cbranch_vccnz .LBB85_126
; %bb.125:
	s_clause 0x3
	buffer_load_dword v51, v49, s[0:3], 0 offen offset:8
	buffer_load_dword v52, v49, s[0:3], 0 offen offset:12
	buffer_load_dword v53, v49, s[0:3], 0 offen
	buffer_load_dword v54, v49, s[0:3], 0 offen offset:4
	s_waitcnt vmcnt(2) lgkmcnt(0)
	v_mul_f64 v[56:57], v[3:4], v[51:52]
	v_mul_f64 v[51:52], v[1:2], v[51:52]
	s_waitcnt vmcnt(0)
	v_fma_f64 v[1:2], v[1:2], v[53:54], -v[56:57]
	v_fma_f64 v[3:4], v[3:4], v[53:54], v[51:52]
.LBB85_126:
	s_and_saveexec_b32 s8, s4
	s_cbranch_execz .LBB85_130
; %bb.127:
	v_add_nc_u32_e32 v51, -6, v0
	s_movk_i32 s30, 0x1c0
	s_mov_b32 s4, 0
	s_mov_b32 s31, s23
	.p2align	6
.LBB85_128:                             ; =>This Inner Loop Header: Depth=1
	v_mov_b32_e32 v54, s31
	v_add_nc_u32_e32 v51, -1, v51
	s_add_i32 s31, s31, 16
	s_clause 0x3
	buffer_load_dword v52, v54, s[0:3], 0 offen offset:8
	buffer_load_dword v53, v54, s[0:3], 0 offen offset:12
	buffer_load_dword v60, v54, s[0:3], 0 offen
	buffer_load_dword v61, v54, s[0:3], 0 offen offset:4
	v_mov_b32_e32 v54, s30
	v_cmp_eq_u32_e32 vcc_lo, 0, v51
	s_add_i32 s30, s30, 16
	ds_read_b128 v[56:59], v54
	s_or_b32 s4, vcc_lo, s4
	s_waitcnt vmcnt(2) lgkmcnt(0)
	v_mul_f64 v[62:63], v[58:59], v[52:53]
	v_mul_f64 v[52:53], v[56:57], v[52:53]
	s_waitcnt vmcnt(0)
	v_fma_f64 v[56:57], v[56:57], v[60:61], -v[62:63]
	v_fma_f64 v[52:53], v[58:59], v[60:61], v[52:53]
	v_add_f64 v[1:2], v[1:2], v[56:57]
	v_add_f64 v[3:4], v[3:4], v[52:53]
	s_andn2_b32 exec_lo, exec_lo, s4
	s_cbranch_execnz .LBB85_128
; %bb.129:
	s_or_b32 exec_lo, exec_lo, s4
.LBB85_130:
	s_or_b32 exec_lo, exec_lo, s8
	v_mov_b32_e32 v51, 0
	ds_read_b128 v[51:54], v51 offset:80
	s_waitcnt lgkmcnt(0)
	v_mul_f64 v[56:57], v[3:4], v[53:54]
	v_mul_f64 v[53:54], v[1:2], v[53:54]
	v_fma_f64 v[1:2], v[1:2], v[51:52], -v[56:57]
	v_fma_f64 v[3:4], v[3:4], v[51:52], v[53:54]
	buffer_store_dword v2, off, s[0:3], 0 offset:84
	buffer_store_dword v1, off, s[0:3], 0 offset:80
	;; [unrolled: 1-line block ×4, first 2 shown]
.LBB85_131:
	s_or_b32 exec_lo, exec_lo, s6
	v_mov_b32_e32 v4, s25
	v_cmp_lt_u32_e64 s4, 4, v0
	s_clause 0x3
	buffer_load_dword v1, v4, s[0:3], 0 offen
	buffer_load_dword v2, v4, s[0:3], 0 offen offset:4
	buffer_load_dword v3, v4, s[0:3], 0 offen offset:8
	;; [unrolled: 1-line block ×3, first 2 shown]
	s_waitcnt vmcnt(0)
	ds_write_b128 v50, v[1:4]
	s_waitcnt lgkmcnt(0)
	s_waitcnt_vscnt null, 0x0
	s_barrier
	buffer_gl0_inv
	s_and_saveexec_b32 s6, s4
	s_cbranch_execz .LBB85_139
; %bb.132:
	ds_read_b128 v[1:4], v50
	s_andn2_b32 vcc_lo, exec_lo, s29
	s_cbranch_vccnz .LBB85_134
; %bb.133:
	s_clause 0x3
	buffer_load_dword v51, v49, s[0:3], 0 offen offset:8
	buffer_load_dword v52, v49, s[0:3], 0 offen offset:12
	buffer_load_dword v53, v49, s[0:3], 0 offen
	buffer_load_dword v54, v49, s[0:3], 0 offen offset:4
	s_waitcnt vmcnt(2) lgkmcnt(0)
	v_mul_f64 v[56:57], v[3:4], v[51:52]
	v_mul_f64 v[51:52], v[1:2], v[51:52]
	s_waitcnt vmcnt(0)
	v_fma_f64 v[1:2], v[1:2], v[53:54], -v[56:57]
	v_fma_f64 v[3:4], v[3:4], v[53:54], v[51:52]
.LBB85_134:
	s_and_saveexec_b32 s8, s5
	s_cbranch_execz .LBB85_138
; %bb.135:
	v_add_nc_u32_e32 v51, -5, v0
	s_movk_i32 s30, 0x1b0
	s_mov_b32 s5, 0
	s_mov_b32 s31, s24
	.p2align	6
.LBB85_136:                             ; =>This Inner Loop Header: Depth=1
	v_mov_b32_e32 v54, s31
	v_add_nc_u32_e32 v51, -1, v51
	s_add_i32 s31, s31, 16
	s_clause 0x3
	buffer_load_dword v52, v54, s[0:3], 0 offen offset:8
	buffer_load_dword v53, v54, s[0:3], 0 offen offset:12
	buffer_load_dword v60, v54, s[0:3], 0 offen
	buffer_load_dword v61, v54, s[0:3], 0 offen offset:4
	v_mov_b32_e32 v54, s30
	v_cmp_eq_u32_e32 vcc_lo, 0, v51
	s_add_i32 s30, s30, 16
	ds_read_b128 v[56:59], v54
	s_or_b32 s5, vcc_lo, s5
	s_waitcnt vmcnt(2) lgkmcnt(0)
	v_mul_f64 v[62:63], v[58:59], v[52:53]
	v_mul_f64 v[52:53], v[56:57], v[52:53]
	s_waitcnt vmcnt(0)
	v_fma_f64 v[56:57], v[56:57], v[60:61], -v[62:63]
	v_fma_f64 v[52:53], v[58:59], v[60:61], v[52:53]
	v_add_f64 v[1:2], v[1:2], v[56:57]
	v_add_f64 v[3:4], v[3:4], v[52:53]
	s_andn2_b32 exec_lo, exec_lo, s5
	s_cbranch_execnz .LBB85_136
; %bb.137:
	s_or_b32 exec_lo, exec_lo, s5
.LBB85_138:
	s_or_b32 exec_lo, exec_lo, s8
	v_mov_b32_e32 v51, 0
	ds_read_b128 v[51:54], v51 offset:64
	s_waitcnt lgkmcnt(0)
	v_mul_f64 v[56:57], v[3:4], v[53:54]
	v_mul_f64 v[53:54], v[1:2], v[53:54]
	v_fma_f64 v[1:2], v[1:2], v[51:52], -v[56:57]
	v_fma_f64 v[3:4], v[3:4], v[51:52], v[53:54]
	buffer_store_dword v2, off, s[0:3], 0 offset:68
	buffer_store_dword v1, off, s[0:3], 0 offset:64
	;; [unrolled: 1-line block ×4, first 2 shown]
.LBB85_139:
	s_or_b32 exec_lo, exec_lo, s6
	v_mov_b32_e32 v4, s26
	v_cmp_lt_u32_e64 s5, 3, v0
	s_clause 0x3
	buffer_load_dword v1, v4, s[0:3], 0 offen
	buffer_load_dword v2, v4, s[0:3], 0 offen offset:4
	buffer_load_dword v3, v4, s[0:3], 0 offen offset:8
	;; [unrolled: 1-line block ×3, first 2 shown]
	s_waitcnt vmcnt(0)
	ds_write_b128 v50, v[1:4]
	s_waitcnt lgkmcnt(0)
	s_waitcnt_vscnt null, 0x0
	s_barrier
	buffer_gl0_inv
	s_and_saveexec_b32 s6, s5
	s_cbranch_execz .LBB85_147
; %bb.140:
	ds_read_b128 v[1:4], v50
	s_andn2_b32 vcc_lo, exec_lo, s29
	s_cbranch_vccnz .LBB85_142
; %bb.141:
	s_clause 0x3
	buffer_load_dword v51, v49, s[0:3], 0 offen offset:8
	buffer_load_dword v52, v49, s[0:3], 0 offen offset:12
	buffer_load_dword v53, v49, s[0:3], 0 offen
	buffer_load_dword v54, v49, s[0:3], 0 offen offset:4
	s_waitcnt vmcnt(2) lgkmcnt(0)
	v_mul_f64 v[56:57], v[3:4], v[51:52]
	v_mul_f64 v[51:52], v[1:2], v[51:52]
	s_waitcnt vmcnt(0)
	v_fma_f64 v[1:2], v[1:2], v[53:54], -v[56:57]
	v_fma_f64 v[3:4], v[3:4], v[53:54], v[51:52]
.LBB85_142:
	s_and_saveexec_b32 s8, s4
	s_cbranch_execz .LBB85_146
; %bb.143:
	v_add_nc_u32_e32 v51, -4, v0
	s_movk_i32 s30, 0x1a0
	s_mov_b32 s4, 0
	s_mov_b32 s31, s25
	.p2align	6
.LBB85_144:                             ; =>This Inner Loop Header: Depth=1
	v_mov_b32_e32 v54, s31
	v_add_nc_u32_e32 v51, -1, v51
	s_add_i32 s31, s31, 16
	s_clause 0x3
	buffer_load_dword v52, v54, s[0:3], 0 offen offset:8
	buffer_load_dword v53, v54, s[0:3], 0 offen offset:12
	buffer_load_dword v60, v54, s[0:3], 0 offen
	buffer_load_dword v61, v54, s[0:3], 0 offen offset:4
	v_mov_b32_e32 v54, s30
	v_cmp_eq_u32_e32 vcc_lo, 0, v51
	s_add_i32 s30, s30, 16
	ds_read_b128 v[56:59], v54
	s_or_b32 s4, vcc_lo, s4
	s_waitcnt vmcnt(2) lgkmcnt(0)
	v_mul_f64 v[62:63], v[58:59], v[52:53]
	v_mul_f64 v[52:53], v[56:57], v[52:53]
	s_waitcnt vmcnt(0)
	v_fma_f64 v[56:57], v[56:57], v[60:61], -v[62:63]
	v_fma_f64 v[52:53], v[58:59], v[60:61], v[52:53]
	v_add_f64 v[1:2], v[1:2], v[56:57]
	v_add_f64 v[3:4], v[3:4], v[52:53]
	s_andn2_b32 exec_lo, exec_lo, s4
	s_cbranch_execnz .LBB85_144
; %bb.145:
	s_or_b32 exec_lo, exec_lo, s4
.LBB85_146:
	s_or_b32 exec_lo, exec_lo, s8
	v_mov_b32_e32 v51, 0
	ds_read_b128 v[51:54], v51 offset:48
	s_waitcnt lgkmcnt(0)
	v_mul_f64 v[56:57], v[3:4], v[53:54]
	v_mul_f64 v[53:54], v[1:2], v[53:54]
	v_fma_f64 v[1:2], v[1:2], v[51:52], -v[56:57]
	v_fma_f64 v[3:4], v[3:4], v[51:52], v[53:54]
	buffer_store_dword v2, off, s[0:3], 0 offset:52
	buffer_store_dword v1, off, s[0:3], 0 offset:48
	;; [unrolled: 1-line block ×4, first 2 shown]
.LBB85_147:
	s_or_b32 exec_lo, exec_lo, s6
	v_mov_b32_e32 v4, s27
	v_cmp_lt_u32_e64 s6, 2, v0
	s_clause 0x3
	buffer_load_dword v1, v4, s[0:3], 0 offen
	buffer_load_dword v2, v4, s[0:3], 0 offen offset:4
	buffer_load_dword v3, v4, s[0:3], 0 offen offset:8
	;; [unrolled: 1-line block ×3, first 2 shown]
	s_waitcnt vmcnt(0)
	ds_write_b128 v50, v[1:4]
	s_waitcnt lgkmcnt(0)
	s_waitcnt_vscnt null, 0x0
	s_barrier
	buffer_gl0_inv
	s_and_saveexec_b32 s4, s6
	s_cbranch_execz .LBB85_155
; %bb.148:
	ds_read_b128 v[1:4], v50
	s_andn2_b32 vcc_lo, exec_lo, s29
	s_cbranch_vccnz .LBB85_150
; %bb.149:
	s_clause 0x3
	buffer_load_dword v51, v49, s[0:3], 0 offen offset:8
	buffer_load_dword v52, v49, s[0:3], 0 offen offset:12
	buffer_load_dword v53, v49, s[0:3], 0 offen
	buffer_load_dword v54, v49, s[0:3], 0 offen offset:4
	s_waitcnt vmcnt(2) lgkmcnt(0)
	v_mul_f64 v[56:57], v[3:4], v[51:52]
	v_mul_f64 v[51:52], v[1:2], v[51:52]
	s_waitcnt vmcnt(0)
	v_fma_f64 v[1:2], v[1:2], v[53:54], -v[56:57]
	v_fma_f64 v[3:4], v[3:4], v[53:54], v[51:52]
.LBB85_150:
	s_and_saveexec_b32 s8, s5
	s_cbranch_execz .LBB85_154
; %bb.151:
	v_add_nc_u32_e32 v51, -3, v0
	s_movk_i32 s30, 0x190
	s_mov_b32 s5, 0
	s_mov_b32 s31, s26
	.p2align	6
.LBB85_152:                             ; =>This Inner Loop Header: Depth=1
	v_mov_b32_e32 v54, s31
	v_add_nc_u32_e32 v51, -1, v51
	s_add_i32 s31, s31, 16
	s_clause 0x3
	buffer_load_dword v52, v54, s[0:3], 0 offen offset:8
	buffer_load_dword v53, v54, s[0:3], 0 offen offset:12
	buffer_load_dword v60, v54, s[0:3], 0 offen
	buffer_load_dword v61, v54, s[0:3], 0 offen offset:4
	v_mov_b32_e32 v54, s30
	v_cmp_eq_u32_e32 vcc_lo, 0, v51
	s_add_i32 s30, s30, 16
	ds_read_b128 v[56:59], v54
	s_or_b32 s5, vcc_lo, s5
	s_waitcnt vmcnt(2) lgkmcnt(0)
	v_mul_f64 v[62:63], v[58:59], v[52:53]
	v_mul_f64 v[52:53], v[56:57], v[52:53]
	s_waitcnt vmcnt(0)
	v_fma_f64 v[56:57], v[56:57], v[60:61], -v[62:63]
	v_fma_f64 v[52:53], v[58:59], v[60:61], v[52:53]
	v_add_f64 v[1:2], v[1:2], v[56:57]
	v_add_f64 v[3:4], v[3:4], v[52:53]
	s_andn2_b32 exec_lo, exec_lo, s5
	s_cbranch_execnz .LBB85_152
; %bb.153:
	s_or_b32 exec_lo, exec_lo, s5
.LBB85_154:
	s_or_b32 exec_lo, exec_lo, s8
	v_mov_b32_e32 v51, 0
	ds_read_b128 v[51:54], v51 offset:32
	s_waitcnt lgkmcnt(0)
	v_mul_f64 v[56:57], v[3:4], v[53:54]
	v_mul_f64 v[53:54], v[1:2], v[53:54]
	v_fma_f64 v[1:2], v[1:2], v[51:52], -v[56:57]
	v_fma_f64 v[3:4], v[3:4], v[51:52], v[53:54]
	buffer_store_dword v2, off, s[0:3], 0 offset:36
	buffer_store_dword v1, off, s[0:3], 0 offset:32
	;; [unrolled: 1-line block ×4, first 2 shown]
.LBB85_155:
	s_or_b32 exec_lo, exec_lo, s4
	v_mov_b32_e32 v4, s28
	v_cmp_lt_u32_e64 s4, 1, v0
	s_clause 0x3
	buffer_load_dword v1, v4, s[0:3], 0 offen
	buffer_load_dword v2, v4, s[0:3], 0 offen offset:4
	buffer_load_dword v3, v4, s[0:3], 0 offen offset:8
	buffer_load_dword v4, v4, s[0:3], 0 offen offset:12
	s_waitcnt vmcnt(0)
	ds_write_b128 v50, v[1:4]
	s_waitcnt lgkmcnt(0)
	s_waitcnt_vscnt null, 0x0
	s_barrier
	buffer_gl0_inv
	s_and_saveexec_b32 s5, s4
	s_cbranch_execz .LBB85_163
; %bb.156:
	ds_read_b128 v[1:4], v50
	s_andn2_b32 vcc_lo, exec_lo, s29
	s_cbranch_vccnz .LBB85_158
; %bb.157:
	s_clause 0x3
	buffer_load_dword v51, v49, s[0:3], 0 offen offset:8
	buffer_load_dword v52, v49, s[0:3], 0 offen offset:12
	buffer_load_dword v53, v49, s[0:3], 0 offen
	buffer_load_dword v54, v49, s[0:3], 0 offen offset:4
	s_waitcnt vmcnt(2) lgkmcnt(0)
	v_mul_f64 v[56:57], v[3:4], v[51:52]
	v_mul_f64 v[51:52], v[1:2], v[51:52]
	s_waitcnt vmcnt(0)
	v_fma_f64 v[1:2], v[1:2], v[53:54], -v[56:57]
	v_fma_f64 v[3:4], v[3:4], v[53:54], v[51:52]
.LBB85_158:
	s_and_saveexec_b32 s8, s6
	s_cbranch_execz .LBB85_162
; %bb.159:
	v_add_nc_u32_e32 v51, -2, v0
	s_movk_i32 s30, 0x180
	s_mov_b32 s6, 0
	s_mov_b32 s31, s27
	.p2align	6
.LBB85_160:                             ; =>This Inner Loop Header: Depth=1
	v_mov_b32_e32 v54, s31
	v_add_nc_u32_e32 v51, -1, v51
	s_add_i32 s31, s31, 16
	s_clause 0x3
	buffer_load_dword v52, v54, s[0:3], 0 offen offset:8
	buffer_load_dword v53, v54, s[0:3], 0 offen offset:12
	buffer_load_dword v60, v54, s[0:3], 0 offen
	buffer_load_dword v61, v54, s[0:3], 0 offen offset:4
	v_mov_b32_e32 v54, s30
	v_cmp_eq_u32_e32 vcc_lo, 0, v51
	s_add_i32 s30, s30, 16
	ds_read_b128 v[56:59], v54
	s_or_b32 s6, vcc_lo, s6
	s_waitcnt vmcnt(2) lgkmcnt(0)
	v_mul_f64 v[62:63], v[58:59], v[52:53]
	v_mul_f64 v[52:53], v[56:57], v[52:53]
	s_waitcnt vmcnt(0)
	v_fma_f64 v[56:57], v[56:57], v[60:61], -v[62:63]
	v_fma_f64 v[52:53], v[58:59], v[60:61], v[52:53]
	v_add_f64 v[1:2], v[1:2], v[56:57]
	v_add_f64 v[3:4], v[3:4], v[52:53]
	s_andn2_b32 exec_lo, exec_lo, s6
	s_cbranch_execnz .LBB85_160
; %bb.161:
	s_or_b32 exec_lo, exec_lo, s6
.LBB85_162:
	s_or_b32 exec_lo, exec_lo, s8
	v_mov_b32_e32 v51, 0
	ds_read_b128 v[51:54], v51 offset:16
	s_waitcnt lgkmcnt(0)
	v_mul_f64 v[56:57], v[3:4], v[53:54]
	v_mul_f64 v[53:54], v[1:2], v[53:54]
	v_fma_f64 v[1:2], v[1:2], v[51:52], -v[56:57]
	v_fma_f64 v[3:4], v[3:4], v[51:52], v[53:54]
	buffer_store_dword v2, off, s[0:3], 0 offset:20
	buffer_store_dword v1, off, s[0:3], 0 offset:16
	;; [unrolled: 1-line block ×4, first 2 shown]
.LBB85_163:
	s_or_b32 exec_lo, exec_lo, s5
	s_clause 0x3
	buffer_load_dword v1, off, s[0:3], 0
	buffer_load_dword v2, off, s[0:3], 0 offset:4
	buffer_load_dword v3, off, s[0:3], 0 offset:8
	;; [unrolled: 1-line block ×3, first 2 shown]
	s_mov_b32 s6, 0
	s_mov_b32 s5, 0
	s_mov_b32 s8, exec_lo
                                        ; implicit-def: $sgpr30
	s_waitcnt vmcnt(0)
	ds_write_b128 v50, v[1:4]
	s_waitcnt lgkmcnt(0)
	s_waitcnt_vscnt null, 0x0
	s_barrier
	buffer_gl0_inv
                                        ; implicit-def: $vgpr1_vgpr2
	v_cmpx_ne_u32_e32 0, v0
	s_cbranch_execz .LBB85_171
; %bb.164:
	ds_read_b128 v[1:4], v50
	s_andn2_b32 vcc_lo, exec_lo, s29
	s_cbranch_vccnz .LBB85_166
; %bb.165:
	s_clause 0x3
	buffer_load_dword v51, v49, s[0:3], 0 offen offset:8
	buffer_load_dword v52, v49, s[0:3], 0 offen offset:12
	buffer_load_dword v53, v49, s[0:3], 0 offen
	buffer_load_dword v54, v49, s[0:3], 0 offen offset:4
	s_waitcnt vmcnt(2) lgkmcnt(0)
	v_mul_f64 v[56:57], v[3:4], v[51:52]
	v_mul_f64 v[51:52], v[1:2], v[51:52]
	s_waitcnt vmcnt(0)
	v_fma_f64 v[1:2], v[1:2], v[53:54], -v[56:57]
	v_fma_f64 v[3:4], v[3:4], v[53:54], v[51:52]
.LBB85_166:
	s_and_saveexec_b32 s5, s4
	s_cbranch_execz .LBB85_170
; %bb.167:
	v_add_nc_u32_e32 v51, -1, v0
	s_movk_i32 s30, 0x170
	s_mov_b32 s4, 0
	s_mov_b32 s31, s28
	.p2align	6
.LBB85_168:                             ; =>This Inner Loop Header: Depth=1
	v_mov_b32_e32 v54, s31
	v_add_nc_u32_e32 v51, -1, v51
	s_add_i32 s31, s31, 16
	s_clause 0x3
	buffer_load_dword v52, v54, s[0:3], 0 offen offset:8
	buffer_load_dword v53, v54, s[0:3], 0 offen offset:12
	buffer_load_dword v60, v54, s[0:3], 0 offen
	buffer_load_dword v61, v54, s[0:3], 0 offen offset:4
	v_mov_b32_e32 v54, s30
	v_cmp_eq_u32_e32 vcc_lo, 0, v51
	s_add_i32 s30, s30, 16
	ds_read_b128 v[56:59], v54
	s_or_b32 s4, vcc_lo, s4
	s_waitcnt vmcnt(2) lgkmcnt(0)
	v_mul_f64 v[62:63], v[58:59], v[52:53]
	v_mul_f64 v[52:53], v[56:57], v[52:53]
	s_waitcnt vmcnt(0)
	v_fma_f64 v[56:57], v[56:57], v[60:61], -v[62:63]
	v_fma_f64 v[52:53], v[58:59], v[60:61], v[52:53]
	v_add_f64 v[1:2], v[1:2], v[56:57]
	v_add_f64 v[3:4], v[3:4], v[52:53]
	s_andn2_b32 exec_lo, exec_lo, s4
	s_cbranch_execnz .LBB85_168
; %bb.169:
	s_or_b32 exec_lo, exec_lo, s4
.LBB85_170:
	s_or_b32 exec_lo, exec_lo, s5
	v_mov_b32_e32 v51, 0
	s_mov_b32 s5, exec_lo
	s_or_b32 s30, 0, 8
	ds_read_b128 v[51:54], v51
	s_waitcnt lgkmcnt(0)
	v_mul_f64 v[56:57], v[3:4], v[53:54]
	v_mul_f64 v[53:54], v[1:2], v[53:54]
	v_fma_f64 v[56:57], v[1:2], v[51:52], -v[56:57]
	v_fma_f64 v[1:2], v[3:4], v[51:52], v[53:54]
	buffer_store_dword v57, off, s[0:3], 0 offset:4
	buffer_store_dword v56, off, s[0:3], 0
.LBB85_171:
	s_or_b32 exec_lo, exec_lo, s8
	s_and_b32 vcc_lo, exec_lo, s6
	s_cbranch_vccnz .LBB85_173
	s_branch .LBB85_336
.LBB85_172:
	s_mov_b32 s5, 0
                                        ; implicit-def: $vgpr1_vgpr2
                                        ; implicit-def: $sgpr30
	s_cbranch_execz .LBB85_336
.LBB85_173:
	v_mov_b32_e32 v4, s28
	v_cmp_eq_u32_e64 s4, 0, v0
	v_cndmask_b32_e64 v51, 0, 1, s29
	s_clause 0x3
	buffer_load_dword v1, v4, s[0:3], 0 offen
	buffer_load_dword v2, v4, s[0:3], 0 offen offset:4
	buffer_load_dword v3, v4, s[0:3], 0 offen offset:8
	;; [unrolled: 1-line block ×3, first 2 shown]
	s_waitcnt vmcnt(0)
	ds_write_b128 v50, v[1:4]
	s_waitcnt lgkmcnt(0)
	s_waitcnt_vscnt null, 0x0
	s_barrier
	buffer_gl0_inv
	s_and_saveexec_b32 s6, s4
	s_cbranch_execz .LBB85_177
; %bb.174:
	ds_read_b128 v[1:4], v50
	s_andn2_b32 vcc_lo, exec_lo, s29
	s_cbranch_vccnz .LBB85_176
; %bb.175:
	s_clause 0x3
	buffer_load_dword v52, v49, s[0:3], 0 offen offset:8
	buffer_load_dword v53, v49, s[0:3], 0 offen offset:12
	buffer_load_dword v56, v49, s[0:3], 0 offen
	buffer_load_dword v57, v49, s[0:3], 0 offen offset:4
	s_waitcnt vmcnt(2) lgkmcnt(0)
	v_mul_f64 v[58:59], v[3:4], v[52:53]
	v_mul_f64 v[52:53], v[1:2], v[52:53]
	s_waitcnt vmcnt(0)
	v_fma_f64 v[1:2], v[1:2], v[56:57], -v[58:59]
	v_fma_f64 v[3:4], v[3:4], v[56:57], v[52:53]
.LBB85_176:
	v_mov_b32_e32 v52, 0
	ds_read_b128 v[56:59], v52 offset:16
	s_waitcnt lgkmcnt(0)
	v_mul_f64 v[52:53], v[3:4], v[58:59]
	v_mul_f64 v[58:59], v[1:2], v[58:59]
	v_fma_f64 v[1:2], v[1:2], v[56:57], -v[52:53]
	v_fma_f64 v[3:4], v[3:4], v[56:57], v[58:59]
	buffer_store_dword v2, off, s[0:3], 0 offset:20
	buffer_store_dword v1, off, s[0:3], 0 offset:16
	;; [unrolled: 1-line block ×4, first 2 shown]
.LBB85_177:
	s_or_b32 exec_lo, exec_lo, s6
	v_mov_b32_e32 v4, s27
	s_mov_b32 s6, exec_lo
	s_clause 0x3
	buffer_load_dword v1, v4, s[0:3], 0 offen
	buffer_load_dword v2, v4, s[0:3], 0 offen offset:4
	buffer_load_dword v3, v4, s[0:3], 0 offen offset:8
	buffer_load_dword v4, v4, s[0:3], 0 offen offset:12
	s_waitcnt vmcnt(0)
	ds_write_b128 v50, v[1:4]
	s_waitcnt lgkmcnt(0)
	s_waitcnt_vscnt null, 0x0
	s_barrier
	buffer_gl0_inv
	v_cmpx_gt_u32_e32 2, v0
	s_cbranch_execz .LBB85_183
; %bb.178:
	ds_read_b128 v[1:4], v50
	v_cmp_ne_u32_e32 vcc_lo, 1, v51
	s_cbranch_vccnz .LBB85_180
; %bb.179:
	s_clause 0x3
	buffer_load_dword v52, v49, s[0:3], 0 offen offset:8
	buffer_load_dword v53, v49, s[0:3], 0 offen offset:12
	buffer_load_dword v56, v49, s[0:3], 0 offen
	buffer_load_dword v57, v49, s[0:3], 0 offen offset:4
	s_waitcnt vmcnt(2) lgkmcnt(0)
	v_mul_f64 v[58:59], v[3:4], v[52:53]
	v_mul_f64 v[52:53], v[1:2], v[52:53]
	s_waitcnt vmcnt(0)
	v_fma_f64 v[1:2], v[1:2], v[56:57], -v[58:59]
	v_fma_f64 v[3:4], v[3:4], v[56:57], v[52:53]
.LBB85_180:
	s_and_saveexec_b32 s8, s4
	s_cbranch_execz .LBB85_182
; %bb.181:
	s_clause 0x3
	buffer_load_dword v52, off, s[0:3], 0 offset:24
	buffer_load_dword v53, off, s[0:3], 0 offset:28
	;; [unrolled: 1-line block ×4, first 2 shown]
	v_mov_b32_e32 v54, 0
	ds_read_b128 v[56:59], v54 offset:368
	s_waitcnt vmcnt(2) lgkmcnt(0)
	v_mul_f64 v[62:63], v[58:59], v[52:53]
	v_mul_f64 v[52:53], v[56:57], v[52:53]
	s_waitcnt vmcnt(0)
	v_fma_f64 v[56:57], v[56:57], v[60:61], -v[62:63]
	v_fma_f64 v[52:53], v[58:59], v[60:61], v[52:53]
	v_add_f64 v[1:2], v[1:2], v[56:57]
	v_add_f64 v[3:4], v[3:4], v[52:53]
.LBB85_182:
	s_or_b32 exec_lo, exec_lo, s8
	v_mov_b32_e32 v52, 0
	ds_read_b128 v[56:59], v52 offset:32
	s_waitcnt lgkmcnt(0)
	v_mul_f64 v[52:53], v[3:4], v[58:59]
	v_mul_f64 v[58:59], v[1:2], v[58:59]
	v_fma_f64 v[1:2], v[1:2], v[56:57], -v[52:53]
	v_fma_f64 v[3:4], v[3:4], v[56:57], v[58:59]
	buffer_store_dword v2, off, s[0:3], 0 offset:36
	buffer_store_dword v1, off, s[0:3], 0 offset:32
	;; [unrolled: 1-line block ×4, first 2 shown]
.LBB85_183:
	s_or_b32 exec_lo, exec_lo, s6
	v_mov_b32_e32 v4, s26
	s_mov_b32 s6, exec_lo
	s_clause 0x3
	buffer_load_dword v1, v4, s[0:3], 0 offen
	buffer_load_dword v2, v4, s[0:3], 0 offen offset:4
	buffer_load_dword v3, v4, s[0:3], 0 offen offset:8
	;; [unrolled: 1-line block ×3, first 2 shown]
	s_waitcnt vmcnt(0)
	ds_write_b128 v50, v[1:4]
	s_waitcnt lgkmcnt(0)
	s_waitcnt_vscnt null, 0x0
	s_barrier
	buffer_gl0_inv
	v_cmpx_gt_u32_e32 3, v0
	s_cbranch_execz .LBB85_191
; %bb.184:
	ds_read_b128 v[1:4], v50
	v_cmp_ne_u32_e32 vcc_lo, 1, v51
	s_cbranch_vccnz .LBB85_186
; %bb.185:
	s_clause 0x3
	buffer_load_dword v52, v49, s[0:3], 0 offen offset:8
	buffer_load_dword v53, v49, s[0:3], 0 offen offset:12
	buffer_load_dword v56, v49, s[0:3], 0 offen
	buffer_load_dword v57, v49, s[0:3], 0 offen offset:4
	s_waitcnt vmcnt(2) lgkmcnt(0)
	v_mul_f64 v[58:59], v[3:4], v[52:53]
	v_mul_f64 v[52:53], v[1:2], v[52:53]
	s_waitcnt vmcnt(0)
	v_fma_f64 v[1:2], v[1:2], v[56:57], -v[58:59]
	v_fma_f64 v[3:4], v[3:4], v[56:57], v[52:53]
.LBB85_186:
	s_mov_b32 s8, exec_lo
	v_cmpx_ne_u32_e32 2, v0
	s_cbranch_execz .LBB85_190
; %bb.187:
	s_clause 0x3
	buffer_load_dword v52, v49, s[0:3], 0 offen offset:24
	buffer_load_dword v53, v49, s[0:3], 0 offen offset:28
	;; [unrolled: 1-line block ×4, first 2 shown]
	ds_read_b128 v[56:59], v50 offset:16
	s_waitcnt vmcnt(2) lgkmcnt(0)
	v_mul_f64 v[62:63], v[58:59], v[52:53]
	v_mul_f64 v[52:53], v[56:57], v[52:53]
	s_waitcnt vmcnt(0)
	v_fma_f64 v[56:57], v[56:57], v[60:61], -v[62:63]
	v_fma_f64 v[52:53], v[58:59], v[60:61], v[52:53]
	v_add_f64 v[1:2], v[1:2], v[56:57]
	v_add_f64 v[3:4], v[3:4], v[52:53]
	s_and_saveexec_b32 s29, s4
	s_cbranch_execz .LBB85_189
; %bb.188:
	s_clause 0x3
	buffer_load_dword v52, off, s[0:3], 0 offset:40
	buffer_load_dword v53, off, s[0:3], 0 offset:44
	;; [unrolled: 1-line block ×4, first 2 shown]
	v_mov_b32_e32 v54, 0
	ds_read_b128 v[56:59], v54 offset:384
	s_waitcnt vmcnt(2) lgkmcnt(0)
	v_mul_f64 v[62:63], v[56:57], v[52:53]
	v_mul_f64 v[52:53], v[58:59], v[52:53]
	s_waitcnt vmcnt(0)
	v_fma_f64 v[58:59], v[58:59], v[60:61], v[62:63]
	v_fma_f64 v[52:53], v[56:57], v[60:61], -v[52:53]
	v_add_f64 v[3:4], v[3:4], v[58:59]
	v_add_f64 v[1:2], v[1:2], v[52:53]
.LBB85_189:
	s_or_b32 exec_lo, exec_lo, s29
.LBB85_190:
	s_or_b32 exec_lo, exec_lo, s8
	v_mov_b32_e32 v52, 0
	ds_read_b128 v[56:59], v52 offset:48
	s_waitcnt lgkmcnt(0)
	v_mul_f64 v[52:53], v[3:4], v[58:59]
	v_mul_f64 v[58:59], v[1:2], v[58:59]
	v_fma_f64 v[1:2], v[1:2], v[56:57], -v[52:53]
	v_fma_f64 v[3:4], v[3:4], v[56:57], v[58:59]
	buffer_store_dword v2, off, s[0:3], 0 offset:52
	buffer_store_dword v1, off, s[0:3], 0 offset:48
	;; [unrolled: 1-line block ×4, first 2 shown]
.LBB85_191:
	s_or_b32 exec_lo, exec_lo, s6
	v_mov_b32_e32 v4, s25
	s_mov_b32 s4, exec_lo
	s_clause 0x3
	buffer_load_dword v1, v4, s[0:3], 0 offen
	buffer_load_dword v2, v4, s[0:3], 0 offen offset:4
	buffer_load_dword v3, v4, s[0:3], 0 offen offset:8
	;; [unrolled: 1-line block ×3, first 2 shown]
	s_waitcnt vmcnt(0)
	ds_write_b128 v50, v[1:4]
	s_waitcnt lgkmcnt(0)
	s_waitcnt_vscnt null, 0x0
	s_barrier
	buffer_gl0_inv
	v_cmpx_gt_u32_e32 4, v0
	s_cbranch_execz .LBB85_199
; %bb.192:
	ds_read_b128 v[1:4], v50
	v_cmp_ne_u32_e32 vcc_lo, 1, v51
	s_cbranch_vccnz .LBB85_194
; %bb.193:
	s_clause 0x3
	buffer_load_dword v52, v49, s[0:3], 0 offen offset:8
	buffer_load_dword v53, v49, s[0:3], 0 offen offset:12
	buffer_load_dword v56, v49, s[0:3], 0 offen
	buffer_load_dword v57, v49, s[0:3], 0 offen offset:4
	s_waitcnt vmcnt(2) lgkmcnt(0)
	v_mul_f64 v[58:59], v[3:4], v[52:53]
	v_mul_f64 v[52:53], v[1:2], v[52:53]
	s_waitcnt vmcnt(0)
	v_fma_f64 v[1:2], v[1:2], v[56:57], -v[58:59]
	v_fma_f64 v[3:4], v[3:4], v[56:57], v[52:53]
.LBB85_194:
	s_mov_b32 s6, exec_lo
	v_cmpx_ne_u32_e32 3, v0
	s_cbranch_execz .LBB85_198
; %bb.195:
	v_add_nc_u32_e32 v52, 0x170, v55
	v_add3_u32 v53, 0, v55, 16
	v_mov_b32_e32 v54, v0
	s_mov_b32 s8, 0
	.p2align	6
.LBB85_196:                             ; =>This Inner Loop Header: Depth=1
	s_clause 0x3
	buffer_load_dword v60, v53, s[0:3], 0 offen offset:8
	buffer_load_dword v61, v53, s[0:3], 0 offen offset:12
	buffer_load_dword v62, v53, s[0:3], 0 offen
	buffer_load_dword v63, v53, s[0:3], 0 offen offset:4
	ds_read_b128 v[56:59], v52
	v_add_nc_u32_e32 v54, 1, v54
	v_add_nc_u32_e32 v52, 16, v52
	;; [unrolled: 1-line block ×3, first 2 shown]
	v_cmp_lt_u32_e32 vcc_lo, 2, v54
	s_or_b32 s8, vcc_lo, s8
	s_waitcnt vmcnt(2) lgkmcnt(0)
	v_mul_f64 v[64:65], v[58:59], v[60:61]
	v_mul_f64 v[60:61], v[56:57], v[60:61]
	s_waitcnt vmcnt(0)
	v_fma_f64 v[56:57], v[56:57], v[62:63], -v[64:65]
	v_fma_f64 v[58:59], v[58:59], v[62:63], v[60:61]
	v_add_f64 v[1:2], v[1:2], v[56:57]
	v_add_f64 v[3:4], v[3:4], v[58:59]
	s_andn2_b32 exec_lo, exec_lo, s8
	s_cbranch_execnz .LBB85_196
; %bb.197:
	s_or_b32 exec_lo, exec_lo, s8
.LBB85_198:
	s_or_b32 exec_lo, exec_lo, s6
	v_mov_b32_e32 v52, 0
	ds_read_b128 v[56:59], v52 offset:64
	s_waitcnt lgkmcnt(0)
	v_mul_f64 v[52:53], v[3:4], v[58:59]
	v_mul_f64 v[58:59], v[1:2], v[58:59]
	v_fma_f64 v[1:2], v[1:2], v[56:57], -v[52:53]
	v_fma_f64 v[3:4], v[3:4], v[56:57], v[58:59]
	buffer_store_dword v2, off, s[0:3], 0 offset:68
	buffer_store_dword v1, off, s[0:3], 0 offset:64
	;; [unrolled: 1-line block ×4, first 2 shown]
.LBB85_199:
	s_or_b32 exec_lo, exec_lo, s4
	v_mov_b32_e32 v4, s24
	s_mov_b32 s4, exec_lo
	s_clause 0x3
	buffer_load_dword v1, v4, s[0:3], 0 offen
	buffer_load_dword v2, v4, s[0:3], 0 offen offset:4
	buffer_load_dword v3, v4, s[0:3], 0 offen offset:8
	;; [unrolled: 1-line block ×3, first 2 shown]
	s_waitcnt vmcnt(0)
	ds_write_b128 v50, v[1:4]
	s_waitcnt lgkmcnt(0)
	s_waitcnt_vscnt null, 0x0
	s_barrier
	buffer_gl0_inv
	v_cmpx_gt_u32_e32 5, v0
	s_cbranch_execz .LBB85_207
; %bb.200:
	ds_read_b128 v[1:4], v50
	v_cmp_ne_u32_e32 vcc_lo, 1, v51
	s_cbranch_vccnz .LBB85_202
; %bb.201:
	s_clause 0x3
	buffer_load_dword v52, v49, s[0:3], 0 offen offset:8
	buffer_load_dword v53, v49, s[0:3], 0 offen offset:12
	buffer_load_dword v56, v49, s[0:3], 0 offen
	buffer_load_dword v57, v49, s[0:3], 0 offen offset:4
	s_waitcnt vmcnt(2) lgkmcnt(0)
	v_mul_f64 v[58:59], v[3:4], v[52:53]
	v_mul_f64 v[52:53], v[1:2], v[52:53]
	s_waitcnt vmcnt(0)
	v_fma_f64 v[1:2], v[1:2], v[56:57], -v[58:59]
	v_fma_f64 v[3:4], v[3:4], v[56:57], v[52:53]
.LBB85_202:
	s_mov_b32 s6, exec_lo
	v_cmpx_ne_u32_e32 4, v0
	s_cbranch_execz .LBB85_206
; %bb.203:
	v_add_nc_u32_e32 v52, 0x170, v55
	v_add3_u32 v53, 0, v55, 16
	v_mov_b32_e32 v54, v0
	s_mov_b32 s8, 0
	.p2align	6
.LBB85_204:                             ; =>This Inner Loop Header: Depth=1
	s_clause 0x3
	buffer_load_dword v60, v53, s[0:3], 0 offen offset:8
	buffer_load_dword v61, v53, s[0:3], 0 offen offset:12
	buffer_load_dword v62, v53, s[0:3], 0 offen
	buffer_load_dword v63, v53, s[0:3], 0 offen offset:4
	ds_read_b128 v[56:59], v52
	v_add_nc_u32_e32 v54, 1, v54
	v_add_nc_u32_e32 v52, 16, v52
	v_add_nc_u32_e32 v53, 16, v53
	v_cmp_lt_u32_e32 vcc_lo, 3, v54
	s_or_b32 s8, vcc_lo, s8
	s_waitcnt vmcnt(2) lgkmcnt(0)
	v_mul_f64 v[64:65], v[58:59], v[60:61]
	v_mul_f64 v[60:61], v[56:57], v[60:61]
	s_waitcnt vmcnt(0)
	v_fma_f64 v[56:57], v[56:57], v[62:63], -v[64:65]
	v_fma_f64 v[58:59], v[58:59], v[62:63], v[60:61]
	v_add_f64 v[1:2], v[1:2], v[56:57]
	v_add_f64 v[3:4], v[3:4], v[58:59]
	s_andn2_b32 exec_lo, exec_lo, s8
	s_cbranch_execnz .LBB85_204
; %bb.205:
	s_or_b32 exec_lo, exec_lo, s8
.LBB85_206:
	s_or_b32 exec_lo, exec_lo, s6
	v_mov_b32_e32 v52, 0
	ds_read_b128 v[56:59], v52 offset:80
	s_waitcnt lgkmcnt(0)
	v_mul_f64 v[52:53], v[3:4], v[58:59]
	v_mul_f64 v[58:59], v[1:2], v[58:59]
	v_fma_f64 v[1:2], v[1:2], v[56:57], -v[52:53]
	v_fma_f64 v[3:4], v[3:4], v[56:57], v[58:59]
	buffer_store_dword v2, off, s[0:3], 0 offset:84
	buffer_store_dword v1, off, s[0:3], 0 offset:80
	;; [unrolled: 1-line block ×4, first 2 shown]
.LBB85_207:
	s_or_b32 exec_lo, exec_lo, s4
	v_mov_b32_e32 v4, s23
	s_mov_b32 s4, exec_lo
	s_clause 0x3
	buffer_load_dword v1, v4, s[0:3], 0 offen
	buffer_load_dword v2, v4, s[0:3], 0 offen offset:4
	buffer_load_dword v3, v4, s[0:3], 0 offen offset:8
	;; [unrolled: 1-line block ×3, first 2 shown]
	s_waitcnt vmcnt(0)
	ds_write_b128 v50, v[1:4]
	s_waitcnt lgkmcnt(0)
	s_waitcnt_vscnt null, 0x0
	s_barrier
	buffer_gl0_inv
	v_cmpx_gt_u32_e32 6, v0
	s_cbranch_execz .LBB85_215
; %bb.208:
	ds_read_b128 v[1:4], v50
	v_cmp_ne_u32_e32 vcc_lo, 1, v51
	s_cbranch_vccnz .LBB85_210
; %bb.209:
	s_clause 0x3
	buffer_load_dword v52, v49, s[0:3], 0 offen offset:8
	buffer_load_dword v53, v49, s[0:3], 0 offen offset:12
	buffer_load_dword v56, v49, s[0:3], 0 offen
	buffer_load_dword v57, v49, s[0:3], 0 offen offset:4
	s_waitcnt vmcnt(2) lgkmcnt(0)
	v_mul_f64 v[58:59], v[3:4], v[52:53]
	v_mul_f64 v[52:53], v[1:2], v[52:53]
	s_waitcnt vmcnt(0)
	v_fma_f64 v[1:2], v[1:2], v[56:57], -v[58:59]
	v_fma_f64 v[3:4], v[3:4], v[56:57], v[52:53]
.LBB85_210:
	s_mov_b32 s6, exec_lo
	v_cmpx_ne_u32_e32 5, v0
	s_cbranch_execz .LBB85_214
; %bb.211:
	v_add_nc_u32_e32 v52, 0x170, v55
	v_add3_u32 v53, 0, v55, 16
	v_mov_b32_e32 v54, v0
	s_mov_b32 s8, 0
	.p2align	6
.LBB85_212:                             ; =>This Inner Loop Header: Depth=1
	s_clause 0x3
	buffer_load_dword v60, v53, s[0:3], 0 offen offset:8
	buffer_load_dword v61, v53, s[0:3], 0 offen offset:12
	buffer_load_dword v62, v53, s[0:3], 0 offen
	buffer_load_dword v63, v53, s[0:3], 0 offen offset:4
	ds_read_b128 v[56:59], v52
	v_add_nc_u32_e32 v54, 1, v54
	v_add_nc_u32_e32 v52, 16, v52
	;; [unrolled: 1-line block ×3, first 2 shown]
	v_cmp_lt_u32_e32 vcc_lo, 4, v54
	s_or_b32 s8, vcc_lo, s8
	s_waitcnt vmcnt(2) lgkmcnt(0)
	v_mul_f64 v[64:65], v[58:59], v[60:61]
	v_mul_f64 v[60:61], v[56:57], v[60:61]
	s_waitcnt vmcnt(0)
	v_fma_f64 v[56:57], v[56:57], v[62:63], -v[64:65]
	v_fma_f64 v[58:59], v[58:59], v[62:63], v[60:61]
	v_add_f64 v[1:2], v[1:2], v[56:57]
	v_add_f64 v[3:4], v[3:4], v[58:59]
	s_andn2_b32 exec_lo, exec_lo, s8
	s_cbranch_execnz .LBB85_212
; %bb.213:
	s_or_b32 exec_lo, exec_lo, s8
.LBB85_214:
	s_or_b32 exec_lo, exec_lo, s6
	v_mov_b32_e32 v52, 0
	ds_read_b128 v[56:59], v52 offset:96
	s_waitcnt lgkmcnt(0)
	v_mul_f64 v[52:53], v[3:4], v[58:59]
	v_mul_f64 v[58:59], v[1:2], v[58:59]
	v_fma_f64 v[1:2], v[1:2], v[56:57], -v[52:53]
	v_fma_f64 v[3:4], v[3:4], v[56:57], v[58:59]
	buffer_store_dword v2, off, s[0:3], 0 offset:100
	buffer_store_dword v1, off, s[0:3], 0 offset:96
	;; [unrolled: 1-line block ×4, first 2 shown]
.LBB85_215:
	s_or_b32 exec_lo, exec_lo, s4
	v_mov_b32_e32 v4, s22
	s_mov_b32 s4, exec_lo
	s_clause 0x3
	buffer_load_dword v1, v4, s[0:3], 0 offen
	buffer_load_dword v2, v4, s[0:3], 0 offen offset:4
	buffer_load_dword v3, v4, s[0:3], 0 offen offset:8
	;; [unrolled: 1-line block ×3, first 2 shown]
	s_waitcnt vmcnt(0)
	ds_write_b128 v50, v[1:4]
	s_waitcnt lgkmcnt(0)
	s_waitcnt_vscnt null, 0x0
	s_barrier
	buffer_gl0_inv
	v_cmpx_gt_u32_e32 7, v0
	s_cbranch_execz .LBB85_223
; %bb.216:
	ds_read_b128 v[1:4], v50
	v_cmp_ne_u32_e32 vcc_lo, 1, v51
	s_cbranch_vccnz .LBB85_218
; %bb.217:
	s_clause 0x3
	buffer_load_dword v52, v49, s[0:3], 0 offen offset:8
	buffer_load_dword v53, v49, s[0:3], 0 offen offset:12
	buffer_load_dword v56, v49, s[0:3], 0 offen
	buffer_load_dword v57, v49, s[0:3], 0 offen offset:4
	s_waitcnt vmcnt(2) lgkmcnt(0)
	v_mul_f64 v[58:59], v[3:4], v[52:53]
	v_mul_f64 v[52:53], v[1:2], v[52:53]
	s_waitcnt vmcnt(0)
	v_fma_f64 v[1:2], v[1:2], v[56:57], -v[58:59]
	v_fma_f64 v[3:4], v[3:4], v[56:57], v[52:53]
.LBB85_218:
	s_mov_b32 s6, exec_lo
	v_cmpx_ne_u32_e32 6, v0
	s_cbranch_execz .LBB85_222
; %bb.219:
	v_add_nc_u32_e32 v52, 0x170, v55
	v_add3_u32 v53, 0, v55, 16
	v_mov_b32_e32 v54, v0
	s_mov_b32 s8, 0
	.p2align	6
.LBB85_220:                             ; =>This Inner Loop Header: Depth=1
	s_clause 0x3
	buffer_load_dword v60, v53, s[0:3], 0 offen offset:8
	buffer_load_dword v61, v53, s[0:3], 0 offen offset:12
	buffer_load_dword v62, v53, s[0:3], 0 offen
	buffer_load_dword v63, v53, s[0:3], 0 offen offset:4
	ds_read_b128 v[56:59], v52
	v_add_nc_u32_e32 v54, 1, v54
	v_add_nc_u32_e32 v52, 16, v52
	;; [unrolled: 1-line block ×3, first 2 shown]
	v_cmp_lt_u32_e32 vcc_lo, 5, v54
	s_or_b32 s8, vcc_lo, s8
	s_waitcnt vmcnt(2) lgkmcnt(0)
	v_mul_f64 v[64:65], v[58:59], v[60:61]
	v_mul_f64 v[60:61], v[56:57], v[60:61]
	s_waitcnt vmcnt(0)
	v_fma_f64 v[56:57], v[56:57], v[62:63], -v[64:65]
	v_fma_f64 v[58:59], v[58:59], v[62:63], v[60:61]
	v_add_f64 v[1:2], v[1:2], v[56:57]
	v_add_f64 v[3:4], v[3:4], v[58:59]
	s_andn2_b32 exec_lo, exec_lo, s8
	s_cbranch_execnz .LBB85_220
; %bb.221:
	s_or_b32 exec_lo, exec_lo, s8
.LBB85_222:
	s_or_b32 exec_lo, exec_lo, s6
	v_mov_b32_e32 v52, 0
	ds_read_b128 v[56:59], v52 offset:112
	s_waitcnt lgkmcnt(0)
	v_mul_f64 v[52:53], v[3:4], v[58:59]
	v_mul_f64 v[58:59], v[1:2], v[58:59]
	v_fma_f64 v[1:2], v[1:2], v[56:57], -v[52:53]
	v_fma_f64 v[3:4], v[3:4], v[56:57], v[58:59]
	buffer_store_dword v2, off, s[0:3], 0 offset:116
	buffer_store_dword v1, off, s[0:3], 0 offset:112
	;; [unrolled: 1-line block ×4, first 2 shown]
.LBB85_223:
	s_or_b32 exec_lo, exec_lo, s4
	v_mov_b32_e32 v4, s21
	s_mov_b32 s4, exec_lo
	s_clause 0x3
	buffer_load_dword v1, v4, s[0:3], 0 offen
	buffer_load_dword v2, v4, s[0:3], 0 offen offset:4
	buffer_load_dword v3, v4, s[0:3], 0 offen offset:8
	;; [unrolled: 1-line block ×3, first 2 shown]
	s_waitcnt vmcnt(0)
	ds_write_b128 v50, v[1:4]
	s_waitcnt lgkmcnt(0)
	s_waitcnt_vscnt null, 0x0
	s_barrier
	buffer_gl0_inv
	v_cmpx_gt_u32_e32 8, v0
	s_cbranch_execz .LBB85_231
; %bb.224:
	ds_read_b128 v[1:4], v50
	v_cmp_ne_u32_e32 vcc_lo, 1, v51
	s_cbranch_vccnz .LBB85_226
; %bb.225:
	s_clause 0x3
	buffer_load_dword v52, v49, s[0:3], 0 offen offset:8
	buffer_load_dword v53, v49, s[0:3], 0 offen offset:12
	buffer_load_dword v56, v49, s[0:3], 0 offen
	buffer_load_dword v57, v49, s[0:3], 0 offen offset:4
	s_waitcnt vmcnt(2) lgkmcnt(0)
	v_mul_f64 v[58:59], v[3:4], v[52:53]
	v_mul_f64 v[52:53], v[1:2], v[52:53]
	s_waitcnt vmcnt(0)
	v_fma_f64 v[1:2], v[1:2], v[56:57], -v[58:59]
	v_fma_f64 v[3:4], v[3:4], v[56:57], v[52:53]
.LBB85_226:
	s_mov_b32 s6, exec_lo
	v_cmpx_ne_u32_e32 7, v0
	s_cbranch_execz .LBB85_230
; %bb.227:
	v_add_nc_u32_e32 v52, 0x170, v55
	v_add3_u32 v53, 0, v55, 16
	v_mov_b32_e32 v54, v0
	s_mov_b32 s8, 0
	.p2align	6
.LBB85_228:                             ; =>This Inner Loop Header: Depth=1
	s_clause 0x3
	buffer_load_dword v60, v53, s[0:3], 0 offen offset:8
	buffer_load_dword v61, v53, s[0:3], 0 offen offset:12
	buffer_load_dword v62, v53, s[0:3], 0 offen
	buffer_load_dword v63, v53, s[0:3], 0 offen offset:4
	ds_read_b128 v[56:59], v52
	v_add_nc_u32_e32 v54, 1, v54
	v_add_nc_u32_e32 v52, 16, v52
	;; [unrolled: 1-line block ×3, first 2 shown]
	v_cmp_lt_u32_e32 vcc_lo, 6, v54
	s_or_b32 s8, vcc_lo, s8
	s_waitcnt vmcnt(2) lgkmcnt(0)
	v_mul_f64 v[64:65], v[58:59], v[60:61]
	v_mul_f64 v[60:61], v[56:57], v[60:61]
	s_waitcnt vmcnt(0)
	v_fma_f64 v[56:57], v[56:57], v[62:63], -v[64:65]
	v_fma_f64 v[58:59], v[58:59], v[62:63], v[60:61]
	v_add_f64 v[1:2], v[1:2], v[56:57]
	v_add_f64 v[3:4], v[3:4], v[58:59]
	s_andn2_b32 exec_lo, exec_lo, s8
	s_cbranch_execnz .LBB85_228
; %bb.229:
	s_or_b32 exec_lo, exec_lo, s8
.LBB85_230:
	s_or_b32 exec_lo, exec_lo, s6
	v_mov_b32_e32 v52, 0
	ds_read_b128 v[56:59], v52 offset:128
	s_waitcnt lgkmcnt(0)
	v_mul_f64 v[52:53], v[3:4], v[58:59]
	v_mul_f64 v[58:59], v[1:2], v[58:59]
	v_fma_f64 v[1:2], v[1:2], v[56:57], -v[52:53]
	v_fma_f64 v[3:4], v[3:4], v[56:57], v[58:59]
	buffer_store_dword v2, off, s[0:3], 0 offset:132
	buffer_store_dword v1, off, s[0:3], 0 offset:128
	;; [unrolled: 1-line block ×4, first 2 shown]
.LBB85_231:
	s_or_b32 exec_lo, exec_lo, s4
	v_mov_b32_e32 v4, s20
	s_mov_b32 s4, exec_lo
	s_clause 0x3
	buffer_load_dword v1, v4, s[0:3], 0 offen
	buffer_load_dword v2, v4, s[0:3], 0 offen offset:4
	buffer_load_dword v3, v4, s[0:3], 0 offen offset:8
	;; [unrolled: 1-line block ×3, first 2 shown]
	s_waitcnt vmcnt(0)
	ds_write_b128 v50, v[1:4]
	s_waitcnt lgkmcnt(0)
	s_waitcnt_vscnt null, 0x0
	s_barrier
	buffer_gl0_inv
	v_cmpx_gt_u32_e32 9, v0
	s_cbranch_execz .LBB85_239
; %bb.232:
	ds_read_b128 v[1:4], v50
	v_cmp_ne_u32_e32 vcc_lo, 1, v51
	s_cbranch_vccnz .LBB85_234
; %bb.233:
	s_clause 0x3
	buffer_load_dword v52, v49, s[0:3], 0 offen offset:8
	buffer_load_dword v53, v49, s[0:3], 0 offen offset:12
	buffer_load_dword v56, v49, s[0:3], 0 offen
	buffer_load_dword v57, v49, s[0:3], 0 offen offset:4
	s_waitcnt vmcnt(2) lgkmcnt(0)
	v_mul_f64 v[58:59], v[3:4], v[52:53]
	v_mul_f64 v[52:53], v[1:2], v[52:53]
	s_waitcnt vmcnt(0)
	v_fma_f64 v[1:2], v[1:2], v[56:57], -v[58:59]
	v_fma_f64 v[3:4], v[3:4], v[56:57], v[52:53]
.LBB85_234:
	s_mov_b32 s6, exec_lo
	v_cmpx_ne_u32_e32 8, v0
	s_cbranch_execz .LBB85_238
; %bb.235:
	v_add_nc_u32_e32 v52, 0x170, v55
	v_add3_u32 v53, 0, v55, 16
	v_mov_b32_e32 v54, v0
	s_mov_b32 s8, 0
	.p2align	6
.LBB85_236:                             ; =>This Inner Loop Header: Depth=1
	s_clause 0x3
	buffer_load_dword v60, v53, s[0:3], 0 offen offset:8
	buffer_load_dword v61, v53, s[0:3], 0 offen offset:12
	buffer_load_dword v62, v53, s[0:3], 0 offen
	buffer_load_dword v63, v53, s[0:3], 0 offen offset:4
	ds_read_b128 v[56:59], v52
	v_add_nc_u32_e32 v54, 1, v54
	v_add_nc_u32_e32 v52, 16, v52
	;; [unrolled: 1-line block ×3, first 2 shown]
	v_cmp_lt_u32_e32 vcc_lo, 7, v54
	s_or_b32 s8, vcc_lo, s8
	s_waitcnt vmcnt(2) lgkmcnt(0)
	v_mul_f64 v[64:65], v[58:59], v[60:61]
	v_mul_f64 v[60:61], v[56:57], v[60:61]
	s_waitcnt vmcnt(0)
	v_fma_f64 v[56:57], v[56:57], v[62:63], -v[64:65]
	v_fma_f64 v[58:59], v[58:59], v[62:63], v[60:61]
	v_add_f64 v[1:2], v[1:2], v[56:57]
	v_add_f64 v[3:4], v[3:4], v[58:59]
	s_andn2_b32 exec_lo, exec_lo, s8
	s_cbranch_execnz .LBB85_236
; %bb.237:
	s_or_b32 exec_lo, exec_lo, s8
.LBB85_238:
	s_or_b32 exec_lo, exec_lo, s6
	v_mov_b32_e32 v52, 0
	ds_read_b128 v[56:59], v52 offset:144
	s_waitcnt lgkmcnt(0)
	v_mul_f64 v[52:53], v[3:4], v[58:59]
	v_mul_f64 v[58:59], v[1:2], v[58:59]
	v_fma_f64 v[1:2], v[1:2], v[56:57], -v[52:53]
	v_fma_f64 v[3:4], v[3:4], v[56:57], v[58:59]
	buffer_store_dword v2, off, s[0:3], 0 offset:148
	buffer_store_dword v1, off, s[0:3], 0 offset:144
	;; [unrolled: 1-line block ×4, first 2 shown]
.LBB85_239:
	s_or_b32 exec_lo, exec_lo, s4
	v_mov_b32_e32 v4, s19
	s_mov_b32 s4, exec_lo
	s_clause 0x3
	buffer_load_dword v1, v4, s[0:3], 0 offen
	buffer_load_dword v2, v4, s[0:3], 0 offen offset:4
	buffer_load_dword v3, v4, s[0:3], 0 offen offset:8
	;; [unrolled: 1-line block ×3, first 2 shown]
	s_waitcnt vmcnt(0)
	ds_write_b128 v50, v[1:4]
	s_waitcnt lgkmcnt(0)
	s_waitcnt_vscnt null, 0x0
	s_barrier
	buffer_gl0_inv
	v_cmpx_gt_u32_e32 10, v0
	s_cbranch_execz .LBB85_247
; %bb.240:
	ds_read_b128 v[1:4], v50
	v_cmp_ne_u32_e32 vcc_lo, 1, v51
	s_cbranch_vccnz .LBB85_242
; %bb.241:
	s_clause 0x3
	buffer_load_dword v52, v49, s[0:3], 0 offen offset:8
	buffer_load_dword v53, v49, s[0:3], 0 offen offset:12
	buffer_load_dword v56, v49, s[0:3], 0 offen
	buffer_load_dword v57, v49, s[0:3], 0 offen offset:4
	s_waitcnt vmcnt(2) lgkmcnt(0)
	v_mul_f64 v[58:59], v[3:4], v[52:53]
	v_mul_f64 v[52:53], v[1:2], v[52:53]
	s_waitcnt vmcnt(0)
	v_fma_f64 v[1:2], v[1:2], v[56:57], -v[58:59]
	v_fma_f64 v[3:4], v[3:4], v[56:57], v[52:53]
.LBB85_242:
	s_mov_b32 s6, exec_lo
	v_cmpx_ne_u32_e32 9, v0
	s_cbranch_execz .LBB85_246
; %bb.243:
	v_add_nc_u32_e32 v52, 0x170, v55
	v_add3_u32 v53, 0, v55, 16
	v_mov_b32_e32 v54, v0
	s_mov_b32 s8, 0
	.p2align	6
.LBB85_244:                             ; =>This Inner Loop Header: Depth=1
	s_clause 0x3
	buffer_load_dword v60, v53, s[0:3], 0 offen offset:8
	buffer_load_dword v61, v53, s[0:3], 0 offen offset:12
	buffer_load_dword v62, v53, s[0:3], 0 offen
	buffer_load_dword v63, v53, s[0:3], 0 offen offset:4
	ds_read_b128 v[56:59], v52
	v_add_nc_u32_e32 v54, 1, v54
	v_add_nc_u32_e32 v52, 16, v52
	;; [unrolled: 1-line block ×3, first 2 shown]
	v_cmp_lt_u32_e32 vcc_lo, 8, v54
	s_or_b32 s8, vcc_lo, s8
	s_waitcnt vmcnt(2) lgkmcnt(0)
	v_mul_f64 v[64:65], v[58:59], v[60:61]
	v_mul_f64 v[60:61], v[56:57], v[60:61]
	s_waitcnt vmcnt(0)
	v_fma_f64 v[56:57], v[56:57], v[62:63], -v[64:65]
	v_fma_f64 v[58:59], v[58:59], v[62:63], v[60:61]
	v_add_f64 v[1:2], v[1:2], v[56:57]
	v_add_f64 v[3:4], v[3:4], v[58:59]
	s_andn2_b32 exec_lo, exec_lo, s8
	s_cbranch_execnz .LBB85_244
; %bb.245:
	s_or_b32 exec_lo, exec_lo, s8
.LBB85_246:
	s_or_b32 exec_lo, exec_lo, s6
	v_mov_b32_e32 v52, 0
	ds_read_b128 v[56:59], v52 offset:160
	s_waitcnt lgkmcnt(0)
	v_mul_f64 v[52:53], v[3:4], v[58:59]
	v_mul_f64 v[58:59], v[1:2], v[58:59]
	v_fma_f64 v[1:2], v[1:2], v[56:57], -v[52:53]
	v_fma_f64 v[3:4], v[3:4], v[56:57], v[58:59]
	buffer_store_dword v2, off, s[0:3], 0 offset:164
	buffer_store_dword v1, off, s[0:3], 0 offset:160
	;; [unrolled: 1-line block ×4, first 2 shown]
.LBB85_247:
	s_or_b32 exec_lo, exec_lo, s4
	v_mov_b32_e32 v4, s18
	s_mov_b32 s4, exec_lo
	s_clause 0x3
	buffer_load_dword v1, v4, s[0:3], 0 offen
	buffer_load_dword v2, v4, s[0:3], 0 offen offset:4
	buffer_load_dword v3, v4, s[0:3], 0 offen offset:8
	;; [unrolled: 1-line block ×3, first 2 shown]
	s_waitcnt vmcnt(0)
	ds_write_b128 v50, v[1:4]
	s_waitcnt lgkmcnt(0)
	s_waitcnt_vscnt null, 0x0
	s_barrier
	buffer_gl0_inv
	v_cmpx_gt_u32_e32 11, v0
	s_cbranch_execz .LBB85_255
; %bb.248:
	ds_read_b128 v[1:4], v50
	v_cmp_ne_u32_e32 vcc_lo, 1, v51
	s_cbranch_vccnz .LBB85_250
; %bb.249:
	s_clause 0x3
	buffer_load_dword v52, v49, s[0:3], 0 offen offset:8
	buffer_load_dword v53, v49, s[0:3], 0 offen offset:12
	buffer_load_dword v56, v49, s[0:3], 0 offen
	buffer_load_dword v57, v49, s[0:3], 0 offen offset:4
	s_waitcnt vmcnt(2) lgkmcnt(0)
	v_mul_f64 v[58:59], v[3:4], v[52:53]
	v_mul_f64 v[52:53], v[1:2], v[52:53]
	s_waitcnt vmcnt(0)
	v_fma_f64 v[1:2], v[1:2], v[56:57], -v[58:59]
	v_fma_f64 v[3:4], v[3:4], v[56:57], v[52:53]
.LBB85_250:
	s_mov_b32 s6, exec_lo
	v_cmpx_ne_u32_e32 10, v0
	s_cbranch_execz .LBB85_254
; %bb.251:
	v_add_nc_u32_e32 v52, 0x170, v55
	v_add3_u32 v53, 0, v55, 16
	v_mov_b32_e32 v54, v0
	s_mov_b32 s8, 0
	.p2align	6
.LBB85_252:                             ; =>This Inner Loop Header: Depth=1
	s_clause 0x3
	buffer_load_dword v60, v53, s[0:3], 0 offen offset:8
	buffer_load_dword v61, v53, s[0:3], 0 offen offset:12
	buffer_load_dword v62, v53, s[0:3], 0 offen
	buffer_load_dword v63, v53, s[0:3], 0 offen offset:4
	ds_read_b128 v[56:59], v52
	v_add_nc_u32_e32 v54, 1, v54
	v_add_nc_u32_e32 v52, 16, v52
	;; [unrolled: 1-line block ×3, first 2 shown]
	v_cmp_lt_u32_e32 vcc_lo, 9, v54
	s_or_b32 s8, vcc_lo, s8
	s_waitcnt vmcnt(2) lgkmcnt(0)
	v_mul_f64 v[64:65], v[58:59], v[60:61]
	v_mul_f64 v[60:61], v[56:57], v[60:61]
	s_waitcnt vmcnt(0)
	v_fma_f64 v[56:57], v[56:57], v[62:63], -v[64:65]
	v_fma_f64 v[58:59], v[58:59], v[62:63], v[60:61]
	v_add_f64 v[1:2], v[1:2], v[56:57]
	v_add_f64 v[3:4], v[3:4], v[58:59]
	s_andn2_b32 exec_lo, exec_lo, s8
	s_cbranch_execnz .LBB85_252
; %bb.253:
	s_or_b32 exec_lo, exec_lo, s8
.LBB85_254:
	s_or_b32 exec_lo, exec_lo, s6
	v_mov_b32_e32 v52, 0
	ds_read_b128 v[56:59], v52 offset:176
	s_waitcnt lgkmcnt(0)
	v_mul_f64 v[52:53], v[3:4], v[58:59]
	v_mul_f64 v[58:59], v[1:2], v[58:59]
	v_fma_f64 v[1:2], v[1:2], v[56:57], -v[52:53]
	v_fma_f64 v[3:4], v[3:4], v[56:57], v[58:59]
	buffer_store_dword v2, off, s[0:3], 0 offset:180
	buffer_store_dword v1, off, s[0:3], 0 offset:176
	;; [unrolled: 1-line block ×4, first 2 shown]
.LBB85_255:
	s_or_b32 exec_lo, exec_lo, s4
	v_mov_b32_e32 v4, s17
	s_mov_b32 s4, exec_lo
	s_clause 0x3
	buffer_load_dword v1, v4, s[0:3], 0 offen
	buffer_load_dword v2, v4, s[0:3], 0 offen offset:4
	buffer_load_dword v3, v4, s[0:3], 0 offen offset:8
	buffer_load_dword v4, v4, s[0:3], 0 offen offset:12
	s_waitcnt vmcnt(0)
	ds_write_b128 v50, v[1:4]
	s_waitcnt lgkmcnt(0)
	s_waitcnt_vscnt null, 0x0
	s_barrier
	buffer_gl0_inv
	v_cmpx_gt_u32_e32 12, v0
	s_cbranch_execz .LBB85_263
; %bb.256:
	ds_read_b128 v[1:4], v50
	v_cmp_ne_u32_e32 vcc_lo, 1, v51
	s_cbranch_vccnz .LBB85_258
; %bb.257:
	s_clause 0x3
	buffer_load_dword v52, v49, s[0:3], 0 offen offset:8
	buffer_load_dword v53, v49, s[0:3], 0 offen offset:12
	buffer_load_dword v56, v49, s[0:3], 0 offen
	buffer_load_dword v57, v49, s[0:3], 0 offen offset:4
	s_waitcnt vmcnt(2) lgkmcnt(0)
	v_mul_f64 v[58:59], v[3:4], v[52:53]
	v_mul_f64 v[52:53], v[1:2], v[52:53]
	s_waitcnt vmcnt(0)
	v_fma_f64 v[1:2], v[1:2], v[56:57], -v[58:59]
	v_fma_f64 v[3:4], v[3:4], v[56:57], v[52:53]
.LBB85_258:
	s_mov_b32 s6, exec_lo
	v_cmpx_ne_u32_e32 11, v0
	s_cbranch_execz .LBB85_262
; %bb.259:
	v_add_nc_u32_e32 v52, 0x170, v55
	v_add3_u32 v53, 0, v55, 16
	v_mov_b32_e32 v54, v0
	s_mov_b32 s8, 0
	.p2align	6
.LBB85_260:                             ; =>This Inner Loop Header: Depth=1
	s_clause 0x3
	buffer_load_dword v60, v53, s[0:3], 0 offen offset:8
	buffer_load_dword v61, v53, s[0:3], 0 offen offset:12
	buffer_load_dword v62, v53, s[0:3], 0 offen
	buffer_load_dword v63, v53, s[0:3], 0 offen offset:4
	ds_read_b128 v[56:59], v52
	v_add_nc_u32_e32 v54, 1, v54
	v_add_nc_u32_e32 v52, 16, v52
	;; [unrolled: 1-line block ×3, first 2 shown]
	v_cmp_lt_u32_e32 vcc_lo, 10, v54
	s_or_b32 s8, vcc_lo, s8
	s_waitcnt vmcnt(2) lgkmcnt(0)
	v_mul_f64 v[64:65], v[58:59], v[60:61]
	v_mul_f64 v[60:61], v[56:57], v[60:61]
	s_waitcnt vmcnt(0)
	v_fma_f64 v[56:57], v[56:57], v[62:63], -v[64:65]
	v_fma_f64 v[58:59], v[58:59], v[62:63], v[60:61]
	v_add_f64 v[1:2], v[1:2], v[56:57]
	v_add_f64 v[3:4], v[3:4], v[58:59]
	s_andn2_b32 exec_lo, exec_lo, s8
	s_cbranch_execnz .LBB85_260
; %bb.261:
	s_or_b32 exec_lo, exec_lo, s8
.LBB85_262:
	s_or_b32 exec_lo, exec_lo, s6
	v_mov_b32_e32 v52, 0
	ds_read_b128 v[56:59], v52 offset:192
	s_waitcnt lgkmcnt(0)
	v_mul_f64 v[52:53], v[3:4], v[58:59]
	v_mul_f64 v[58:59], v[1:2], v[58:59]
	v_fma_f64 v[1:2], v[1:2], v[56:57], -v[52:53]
	v_fma_f64 v[3:4], v[3:4], v[56:57], v[58:59]
	buffer_store_dword v2, off, s[0:3], 0 offset:196
	buffer_store_dword v1, off, s[0:3], 0 offset:192
	;; [unrolled: 1-line block ×4, first 2 shown]
.LBB85_263:
	s_or_b32 exec_lo, exec_lo, s4
	v_mov_b32_e32 v4, s16
	s_mov_b32 s4, exec_lo
	s_clause 0x3
	buffer_load_dword v1, v4, s[0:3], 0 offen
	buffer_load_dword v2, v4, s[0:3], 0 offen offset:4
	buffer_load_dword v3, v4, s[0:3], 0 offen offset:8
	;; [unrolled: 1-line block ×3, first 2 shown]
	s_waitcnt vmcnt(0)
	ds_write_b128 v50, v[1:4]
	s_waitcnt lgkmcnt(0)
	s_waitcnt_vscnt null, 0x0
	s_barrier
	buffer_gl0_inv
	v_cmpx_gt_u32_e32 13, v0
	s_cbranch_execz .LBB85_271
; %bb.264:
	ds_read_b128 v[1:4], v50
	v_cmp_ne_u32_e32 vcc_lo, 1, v51
	s_cbranch_vccnz .LBB85_266
; %bb.265:
	s_clause 0x3
	buffer_load_dword v52, v49, s[0:3], 0 offen offset:8
	buffer_load_dword v53, v49, s[0:3], 0 offen offset:12
	buffer_load_dword v56, v49, s[0:3], 0 offen
	buffer_load_dword v57, v49, s[0:3], 0 offen offset:4
	s_waitcnt vmcnt(2) lgkmcnt(0)
	v_mul_f64 v[58:59], v[3:4], v[52:53]
	v_mul_f64 v[52:53], v[1:2], v[52:53]
	s_waitcnt vmcnt(0)
	v_fma_f64 v[1:2], v[1:2], v[56:57], -v[58:59]
	v_fma_f64 v[3:4], v[3:4], v[56:57], v[52:53]
.LBB85_266:
	s_mov_b32 s6, exec_lo
	v_cmpx_ne_u32_e32 12, v0
	s_cbranch_execz .LBB85_270
; %bb.267:
	v_add_nc_u32_e32 v52, 0x170, v55
	v_add3_u32 v53, 0, v55, 16
	v_mov_b32_e32 v54, v0
	s_mov_b32 s8, 0
	.p2align	6
.LBB85_268:                             ; =>This Inner Loop Header: Depth=1
	s_clause 0x3
	buffer_load_dword v60, v53, s[0:3], 0 offen offset:8
	buffer_load_dword v61, v53, s[0:3], 0 offen offset:12
	buffer_load_dword v62, v53, s[0:3], 0 offen
	buffer_load_dword v63, v53, s[0:3], 0 offen offset:4
	ds_read_b128 v[56:59], v52
	v_add_nc_u32_e32 v54, 1, v54
	v_add_nc_u32_e32 v52, 16, v52
	v_add_nc_u32_e32 v53, 16, v53
	v_cmp_lt_u32_e32 vcc_lo, 11, v54
	s_or_b32 s8, vcc_lo, s8
	s_waitcnt vmcnt(2) lgkmcnt(0)
	v_mul_f64 v[64:65], v[58:59], v[60:61]
	v_mul_f64 v[60:61], v[56:57], v[60:61]
	s_waitcnt vmcnt(0)
	v_fma_f64 v[56:57], v[56:57], v[62:63], -v[64:65]
	v_fma_f64 v[58:59], v[58:59], v[62:63], v[60:61]
	v_add_f64 v[1:2], v[1:2], v[56:57]
	v_add_f64 v[3:4], v[3:4], v[58:59]
	s_andn2_b32 exec_lo, exec_lo, s8
	s_cbranch_execnz .LBB85_268
; %bb.269:
	s_or_b32 exec_lo, exec_lo, s8
.LBB85_270:
	s_or_b32 exec_lo, exec_lo, s6
	v_mov_b32_e32 v52, 0
	ds_read_b128 v[56:59], v52 offset:208
	s_waitcnt lgkmcnt(0)
	v_mul_f64 v[52:53], v[3:4], v[58:59]
	v_mul_f64 v[58:59], v[1:2], v[58:59]
	v_fma_f64 v[1:2], v[1:2], v[56:57], -v[52:53]
	v_fma_f64 v[3:4], v[3:4], v[56:57], v[58:59]
	buffer_store_dword v2, off, s[0:3], 0 offset:212
	buffer_store_dword v1, off, s[0:3], 0 offset:208
	;; [unrolled: 1-line block ×4, first 2 shown]
.LBB85_271:
	s_or_b32 exec_lo, exec_lo, s4
	v_mov_b32_e32 v4, s15
	s_mov_b32 s4, exec_lo
	s_clause 0x3
	buffer_load_dword v1, v4, s[0:3], 0 offen
	buffer_load_dword v2, v4, s[0:3], 0 offen offset:4
	buffer_load_dword v3, v4, s[0:3], 0 offen offset:8
	;; [unrolled: 1-line block ×3, first 2 shown]
	s_waitcnt vmcnt(0)
	ds_write_b128 v50, v[1:4]
	s_waitcnt lgkmcnt(0)
	s_waitcnt_vscnt null, 0x0
	s_barrier
	buffer_gl0_inv
	v_cmpx_gt_u32_e32 14, v0
	s_cbranch_execz .LBB85_279
; %bb.272:
	ds_read_b128 v[1:4], v50
	v_cmp_ne_u32_e32 vcc_lo, 1, v51
	s_cbranch_vccnz .LBB85_274
; %bb.273:
	s_clause 0x3
	buffer_load_dword v52, v49, s[0:3], 0 offen offset:8
	buffer_load_dword v53, v49, s[0:3], 0 offen offset:12
	buffer_load_dword v56, v49, s[0:3], 0 offen
	buffer_load_dword v57, v49, s[0:3], 0 offen offset:4
	s_waitcnt vmcnt(2) lgkmcnt(0)
	v_mul_f64 v[58:59], v[3:4], v[52:53]
	v_mul_f64 v[52:53], v[1:2], v[52:53]
	s_waitcnt vmcnt(0)
	v_fma_f64 v[1:2], v[1:2], v[56:57], -v[58:59]
	v_fma_f64 v[3:4], v[3:4], v[56:57], v[52:53]
.LBB85_274:
	s_mov_b32 s6, exec_lo
	v_cmpx_ne_u32_e32 13, v0
	s_cbranch_execz .LBB85_278
; %bb.275:
	v_add_nc_u32_e32 v52, 0x170, v55
	v_add3_u32 v53, 0, v55, 16
	v_mov_b32_e32 v54, v0
	s_mov_b32 s8, 0
	.p2align	6
.LBB85_276:                             ; =>This Inner Loop Header: Depth=1
	s_clause 0x3
	buffer_load_dword v60, v53, s[0:3], 0 offen offset:8
	buffer_load_dword v61, v53, s[0:3], 0 offen offset:12
	buffer_load_dword v62, v53, s[0:3], 0 offen
	buffer_load_dword v63, v53, s[0:3], 0 offen offset:4
	ds_read_b128 v[56:59], v52
	v_add_nc_u32_e32 v54, 1, v54
	v_add_nc_u32_e32 v52, 16, v52
	;; [unrolled: 1-line block ×3, first 2 shown]
	v_cmp_lt_u32_e32 vcc_lo, 12, v54
	s_or_b32 s8, vcc_lo, s8
	s_waitcnt vmcnt(2) lgkmcnt(0)
	v_mul_f64 v[64:65], v[58:59], v[60:61]
	v_mul_f64 v[60:61], v[56:57], v[60:61]
	s_waitcnt vmcnt(0)
	v_fma_f64 v[56:57], v[56:57], v[62:63], -v[64:65]
	v_fma_f64 v[58:59], v[58:59], v[62:63], v[60:61]
	v_add_f64 v[1:2], v[1:2], v[56:57]
	v_add_f64 v[3:4], v[3:4], v[58:59]
	s_andn2_b32 exec_lo, exec_lo, s8
	s_cbranch_execnz .LBB85_276
; %bb.277:
	s_or_b32 exec_lo, exec_lo, s8
.LBB85_278:
	s_or_b32 exec_lo, exec_lo, s6
	v_mov_b32_e32 v52, 0
	ds_read_b128 v[56:59], v52 offset:224
	s_waitcnt lgkmcnt(0)
	v_mul_f64 v[52:53], v[3:4], v[58:59]
	v_mul_f64 v[58:59], v[1:2], v[58:59]
	v_fma_f64 v[1:2], v[1:2], v[56:57], -v[52:53]
	v_fma_f64 v[3:4], v[3:4], v[56:57], v[58:59]
	buffer_store_dword v2, off, s[0:3], 0 offset:228
	buffer_store_dword v1, off, s[0:3], 0 offset:224
	;; [unrolled: 1-line block ×4, first 2 shown]
.LBB85_279:
	s_or_b32 exec_lo, exec_lo, s4
	v_mov_b32_e32 v4, s14
	s_mov_b32 s4, exec_lo
	s_clause 0x3
	buffer_load_dword v1, v4, s[0:3], 0 offen
	buffer_load_dword v2, v4, s[0:3], 0 offen offset:4
	buffer_load_dword v3, v4, s[0:3], 0 offen offset:8
	;; [unrolled: 1-line block ×3, first 2 shown]
	s_waitcnt vmcnt(0)
	ds_write_b128 v50, v[1:4]
	s_waitcnt lgkmcnt(0)
	s_waitcnt_vscnt null, 0x0
	s_barrier
	buffer_gl0_inv
	v_cmpx_gt_u32_e32 15, v0
	s_cbranch_execz .LBB85_287
; %bb.280:
	ds_read_b128 v[1:4], v50
	v_cmp_ne_u32_e32 vcc_lo, 1, v51
	s_cbranch_vccnz .LBB85_282
; %bb.281:
	s_clause 0x3
	buffer_load_dword v52, v49, s[0:3], 0 offen offset:8
	buffer_load_dword v53, v49, s[0:3], 0 offen offset:12
	buffer_load_dword v56, v49, s[0:3], 0 offen
	buffer_load_dword v57, v49, s[0:3], 0 offen offset:4
	s_waitcnt vmcnt(2) lgkmcnt(0)
	v_mul_f64 v[58:59], v[3:4], v[52:53]
	v_mul_f64 v[52:53], v[1:2], v[52:53]
	s_waitcnt vmcnt(0)
	v_fma_f64 v[1:2], v[1:2], v[56:57], -v[58:59]
	v_fma_f64 v[3:4], v[3:4], v[56:57], v[52:53]
.LBB85_282:
	s_mov_b32 s6, exec_lo
	v_cmpx_ne_u32_e32 14, v0
	s_cbranch_execz .LBB85_286
; %bb.283:
	v_add_nc_u32_e32 v52, 0x170, v55
	v_add3_u32 v53, 0, v55, 16
	v_mov_b32_e32 v54, v0
	s_mov_b32 s8, 0
	.p2align	6
.LBB85_284:                             ; =>This Inner Loop Header: Depth=1
	s_clause 0x3
	buffer_load_dword v60, v53, s[0:3], 0 offen offset:8
	buffer_load_dword v61, v53, s[0:3], 0 offen offset:12
	buffer_load_dword v62, v53, s[0:3], 0 offen
	buffer_load_dword v63, v53, s[0:3], 0 offen offset:4
	ds_read_b128 v[56:59], v52
	v_add_nc_u32_e32 v54, 1, v54
	v_add_nc_u32_e32 v52, 16, v52
	;; [unrolled: 1-line block ×3, first 2 shown]
	v_cmp_lt_u32_e32 vcc_lo, 13, v54
	s_or_b32 s8, vcc_lo, s8
	s_waitcnt vmcnt(2) lgkmcnt(0)
	v_mul_f64 v[64:65], v[58:59], v[60:61]
	v_mul_f64 v[60:61], v[56:57], v[60:61]
	s_waitcnt vmcnt(0)
	v_fma_f64 v[56:57], v[56:57], v[62:63], -v[64:65]
	v_fma_f64 v[58:59], v[58:59], v[62:63], v[60:61]
	v_add_f64 v[1:2], v[1:2], v[56:57]
	v_add_f64 v[3:4], v[3:4], v[58:59]
	s_andn2_b32 exec_lo, exec_lo, s8
	s_cbranch_execnz .LBB85_284
; %bb.285:
	s_or_b32 exec_lo, exec_lo, s8
.LBB85_286:
	s_or_b32 exec_lo, exec_lo, s6
	v_mov_b32_e32 v52, 0
	ds_read_b128 v[56:59], v52 offset:240
	s_waitcnt lgkmcnt(0)
	v_mul_f64 v[52:53], v[3:4], v[58:59]
	v_mul_f64 v[58:59], v[1:2], v[58:59]
	v_fma_f64 v[1:2], v[1:2], v[56:57], -v[52:53]
	v_fma_f64 v[3:4], v[3:4], v[56:57], v[58:59]
	buffer_store_dword v2, off, s[0:3], 0 offset:244
	buffer_store_dword v1, off, s[0:3], 0 offset:240
	;; [unrolled: 1-line block ×4, first 2 shown]
.LBB85_287:
	s_or_b32 exec_lo, exec_lo, s4
	v_mov_b32_e32 v4, s13
	s_mov_b32 s4, exec_lo
	s_clause 0x3
	buffer_load_dword v1, v4, s[0:3], 0 offen
	buffer_load_dword v2, v4, s[0:3], 0 offen offset:4
	buffer_load_dword v3, v4, s[0:3], 0 offen offset:8
	;; [unrolled: 1-line block ×3, first 2 shown]
	s_waitcnt vmcnt(0)
	ds_write_b128 v50, v[1:4]
	s_waitcnt lgkmcnt(0)
	s_waitcnt_vscnt null, 0x0
	s_barrier
	buffer_gl0_inv
	v_cmpx_gt_u32_e32 16, v0
	s_cbranch_execz .LBB85_295
; %bb.288:
	ds_read_b128 v[1:4], v50
	v_cmp_ne_u32_e32 vcc_lo, 1, v51
	s_cbranch_vccnz .LBB85_290
; %bb.289:
	s_clause 0x3
	buffer_load_dword v52, v49, s[0:3], 0 offen offset:8
	buffer_load_dword v53, v49, s[0:3], 0 offen offset:12
	buffer_load_dword v56, v49, s[0:3], 0 offen
	buffer_load_dword v57, v49, s[0:3], 0 offen offset:4
	s_waitcnt vmcnt(2) lgkmcnt(0)
	v_mul_f64 v[58:59], v[3:4], v[52:53]
	v_mul_f64 v[52:53], v[1:2], v[52:53]
	s_waitcnt vmcnt(0)
	v_fma_f64 v[1:2], v[1:2], v[56:57], -v[58:59]
	v_fma_f64 v[3:4], v[3:4], v[56:57], v[52:53]
.LBB85_290:
	s_mov_b32 s6, exec_lo
	v_cmpx_ne_u32_e32 15, v0
	s_cbranch_execz .LBB85_294
; %bb.291:
	v_add_nc_u32_e32 v52, 0x170, v55
	v_add3_u32 v53, 0, v55, 16
	v_mov_b32_e32 v54, v0
	s_mov_b32 s8, 0
	.p2align	6
.LBB85_292:                             ; =>This Inner Loop Header: Depth=1
	s_clause 0x3
	buffer_load_dword v60, v53, s[0:3], 0 offen offset:8
	buffer_load_dword v61, v53, s[0:3], 0 offen offset:12
	buffer_load_dword v62, v53, s[0:3], 0 offen
	buffer_load_dword v63, v53, s[0:3], 0 offen offset:4
	ds_read_b128 v[56:59], v52
	v_add_nc_u32_e32 v54, 1, v54
	v_add_nc_u32_e32 v52, 16, v52
	;; [unrolled: 1-line block ×3, first 2 shown]
	v_cmp_lt_u32_e32 vcc_lo, 14, v54
	s_or_b32 s8, vcc_lo, s8
	s_waitcnt vmcnt(2) lgkmcnt(0)
	v_mul_f64 v[64:65], v[58:59], v[60:61]
	v_mul_f64 v[60:61], v[56:57], v[60:61]
	s_waitcnt vmcnt(0)
	v_fma_f64 v[56:57], v[56:57], v[62:63], -v[64:65]
	v_fma_f64 v[58:59], v[58:59], v[62:63], v[60:61]
	v_add_f64 v[1:2], v[1:2], v[56:57]
	v_add_f64 v[3:4], v[3:4], v[58:59]
	s_andn2_b32 exec_lo, exec_lo, s8
	s_cbranch_execnz .LBB85_292
; %bb.293:
	s_or_b32 exec_lo, exec_lo, s8
.LBB85_294:
	s_or_b32 exec_lo, exec_lo, s6
	v_mov_b32_e32 v52, 0
	ds_read_b128 v[56:59], v52 offset:256
	s_waitcnt lgkmcnt(0)
	v_mul_f64 v[52:53], v[3:4], v[58:59]
	v_mul_f64 v[58:59], v[1:2], v[58:59]
	v_fma_f64 v[1:2], v[1:2], v[56:57], -v[52:53]
	v_fma_f64 v[3:4], v[3:4], v[56:57], v[58:59]
	buffer_store_dword v2, off, s[0:3], 0 offset:260
	buffer_store_dword v1, off, s[0:3], 0 offset:256
	;; [unrolled: 1-line block ×4, first 2 shown]
.LBB85_295:
	s_or_b32 exec_lo, exec_lo, s4
	v_mov_b32_e32 v4, s12
	s_mov_b32 s4, exec_lo
	s_clause 0x3
	buffer_load_dword v1, v4, s[0:3], 0 offen
	buffer_load_dword v2, v4, s[0:3], 0 offen offset:4
	buffer_load_dword v3, v4, s[0:3], 0 offen offset:8
	;; [unrolled: 1-line block ×3, first 2 shown]
	s_waitcnt vmcnt(0)
	ds_write_b128 v50, v[1:4]
	s_waitcnt lgkmcnt(0)
	s_waitcnt_vscnt null, 0x0
	s_barrier
	buffer_gl0_inv
	v_cmpx_gt_u32_e32 17, v0
	s_cbranch_execz .LBB85_303
; %bb.296:
	ds_read_b128 v[1:4], v50
	v_cmp_ne_u32_e32 vcc_lo, 1, v51
	s_cbranch_vccnz .LBB85_298
; %bb.297:
	s_clause 0x3
	buffer_load_dword v52, v49, s[0:3], 0 offen offset:8
	buffer_load_dword v53, v49, s[0:3], 0 offen offset:12
	buffer_load_dword v56, v49, s[0:3], 0 offen
	buffer_load_dword v57, v49, s[0:3], 0 offen offset:4
	s_waitcnt vmcnt(2) lgkmcnt(0)
	v_mul_f64 v[58:59], v[3:4], v[52:53]
	v_mul_f64 v[52:53], v[1:2], v[52:53]
	s_waitcnt vmcnt(0)
	v_fma_f64 v[1:2], v[1:2], v[56:57], -v[58:59]
	v_fma_f64 v[3:4], v[3:4], v[56:57], v[52:53]
.LBB85_298:
	s_mov_b32 s6, exec_lo
	v_cmpx_ne_u32_e32 16, v0
	s_cbranch_execz .LBB85_302
; %bb.299:
	v_add_nc_u32_e32 v52, 0x170, v55
	v_add3_u32 v53, 0, v55, 16
	v_mov_b32_e32 v54, v0
	s_mov_b32 s8, 0
	.p2align	6
.LBB85_300:                             ; =>This Inner Loop Header: Depth=1
	s_clause 0x3
	buffer_load_dword v60, v53, s[0:3], 0 offen offset:8
	buffer_load_dword v61, v53, s[0:3], 0 offen offset:12
	buffer_load_dword v62, v53, s[0:3], 0 offen
	buffer_load_dword v63, v53, s[0:3], 0 offen offset:4
	ds_read_b128 v[56:59], v52
	v_add_nc_u32_e32 v54, 1, v54
	v_add_nc_u32_e32 v52, 16, v52
	;; [unrolled: 1-line block ×3, first 2 shown]
	v_cmp_lt_u32_e32 vcc_lo, 15, v54
	s_or_b32 s8, vcc_lo, s8
	s_waitcnt vmcnt(2) lgkmcnt(0)
	v_mul_f64 v[64:65], v[58:59], v[60:61]
	v_mul_f64 v[60:61], v[56:57], v[60:61]
	s_waitcnt vmcnt(0)
	v_fma_f64 v[56:57], v[56:57], v[62:63], -v[64:65]
	v_fma_f64 v[58:59], v[58:59], v[62:63], v[60:61]
	v_add_f64 v[1:2], v[1:2], v[56:57]
	v_add_f64 v[3:4], v[3:4], v[58:59]
	s_andn2_b32 exec_lo, exec_lo, s8
	s_cbranch_execnz .LBB85_300
; %bb.301:
	s_or_b32 exec_lo, exec_lo, s8
.LBB85_302:
	s_or_b32 exec_lo, exec_lo, s6
	v_mov_b32_e32 v52, 0
	ds_read_b128 v[56:59], v52 offset:272
	s_waitcnt lgkmcnt(0)
	v_mul_f64 v[52:53], v[3:4], v[58:59]
	v_mul_f64 v[58:59], v[1:2], v[58:59]
	v_fma_f64 v[1:2], v[1:2], v[56:57], -v[52:53]
	v_fma_f64 v[3:4], v[3:4], v[56:57], v[58:59]
	buffer_store_dword v2, off, s[0:3], 0 offset:276
	buffer_store_dword v1, off, s[0:3], 0 offset:272
	;; [unrolled: 1-line block ×4, first 2 shown]
.LBB85_303:
	s_or_b32 exec_lo, exec_lo, s4
	v_mov_b32_e32 v4, s11
	s_mov_b32 s4, exec_lo
	s_clause 0x3
	buffer_load_dword v1, v4, s[0:3], 0 offen
	buffer_load_dword v2, v4, s[0:3], 0 offen offset:4
	buffer_load_dword v3, v4, s[0:3], 0 offen offset:8
	;; [unrolled: 1-line block ×3, first 2 shown]
	s_waitcnt vmcnt(0)
	ds_write_b128 v50, v[1:4]
	s_waitcnt lgkmcnt(0)
	s_waitcnt_vscnt null, 0x0
	s_barrier
	buffer_gl0_inv
	v_cmpx_gt_u32_e32 18, v0
	s_cbranch_execz .LBB85_311
; %bb.304:
	ds_read_b128 v[1:4], v50
	v_cmp_ne_u32_e32 vcc_lo, 1, v51
	s_cbranch_vccnz .LBB85_306
; %bb.305:
	s_clause 0x3
	buffer_load_dword v52, v49, s[0:3], 0 offen offset:8
	buffer_load_dword v53, v49, s[0:3], 0 offen offset:12
	buffer_load_dword v56, v49, s[0:3], 0 offen
	buffer_load_dword v57, v49, s[0:3], 0 offen offset:4
	s_waitcnt vmcnt(2) lgkmcnt(0)
	v_mul_f64 v[58:59], v[3:4], v[52:53]
	v_mul_f64 v[52:53], v[1:2], v[52:53]
	s_waitcnt vmcnt(0)
	v_fma_f64 v[1:2], v[1:2], v[56:57], -v[58:59]
	v_fma_f64 v[3:4], v[3:4], v[56:57], v[52:53]
.LBB85_306:
	s_mov_b32 s6, exec_lo
	v_cmpx_ne_u32_e32 17, v0
	s_cbranch_execz .LBB85_310
; %bb.307:
	v_add_nc_u32_e32 v52, 0x170, v55
	v_add3_u32 v53, 0, v55, 16
	v_mov_b32_e32 v54, v0
	s_mov_b32 s8, 0
	.p2align	6
.LBB85_308:                             ; =>This Inner Loop Header: Depth=1
	s_clause 0x3
	buffer_load_dword v60, v53, s[0:3], 0 offen offset:8
	buffer_load_dword v61, v53, s[0:3], 0 offen offset:12
	buffer_load_dword v62, v53, s[0:3], 0 offen
	buffer_load_dword v63, v53, s[0:3], 0 offen offset:4
	ds_read_b128 v[56:59], v52
	v_add_nc_u32_e32 v54, 1, v54
	v_add_nc_u32_e32 v52, 16, v52
	;; [unrolled: 1-line block ×3, first 2 shown]
	v_cmp_lt_u32_e32 vcc_lo, 16, v54
	s_or_b32 s8, vcc_lo, s8
	s_waitcnt vmcnt(2) lgkmcnt(0)
	v_mul_f64 v[64:65], v[58:59], v[60:61]
	v_mul_f64 v[60:61], v[56:57], v[60:61]
	s_waitcnt vmcnt(0)
	v_fma_f64 v[56:57], v[56:57], v[62:63], -v[64:65]
	v_fma_f64 v[58:59], v[58:59], v[62:63], v[60:61]
	v_add_f64 v[1:2], v[1:2], v[56:57]
	v_add_f64 v[3:4], v[3:4], v[58:59]
	s_andn2_b32 exec_lo, exec_lo, s8
	s_cbranch_execnz .LBB85_308
; %bb.309:
	s_or_b32 exec_lo, exec_lo, s8
.LBB85_310:
	s_or_b32 exec_lo, exec_lo, s6
	v_mov_b32_e32 v52, 0
	ds_read_b128 v[56:59], v52 offset:288
	s_waitcnt lgkmcnt(0)
	v_mul_f64 v[52:53], v[3:4], v[58:59]
	v_mul_f64 v[58:59], v[1:2], v[58:59]
	v_fma_f64 v[1:2], v[1:2], v[56:57], -v[52:53]
	v_fma_f64 v[3:4], v[3:4], v[56:57], v[58:59]
	buffer_store_dword v2, off, s[0:3], 0 offset:292
	buffer_store_dword v1, off, s[0:3], 0 offset:288
	;; [unrolled: 1-line block ×4, first 2 shown]
.LBB85_311:
	s_or_b32 exec_lo, exec_lo, s4
	v_mov_b32_e32 v4, s10
	s_mov_b32 s4, exec_lo
	s_clause 0x3
	buffer_load_dword v1, v4, s[0:3], 0 offen
	buffer_load_dword v2, v4, s[0:3], 0 offen offset:4
	buffer_load_dword v3, v4, s[0:3], 0 offen offset:8
	;; [unrolled: 1-line block ×3, first 2 shown]
	s_waitcnt vmcnt(0)
	ds_write_b128 v50, v[1:4]
	s_waitcnt lgkmcnt(0)
	s_waitcnt_vscnt null, 0x0
	s_barrier
	buffer_gl0_inv
	v_cmpx_gt_u32_e32 19, v0
	s_cbranch_execz .LBB85_319
; %bb.312:
	ds_read_b128 v[1:4], v50
	v_cmp_ne_u32_e32 vcc_lo, 1, v51
	s_cbranch_vccnz .LBB85_314
; %bb.313:
	s_clause 0x3
	buffer_load_dword v52, v49, s[0:3], 0 offen offset:8
	buffer_load_dword v53, v49, s[0:3], 0 offen offset:12
	buffer_load_dword v56, v49, s[0:3], 0 offen
	buffer_load_dword v57, v49, s[0:3], 0 offen offset:4
	s_waitcnt vmcnt(2) lgkmcnt(0)
	v_mul_f64 v[58:59], v[3:4], v[52:53]
	v_mul_f64 v[52:53], v[1:2], v[52:53]
	s_waitcnt vmcnt(0)
	v_fma_f64 v[1:2], v[1:2], v[56:57], -v[58:59]
	v_fma_f64 v[3:4], v[3:4], v[56:57], v[52:53]
.LBB85_314:
	s_mov_b32 s6, exec_lo
	v_cmpx_ne_u32_e32 18, v0
	s_cbranch_execz .LBB85_318
; %bb.315:
	v_add_nc_u32_e32 v52, 0x170, v55
	v_add3_u32 v53, 0, v55, 16
	v_mov_b32_e32 v54, v0
	s_mov_b32 s8, 0
	.p2align	6
.LBB85_316:                             ; =>This Inner Loop Header: Depth=1
	s_clause 0x3
	buffer_load_dword v60, v53, s[0:3], 0 offen offset:8
	buffer_load_dword v61, v53, s[0:3], 0 offen offset:12
	buffer_load_dword v62, v53, s[0:3], 0 offen
	buffer_load_dword v63, v53, s[0:3], 0 offen offset:4
	ds_read_b128 v[56:59], v52
	v_add_nc_u32_e32 v54, 1, v54
	v_add_nc_u32_e32 v52, 16, v52
	;; [unrolled: 1-line block ×3, first 2 shown]
	v_cmp_lt_u32_e32 vcc_lo, 17, v54
	s_or_b32 s8, vcc_lo, s8
	s_waitcnt vmcnt(2) lgkmcnt(0)
	v_mul_f64 v[64:65], v[58:59], v[60:61]
	v_mul_f64 v[60:61], v[56:57], v[60:61]
	s_waitcnt vmcnt(0)
	v_fma_f64 v[56:57], v[56:57], v[62:63], -v[64:65]
	v_fma_f64 v[58:59], v[58:59], v[62:63], v[60:61]
	v_add_f64 v[1:2], v[1:2], v[56:57]
	v_add_f64 v[3:4], v[3:4], v[58:59]
	s_andn2_b32 exec_lo, exec_lo, s8
	s_cbranch_execnz .LBB85_316
; %bb.317:
	s_or_b32 exec_lo, exec_lo, s8
.LBB85_318:
	s_or_b32 exec_lo, exec_lo, s6
	v_mov_b32_e32 v52, 0
	ds_read_b128 v[56:59], v52 offset:304
	s_waitcnt lgkmcnt(0)
	v_mul_f64 v[52:53], v[3:4], v[58:59]
	v_mul_f64 v[58:59], v[1:2], v[58:59]
	v_fma_f64 v[1:2], v[1:2], v[56:57], -v[52:53]
	v_fma_f64 v[3:4], v[3:4], v[56:57], v[58:59]
	buffer_store_dword v2, off, s[0:3], 0 offset:308
	buffer_store_dword v1, off, s[0:3], 0 offset:304
	;; [unrolled: 1-line block ×4, first 2 shown]
.LBB85_319:
	s_or_b32 exec_lo, exec_lo, s4
	v_mov_b32_e32 v4, s9
	v_cmp_gt_u32_e64 s4, 20, v0
	s_clause 0x3
	buffer_load_dword v1, v4, s[0:3], 0 offen
	buffer_load_dword v2, v4, s[0:3], 0 offen offset:4
	buffer_load_dword v3, v4, s[0:3], 0 offen offset:8
	;; [unrolled: 1-line block ×3, first 2 shown]
	s_waitcnt vmcnt(0)
	ds_write_b128 v50, v[1:4]
	s_waitcnt lgkmcnt(0)
	s_waitcnt_vscnt null, 0x0
	s_barrier
	buffer_gl0_inv
	s_and_saveexec_b32 s6, s4
	s_cbranch_execz .LBB85_327
; %bb.320:
	ds_read_b128 v[1:4], v50
	v_cmp_ne_u32_e32 vcc_lo, 1, v51
	s_cbranch_vccnz .LBB85_322
; %bb.321:
	s_clause 0x3
	buffer_load_dword v52, v49, s[0:3], 0 offen offset:8
	buffer_load_dword v53, v49, s[0:3], 0 offen offset:12
	buffer_load_dword v56, v49, s[0:3], 0 offen
	buffer_load_dword v57, v49, s[0:3], 0 offen offset:4
	s_waitcnt vmcnt(2) lgkmcnt(0)
	v_mul_f64 v[58:59], v[3:4], v[52:53]
	v_mul_f64 v[52:53], v[1:2], v[52:53]
	s_waitcnt vmcnt(0)
	v_fma_f64 v[1:2], v[1:2], v[56:57], -v[58:59]
	v_fma_f64 v[3:4], v[3:4], v[56:57], v[52:53]
.LBB85_322:
	s_mov_b32 s8, exec_lo
	v_cmpx_ne_u32_e32 19, v0
	s_cbranch_execz .LBB85_326
; %bb.323:
	v_add_nc_u32_e32 v52, 0x170, v55
	v_add3_u32 v53, 0, v55, 16
	v_mov_b32_e32 v54, v0
	s_mov_b32 s29, 0
	.p2align	6
.LBB85_324:                             ; =>This Inner Loop Header: Depth=1
	s_clause 0x3
	buffer_load_dword v60, v53, s[0:3], 0 offen offset:8
	buffer_load_dword v61, v53, s[0:3], 0 offen offset:12
	buffer_load_dword v62, v53, s[0:3], 0 offen
	buffer_load_dword v63, v53, s[0:3], 0 offen offset:4
	ds_read_b128 v[56:59], v52
	v_add_nc_u32_e32 v54, 1, v54
	v_add_nc_u32_e32 v52, 16, v52
	;; [unrolled: 1-line block ×3, first 2 shown]
	v_cmp_lt_u32_e32 vcc_lo, 18, v54
	s_or_b32 s29, vcc_lo, s29
	s_waitcnt vmcnt(2) lgkmcnt(0)
	v_mul_f64 v[64:65], v[58:59], v[60:61]
	v_mul_f64 v[60:61], v[56:57], v[60:61]
	s_waitcnt vmcnt(0)
	v_fma_f64 v[56:57], v[56:57], v[62:63], -v[64:65]
	v_fma_f64 v[58:59], v[58:59], v[62:63], v[60:61]
	v_add_f64 v[1:2], v[1:2], v[56:57]
	v_add_f64 v[3:4], v[3:4], v[58:59]
	s_andn2_b32 exec_lo, exec_lo, s29
	s_cbranch_execnz .LBB85_324
; %bb.325:
	s_or_b32 exec_lo, exec_lo, s29
.LBB85_326:
	s_or_b32 exec_lo, exec_lo, s8
	v_mov_b32_e32 v52, 0
	ds_read_b128 v[56:59], v52 offset:320
	s_waitcnt lgkmcnt(0)
	v_mul_f64 v[52:53], v[3:4], v[58:59]
	v_mul_f64 v[58:59], v[1:2], v[58:59]
	v_fma_f64 v[1:2], v[1:2], v[56:57], -v[52:53]
	v_fma_f64 v[3:4], v[3:4], v[56:57], v[58:59]
	buffer_store_dword v2, off, s[0:3], 0 offset:324
	buffer_store_dword v1, off, s[0:3], 0 offset:320
	;; [unrolled: 1-line block ×4, first 2 shown]
.LBB85_327:
	s_or_b32 exec_lo, exec_lo, s6
	v_mov_b32_e32 v4, s7
	s_mov_b32 s6, exec_lo
                                        ; implicit-def: $sgpr30
	s_clause 0x3
	buffer_load_dword v1, v4, s[0:3], 0 offen
	buffer_load_dword v2, v4, s[0:3], 0 offen offset:4
	buffer_load_dword v3, v4, s[0:3], 0 offen offset:8
	;; [unrolled: 1-line block ×3, first 2 shown]
	s_waitcnt vmcnt(0)
	ds_write_b128 v50, v[1:4]
	s_waitcnt lgkmcnt(0)
	s_waitcnt_vscnt null, 0x0
	s_barrier
	buffer_gl0_inv
                                        ; implicit-def: $vgpr1_vgpr2
	v_cmpx_ne_u32_e32 21, v0
	s_cbranch_execz .LBB85_335
; %bb.328:
	ds_read_b128 v[1:4], v50
	v_cmp_ne_u32_e32 vcc_lo, 1, v51
	s_cbranch_vccnz .LBB85_330
; %bb.329:
	s_clause 0x3
	buffer_load_dword v50, v49, s[0:3], 0 offen offset:8
	buffer_load_dword v51, v49, s[0:3], 0 offen offset:12
	buffer_load_dword v52, v49, s[0:3], 0 offen
	buffer_load_dword v53, v49, s[0:3], 0 offen offset:4
	s_waitcnt vmcnt(2) lgkmcnt(0)
	v_mul_f64 v[56:57], v[3:4], v[50:51]
	v_mul_f64 v[49:50], v[1:2], v[50:51]
	s_waitcnt vmcnt(0)
	v_fma_f64 v[1:2], v[1:2], v[52:53], -v[56:57]
	v_fma_f64 v[3:4], v[3:4], v[52:53], v[49:50]
.LBB85_330:
	s_and_saveexec_b32 s8, s4
	s_cbranch_execz .LBB85_334
; %bb.331:
	v_add_nc_u32_e32 v49, 0x170, v55
	v_add3_u32 v50, 0, v55, 16
	s_mov_b32 s4, 0
	.p2align	6
.LBB85_332:                             ; =>This Inner Loop Header: Depth=1
	s_clause 0x3
	buffer_load_dword v55, v50, s[0:3], 0 offen offset:8
	buffer_load_dword v56, v50, s[0:3], 0 offen offset:12
	buffer_load_dword v57, v50, s[0:3], 0 offen
	buffer_load_dword v58, v50, s[0:3], 0 offen offset:4
	ds_read_b128 v[51:54], v49
	v_add_nc_u32_e32 v0, 1, v0
	v_add_nc_u32_e32 v49, 16, v49
	;; [unrolled: 1-line block ×3, first 2 shown]
	v_cmp_lt_u32_e32 vcc_lo, 19, v0
	s_or_b32 s4, vcc_lo, s4
	s_waitcnt vmcnt(2) lgkmcnt(0)
	v_mul_f64 v[59:60], v[53:54], v[55:56]
	v_mul_f64 v[55:56], v[51:52], v[55:56]
	s_waitcnt vmcnt(0)
	v_fma_f64 v[51:52], v[51:52], v[57:58], -v[59:60]
	v_fma_f64 v[53:54], v[53:54], v[57:58], v[55:56]
	v_add_f64 v[1:2], v[1:2], v[51:52]
	v_add_f64 v[3:4], v[3:4], v[53:54]
	s_andn2_b32 exec_lo, exec_lo, s4
	s_cbranch_execnz .LBB85_332
; %bb.333:
	s_or_b32 exec_lo, exec_lo, s4
.LBB85_334:
	s_or_b32 exec_lo, exec_lo, s8
	v_mov_b32_e32 v0, 0
	s_movk_i32 s30, 0x158
	s_or_b32 s5, s5, exec_lo
	ds_read_b128 v[49:52], v0 offset:336
	s_waitcnt lgkmcnt(0)
	v_mul_f64 v[53:54], v[3:4], v[51:52]
	v_mul_f64 v[51:52], v[1:2], v[51:52]
	v_fma_f64 v[53:54], v[1:2], v[49:50], -v[53:54]
	v_fma_f64 v[1:2], v[3:4], v[49:50], v[51:52]
	buffer_store_dword v54, off, s[0:3], 0 offset:340
	buffer_store_dword v53, off, s[0:3], 0 offset:336
.LBB85_335:
	s_or_b32 exec_lo, exec_lo, s6
.LBB85_336:
	s_and_saveexec_b32 s4, s5
	s_cbranch_execz .LBB85_338
; %bb.337:
	v_mov_b32_e32 v0, s30
	buffer_store_dword v2, v0, s[0:3], 0 offen offset:4
	buffer_store_dword v1, v0, s[0:3], 0 offen
.LBB85_338:
	s_or_b32 exec_lo, exec_lo, s4
	s_clause 0x3
	buffer_load_dword v0, off, s[0:3], 0
	buffer_load_dword v1, off, s[0:3], 0 offset:4
	buffer_load_dword v2, off, s[0:3], 0 offset:8
	;; [unrolled: 1-line block ×3, first 2 shown]
	v_mov_b32_e32 v4, s28
	s_waitcnt vmcnt(0)
	flat_store_dwordx4 v[5:6], v[0:3]
	s_clause 0x3
	buffer_load_dword v0, v4, s[0:3], 0 offen
	buffer_load_dword v1, v4, s[0:3], 0 offen offset:4
	buffer_load_dword v2, v4, s[0:3], 0 offen offset:8
	buffer_load_dword v3, v4, s[0:3], 0 offen offset:12
	v_mov_b32_e32 v4, s27
	s_waitcnt vmcnt(0)
	flat_store_dwordx4 v[7:8], v[0:3]
	s_clause 0x3
	buffer_load_dword v0, v4, s[0:3], 0 offen
	buffer_load_dword v1, v4, s[0:3], 0 offen offset:4
	buffer_load_dword v2, v4, s[0:3], 0 offen offset:8
	buffer_load_dword v3, v4, s[0:3], 0 offen offset:12
	;; [unrolled: 8-line block ×21, first 2 shown]
	s_waitcnt vmcnt(0)
	flat_store_dwordx4 v[47:48], v[0:3]
.LBB85_339:
	s_endpgm
	.section	.rodata,"a",@progbits
	.p2align	6, 0x0
	.amdhsa_kernel _ZN9rocsolver6v33100L18trti2_kernel_smallILi22E19rocblas_complex_numIdEPKPS3_EEv13rocblas_fill_17rocblas_diagonal_T1_iil
		.amdhsa_group_segment_fixed_size 704
		.amdhsa_private_segment_fixed_size 368
		.amdhsa_kernarg_size 32
		.amdhsa_user_sgpr_count 6
		.amdhsa_user_sgpr_private_segment_buffer 1
		.amdhsa_user_sgpr_dispatch_ptr 0
		.amdhsa_user_sgpr_queue_ptr 0
		.amdhsa_user_sgpr_kernarg_segment_ptr 1
		.amdhsa_user_sgpr_dispatch_id 0
		.amdhsa_user_sgpr_flat_scratch_init 0
		.amdhsa_user_sgpr_private_segment_size 0
		.amdhsa_wavefront_size32 1
		.amdhsa_uses_dynamic_stack 0
		.amdhsa_system_sgpr_private_segment_wavefront_offset 1
		.amdhsa_system_sgpr_workgroup_id_x 1
		.amdhsa_system_sgpr_workgroup_id_y 0
		.amdhsa_system_sgpr_workgroup_id_z 0
		.amdhsa_system_sgpr_workgroup_info 0
		.amdhsa_system_vgpr_workitem_id 0
		.amdhsa_next_free_vgpr 66
		.amdhsa_next_free_sgpr 38
		.amdhsa_reserve_vcc 1
		.amdhsa_reserve_flat_scratch 0
		.amdhsa_float_round_mode_32 0
		.amdhsa_float_round_mode_16_64 0
		.amdhsa_float_denorm_mode_32 3
		.amdhsa_float_denorm_mode_16_64 3
		.amdhsa_dx10_clamp 1
		.amdhsa_ieee_mode 1
		.amdhsa_fp16_overflow 0
		.amdhsa_workgroup_processor_mode 1
		.amdhsa_memory_ordered 1
		.amdhsa_forward_progress 1
		.amdhsa_shared_vgpr_count 0
		.amdhsa_exception_fp_ieee_invalid_op 0
		.amdhsa_exception_fp_denorm_src 0
		.amdhsa_exception_fp_ieee_div_zero 0
		.amdhsa_exception_fp_ieee_overflow 0
		.amdhsa_exception_fp_ieee_underflow 0
		.amdhsa_exception_fp_ieee_inexact 0
		.amdhsa_exception_int_div_zero 0
	.end_amdhsa_kernel
	.section	.text._ZN9rocsolver6v33100L18trti2_kernel_smallILi22E19rocblas_complex_numIdEPKPS3_EEv13rocblas_fill_17rocblas_diagonal_T1_iil,"axG",@progbits,_ZN9rocsolver6v33100L18trti2_kernel_smallILi22E19rocblas_complex_numIdEPKPS3_EEv13rocblas_fill_17rocblas_diagonal_T1_iil,comdat
.Lfunc_end85:
	.size	_ZN9rocsolver6v33100L18trti2_kernel_smallILi22E19rocblas_complex_numIdEPKPS3_EEv13rocblas_fill_17rocblas_diagonal_T1_iil, .Lfunc_end85-_ZN9rocsolver6v33100L18trti2_kernel_smallILi22E19rocblas_complex_numIdEPKPS3_EEv13rocblas_fill_17rocblas_diagonal_T1_iil
                                        ; -- End function
	.set _ZN9rocsolver6v33100L18trti2_kernel_smallILi22E19rocblas_complex_numIdEPKPS3_EEv13rocblas_fill_17rocblas_diagonal_T1_iil.num_vgpr, 66
	.set _ZN9rocsolver6v33100L18trti2_kernel_smallILi22E19rocblas_complex_numIdEPKPS3_EEv13rocblas_fill_17rocblas_diagonal_T1_iil.num_agpr, 0
	.set _ZN9rocsolver6v33100L18trti2_kernel_smallILi22E19rocblas_complex_numIdEPKPS3_EEv13rocblas_fill_17rocblas_diagonal_T1_iil.numbered_sgpr, 38
	.set _ZN9rocsolver6v33100L18trti2_kernel_smallILi22E19rocblas_complex_numIdEPKPS3_EEv13rocblas_fill_17rocblas_diagonal_T1_iil.num_named_barrier, 0
	.set _ZN9rocsolver6v33100L18trti2_kernel_smallILi22E19rocblas_complex_numIdEPKPS3_EEv13rocblas_fill_17rocblas_diagonal_T1_iil.private_seg_size, 368
	.set _ZN9rocsolver6v33100L18trti2_kernel_smallILi22E19rocblas_complex_numIdEPKPS3_EEv13rocblas_fill_17rocblas_diagonal_T1_iil.uses_vcc, 1
	.set _ZN9rocsolver6v33100L18trti2_kernel_smallILi22E19rocblas_complex_numIdEPKPS3_EEv13rocblas_fill_17rocblas_diagonal_T1_iil.uses_flat_scratch, 0
	.set _ZN9rocsolver6v33100L18trti2_kernel_smallILi22E19rocblas_complex_numIdEPKPS3_EEv13rocblas_fill_17rocblas_diagonal_T1_iil.has_dyn_sized_stack, 0
	.set _ZN9rocsolver6v33100L18trti2_kernel_smallILi22E19rocblas_complex_numIdEPKPS3_EEv13rocblas_fill_17rocblas_diagonal_T1_iil.has_recursion, 0
	.set _ZN9rocsolver6v33100L18trti2_kernel_smallILi22E19rocblas_complex_numIdEPKPS3_EEv13rocblas_fill_17rocblas_diagonal_T1_iil.has_indirect_call, 0
	.section	.AMDGPU.csdata,"",@progbits
; Kernel info:
; codeLenInByte = 22060
; TotalNumSgprs: 40
; NumVgprs: 66
; ScratchSize: 368
; MemoryBound: 0
; FloatMode: 240
; IeeeMode: 1
; LDSByteSize: 704 bytes/workgroup (compile time only)
; SGPRBlocks: 0
; VGPRBlocks: 8
; NumSGPRsForWavesPerEU: 40
; NumVGPRsForWavesPerEU: 66
; Occupancy: 12
; WaveLimiterHint : 1
; COMPUTE_PGM_RSRC2:SCRATCH_EN: 1
; COMPUTE_PGM_RSRC2:USER_SGPR: 6
; COMPUTE_PGM_RSRC2:TRAP_HANDLER: 0
; COMPUTE_PGM_RSRC2:TGID_X_EN: 1
; COMPUTE_PGM_RSRC2:TGID_Y_EN: 0
; COMPUTE_PGM_RSRC2:TGID_Z_EN: 0
; COMPUTE_PGM_RSRC2:TIDIG_COMP_CNT: 0
	.section	.text._ZN9rocsolver6v33100L18trti2_kernel_smallILi23E19rocblas_complex_numIdEPKPS3_EEv13rocblas_fill_17rocblas_diagonal_T1_iil,"axG",@progbits,_ZN9rocsolver6v33100L18trti2_kernel_smallILi23E19rocblas_complex_numIdEPKPS3_EEv13rocblas_fill_17rocblas_diagonal_T1_iil,comdat
	.globl	_ZN9rocsolver6v33100L18trti2_kernel_smallILi23E19rocblas_complex_numIdEPKPS3_EEv13rocblas_fill_17rocblas_diagonal_T1_iil ; -- Begin function _ZN9rocsolver6v33100L18trti2_kernel_smallILi23E19rocblas_complex_numIdEPKPS3_EEv13rocblas_fill_17rocblas_diagonal_T1_iil
	.p2align	8
	.type	_ZN9rocsolver6v33100L18trti2_kernel_smallILi23E19rocblas_complex_numIdEPKPS3_EEv13rocblas_fill_17rocblas_diagonal_T1_iil,@function
_ZN9rocsolver6v33100L18trti2_kernel_smallILi23E19rocblas_complex_numIdEPKPS3_EEv13rocblas_fill_17rocblas_diagonal_T1_iil: ; @_ZN9rocsolver6v33100L18trti2_kernel_smallILi23E19rocblas_complex_numIdEPKPS3_EEv13rocblas_fill_17rocblas_diagonal_T1_iil
; %bb.0:
	s_add_u32 s0, s0, s7
	s_addc_u32 s1, s1, 0
	s_mov_b32 s7, exec_lo
	v_cmpx_gt_u32_e32 23, v0
	s_cbranch_execz .LBB86_355
; %bb.1:
	s_clause 0x1
	s_load_dwordx2 s[12:13], s[4:5], 0x10
	s_load_dwordx4 s[8:11], s[4:5], 0x0
	s_ashr_i32 s7, s6, 31
	v_lshlrev_b32_e32 v57, 4, v0
	s_lshl_b64 s[4:5], s[6:7], 3
	s_movk_i32 s14, 0xd0
	s_movk_i32 s15, 0xe0
	;; [unrolled: 1-line block ×10, first 2 shown]
	s_waitcnt lgkmcnt(0)
	s_ashr_i32 s7, s12, 31
	s_add_u32 s4, s10, s4
	s_addc_u32 s5, s11, s5
	s_mov_b32 s6, s12
	s_load_dwordx2 s[4:5], s[4:5], 0x0
	s_lshl_b64 s[6:7], s[6:7], 4
	v_add3_u32 v11, s13, s13, v0
	s_movk_i32 s10, 0x90
	s_movk_i32 s11, 0xa0
	;; [unrolled: 1-line block ×3, first 2 shown]
	v_ashrrev_i32_e32 v12, 31, v11
	v_add_nc_u32_e32 v13, s13, v11
	v_lshlrev_b64 v[9:10], 4, v[11:12]
	v_ashrrev_i32_e32 v14, 31, v13
	v_add_nc_u32_e32 v15, s13, v13
	v_lshlrev_b64 v[11:12], 4, v[13:14]
	v_ashrrev_i32_e32 v16, 31, v15
	s_waitcnt lgkmcnt(0)
	s_add_u32 s4, s4, s6
	s_addc_u32 s5, s5, s7
	v_add_co_u32 v5, s6, s4, v57
	v_add_co_ci_u32_e64 v6, null, s5, 0, s6
	s_mov_b32 s6, s13
	s_ashr_i32 s7, s13, 31
	v_lshlrev_b64 v[13:14], 4, v[15:16]
	flat_load_dwordx4 v[1:4], v[5:6]
	s_lshl_b64 s[6:7], s[6:7], 4
	v_add_nc_u32_e32 v17, s13, v15
	v_add_co_u32 v7, vcc_lo, v5, s6
	v_add_co_ci_u32_e64 v8, null, s7, v6, vcc_lo
	v_add_co_u32 v9, vcc_lo, s4, v9
	v_add_co_ci_u32_e64 v10, null, s5, v10, vcc_lo
	;; [unrolled: 2-line block ×4, first 2 shown]
	v_ashrrev_i32_e32 v18, 31, v17
	v_add_nc_u32_e32 v19, s13, v17
	s_cmpk_lg_i32 s9, 0x84
	s_movk_i32 s6, 0x70
	s_movk_i32 s7, 0x80
	v_lshlrev_b64 v[15:16], 4, v[17:18]
	v_ashrrev_i32_e32 v20, 31, v19
	v_add_nc_u32_e32 v21, s13, v19
	s_cselect_b32 s29, -1, 0
	s_cmpk_eq_i32 s9, 0x84
	s_waitcnt vmcnt(0) lgkmcnt(0)
	buffer_store_dword v4, off, s[0:3], 0 offset:12
	buffer_store_dword v3, off, s[0:3], 0 offset:8
	;; [unrolled: 1-line block ×3, first 2 shown]
	buffer_store_dword v1, off, s[0:3], 0
	flat_load_dwordx4 v[1:4], v[7:8]
	v_add_co_u32 v15, vcc_lo, s4, v15
	v_add_co_ci_u32_e64 v16, null, s5, v16, vcc_lo
	v_lshlrev_b64 v[17:18], 4, v[19:20]
	v_ashrrev_i32_e32 v22, 31, v21
	v_add_nc_u32_e32 v23, s13, v21
	s_waitcnt vmcnt(0) lgkmcnt(0)
	buffer_store_dword v4, off, s[0:3], 0 offset:28
	buffer_store_dword v3, off, s[0:3], 0 offset:24
	buffer_store_dword v2, off, s[0:3], 0 offset:20
	buffer_store_dword v1, off, s[0:3], 0 offset:16
	flat_load_dwordx4 v[1:4], v[9:10]
	v_add_co_u32 v17, vcc_lo, s4, v17
	v_add_co_ci_u32_e64 v18, null, s5, v18, vcc_lo
	v_lshlrev_b64 v[19:20], 4, v[21:22]
	v_ashrrev_i32_e32 v24, 31, v23
	v_add_nc_u32_e32 v25, s13, v23
	s_waitcnt vmcnt(0) lgkmcnt(0)
	buffer_store_dword v4, off, s[0:3], 0 offset:44
	buffer_store_dword v3, off, s[0:3], 0 offset:40
	buffer_store_dword v2, off, s[0:3], 0 offset:36
	buffer_store_dword v1, off, s[0:3], 0 offset:32
	;; [unrolled: 11-line block ×14, first 2 shown]
	flat_load_dwordx4 v[1:4], v[35:36]
	v_add_co_u32 v43, vcc_lo, s4, v43
	v_add_co_ci_u32_e64 v44, null, s5, v44, vcc_lo
	v_lshlrev_b64 v[45:46], 4, v[47:48]
	v_ashrrev_i32_e32 v50, 31, v49
	s_waitcnt vmcnt(0) lgkmcnt(0)
	buffer_store_dword v4, off, s[0:3], 0 offset:252
	buffer_store_dword v3, off, s[0:3], 0 offset:248
	;; [unrolled: 1-line block ×4, first 2 shown]
	flat_load_dwordx4 v[1:4], v[37:38]
	v_add_co_u32 v45, vcc_lo, s4, v45
	v_add_co_ci_u32_e64 v46, null, s5, v46, vcc_lo
	v_lshlrev_b64 v[47:48], 4, v[49:50]
	v_add_nc_u32_e32 v49, s13, v49
	s_movk_i32 s13, 0xc0
	s_waitcnt vmcnt(0) lgkmcnt(0)
	buffer_store_dword v4, off, s[0:3], 0 offset:268
	buffer_store_dword v3, off, s[0:3], 0 offset:264
	;; [unrolled: 1-line block ×4, first 2 shown]
	flat_load_dwordx4 v[1:4], v[39:40]
	v_add_co_u32 v47, vcc_lo, s4, v47
	v_add_co_ci_u32_e64 v48, null, s5, v48, vcc_lo
	v_ashrrev_i32_e32 v50, 31, v49
	s_waitcnt vmcnt(0) lgkmcnt(0)
	buffer_store_dword v4, off, s[0:3], 0 offset:284
	buffer_store_dword v3, off, s[0:3], 0 offset:280
	;; [unrolled: 1-line block ×4, first 2 shown]
	flat_load_dwordx4 v[1:4], v[41:42]
	v_lshlrev_b64 v[49:50], 4, v[49:50]
	s_waitcnt vmcnt(0) lgkmcnt(0)
	buffer_store_dword v4, off, s[0:3], 0 offset:300
	buffer_store_dword v3, off, s[0:3], 0 offset:296
	;; [unrolled: 1-line block ×4, first 2 shown]
	flat_load_dwordx4 v[1:4], v[43:44]
	v_add_co_u32 v49, vcc_lo, s4, v49
	v_add_co_ci_u32_e64 v50, null, s5, v50, vcc_lo
	s_movk_i32 s4, 0x50
	s_movk_i32 s5, 0x60
	s_waitcnt vmcnt(0) lgkmcnt(0)
	buffer_store_dword v4, off, s[0:3], 0 offset:316
	buffer_store_dword v3, off, s[0:3], 0 offset:312
	buffer_store_dword v2, off, s[0:3], 0 offset:308
	buffer_store_dword v1, off, s[0:3], 0 offset:304
	flat_load_dwordx4 v[1:4], v[45:46]
	s_waitcnt vmcnt(0) lgkmcnt(0)
	buffer_store_dword v4, off, s[0:3], 0 offset:332
	buffer_store_dword v3, off, s[0:3], 0 offset:328
	buffer_store_dword v2, off, s[0:3], 0 offset:324
	buffer_store_dword v1, off, s[0:3], 0 offset:320
	flat_load_dwordx4 v[1:4], v[47:48]
	;; [unrolled: 6-line block ×3, first 2 shown]
	s_waitcnt vmcnt(0) lgkmcnt(0)
	buffer_store_dword v4, off, s[0:3], 0 offset:364
	buffer_store_dword v3, off, s[0:3], 0 offset:360
	;; [unrolled: 1-line block ×4, first 2 shown]
	s_cbranch_scc1 .LBB86_7
; %bb.2:
	v_lshl_add_u32 v58, v0, 4, 0
                                        ; implicit-def: $vgpr53_vgpr54
                                        ; implicit-def: $vgpr3_vgpr4
	s_clause 0x3
	buffer_load_dword v51, v58, s[0:3], 0 offen
	buffer_load_dword v52, v58, s[0:3], 0 offen offset:4
	buffer_load_dword v55, v58, s[0:3], 0 offen offset:8
	;; [unrolled: 1-line block ×3, first 2 shown]
	s_waitcnt vmcnt(0)
	v_cmp_ngt_f64_e64 s9, |v[51:52]|, |v[55:56]|
	s_and_saveexec_b32 s16, s9
	s_xor_b32 s9, exec_lo, s16
	s_cbranch_execz .LBB86_4
; %bb.3:
	v_div_scale_f64 v[1:2], null, v[55:56], v[55:56], v[51:52]
	v_div_scale_f64 v[59:60], vcc_lo, v[51:52], v[55:56], v[51:52]
	v_rcp_f64_e32 v[3:4], v[1:2]
	v_fma_f64 v[53:54], -v[1:2], v[3:4], 1.0
	v_fma_f64 v[3:4], v[3:4], v[53:54], v[3:4]
	v_fma_f64 v[53:54], -v[1:2], v[3:4], 1.0
	v_fma_f64 v[3:4], v[3:4], v[53:54], v[3:4]
	v_mul_f64 v[53:54], v[59:60], v[3:4]
	v_fma_f64 v[1:2], -v[1:2], v[53:54], v[59:60]
	v_div_fmas_f64 v[1:2], v[1:2], v[3:4], v[53:54]
	v_div_fixup_f64 v[1:2], v[1:2], v[55:56], v[51:52]
	v_fma_f64 v[3:4], v[51:52], v[1:2], v[55:56]
	v_div_scale_f64 v[51:52], null, v[3:4], v[3:4], 1.0
	v_div_scale_f64 v[59:60], vcc_lo, 1.0, v[3:4], 1.0
	v_rcp_f64_e32 v[53:54], v[51:52]
	v_fma_f64 v[55:56], -v[51:52], v[53:54], 1.0
	v_fma_f64 v[53:54], v[53:54], v[55:56], v[53:54]
	v_fma_f64 v[55:56], -v[51:52], v[53:54], 1.0
	v_fma_f64 v[53:54], v[53:54], v[55:56], v[53:54]
	v_mul_f64 v[55:56], v[59:60], v[53:54]
	v_fma_f64 v[51:52], -v[51:52], v[55:56], v[59:60]
	v_div_fmas_f64 v[51:52], v[51:52], v[53:54], v[55:56]
                                        ; implicit-def: $vgpr55_vgpr56
	v_div_fixup_f64 v[3:4], v[51:52], v[3:4], 1.0
                                        ; implicit-def: $vgpr51_vgpr52
	v_mul_f64 v[53:54], v[1:2], v[3:4]
	v_xor_b32_e32 v4, 0x80000000, v4
	v_xor_b32_e32 v2, 0x80000000, v54
	v_mov_b32_e32 v1, v53
.LBB86_4:
	s_andn2_saveexec_b32 s9, s9
	s_cbranch_execz .LBB86_6
; %bb.5:
	v_div_scale_f64 v[1:2], null, v[51:52], v[51:52], v[55:56]
	v_div_scale_f64 v[59:60], vcc_lo, v[55:56], v[51:52], v[55:56]
	v_rcp_f64_e32 v[3:4], v[1:2]
	v_fma_f64 v[53:54], -v[1:2], v[3:4], 1.0
	v_fma_f64 v[3:4], v[3:4], v[53:54], v[3:4]
	v_fma_f64 v[53:54], -v[1:2], v[3:4], 1.0
	v_fma_f64 v[3:4], v[3:4], v[53:54], v[3:4]
	v_mul_f64 v[53:54], v[59:60], v[3:4]
	v_fma_f64 v[1:2], -v[1:2], v[53:54], v[59:60]
	v_div_fmas_f64 v[1:2], v[1:2], v[3:4], v[53:54]
	v_div_fixup_f64 v[1:2], v[1:2], v[51:52], v[55:56]
	v_fma_f64 v[3:4], v[55:56], v[1:2], v[51:52]
	v_div_scale_f64 v[51:52], null, v[3:4], v[3:4], 1.0
	v_rcp_f64_e32 v[53:54], v[51:52]
	v_fma_f64 v[55:56], -v[51:52], v[53:54], 1.0
	v_fma_f64 v[53:54], v[53:54], v[55:56], v[53:54]
	v_fma_f64 v[55:56], -v[51:52], v[53:54], 1.0
	v_fma_f64 v[53:54], v[53:54], v[55:56], v[53:54]
	v_div_scale_f64 v[55:56], vcc_lo, 1.0, v[3:4], 1.0
	v_mul_f64 v[59:60], v[55:56], v[53:54]
	v_fma_f64 v[51:52], -v[51:52], v[59:60], v[55:56]
	v_div_fmas_f64 v[51:52], v[51:52], v[53:54], v[59:60]
	v_div_fixup_f64 v[53:54], v[51:52], v[3:4], 1.0
	v_mul_f64 v[3:4], v[1:2], -v[53:54]
	v_xor_b32_e32 v2, 0x80000000, v54
	v_mov_b32_e32 v1, v53
.LBB86_6:
	s_or_b32 exec_lo, exec_lo, s9
	buffer_store_dword v4, v58, s[0:3], 0 offen offset:12
	v_xor_b32_e32 v4, 0x80000000, v4
	buffer_store_dword v54, v58, s[0:3], 0 offen offset:4
	buffer_store_dword v53, v58, s[0:3], 0 offen
	buffer_store_dword v3, v58, s[0:3], 0 offen offset:8
	s_branch .LBB86_8
.LBB86_7:
	v_mov_b32_e32 v1, 0
	v_mov_b32_e32 v3, 0
	;; [unrolled: 1-line block ×4, first 2 shown]
.LBB86_8:
	v_add_nc_u32_e32 v52, 0x170, v57
	v_mov_b32_e32 v51, v57
	s_mov_b32 s28, 16
	s_mov_b32 s27, 32
	;; [unrolled: 1-line block ×21, first 2 shown]
	s_cmpk_eq_i32 s8, 0x79
	ds_write_b128 v57, v[1:4]
	s_cbranch_scc1 .LBB86_180
; %bb.9:
	v_mov_b32_e32 v4, s7
	v_cmp_eq_u32_e64 s4, 22, v0
	s_clause 0x3
	buffer_load_dword v1, v4, s[0:3], 0 offen
	buffer_load_dword v2, v4, s[0:3], 0 offen offset:4
	buffer_load_dword v3, v4, s[0:3], 0 offen offset:8
	;; [unrolled: 1-line block ×3, first 2 shown]
	s_waitcnt vmcnt(0)
	ds_write_b128 v52, v[1:4]
	s_waitcnt lgkmcnt(0)
	s_waitcnt_vscnt null, 0x0
	s_barrier
	buffer_gl0_inv
	s_and_saveexec_b32 s5, s4
	s_cbranch_execz .LBB86_13
; %bb.10:
	ds_read_b128 v[1:4], v52
	s_andn2_b32 vcc_lo, exec_lo, s29
	s_cbranch_vccnz .LBB86_12
; %bb.11:
	s_clause 0x3
	buffer_load_dword v53, v51, s[0:3], 0 offen offset:8
	buffer_load_dword v54, v51, s[0:3], 0 offen offset:12
	buffer_load_dword v55, v51, s[0:3], 0 offen
	buffer_load_dword v56, v51, s[0:3], 0 offen offset:4
	s_waitcnt vmcnt(2) lgkmcnt(0)
	v_mul_f64 v[58:59], v[3:4], v[53:54]
	v_mul_f64 v[53:54], v[1:2], v[53:54]
	s_waitcnt vmcnt(0)
	v_fma_f64 v[1:2], v[1:2], v[55:56], -v[58:59]
	v_fma_f64 v[3:4], v[3:4], v[55:56], v[53:54]
.LBB86_12:
	v_mov_b32_e32 v53, 0
	ds_read_b128 v[53:56], v53 offset:336
	s_waitcnt lgkmcnt(0)
	v_mul_f64 v[58:59], v[3:4], v[55:56]
	v_mul_f64 v[55:56], v[1:2], v[55:56]
	v_fma_f64 v[1:2], v[1:2], v[53:54], -v[58:59]
	v_fma_f64 v[3:4], v[3:4], v[53:54], v[55:56]
	buffer_store_dword v2, off, s[0:3], 0 offset:340
	buffer_store_dword v1, off, s[0:3], 0 offset:336
	;; [unrolled: 1-line block ×4, first 2 shown]
.LBB86_13:
	s_or_b32 exec_lo, exec_lo, s5
	v_mov_b32_e32 v4, s9
	v_cmp_lt_u32_e64 s5, 20, v0
	s_clause 0x3
	buffer_load_dword v1, v4, s[0:3], 0 offen
	buffer_load_dword v2, v4, s[0:3], 0 offen offset:4
	buffer_load_dword v3, v4, s[0:3], 0 offen offset:8
	;; [unrolled: 1-line block ×3, first 2 shown]
	s_waitcnt vmcnt(0)
	ds_write_b128 v52, v[1:4]
	s_waitcnt lgkmcnt(0)
	s_waitcnt_vscnt null, 0x0
	s_barrier
	buffer_gl0_inv
	s_and_saveexec_b32 s8, s5
	s_cbranch_execz .LBB86_19
; %bb.14:
	ds_read_b128 v[1:4], v52
	s_andn2_b32 vcc_lo, exec_lo, s29
	s_cbranch_vccnz .LBB86_16
; %bb.15:
	s_clause 0x3
	buffer_load_dword v53, v51, s[0:3], 0 offen offset:8
	buffer_load_dword v54, v51, s[0:3], 0 offen offset:12
	buffer_load_dword v55, v51, s[0:3], 0 offen
	buffer_load_dword v56, v51, s[0:3], 0 offen offset:4
	s_waitcnt vmcnt(2) lgkmcnt(0)
	v_mul_f64 v[58:59], v[3:4], v[53:54]
	v_mul_f64 v[53:54], v[1:2], v[53:54]
	s_waitcnt vmcnt(0)
	v_fma_f64 v[1:2], v[1:2], v[55:56], -v[58:59]
	v_fma_f64 v[3:4], v[3:4], v[55:56], v[53:54]
.LBB86_16:
	s_and_saveexec_b32 s30, s4
	s_cbranch_execz .LBB86_18
; %bb.17:
	s_clause 0x3
	buffer_load_dword v58, off, s[0:3], 0 offset:344
	buffer_load_dword v59, off, s[0:3], 0 offset:348
	;; [unrolled: 1-line block ×4, first 2 shown]
	v_mov_b32_e32 v53, 0
	ds_read_b128 v[53:56], v53 offset:704
	s_waitcnt vmcnt(2) lgkmcnt(0)
	v_mul_f64 v[62:63], v[53:54], v[58:59]
	v_mul_f64 v[58:59], v[55:56], v[58:59]
	s_waitcnt vmcnt(0)
	v_fma_f64 v[55:56], v[55:56], v[60:61], v[62:63]
	v_fma_f64 v[53:54], v[53:54], v[60:61], -v[58:59]
	v_add_f64 v[3:4], v[3:4], v[55:56]
	v_add_f64 v[1:2], v[1:2], v[53:54]
.LBB86_18:
	s_or_b32 exec_lo, exec_lo, s30
	v_mov_b32_e32 v53, 0
	ds_read_b128 v[53:56], v53 offset:320
	s_waitcnt lgkmcnt(0)
	v_mul_f64 v[58:59], v[3:4], v[55:56]
	v_mul_f64 v[55:56], v[1:2], v[55:56]
	v_fma_f64 v[1:2], v[1:2], v[53:54], -v[58:59]
	v_fma_f64 v[3:4], v[3:4], v[53:54], v[55:56]
	buffer_store_dword v2, off, s[0:3], 0 offset:324
	buffer_store_dword v1, off, s[0:3], 0 offset:320
	;; [unrolled: 1-line block ×4, first 2 shown]
.LBB86_19:
	s_or_b32 exec_lo, exec_lo, s8
	v_mov_b32_e32 v4, s10
	v_cmp_lt_u32_e64 s4, 19, v0
	s_clause 0x3
	buffer_load_dword v1, v4, s[0:3], 0 offen
	buffer_load_dword v2, v4, s[0:3], 0 offen offset:4
	buffer_load_dword v3, v4, s[0:3], 0 offen offset:8
	;; [unrolled: 1-line block ×3, first 2 shown]
	s_waitcnt vmcnt(0)
	ds_write_b128 v52, v[1:4]
	s_waitcnt lgkmcnt(0)
	s_waitcnt_vscnt null, 0x0
	s_barrier
	buffer_gl0_inv
	s_and_saveexec_b32 s8, s4
	s_cbranch_execz .LBB86_27
; %bb.20:
	ds_read_b128 v[1:4], v52
	s_andn2_b32 vcc_lo, exec_lo, s29
	s_cbranch_vccnz .LBB86_22
; %bb.21:
	s_clause 0x3
	buffer_load_dword v53, v51, s[0:3], 0 offen offset:8
	buffer_load_dword v54, v51, s[0:3], 0 offen offset:12
	buffer_load_dword v55, v51, s[0:3], 0 offen
	buffer_load_dword v56, v51, s[0:3], 0 offen offset:4
	s_waitcnt vmcnt(2) lgkmcnt(0)
	v_mul_f64 v[58:59], v[3:4], v[53:54]
	v_mul_f64 v[53:54], v[1:2], v[53:54]
	s_waitcnt vmcnt(0)
	v_fma_f64 v[1:2], v[1:2], v[55:56], -v[58:59]
	v_fma_f64 v[3:4], v[3:4], v[55:56], v[53:54]
.LBB86_22:
	s_and_saveexec_b32 s30, s5
	s_cbranch_execz .LBB86_26
; %bb.23:
	v_subrev_nc_u32_e32 v53, 20, v0
	s_movk_i32 s31, 0x2b0
	s_mov_b32 s5, 0
	s_mov_b32 s33, s9
	.p2align	6
.LBB86_24:                              ; =>This Inner Loop Header: Depth=1
	v_mov_b32_e32 v56, s33
	v_add_nc_u32_e32 v53, -1, v53
	s_add_i32 s33, s33, 16
	s_clause 0x3
	buffer_load_dword v54, v56, s[0:3], 0 offen offset:8
	buffer_load_dword v55, v56, s[0:3], 0 offen offset:12
	buffer_load_dword v62, v56, s[0:3], 0 offen
	buffer_load_dword v63, v56, s[0:3], 0 offen offset:4
	v_mov_b32_e32 v56, s31
	v_cmp_eq_u32_e32 vcc_lo, 0, v53
	s_add_i32 s31, s31, 16
	ds_read_b128 v[58:61], v56
	s_or_b32 s5, vcc_lo, s5
	s_waitcnt vmcnt(2) lgkmcnt(0)
	v_mul_f64 v[64:65], v[60:61], v[54:55]
	v_mul_f64 v[54:55], v[58:59], v[54:55]
	s_waitcnt vmcnt(0)
	v_fma_f64 v[58:59], v[58:59], v[62:63], -v[64:65]
	v_fma_f64 v[54:55], v[60:61], v[62:63], v[54:55]
	v_add_f64 v[1:2], v[1:2], v[58:59]
	v_add_f64 v[3:4], v[3:4], v[54:55]
	s_andn2_b32 exec_lo, exec_lo, s5
	s_cbranch_execnz .LBB86_24
; %bb.25:
	s_or_b32 exec_lo, exec_lo, s5
.LBB86_26:
	s_or_b32 exec_lo, exec_lo, s30
	v_mov_b32_e32 v53, 0
	ds_read_b128 v[53:56], v53 offset:304
	s_waitcnt lgkmcnt(0)
	v_mul_f64 v[58:59], v[3:4], v[55:56]
	v_mul_f64 v[55:56], v[1:2], v[55:56]
	v_fma_f64 v[1:2], v[1:2], v[53:54], -v[58:59]
	v_fma_f64 v[3:4], v[3:4], v[53:54], v[55:56]
	buffer_store_dword v2, off, s[0:3], 0 offset:308
	buffer_store_dword v1, off, s[0:3], 0 offset:304
	;; [unrolled: 1-line block ×4, first 2 shown]
.LBB86_27:
	s_or_b32 exec_lo, exec_lo, s8
	v_mov_b32_e32 v4, s11
	v_cmp_lt_u32_e64 s5, 18, v0
	s_clause 0x3
	buffer_load_dword v1, v4, s[0:3], 0 offen
	buffer_load_dword v2, v4, s[0:3], 0 offen offset:4
	buffer_load_dword v3, v4, s[0:3], 0 offen offset:8
	;; [unrolled: 1-line block ×3, first 2 shown]
	s_waitcnt vmcnt(0)
	ds_write_b128 v52, v[1:4]
	s_waitcnt lgkmcnt(0)
	s_waitcnt_vscnt null, 0x0
	s_barrier
	buffer_gl0_inv
	s_and_saveexec_b32 s8, s5
	s_cbranch_execz .LBB86_35
; %bb.28:
	ds_read_b128 v[1:4], v52
	s_andn2_b32 vcc_lo, exec_lo, s29
	s_cbranch_vccnz .LBB86_30
; %bb.29:
	s_clause 0x3
	buffer_load_dword v53, v51, s[0:3], 0 offen offset:8
	buffer_load_dword v54, v51, s[0:3], 0 offen offset:12
	buffer_load_dword v55, v51, s[0:3], 0 offen
	buffer_load_dword v56, v51, s[0:3], 0 offen offset:4
	s_waitcnt vmcnt(2) lgkmcnt(0)
	v_mul_f64 v[58:59], v[3:4], v[53:54]
	v_mul_f64 v[53:54], v[1:2], v[53:54]
	s_waitcnt vmcnt(0)
	v_fma_f64 v[1:2], v[1:2], v[55:56], -v[58:59]
	v_fma_f64 v[3:4], v[3:4], v[55:56], v[53:54]
.LBB86_30:
	s_and_saveexec_b32 s30, s4
	s_cbranch_execz .LBB86_34
; %bb.31:
	v_subrev_nc_u32_e32 v53, 19, v0
	s_movk_i32 s31, 0x2a0
	s_mov_b32 s4, 0
	s_mov_b32 s33, s10
	.p2align	6
.LBB86_32:                              ; =>This Inner Loop Header: Depth=1
	v_mov_b32_e32 v56, s33
	v_add_nc_u32_e32 v53, -1, v53
	s_add_i32 s33, s33, 16
	s_clause 0x3
	buffer_load_dword v54, v56, s[0:3], 0 offen offset:8
	buffer_load_dword v55, v56, s[0:3], 0 offen offset:12
	buffer_load_dword v62, v56, s[0:3], 0 offen
	buffer_load_dword v63, v56, s[0:3], 0 offen offset:4
	v_mov_b32_e32 v56, s31
	v_cmp_eq_u32_e32 vcc_lo, 0, v53
	s_add_i32 s31, s31, 16
	ds_read_b128 v[58:61], v56
	s_or_b32 s4, vcc_lo, s4
	s_waitcnt vmcnt(2) lgkmcnt(0)
	v_mul_f64 v[64:65], v[60:61], v[54:55]
	v_mul_f64 v[54:55], v[58:59], v[54:55]
	s_waitcnt vmcnt(0)
	v_fma_f64 v[58:59], v[58:59], v[62:63], -v[64:65]
	v_fma_f64 v[54:55], v[60:61], v[62:63], v[54:55]
	v_add_f64 v[1:2], v[1:2], v[58:59]
	v_add_f64 v[3:4], v[3:4], v[54:55]
	s_andn2_b32 exec_lo, exec_lo, s4
	s_cbranch_execnz .LBB86_32
; %bb.33:
	s_or_b32 exec_lo, exec_lo, s4
.LBB86_34:
	s_or_b32 exec_lo, exec_lo, s30
	v_mov_b32_e32 v53, 0
	ds_read_b128 v[53:56], v53 offset:288
	s_waitcnt lgkmcnt(0)
	v_mul_f64 v[58:59], v[3:4], v[55:56]
	v_mul_f64 v[55:56], v[1:2], v[55:56]
	v_fma_f64 v[1:2], v[1:2], v[53:54], -v[58:59]
	v_fma_f64 v[3:4], v[3:4], v[53:54], v[55:56]
	buffer_store_dword v2, off, s[0:3], 0 offset:292
	buffer_store_dword v1, off, s[0:3], 0 offset:288
	;; [unrolled: 1-line block ×4, first 2 shown]
.LBB86_35:
	s_or_b32 exec_lo, exec_lo, s8
	v_mov_b32_e32 v4, s12
	v_cmp_lt_u32_e64 s4, 17, v0
	s_clause 0x3
	buffer_load_dword v1, v4, s[0:3], 0 offen
	buffer_load_dword v2, v4, s[0:3], 0 offen offset:4
	buffer_load_dword v3, v4, s[0:3], 0 offen offset:8
	;; [unrolled: 1-line block ×3, first 2 shown]
	s_waitcnt vmcnt(0)
	ds_write_b128 v52, v[1:4]
	s_waitcnt lgkmcnt(0)
	s_waitcnt_vscnt null, 0x0
	s_barrier
	buffer_gl0_inv
	s_and_saveexec_b32 s8, s4
	s_cbranch_execz .LBB86_43
; %bb.36:
	ds_read_b128 v[1:4], v52
	s_andn2_b32 vcc_lo, exec_lo, s29
	s_cbranch_vccnz .LBB86_38
; %bb.37:
	s_clause 0x3
	buffer_load_dword v53, v51, s[0:3], 0 offen offset:8
	buffer_load_dword v54, v51, s[0:3], 0 offen offset:12
	buffer_load_dword v55, v51, s[0:3], 0 offen
	buffer_load_dword v56, v51, s[0:3], 0 offen offset:4
	s_waitcnt vmcnt(2) lgkmcnt(0)
	v_mul_f64 v[58:59], v[3:4], v[53:54]
	v_mul_f64 v[53:54], v[1:2], v[53:54]
	s_waitcnt vmcnt(0)
	v_fma_f64 v[1:2], v[1:2], v[55:56], -v[58:59]
	v_fma_f64 v[3:4], v[3:4], v[55:56], v[53:54]
.LBB86_38:
	s_and_saveexec_b32 s30, s5
	s_cbranch_execz .LBB86_42
; %bb.39:
	v_subrev_nc_u32_e32 v53, 18, v0
	s_movk_i32 s31, 0x290
	s_mov_b32 s5, 0
	s_mov_b32 s33, s11
	.p2align	6
.LBB86_40:                              ; =>This Inner Loop Header: Depth=1
	v_mov_b32_e32 v56, s33
	v_add_nc_u32_e32 v53, -1, v53
	s_add_i32 s33, s33, 16
	s_clause 0x3
	buffer_load_dword v54, v56, s[0:3], 0 offen offset:8
	buffer_load_dword v55, v56, s[0:3], 0 offen offset:12
	buffer_load_dword v62, v56, s[0:3], 0 offen
	buffer_load_dword v63, v56, s[0:3], 0 offen offset:4
	v_mov_b32_e32 v56, s31
	v_cmp_eq_u32_e32 vcc_lo, 0, v53
	s_add_i32 s31, s31, 16
	ds_read_b128 v[58:61], v56
	s_or_b32 s5, vcc_lo, s5
	s_waitcnt vmcnt(2) lgkmcnt(0)
	v_mul_f64 v[64:65], v[60:61], v[54:55]
	v_mul_f64 v[54:55], v[58:59], v[54:55]
	s_waitcnt vmcnt(0)
	v_fma_f64 v[58:59], v[58:59], v[62:63], -v[64:65]
	v_fma_f64 v[54:55], v[60:61], v[62:63], v[54:55]
	v_add_f64 v[1:2], v[1:2], v[58:59]
	v_add_f64 v[3:4], v[3:4], v[54:55]
	s_andn2_b32 exec_lo, exec_lo, s5
	s_cbranch_execnz .LBB86_40
; %bb.41:
	s_or_b32 exec_lo, exec_lo, s5
.LBB86_42:
	s_or_b32 exec_lo, exec_lo, s30
	v_mov_b32_e32 v53, 0
	ds_read_b128 v[53:56], v53 offset:272
	s_waitcnt lgkmcnt(0)
	v_mul_f64 v[58:59], v[3:4], v[55:56]
	v_mul_f64 v[55:56], v[1:2], v[55:56]
	v_fma_f64 v[1:2], v[1:2], v[53:54], -v[58:59]
	v_fma_f64 v[3:4], v[3:4], v[53:54], v[55:56]
	buffer_store_dword v2, off, s[0:3], 0 offset:276
	buffer_store_dword v1, off, s[0:3], 0 offset:272
	;; [unrolled: 1-line block ×4, first 2 shown]
.LBB86_43:
	s_or_b32 exec_lo, exec_lo, s8
	v_mov_b32_e32 v4, s13
	v_cmp_lt_u32_e64 s5, 16, v0
	s_clause 0x3
	buffer_load_dword v1, v4, s[0:3], 0 offen
	buffer_load_dword v2, v4, s[0:3], 0 offen offset:4
	buffer_load_dword v3, v4, s[0:3], 0 offen offset:8
	;; [unrolled: 1-line block ×3, first 2 shown]
	s_waitcnt vmcnt(0)
	ds_write_b128 v52, v[1:4]
	s_waitcnt lgkmcnt(0)
	s_waitcnt_vscnt null, 0x0
	s_barrier
	buffer_gl0_inv
	s_and_saveexec_b32 s8, s5
	s_cbranch_execz .LBB86_51
; %bb.44:
	ds_read_b128 v[1:4], v52
	s_andn2_b32 vcc_lo, exec_lo, s29
	s_cbranch_vccnz .LBB86_46
; %bb.45:
	s_clause 0x3
	buffer_load_dword v53, v51, s[0:3], 0 offen offset:8
	buffer_load_dword v54, v51, s[0:3], 0 offen offset:12
	buffer_load_dword v55, v51, s[0:3], 0 offen
	buffer_load_dword v56, v51, s[0:3], 0 offen offset:4
	s_waitcnt vmcnt(2) lgkmcnt(0)
	v_mul_f64 v[58:59], v[3:4], v[53:54]
	v_mul_f64 v[53:54], v[1:2], v[53:54]
	s_waitcnt vmcnt(0)
	v_fma_f64 v[1:2], v[1:2], v[55:56], -v[58:59]
	v_fma_f64 v[3:4], v[3:4], v[55:56], v[53:54]
.LBB86_46:
	s_and_saveexec_b32 s30, s4
	s_cbranch_execz .LBB86_50
; %bb.47:
	v_subrev_nc_u32_e32 v53, 17, v0
	s_movk_i32 s31, 0x280
	s_mov_b32 s4, 0
	s_mov_b32 s33, s12
	.p2align	6
.LBB86_48:                              ; =>This Inner Loop Header: Depth=1
	v_mov_b32_e32 v56, s33
	v_add_nc_u32_e32 v53, -1, v53
	s_add_i32 s33, s33, 16
	s_clause 0x3
	buffer_load_dword v54, v56, s[0:3], 0 offen offset:8
	buffer_load_dword v55, v56, s[0:3], 0 offen offset:12
	buffer_load_dword v62, v56, s[0:3], 0 offen
	buffer_load_dword v63, v56, s[0:3], 0 offen offset:4
	v_mov_b32_e32 v56, s31
	v_cmp_eq_u32_e32 vcc_lo, 0, v53
	s_add_i32 s31, s31, 16
	ds_read_b128 v[58:61], v56
	s_or_b32 s4, vcc_lo, s4
	s_waitcnt vmcnt(2) lgkmcnt(0)
	v_mul_f64 v[64:65], v[60:61], v[54:55]
	v_mul_f64 v[54:55], v[58:59], v[54:55]
	s_waitcnt vmcnt(0)
	v_fma_f64 v[58:59], v[58:59], v[62:63], -v[64:65]
	v_fma_f64 v[54:55], v[60:61], v[62:63], v[54:55]
	v_add_f64 v[1:2], v[1:2], v[58:59]
	v_add_f64 v[3:4], v[3:4], v[54:55]
	s_andn2_b32 exec_lo, exec_lo, s4
	s_cbranch_execnz .LBB86_48
; %bb.49:
	s_or_b32 exec_lo, exec_lo, s4
.LBB86_50:
	s_or_b32 exec_lo, exec_lo, s30
	v_mov_b32_e32 v53, 0
	ds_read_b128 v[53:56], v53 offset:256
	s_waitcnt lgkmcnt(0)
	v_mul_f64 v[58:59], v[3:4], v[55:56]
	v_mul_f64 v[55:56], v[1:2], v[55:56]
	v_fma_f64 v[1:2], v[1:2], v[53:54], -v[58:59]
	v_fma_f64 v[3:4], v[3:4], v[53:54], v[55:56]
	buffer_store_dword v2, off, s[0:3], 0 offset:260
	buffer_store_dword v1, off, s[0:3], 0 offset:256
	;; [unrolled: 1-line block ×4, first 2 shown]
.LBB86_51:
	s_or_b32 exec_lo, exec_lo, s8
	v_mov_b32_e32 v4, s14
	v_cmp_lt_u32_e64 s4, 15, v0
	s_clause 0x3
	buffer_load_dword v1, v4, s[0:3], 0 offen
	buffer_load_dword v2, v4, s[0:3], 0 offen offset:4
	buffer_load_dword v3, v4, s[0:3], 0 offen offset:8
	;; [unrolled: 1-line block ×3, first 2 shown]
	s_waitcnt vmcnt(0)
	ds_write_b128 v52, v[1:4]
	s_waitcnt lgkmcnt(0)
	s_waitcnt_vscnt null, 0x0
	s_barrier
	buffer_gl0_inv
	s_and_saveexec_b32 s8, s4
	s_cbranch_execz .LBB86_59
; %bb.52:
	ds_read_b128 v[1:4], v52
	s_andn2_b32 vcc_lo, exec_lo, s29
	s_cbranch_vccnz .LBB86_54
; %bb.53:
	s_clause 0x3
	buffer_load_dword v53, v51, s[0:3], 0 offen offset:8
	buffer_load_dword v54, v51, s[0:3], 0 offen offset:12
	buffer_load_dword v55, v51, s[0:3], 0 offen
	buffer_load_dword v56, v51, s[0:3], 0 offen offset:4
	s_waitcnt vmcnt(2) lgkmcnt(0)
	v_mul_f64 v[58:59], v[3:4], v[53:54]
	v_mul_f64 v[53:54], v[1:2], v[53:54]
	s_waitcnt vmcnt(0)
	v_fma_f64 v[1:2], v[1:2], v[55:56], -v[58:59]
	v_fma_f64 v[3:4], v[3:4], v[55:56], v[53:54]
.LBB86_54:
	s_and_saveexec_b32 s30, s5
	s_cbranch_execz .LBB86_58
; %bb.55:
	v_add_nc_u32_e32 v53, -16, v0
	s_movk_i32 s31, 0x270
	s_mov_b32 s5, 0
	s_mov_b32 s33, s13
	.p2align	6
.LBB86_56:                              ; =>This Inner Loop Header: Depth=1
	v_mov_b32_e32 v56, s33
	v_add_nc_u32_e32 v53, -1, v53
	s_add_i32 s33, s33, 16
	s_clause 0x3
	buffer_load_dword v54, v56, s[0:3], 0 offen offset:8
	buffer_load_dword v55, v56, s[0:3], 0 offen offset:12
	buffer_load_dword v62, v56, s[0:3], 0 offen
	buffer_load_dword v63, v56, s[0:3], 0 offen offset:4
	v_mov_b32_e32 v56, s31
	v_cmp_eq_u32_e32 vcc_lo, 0, v53
	s_add_i32 s31, s31, 16
	ds_read_b128 v[58:61], v56
	s_or_b32 s5, vcc_lo, s5
	s_waitcnt vmcnt(2) lgkmcnt(0)
	v_mul_f64 v[64:65], v[60:61], v[54:55]
	v_mul_f64 v[54:55], v[58:59], v[54:55]
	s_waitcnt vmcnt(0)
	v_fma_f64 v[58:59], v[58:59], v[62:63], -v[64:65]
	v_fma_f64 v[54:55], v[60:61], v[62:63], v[54:55]
	v_add_f64 v[1:2], v[1:2], v[58:59]
	v_add_f64 v[3:4], v[3:4], v[54:55]
	s_andn2_b32 exec_lo, exec_lo, s5
	s_cbranch_execnz .LBB86_56
; %bb.57:
	s_or_b32 exec_lo, exec_lo, s5
.LBB86_58:
	s_or_b32 exec_lo, exec_lo, s30
	v_mov_b32_e32 v53, 0
	ds_read_b128 v[53:56], v53 offset:240
	s_waitcnt lgkmcnt(0)
	v_mul_f64 v[58:59], v[3:4], v[55:56]
	v_mul_f64 v[55:56], v[1:2], v[55:56]
	v_fma_f64 v[1:2], v[1:2], v[53:54], -v[58:59]
	v_fma_f64 v[3:4], v[3:4], v[53:54], v[55:56]
	buffer_store_dword v2, off, s[0:3], 0 offset:244
	buffer_store_dword v1, off, s[0:3], 0 offset:240
	;; [unrolled: 1-line block ×4, first 2 shown]
.LBB86_59:
	s_or_b32 exec_lo, exec_lo, s8
	v_mov_b32_e32 v4, s15
	v_cmp_lt_u32_e64 s5, 14, v0
	s_clause 0x3
	buffer_load_dword v1, v4, s[0:3], 0 offen
	buffer_load_dword v2, v4, s[0:3], 0 offen offset:4
	buffer_load_dword v3, v4, s[0:3], 0 offen offset:8
	;; [unrolled: 1-line block ×3, first 2 shown]
	s_waitcnt vmcnt(0)
	ds_write_b128 v52, v[1:4]
	s_waitcnt lgkmcnt(0)
	s_waitcnt_vscnt null, 0x0
	s_barrier
	buffer_gl0_inv
	s_and_saveexec_b32 s8, s5
	s_cbranch_execz .LBB86_67
; %bb.60:
	ds_read_b128 v[1:4], v52
	s_andn2_b32 vcc_lo, exec_lo, s29
	s_cbranch_vccnz .LBB86_62
; %bb.61:
	s_clause 0x3
	buffer_load_dword v53, v51, s[0:3], 0 offen offset:8
	buffer_load_dword v54, v51, s[0:3], 0 offen offset:12
	buffer_load_dword v55, v51, s[0:3], 0 offen
	buffer_load_dword v56, v51, s[0:3], 0 offen offset:4
	s_waitcnt vmcnt(2) lgkmcnt(0)
	v_mul_f64 v[58:59], v[3:4], v[53:54]
	v_mul_f64 v[53:54], v[1:2], v[53:54]
	s_waitcnt vmcnt(0)
	v_fma_f64 v[1:2], v[1:2], v[55:56], -v[58:59]
	v_fma_f64 v[3:4], v[3:4], v[55:56], v[53:54]
.LBB86_62:
	s_and_saveexec_b32 s30, s4
	s_cbranch_execz .LBB86_66
; %bb.63:
	v_add_nc_u32_e32 v53, -15, v0
	s_movk_i32 s31, 0x260
	s_mov_b32 s4, 0
	s_mov_b32 s33, s14
	.p2align	6
.LBB86_64:                              ; =>This Inner Loop Header: Depth=1
	v_mov_b32_e32 v56, s33
	v_add_nc_u32_e32 v53, -1, v53
	s_add_i32 s33, s33, 16
	s_clause 0x3
	buffer_load_dword v54, v56, s[0:3], 0 offen offset:8
	buffer_load_dword v55, v56, s[0:3], 0 offen offset:12
	buffer_load_dword v62, v56, s[0:3], 0 offen
	buffer_load_dword v63, v56, s[0:3], 0 offen offset:4
	v_mov_b32_e32 v56, s31
	v_cmp_eq_u32_e32 vcc_lo, 0, v53
	s_add_i32 s31, s31, 16
	ds_read_b128 v[58:61], v56
	s_or_b32 s4, vcc_lo, s4
	s_waitcnt vmcnt(2) lgkmcnt(0)
	v_mul_f64 v[64:65], v[60:61], v[54:55]
	v_mul_f64 v[54:55], v[58:59], v[54:55]
	s_waitcnt vmcnt(0)
	v_fma_f64 v[58:59], v[58:59], v[62:63], -v[64:65]
	v_fma_f64 v[54:55], v[60:61], v[62:63], v[54:55]
	v_add_f64 v[1:2], v[1:2], v[58:59]
	v_add_f64 v[3:4], v[3:4], v[54:55]
	s_andn2_b32 exec_lo, exec_lo, s4
	s_cbranch_execnz .LBB86_64
; %bb.65:
	s_or_b32 exec_lo, exec_lo, s4
.LBB86_66:
	s_or_b32 exec_lo, exec_lo, s30
	v_mov_b32_e32 v53, 0
	ds_read_b128 v[53:56], v53 offset:224
	s_waitcnt lgkmcnt(0)
	v_mul_f64 v[58:59], v[3:4], v[55:56]
	v_mul_f64 v[55:56], v[1:2], v[55:56]
	v_fma_f64 v[1:2], v[1:2], v[53:54], -v[58:59]
	v_fma_f64 v[3:4], v[3:4], v[53:54], v[55:56]
	buffer_store_dword v2, off, s[0:3], 0 offset:228
	buffer_store_dword v1, off, s[0:3], 0 offset:224
	;; [unrolled: 1-line block ×4, first 2 shown]
.LBB86_67:
	s_or_b32 exec_lo, exec_lo, s8
	v_mov_b32_e32 v4, s16
	v_cmp_lt_u32_e64 s4, 13, v0
	s_clause 0x3
	buffer_load_dword v1, v4, s[0:3], 0 offen
	buffer_load_dword v2, v4, s[0:3], 0 offen offset:4
	buffer_load_dword v3, v4, s[0:3], 0 offen offset:8
	;; [unrolled: 1-line block ×3, first 2 shown]
	s_waitcnt vmcnt(0)
	ds_write_b128 v52, v[1:4]
	s_waitcnt lgkmcnt(0)
	s_waitcnt_vscnt null, 0x0
	s_barrier
	buffer_gl0_inv
	s_and_saveexec_b32 s8, s4
	s_cbranch_execz .LBB86_75
; %bb.68:
	ds_read_b128 v[1:4], v52
	s_andn2_b32 vcc_lo, exec_lo, s29
	s_cbranch_vccnz .LBB86_70
; %bb.69:
	s_clause 0x3
	buffer_load_dword v53, v51, s[0:3], 0 offen offset:8
	buffer_load_dword v54, v51, s[0:3], 0 offen offset:12
	buffer_load_dword v55, v51, s[0:3], 0 offen
	buffer_load_dword v56, v51, s[0:3], 0 offen offset:4
	s_waitcnt vmcnt(2) lgkmcnt(0)
	v_mul_f64 v[58:59], v[3:4], v[53:54]
	v_mul_f64 v[53:54], v[1:2], v[53:54]
	s_waitcnt vmcnt(0)
	v_fma_f64 v[1:2], v[1:2], v[55:56], -v[58:59]
	v_fma_f64 v[3:4], v[3:4], v[55:56], v[53:54]
.LBB86_70:
	s_and_saveexec_b32 s30, s5
	s_cbranch_execz .LBB86_74
; %bb.71:
	v_add_nc_u32_e32 v53, -14, v0
	s_movk_i32 s31, 0x250
	s_mov_b32 s5, 0
	s_mov_b32 s33, s15
	.p2align	6
.LBB86_72:                              ; =>This Inner Loop Header: Depth=1
	v_mov_b32_e32 v56, s33
	v_add_nc_u32_e32 v53, -1, v53
	s_add_i32 s33, s33, 16
	s_clause 0x3
	buffer_load_dword v54, v56, s[0:3], 0 offen offset:8
	buffer_load_dword v55, v56, s[0:3], 0 offen offset:12
	buffer_load_dword v62, v56, s[0:3], 0 offen
	buffer_load_dword v63, v56, s[0:3], 0 offen offset:4
	v_mov_b32_e32 v56, s31
	v_cmp_eq_u32_e32 vcc_lo, 0, v53
	s_add_i32 s31, s31, 16
	ds_read_b128 v[58:61], v56
	s_or_b32 s5, vcc_lo, s5
	s_waitcnt vmcnt(2) lgkmcnt(0)
	v_mul_f64 v[64:65], v[60:61], v[54:55]
	v_mul_f64 v[54:55], v[58:59], v[54:55]
	s_waitcnt vmcnt(0)
	v_fma_f64 v[58:59], v[58:59], v[62:63], -v[64:65]
	v_fma_f64 v[54:55], v[60:61], v[62:63], v[54:55]
	v_add_f64 v[1:2], v[1:2], v[58:59]
	v_add_f64 v[3:4], v[3:4], v[54:55]
	s_andn2_b32 exec_lo, exec_lo, s5
	s_cbranch_execnz .LBB86_72
; %bb.73:
	s_or_b32 exec_lo, exec_lo, s5
.LBB86_74:
	s_or_b32 exec_lo, exec_lo, s30
	v_mov_b32_e32 v53, 0
	ds_read_b128 v[53:56], v53 offset:208
	s_waitcnt lgkmcnt(0)
	v_mul_f64 v[58:59], v[3:4], v[55:56]
	v_mul_f64 v[55:56], v[1:2], v[55:56]
	v_fma_f64 v[1:2], v[1:2], v[53:54], -v[58:59]
	v_fma_f64 v[3:4], v[3:4], v[53:54], v[55:56]
	buffer_store_dword v2, off, s[0:3], 0 offset:212
	buffer_store_dword v1, off, s[0:3], 0 offset:208
	;; [unrolled: 1-line block ×4, first 2 shown]
.LBB86_75:
	s_or_b32 exec_lo, exec_lo, s8
	v_mov_b32_e32 v4, s17
	v_cmp_lt_u32_e64 s5, 12, v0
	s_clause 0x3
	buffer_load_dword v1, v4, s[0:3], 0 offen
	buffer_load_dword v2, v4, s[0:3], 0 offen offset:4
	buffer_load_dword v3, v4, s[0:3], 0 offen offset:8
	;; [unrolled: 1-line block ×3, first 2 shown]
	s_waitcnt vmcnt(0)
	ds_write_b128 v52, v[1:4]
	s_waitcnt lgkmcnt(0)
	s_waitcnt_vscnt null, 0x0
	s_barrier
	buffer_gl0_inv
	s_and_saveexec_b32 s8, s5
	s_cbranch_execz .LBB86_83
; %bb.76:
	ds_read_b128 v[1:4], v52
	s_andn2_b32 vcc_lo, exec_lo, s29
	s_cbranch_vccnz .LBB86_78
; %bb.77:
	s_clause 0x3
	buffer_load_dword v53, v51, s[0:3], 0 offen offset:8
	buffer_load_dword v54, v51, s[0:3], 0 offen offset:12
	buffer_load_dword v55, v51, s[0:3], 0 offen
	buffer_load_dword v56, v51, s[0:3], 0 offen offset:4
	s_waitcnt vmcnt(2) lgkmcnt(0)
	v_mul_f64 v[58:59], v[3:4], v[53:54]
	v_mul_f64 v[53:54], v[1:2], v[53:54]
	s_waitcnt vmcnt(0)
	v_fma_f64 v[1:2], v[1:2], v[55:56], -v[58:59]
	v_fma_f64 v[3:4], v[3:4], v[55:56], v[53:54]
.LBB86_78:
	s_and_saveexec_b32 s30, s4
	s_cbranch_execz .LBB86_82
; %bb.79:
	v_add_nc_u32_e32 v53, -13, v0
	s_movk_i32 s31, 0x240
	s_mov_b32 s4, 0
	s_mov_b32 s33, s16
	.p2align	6
.LBB86_80:                              ; =>This Inner Loop Header: Depth=1
	v_mov_b32_e32 v56, s33
	v_add_nc_u32_e32 v53, -1, v53
	s_add_i32 s33, s33, 16
	s_clause 0x3
	buffer_load_dword v54, v56, s[0:3], 0 offen offset:8
	buffer_load_dword v55, v56, s[0:3], 0 offen offset:12
	buffer_load_dword v62, v56, s[0:3], 0 offen
	buffer_load_dword v63, v56, s[0:3], 0 offen offset:4
	v_mov_b32_e32 v56, s31
	v_cmp_eq_u32_e32 vcc_lo, 0, v53
	s_add_i32 s31, s31, 16
	ds_read_b128 v[58:61], v56
	s_or_b32 s4, vcc_lo, s4
	s_waitcnt vmcnt(2) lgkmcnt(0)
	v_mul_f64 v[64:65], v[60:61], v[54:55]
	v_mul_f64 v[54:55], v[58:59], v[54:55]
	s_waitcnt vmcnt(0)
	v_fma_f64 v[58:59], v[58:59], v[62:63], -v[64:65]
	v_fma_f64 v[54:55], v[60:61], v[62:63], v[54:55]
	v_add_f64 v[1:2], v[1:2], v[58:59]
	v_add_f64 v[3:4], v[3:4], v[54:55]
	s_andn2_b32 exec_lo, exec_lo, s4
	s_cbranch_execnz .LBB86_80
; %bb.81:
	s_or_b32 exec_lo, exec_lo, s4
.LBB86_82:
	s_or_b32 exec_lo, exec_lo, s30
	v_mov_b32_e32 v53, 0
	ds_read_b128 v[53:56], v53 offset:192
	s_waitcnt lgkmcnt(0)
	v_mul_f64 v[58:59], v[3:4], v[55:56]
	v_mul_f64 v[55:56], v[1:2], v[55:56]
	v_fma_f64 v[1:2], v[1:2], v[53:54], -v[58:59]
	v_fma_f64 v[3:4], v[3:4], v[53:54], v[55:56]
	buffer_store_dword v2, off, s[0:3], 0 offset:196
	buffer_store_dword v1, off, s[0:3], 0 offset:192
	;; [unrolled: 1-line block ×4, first 2 shown]
.LBB86_83:
	s_or_b32 exec_lo, exec_lo, s8
	v_mov_b32_e32 v4, s18
	v_cmp_lt_u32_e64 s4, 11, v0
	s_clause 0x3
	buffer_load_dword v1, v4, s[0:3], 0 offen
	buffer_load_dword v2, v4, s[0:3], 0 offen offset:4
	buffer_load_dword v3, v4, s[0:3], 0 offen offset:8
	;; [unrolled: 1-line block ×3, first 2 shown]
	s_waitcnt vmcnt(0)
	ds_write_b128 v52, v[1:4]
	s_waitcnt lgkmcnt(0)
	s_waitcnt_vscnt null, 0x0
	s_barrier
	buffer_gl0_inv
	s_and_saveexec_b32 s8, s4
	s_cbranch_execz .LBB86_91
; %bb.84:
	ds_read_b128 v[1:4], v52
	s_andn2_b32 vcc_lo, exec_lo, s29
	s_cbranch_vccnz .LBB86_86
; %bb.85:
	s_clause 0x3
	buffer_load_dword v53, v51, s[0:3], 0 offen offset:8
	buffer_load_dword v54, v51, s[0:3], 0 offen offset:12
	buffer_load_dword v55, v51, s[0:3], 0 offen
	buffer_load_dword v56, v51, s[0:3], 0 offen offset:4
	s_waitcnt vmcnt(2) lgkmcnt(0)
	v_mul_f64 v[58:59], v[3:4], v[53:54]
	v_mul_f64 v[53:54], v[1:2], v[53:54]
	s_waitcnt vmcnt(0)
	v_fma_f64 v[1:2], v[1:2], v[55:56], -v[58:59]
	v_fma_f64 v[3:4], v[3:4], v[55:56], v[53:54]
.LBB86_86:
	s_and_saveexec_b32 s30, s5
	s_cbranch_execz .LBB86_90
; %bb.87:
	v_add_nc_u32_e32 v53, -12, v0
	s_movk_i32 s31, 0x230
	s_mov_b32 s5, 0
	s_mov_b32 s33, s17
	.p2align	6
.LBB86_88:                              ; =>This Inner Loop Header: Depth=1
	v_mov_b32_e32 v56, s33
	v_add_nc_u32_e32 v53, -1, v53
	s_add_i32 s33, s33, 16
	s_clause 0x3
	buffer_load_dword v54, v56, s[0:3], 0 offen offset:8
	buffer_load_dword v55, v56, s[0:3], 0 offen offset:12
	buffer_load_dword v62, v56, s[0:3], 0 offen
	buffer_load_dword v63, v56, s[0:3], 0 offen offset:4
	v_mov_b32_e32 v56, s31
	v_cmp_eq_u32_e32 vcc_lo, 0, v53
	s_add_i32 s31, s31, 16
	ds_read_b128 v[58:61], v56
	s_or_b32 s5, vcc_lo, s5
	s_waitcnt vmcnt(2) lgkmcnt(0)
	v_mul_f64 v[64:65], v[60:61], v[54:55]
	v_mul_f64 v[54:55], v[58:59], v[54:55]
	s_waitcnt vmcnt(0)
	v_fma_f64 v[58:59], v[58:59], v[62:63], -v[64:65]
	v_fma_f64 v[54:55], v[60:61], v[62:63], v[54:55]
	v_add_f64 v[1:2], v[1:2], v[58:59]
	v_add_f64 v[3:4], v[3:4], v[54:55]
	s_andn2_b32 exec_lo, exec_lo, s5
	s_cbranch_execnz .LBB86_88
; %bb.89:
	s_or_b32 exec_lo, exec_lo, s5
.LBB86_90:
	s_or_b32 exec_lo, exec_lo, s30
	v_mov_b32_e32 v53, 0
	ds_read_b128 v[53:56], v53 offset:176
	s_waitcnt lgkmcnt(0)
	v_mul_f64 v[58:59], v[3:4], v[55:56]
	v_mul_f64 v[55:56], v[1:2], v[55:56]
	v_fma_f64 v[1:2], v[1:2], v[53:54], -v[58:59]
	v_fma_f64 v[3:4], v[3:4], v[53:54], v[55:56]
	buffer_store_dword v2, off, s[0:3], 0 offset:180
	buffer_store_dword v1, off, s[0:3], 0 offset:176
	;; [unrolled: 1-line block ×4, first 2 shown]
.LBB86_91:
	s_or_b32 exec_lo, exec_lo, s8
	v_mov_b32_e32 v4, s19
	v_cmp_lt_u32_e64 s5, 10, v0
	s_clause 0x3
	buffer_load_dword v1, v4, s[0:3], 0 offen
	buffer_load_dword v2, v4, s[0:3], 0 offen offset:4
	buffer_load_dword v3, v4, s[0:3], 0 offen offset:8
	;; [unrolled: 1-line block ×3, first 2 shown]
	s_waitcnt vmcnt(0)
	ds_write_b128 v52, v[1:4]
	s_waitcnt lgkmcnt(0)
	s_waitcnt_vscnt null, 0x0
	s_barrier
	buffer_gl0_inv
	s_and_saveexec_b32 s8, s5
	s_cbranch_execz .LBB86_99
; %bb.92:
	ds_read_b128 v[1:4], v52
	s_andn2_b32 vcc_lo, exec_lo, s29
	s_cbranch_vccnz .LBB86_94
; %bb.93:
	s_clause 0x3
	buffer_load_dword v53, v51, s[0:3], 0 offen offset:8
	buffer_load_dword v54, v51, s[0:3], 0 offen offset:12
	buffer_load_dword v55, v51, s[0:3], 0 offen
	buffer_load_dword v56, v51, s[0:3], 0 offen offset:4
	s_waitcnt vmcnt(2) lgkmcnt(0)
	v_mul_f64 v[58:59], v[3:4], v[53:54]
	v_mul_f64 v[53:54], v[1:2], v[53:54]
	s_waitcnt vmcnt(0)
	v_fma_f64 v[1:2], v[1:2], v[55:56], -v[58:59]
	v_fma_f64 v[3:4], v[3:4], v[55:56], v[53:54]
.LBB86_94:
	s_and_saveexec_b32 s30, s4
	s_cbranch_execz .LBB86_98
; %bb.95:
	v_add_nc_u32_e32 v53, -11, v0
	s_movk_i32 s31, 0x220
	s_mov_b32 s4, 0
	s_mov_b32 s33, s18
	.p2align	6
.LBB86_96:                              ; =>This Inner Loop Header: Depth=1
	v_mov_b32_e32 v56, s33
	v_add_nc_u32_e32 v53, -1, v53
	s_add_i32 s33, s33, 16
	s_clause 0x3
	buffer_load_dword v54, v56, s[0:3], 0 offen offset:8
	buffer_load_dword v55, v56, s[0:3], 0 offen offset:12
	buffer_load_dword v62, v56, s[0:3], 0 offen
	buffer_load_dword v63, v56, s[0:3], 0 offen offset:4
	v_mov_b32_e32 v56, s31
	v_cmp_eq_u32_e32 vcc_lo, 0, v53
	s_add_i32 s31, s31, 16
	ds_read_b128 v[58:61], v56
	s_or_b32 s4, vcc_lo, s4
	s_waitcnt vmcnt(2) lgkmcnt(0)
	v_mul_f64 v[64:65], v[60:61], v[54:55]
	v_mul_f64 v[54:55], v[58:59], v[54:55]
	s_waitcnt vmcnt(0)
	v_fma_f64 v[58:59], v[58:59], v[62:63], -v[64:65]
	v_fma_f64 v[54:55], v[60:61], v[62:63], v[54:55]
	v_add_f64 v[1:2], v[1:2], v[58:59]
	v_add_f64 v[3:4], v[3:4], v[54:55]
	s_andn2_b32 exec_lo, exec_lo, s4
	s_cbranch_execnz .LBB86_96
; %bb.97:
	s_or_b32 exec_lo, exec_lo, s4
.LBB86_98:
	s_or_b32 exec_lo, exec_lo, s30
	v_mov_b32_e32 v53, 0
	ds_read_b128 v[53:56], v53 offset:160
	s_waitcnt lgkmcnt(0)
	v_mul_f64 v[58:59], v[3:4], v[55:56]
	v_mul_f64 v[55:56], v[1:2], v[55:56]
	v_fma_f64 v[1:2], v[1:2], v[53:54], -v[58:59]
	v_fma_f64 v[3:4], v[3:4], v[53:54], v[55:56]
	buffer_store_dword v2, off, s[0:3], 0 offset:164
	buffer_store_dword v1, off, s[0:3], 0 offset:160
	;; [unrolled: 1-line block ×4, first 2 shown]
.LBB86_99:
	s_or_b32 exec_lo, exec_lo, s8
	v_mov_b32_e32 v4, s20
	v_cmp_lt_u32_e64 s4, 9, v0
	s_clause 0x3
	buffer_load_dword v1, v4, s[0:3], 0 offen
	buffer_load_dword v2, v4, s[0:3], 0 offen offset:4
	buffer_load_dword v3, v4, s[0:3], 0 offen offset:8
	;; [unrolled: 1-line block ×3, first 2 shown]
	s_waitcnt vmcnt(0)
	ds_write_b128 v52, v[1:4]
	s_waitcnt lgkmcnt(0)
	s_waitcnt_vscnt null, 0x0
	s_barrier
	buffer_gl0_inv
	s_and_saveexec_b32 s8, s4
	s_cbranch_execz .LBB86_107
; %bb.100:
	ds_read_b128 v[1:4], v52
	s_andn2_b32 vcc_lo, exec_lo, s29
	s_cbranch_vccnz .LBB86_102
; %bb.101:
	s_clause 0x3
	buffer_load_dword v53, v51, s[0:3], 0 offen offset:8
	buffer_load_dword v54, v51, s[0:3], 0 offen offset:12
	buffer_load_dword v55, v51, s[0:3], 0 offen
	buffer_load_dword v56, v51, s[0:3], 0 offen offset:4
	s_waitcnt vmcnt(2) lgkmcnt(0)
	v_mul_f64 v[58:59], v[3:4], v[53:54]
	v_mul_f64 v[53:54], v[1:2], v[53:54]
	s_waitcnt vmcnt(0)
	v_fma_f64 v[1:2], v[1:2], v[55:56], -v[58:59]
	v_fma_f64 v[3:4], v[3:4], v[55:56], v[53:54]
.LBB86_102:
	s_and_saveexec_b32 s30, s5
	s_cbranch_execz .LBB86_106
; %bb.103:
	v_add_nc_u32_e32 v53, -10, v0
	s_movk_i32 s31, 0x210
	s_mov_b32 s5, 0
	s_mov_b32 s33, s19
	.p2align	6
.LBB86_104:                             ; =>This Inner Loop Header: Depth=1
	v_mov_b32_e32 v56, s33
	v_add_nc_u32_e32 v53, -1, v53
	s_add_i32 s33, s33, 16
	s_clause 0x3
	buffer_load_dword v54, v56, s[0:3], 0 offen offset:8
	buffer_load_dword v55, v56, s[0:3], 0 offen offset:12
	buffer_load_dword v62, v56, s[0:3], 0 offen
	buffer_load_dword v63, v56, s[0:3], 0 offen offset:4
	v_mov_b32_e32 v56, s31
	v_cmp_eq_u32_e32 vcc_lo, 0, v53
	s_add_i32 s31, s31, 16
	ds_read_b128 v[58:61], v56
	s_or_b32 s5, vcc_lo, s5
	s_waitcnt vmcnt(2) lgkmcnt(0)
	v_mul_f64 v[64:65], v[60:61], v[54:55]
	v_mul_f64 v[54:55], v[58:59], v[54:55]
	s_waitcnt vmcnt(0)
	v_fma_f64 v[58:59], v[58:59], v[62:63], -v[64:65]
	v_fma_f64 v[54:55], v[60:61], v[62:63], v[54:55]
	v_add_f64 v[1:2], v[1:2], v[58:59]
	v_add_f64 v[3:4], v[3:4], v[54:55]
	s_andn2_b32 exec_lo, exec_lo, s5
	s_cbranch_execnz .LBB86_104
; %bb.105:
	s_or_b32 exec_lo, exec_lo, s5
.LBB86_106:
	s_or_b32 exec_lo, exec_lo, s30
	v_mov_b32_e32 v53, 0
	ds_read_b128 v[53:56], v53 offset:144
	s_waitcnt lgkmcnt(0)
	v_mul_f64 v[58:59], v[3:4], v[55:56]
	v_mul_f64 v[55:56], v[1:2], v[55:56]
	v_fma_f64 v[1:2], v[1:2], v[53:54], -v[58:59]
	v_fma_f64 v[3:4], v[3:4], v[53:54], v[55:56]
	buffer_store_dword v2, off, s[0:3], 0 offset:148
	buffer_store_dword v1, off, s[0:3], 0 offset:144
	;; [unrolled: 1-line block ×4, first 2 shown]
.LBB86_107:
	s_or_b32 exec_lo, exec_lo, s8
	v_mov_b32_e32 v4, s21
	v_cmp_lt_u32_e64 s5, 8, v0
	s_clause 0x3
	buffer_load_dword v1, v4, s[0:3], 0 offen
	buffer_load_dword v2, v4, s[0:3], 0 offen offset:4
	buffer_load_dword v3, v4, s[0:3], 0 offen offset:8
	;; [unrolled: 1-line block ×3, first 2 shown]
	s_waitcnt vmcnt(0)
	ds_write_b128 v52, v[1:4]
	s_waitcnt lgkmcnt(0)
	s_waitcnt_vscnt null, 0x0
	s_barrier
	buffer_gl0_inv
	s_and_saveexec_b32 s8, s5
	s_cbranch_execz .LBB86_115
; %bb.108:
	ds_read_b128 v[1:4], v52
	s_andn2_b32 vcc_lo, exec_lo, s29
	s_cbranch_vccnz .LBB86_110
; %bb.109:
	s_clause 0x3
	buffer_load_dword v53, v51, s[0:3], 0 offen offset:8
	buffer_load_dword v54, v51, s[0:3], 0 offen offset:12
	buffer_load_dword v55, v51, s[0:3], 0 offen
	buffer_load_dword v56, v51, s[0:3], 0 offen offset:4
	s_waitcnt vmcnt(2) lgkmcnt(0)
	v_mul_f64 v[58:59], v[3:4], v[53:54]
	v_mul_f64 v[53:54], v[1:2], v[53:54]
	s_waitcnt vmcnt(0)
	v_fma_f64 v[1:2], v[1:2], v[55:56], -v[58:59]
	v_fma_f64 v[3:4], v[3:4], v[55:56], v[53:54]
.LBB86_110:
	s_and_saveexec_b32 s30, s4
	s_cbranch_execz .LBB86_114
; %bb.111:
	v_add_nc_u32_e32 v53, -9, v0
	s_movk_i32 s31, 0x200
	s_mov_b32 s4, 0
	s_mov_b32 s33, s20
	.p2align	6
.LBB86_112:                             ; =>This Inner Loop Header: Depth=1
	v_mov_b32_e32 v56, s33
	v_add_nc_u32_e32 v53, -1, v53
	s_add_i32 s33, s33, 16
	s_clause 0x3
	buffer_load_dword v54, v56, s[0:3], 0 offen offset:8
	buffer_load_dword v55, v56, s[0:3], 0 offen offset:12
	buffer_load_dword v62, v56, s[0:3], 0 offen
	buffer_load_dword v63, v56, s[0:3], 0 offen offset:4
	v_mov_b32_e32 v56, s31
	v_cmp_eq_u32_e32 vcc_lo, 0, v53
	s_add_i32 s31, s31, 16
	ds_read_b128 v[58:61], v56
	s_or_b32 s4, vcc_lo, s4
	s_waitcnt vmcnt(2) lgkmcnt(0)
	v_mul_f64 v[64:65], v[60:61], v[54:55]
	v_mul_f64 v[54:55], v[58:59], v[54:55]
	s_waitcnt vmcnt(0)
	v_fma_f64 v[58:59], v[58:59], v[62:63], -v[64:65]
	v_fma_f64 v[54:55], v[60:61], v[62:63], v[54:55]
	v_add_f64 v[1:2], v[1:2], v[58:59]
	v_add_f64 v[3:4], v[3:4], v[54:55]
	s_andn2_b32 exec_lo, exec_lo, s4
	s_cbranch_execnz .LBB86_112
; %bb.113:
	s_or_b32 exec_lo, exec_lo, s4
.LBB86_114:
	s_or_b32 exec_lo, exec_lo, s30
	v_mov_b32_e32 v53, 0
	ds_read_b128 v[53:56], v53 offset:128
	s_waitcnt lgkmcnt(0)
	v_mul_f64 v[58:59], v[3:4], v[55:56]
	v_mul_f64 v[55:56], v[1:2], v[55:56]
	v_fma_f64 v[1:2], v[1:2], v[53:54], -v[58:59]
	v_fma_f64 v[3:4], v[3:4], v[53:54], v[55:56]
	buffer_store_dword v2, off, s[0:3], 0 offset:132
	buffer_store_dword v1, off, s[0:3], 0 offset:128
	;; [unrolled: 1-line block ×4, first 2 shown]
.LBB86_115:
	s_or_b32 exec_lo, exec_lo, s8
	v_mov_b32_e32 v4, s22
	v_cmp_lt_u32_e64 s4, 7, v0
	s_clause 0x3
	buffer_load_dword v1, v4, s[0:3], 0 offen
	buffer_load_dword v2, v4, s[0:3], 0 offen offset:4
	buffer_load_dword v3, v4, s[0:3], 0 offen offset:8
	;; [unrolled: 1-line block ×3, first 2 shown]
	s_waitcnt vmcnt(0)
	ds_write_b128 v52, v[1:4]
	s_waitcnt lgkmcnt(0)
	s_waitcnt_vscnt null, 0x0
	s_barrier
	buffer_gl0_inv
	s_and_saveexec_b32 s8, s4
	s_cbranch_execz .LBB86_123
; %bb.116:
	ds_read_b128 v[1:4], v52
	s_andn2_b32 vcc_lo, exec_lo, s29
	s_cbranch_vccnz .LBB86_118
; %bb.117:
	s_clause 0x3
	buffer_load_dword v53, v51, s[0:3], 0 offen offset:8
	buffer_load_dword v54, v51, s[0:3], 0 offen offset:12
	buffer_load_dword v55, v51, s[0:3], 0 offen
	buffer_load_dword v56, v51, s[0:3], 0 offen offset:4
	s_waitcnt vmcnt(2) lgkmcnt(0)
	v_mul_f64 v[58:59], v[3:4], v[53:54]
	v_mul_f64 v[53:54], v[1:2], v[53:54]
	s_waitcnt vmcnt(0)
	v_fma_f64 v[1:2], v[1:2], v[55:56], -v[58:59]
	v_fma_f64 v[3:4], v[3:4], v[55:56], v[53:54]
.LBB86_118:
	s_and_saveexec_b32 s30, s5
	s_cbranch_execz .LBB86_122
; %bb.119:
	v_add_nc_u32_e32 v53, -8, v0
	s_movk_i32 s31, 0x1f0
	s_mov_b32 s5, 0
	s_mov_b32 s33, s21
	.p2align	6
.LBB86_120:                             ; =>This Inner Loop Header: Depth=1
	v_mov_b32_e32 v56, s33
	v_add_nc_u32_e32 v53, -1, v53
	s_add_i32 s33, s33, 16
	s_clause 0x3
	buffer_load_dword v54, v56, s[0:3], 0 offen offset:8
	buffer_load_dword v55, v56, s[0:3], 0 offen offset:12
	buffer_load_dword v62, v56, s[0:3], 0 offen
	buffer_load_dword v63, v56, s[0:3], 0 offen offset:4
	v_mov_b32_e32 v56, s31
	v_cmp_eq_u32_e32 vcc_lo, 0, v53
	s_add_i32 s31, s31, 16
	ds_read_b128 v[58:61], v56
	s_or_b32 s5, vcc_lo, s5
	s_waitcnt vmcnt(2) lgkmcnt(0)
	v_mul_f64 v[64:65], v[60:61], v[54:55]
	v_mul_f64 v[54:55], v[58:59], v[54:55]
	s_waitcnt vmcnt(0)
	v_fma_f64 v[58:59], v[58:59], v[62:63], -v[64:65]
	v_fma_f64 v[54:55], v[60:61], v[62:63], v[54:55]
	v_add_f64 v[1:2], v[1:2], v[58:59]
	v_add_f64 v[3:4], v[3:4], v[54:55]
	s_andn2_b32 exec_lo, exec_lo, s5
	s_cbranch_execnz .LBB86_120
; %bb.121:
	s_or_b32 exec_lo, exec_lo, s5
.LBB86_122:
	s_or_b32 exec_lo, exec_lo, s30
	v_mov_b32_e32 v53, 0
	ds_read_b128 v[53:56], v53 offset:112
	s_waitcnt lgkmcnt(0)
	v_mul_f64 v[58:59], v[3:4], v[55:56]
	v_mul_f64 v[55:56], v[1:2], v[55:56]
	v_fma_f64 v[1:2], v[1:2], v[53:54], -v[58:59]
	v_fma_f64 v[3:4], v[3:4], v[53:54], v[55:56]
	buffer_store_dword v2, off, s[0:3], 0 offset:116
	buffer_store_dword v1, off, s[0:3], 0 offset:112
	buffer_store_dword v4, off, s[0:3], 0 offset:124
	buffer_store_dword v3, off, s[0:3], 0 offset:120
.LBB86_123:
	s_or_b32 exec_lo, exec_lo, s8
	v_mov_b32_e32 v4, s23
	v_cmp_lt_u32_e64 s5, 6, v0
	s_clause 0x3
	buffer_load_dword v1, v4, s[0:3], 0 offen
	buffer_load_dword v2, v4, s[0:3], 0 offen offset:4
	buffer_load_dword v3, v4, s[0:3], 0 offen offset:8
	;; [unrolled: 1-line block ×3, first 2 shown]
	s_waitcnt vmcnt(0)
	ds_write_b128 v52, v[1:4]
	s_waitcnt lgkmcnt(0)
	s_waitcnt_vscnt null, 0x0
	s_barrier
	buffer_gl0_inv
	s_and_saveexec_b32 s8, s5
	s_cbranch_execz .LBB86_131
; %bb.124:
	ds_read_b128 v[1:4], v52
	s_andn2_b32 vcc_lo, exec_lo, s29
	s_cbranch_vccnz .LBB86_126
; %bb.125:
	s_clause 0x3
	buffer_load_dword v53, v51, s[0:3], 0 offen offset:8
	buffer_load_dword v54, v51, s[0:3], 0 offen offset:12
	buffer_load_dword v55, v51, s[0:3], 0 offen
	buffer_load_dword v56, v51, s[0:3], 0 offen offset:4
	s_waitcnt vmcnt(2) lgkmcnt(0)
	v_mul_f64 v[58:59], v[3:4], v[53:54]
	v_mul_f64 v[53:54], v[1:2], v[53:54]
	s_waitcnt vmcnt(0)
	v_fma_f64 v[1:2], v[1:2], v[55:56], -v[58:59]
	v_fma_f64 v[3:4], v[3:4], v[55:56], v[53:54]
.LBB86_126:
	s_and_saveexec_b32 s30, s4
	s_cbranch_execz .LBB86_130
; %bb.127:
	v_add_nc_u32_e32 v53, -7, v0
	s_movk_i32 s31, 0x1e0
	s_mov_b32 s4, 0
	s_mov_b32 s33, s22
	.p2align	6
.LBB86_128:                             ; =>This Inner Loop Header: Depth=1
	v_mov_b32_e32 v56, s33
	v_add_nc_u32_e32 v53, -1, v53
	s_add_i32 s33, s33, 16
	s_clause 0x3
	buffer_load_dword v54, v56, s[0:3], 0 offen offset:8
	buffer_load_dword v55, v56, s[0:3], 0 offen offset:12
	buffer_load_dword v62, v56, s[0:3], 0 offen
	buffer_load_dword v63, v56, s[0:3], 0 offen offset:4
	v_mov_b32_e32 v56, s31
	v_cmp_eq_u32_e32 vcc_lo, 0, v53
	s_add_i32 s31, s31, 16
	ds_read_b128 v[58:61], v56
	s_or_b32 s4, vcc_lo, s4
	s_waitcnt vmcnt(2) lgkmcnt(0)
	v_mul_f64 v[64:65], v[60:61], v[54:55]
	v_mul_f64 v[54:55], v[58:59], v[54:55]
	s_waitcnt vmcnt(0)
	v_fma_f64 v[58:59], v[58:59], v[62:63], -v[64:65]
	v_fma_f64 v[54:55], v[60:61], v[62:63], v[54:55]
	v_add_f64 v[1:2], v[1:2], v[58:59]
	v_add_f64 v[3:4], v[3:4], v[54:55]
	s_andn2_b32 exec_lo, exec_lo, s4
	s_cbranch_execnz .LBB86_128
; %bb.129:
	s_or_b32 exec_lo, exec_lo, s4
.LBB86_130:
	s_or_b32 exec_lo, exec_lo, s30
	v_mov_b32_e32 v53, 0
	ds_read_b128 v[53:56], v53 offset:96
	s_waitcnt lgkmcnt(0)
	v_mul_f64 v[58:59], v[3:4], v[55:56]
	v_mul_f64 v[55:56], v[1:2], v[55:56]
	v_fma_f64 v[1:2], v[1:2], v[53:54], -v[58:59]
	v_fma_f64 v[3:4], v[3:4], v[53:54], v[55:56]
	buffer_store_dword v2, off, s[0:3], 0 offset:100
	buffer_store_dword v1, off, s[0:3], 0 offset:96
	buffer_store_dword v4, off, s[0:3], 0 offset:108
	buffer_store_dword v3, off, s[0:3], 0 offset:104
.LBB86_131:
	s_or_b32 exec_lo, exec_lo, s8
	v_mov_b32_e32 v4, s24
	v_cmp_lt_u32_e64 s4, 5, v0
	s_clause 0x3
	buffer_load_dword v1, v4, s[0:3], 0 offen
	buffer_load_dword v2, v4, s[0:3], 0 offen offset:4
	buffer_load_dword v3, v4, s[0:3], 0 offen offset:8
	;; [unrolled: 1-line block ×3, first 2 shown]
	s_waitcnt vmcnt(0)
	ds_write_b128 v52, v[1:4]
	s_waitcnt lgkmcnt(0)
	s_waitcnt_vscnt null, 0x0
	s_barrier
	buffer_gl0_inv
	s_and_saveexec_b32 s8, s4
	s_cbranch_execz .LBB86_139
; %bb.132:
	ds_read_b128 v[1:4], v52
	s_andn2_b32 vcc_lo, exec_lo, s29
	s_cbranch_vccnz .LBB86_134
; %bb.133:
	s_clause 0x3
	buffer_load_dword v53, v51, s[0:3], 0 offen offset:8
	buffer_load_dword v54, v51, s[0:3], 0 offen offset:12
	buffer_load_dword v55, v51, s[0:3], 0 offen
	buffer_load_dword v56, v51, s[0:3], 0 offen offset:4
	s_waitcnt vmcnt(2) lgkmcnt(0)
	v_mul_f64 v[58:59], v[3:4], v[53:54]
	v_mul_f64 v[53:54], v[1:2], v[53:54]
	s_waitcnt vmcnt(0)
	v_fma_f64 v[1:2], v[1:2], v[55:56], -v[58:59]
	v_fma_f64 v[3:4], v[3:4], v[55:56], v[53:54]
.LBB86_134:
	s_and_saveexec_b32 s30, s5
	s_cbranch_execz .LBB86_138
; %bb.135:
	v_add_nc_u32_e32 v53, -6, v0
	s_movk_i32 s31, 0x1d0
	s_mov_b32 s5, 0
	s_mov_b32 s33, s23
	.p2align	6
.LBB86_136:                             ; =>This Inner Loop Header: Depth=1
	v_mov_b32_e32 v56, s33
	v_add_nc_u32_e32 v53, -1, v53
	s_add_i32 s33, s33, 16
	s_clause 0x3
	buffer_load_dword v54, v56, s[0:3], 0 offen offset:8
	buffer_load_dword v55, v56, s[0:3], 0 offen offset:12
	buffer_load_dword v62, v56, s[0:3], 0 offen
	buffer_load_dword v63, v56, s[0:3], 0 offen offset:4
	v_mov_b32_e32 v56, s31
	v_cmp_eq_u32_e32 vcc_lo, 0, v53
	s_add_i32 s31, s31, 16
	ds_read_b128 v[58:61], v56
	s_or_b32 s5, vcc_lo, s5
	s_waitcnt vmcnt(2) lgkmcnt(0)
	v_mul_f64 v[64:65], v[60:61], v[54:55]
	v_mul_f64 v[54:55], v[58:59], v[54:55]
	s_waitcnt vmcnt(0)
	v_fma_f64 v[58:59], v[58:59], v[62:63], -v[64:65]
	v_fma_f64 v[54:55], v[60:61], v[62:63], v[54:55]
	v_add_f64 v[1:2], v[1:2], v[58:59]
	v_add_f64 v[3:4], v[3:4], v[54:55]
	s_andn2_b32 exec_lo, exec_lo, s5
	s_cbranch_execnz .LBB86_136
; %bb.137:
	s_or_b32 exec_lo, exec_lo, s5
.LBB86_138:
	s_or_b32 exec_lo, exec_lo, s30
	v_mov_b32_e32 v53, 0
	ds_read_b128 v[53:56], v53 offset:80
	s_waitcnt lgkmcnt(0)
	v_mul_f64 v[58:59], v[3:4], v[55:56]
	v_mul_f64 v[55:56], v[1:2], v[55:56]
	v_fma_f64 v[1:2], v[1:2], v[53:54], -v[58:59]
	v_fma_f64 v[3:4], v[3:4], v[53:54], v[55:56]
	buffer_store_dword v2, off, s[0:3], 0 offset:84
	buffer_store_dword v1, off, s[0:3], 0 offset:80
	;; [unrolled: 1-line block ×4, first 2 shown]
.LBB86_139:
	s_or_b32 exec_lo, exec_lo, s8
	v_mov_b32_e32 v4, s25
	v_cmp_lt_u32_e64 s5, 4, v0
	s_clause 0x3
	buffer_load_dword v1, v4, s[0:3], 0 offen
	buffer_load_dword v2, v4, s[0:3], 0 offen offset:4
	buffer_load_dword v3, v4, s[0:3], 0 offen offset:8
	;; [unrolled: 1-line block ×3, first 2 shown]
	s_waitcnt vmcnt(0)
	ds_write_b128 v52, v[1:4]
	s_waitcnt lgkmcnt(0)
	s_waitcnt_vscnt null, 0x0
	s_barrier
	buffer_gl0_inv
	s_and_saveexec_b32 s8, s5
	s_cbranch_execz .LBB86_147
; %bb.140:
	ds_read_b128 v[1:4], v52
	s_andn2_b32 vcc_lo, exec_lo, s29
	s_cbranch_vccnz .LBB86_142
; %bb.141:
	s_clause 0x3
	buffer_load_dword v53, v51, s[0:3], 0 offen offset:8
	buffer_load_dword v54, v51, s[0:3], 0 offen offset:12
	buffer_load_dword v55, v51, s[0:3], 0 offen
	buffer_load_dword v56, v51, s[0:3], 0 offen offset:4
	s_waitcnt vmcnt(2) lgkmcnt(0)
	v_mul_f64 v[58:59], v[3:4], v[53:54]
	v_mul_f64 v[53:54], v[1:2], v[53:54]
	s_waitcnt vmcnt(0)
	v_fma_f64 v[1:2], v[1:2], v[55:56], -v[58:59]
	v_fma_f64 v[3:4], v[3:4], v[55:56], v[53:54]
.LBB86_142:
	s_and_saveexec_b32 s30, s4
	s_cbranch_execz .LBB86_146
; %bb.143:
	v_add_nc_u32_e32 v53, -5, v0
	s_movk_i32 s31, 0x1c0
	s_mov_b32 s4, 0
	s_mov_b32 s33, s24
	.p2align	6
.LBB86_144:                             ; =>This Inner Loop Header: Depth=1
	v_mov_b32_e32 v56, s33
	v_add_nc_u32_e32 v53, -1, v53
	s_add_i32 s33, s33, 16
	s_clause 0x3
	buffer_load_dword v54, v56, s[0:3], 0 offen offset:8
	buffer_load_dword v55, v56, s[0:3], 0 offen offset:12
	buffer_load_dword v62, v56, s[0:3], 0 offen
	buffer_load_dword v63, v56, s[0:3], 0 offen offset:4
	v_mov_b32_e32 v56, s31
	v_cmp_eq_u32_e32 vcc_lo, 0, v53
	s_add_i32 s31, s31, 16
	ds_read_b128 v[58:61], v56
	s_or_b32 s4, vcc_lo, s4
	s_waitcnt vmcnt(2) lgkmcnt(0)
	v_mul_f64 v[64:65], v[60:61], v[54:55]
	v_mul_f64 v[54:55], v[58:59], v[54:55]
	s_waitcnt vmcnt(0)
	v_fma_f64 v[58:59], v[58:59], v[62:63], -v[64:65]
	v_fma_f64 v[54:55], v[60:61], v[62:63], v[54:55]
	v_add_f64 v[1:2], v[1:2], v[58:59]
	v_add_f64 v[3:4], v[3:4], v[54:55]
	s_andn2_b32 exec_lo, exec_lo, s4
	s_cbranch_execnz .LBB86_144
; %bb.145:
	s_or_b32 exec_lo, exec_lo, s4
.LBB86_146:
	s_or_b32 exec_lo, exec_lo, s30
	v_mov_b32_e32 v53, 0
	ds_read_b128 v[53:56], v53 offset:64
	s_waitcnt lgkmcnt(0)
	v_mul_f64 v[58:59], v[3:4], v[55:56]
	v_mul_f64 v[55:56], v[1:2], v[55:56]
	v_fma_f64 v[1:2], v[1:2], v[53:54], -v[58:59]
	v_fma_f64 v[3:4], v[3:4], v[53:54], v[55:56]
	buffer_store_dword v2, off, s[0:3], 0 offset:68
	buffer_store_dword v1, off, s[0:3], 0 offset:64
	;; [unrolled: 1-line block ×4, first 2 shown]
.LBB86_147:
	s_or_b32 exec_lo, exec_lo, s8
	v_mov_b32_e32 v4, s26
	v_cmp_lt_u32_e64 s4, 3, v0
	s_clause 0x3
	buffer_load_dword v1, v4, s[0:3], 0 offen
	buffer_load_dword v2, v4, s[0:3], 0 offen offset:4
	buffer_load_dword v3, v4, s[0:3], 0 offen offset:8
	;; [unrolled: 1-line block ×3, first 2 shown]
	s_waitcnt vmcnt(0)
	ds_write_b128 v52, v[1:4]
	s_waitcnt lgkmcnt(0)
	s_waitcnt_vscnt null, 0x0
	s_barrier
	buffer_gl0_inv
	s_and_saveexec_b32 s8, s4
	s_cbranch_execz .LBB86_155
; %bb.148:
	ds_read_b128 v[1:4], v52
	s_andn2_b32 vcc_lo, exec_lo, s29
	s_cbranch_vccnz .LBB86_150
; %bb.149:
	s_clause 0x3
	buffer_load_dword v53, v51, s[0:3], 0 offen offset:8
	buffer_load_dword v54, v51, s[0:3], 0 offen offset:12
	buffer_load_dword v55, v51, s[0:3], 0 offen
	buffer_load_dword v56, v51, s[0:3], 0 offen offset:4
	s_waitcnt vmcnt(2) lgkmcnt(0)
	v_mul_f64 v[58:59], v[3:4], v[53:54]
	v_mul_f64 v[53:54], v[1:2], v[53:54]
	s_waitcnt vmcnt(0)
	v_fma_f64 v[1:2], v[1:2], v[55:56], -v[58:59]
	v_fma_f64 v[3:4], v[3:4], v[55:56], v[53:54]
.LBB86_150:
	s_and_saveexec_b32 s30, s5
	s_cbranch_execz .LBB86_154
; %bb.151:
	v_add_nc_u32_e32 v53, -4, v0
	s_movk_i32 s31, 0x1b0
	s_mov_b32 s5, 0
	s_mov_b32 s33, s25
	.p2align	6
.LBB86_152:                             ; =>This Inner Loop Header: Depth=1
	v_mov_b32_e32 v56, s33
	v_add_nc_u32_e32 v53, -1, v53
	s_add_i32 s33, s33, 16
	s_clause 0x3
	buffer_load_dword v54, v56, s[0:3], 0 offen offset:8
	buffer_load_dword v55, v56, s[0:3], 0 offen offset:12
	buffer_load_dword v62, v56, s[0:3], 0 offen
	buffer_load_dword v63, v56, s[0:3], 0 offen offset:4
	v_mov_b32_e32 v56, s31
	v_cmp_eq_u32_e32 vcc_lo, 0, v53
	s_add_i32 s31, s31, 16
	ds_read_b128 v[58:61], v56
	s_or_b32 s5, vcc_lo, s5
	s_waitcnt vmcnt(2) lgkmcnt(0)
	v_mul_f64 v[64:65], v[60:61], v[54:55]
	v_mul_f64 v[54:55], v[58:59], v[54:55]
	s_waitcnt vmcnt(0)
	v_fma_f64 v[58:59], v[58:59], v[62:63], -v[64:65]
	v_fma_f64 v[54:55], v[60:61], v[62:63], v[54:55]
	v_add_f64 v[1:2], v[1:2], v[58:59]
	v_add_f64 v[3:4], v[3:4], v[54:55]
	s_andn2_b32 exec_lo, exec_lo, s5
	s_cbranch_execnz .LBB86_152
; %bb.153:
	s_or_b32 exec_lo, exec_lo, s5
.LBB86_154:
	s_or_b32 exec_lo, exec_lo, s30
	v_mov_b32_e32 v53, 0
	ds_read_b128 v[53:56], v53 offset:48
	s_waitcnt lgkmcnt(0)
	v_mul_f64 v[58:59], v[3:4], v[55:56]
	v_mul_f64 v[55:56], v[1:2], v[55:56]
	v_fma_f64 v[1:2], v[1:2], v[53:54], -v[58:59]
	v_fma_f64 v[3:4], v[3:4], v[53:54], v[55:56]
	buffer_store_dword v2, off, s[0:3], 0 offset:52
	buffer_store_dword v1, off, s[0:3], 0 offset:48
	;; [unrolled: 1-line block ×4, first 2 shown]
.LBB86_155:
	s_or_b32 exec_lo, exec_lo, s8
	v_mov_b32_e32 v4, s27
	v_cmp_lt_u32_e64 s5, 2, v0
	s_clause 0x3
	buffer_load_dword v1, v4, s[0:3], 0 offen
	buffer_load_dword v2, v4, s[0:3], 0 offen offset:4
	buffer_load_dword v3, v4, s[0:3], 0 offen offset:8
	;; [unrolled: 1-line block ×3, first 2 shown]
	s_waitcnt vmcnt(0)
	ds_write_b128 v52, v[1:4]
	s_waitcnt lgkmcnt(0)
	s_waitcnt_vscnt null, 0x0
	s_barrier
	buffer_gl0_inv
	s_and_saveexec_b32 s8, s5
	s_cbranch_execz .LBB86_163
; %bb.156:
	ds_read_b128 v[1:4], v52
	s_andn2_b32 vcc_lo, exec_lo, s29
	s_cbranch_vccnz .LBB86_158
; %bb.157:
	s_clause 0x3
	buffer_load_dword v53, v51, s[0:3], 0 offen offset:8
	buffer_load_dword v54, v51, s[0:3], 0 offen offset:12
	buffer_load_dword v55, v51, s[0:3], 0 offen
	buffer_load_dword v56, v51, s[0:3], 0 offen offset:4
	s_waitcnt vmcnt(2) lgkmcnt(0)
	v_mul_f64 v[58:59], v[3:4], v[53:54]
	v_mul_f64 v[53:54], v[1:2], v[53:54]
	s_waitcnt vmcnt(0)
	v_fma_f64 v[1:2], v[1:2], v[55:56], -v[58:59]
	v_fma_f64 v[3:4], v[3:4], v[55:56], v[53:54]
.LBB86_158:
	s_and_saveexec_b32 s30, s4
	s_cbranch_execz .LBB86_162
; %bb.159:
	v_add_nc_u32_e32 v53, -3, v0
	s_movk_i32 s31, 0x1a0
	s_mov_b32 s4, 0
	s_mov_b32 s33, s26
	.p2align	6
.LBB86_160:                             ; =>This Inner Loop Header: Depth=1
	v_mov_b32_e32 v56, s33
	v_add_nc_u32_e32 v53, -1, v53
	s_add_i32 s33, s33, 16
	s_clause 0x3
	buffer_load_dword v54, v56, s[0:3], 0 offen offset:8
	buffer_load_dword v55, v56, s[0:3], 0 offen offset:12
	buffer_load_dword v62, v56, s[0:3], 0 offen
	buffer_load_dword v63, v56, s[0:3], 0 offen offset:4
	v_mov_b32_e32 v56, s31
	v_cmp_eq_u32_e32 vcc_lo, 0, v53
	s_add_i32 s31, s31, 16
	ds_read_b128 v[58:61], v56
	s_or_b32 s4, vcc_lo, s4
	s_waitcnt vmcnt(2) lgkmcnt(0)
	v_mul_f64 v[64:65], v[60:61], v[54:55]
	v_mul_f64 v[54:55], v[58:59], v[54:55]
	s_waitcnt vmcnt(0)
	v_fma_f64 v[58:59], v[58:59], v[62:63], -v[64:65]
	v_fma_f64 v[54:55], v[60:61], v[62:63], v[54:55]
	v_add_f64 v[1:2], v[1:2], v[58:59]
	v_add_f64 v[3:4], v[3:4], v[54:55]
	s_andn2_b32 exec_lo, exec_lo, s4
	s_cbranch_execnz .LBB86_160
; %bb.161:
	s_or_b32 exec_lo, exec_lo, s4
.LBB86_162:
	s_or_b32 exec_lo, exec_lo, s30
	v_mov_b32_e32 v53, 0
	ds_read_b128 v[53:56], v53 offset:32
	s_waitcnt lgkmcnt(0)
	v_mul_f64 v[58:59], v[3:4], v[55:56]
	v_mul_f64 v[55:56], v[1:2], v[55:56]
	v_fma_f64 v[1:2], v[1:2], v[53:54], -v[58:59]
	v_fma_f64 v[3:4], v[3:4], v[53:54], v[55:56]
	buffer_store_dword v2, off, s[0:3], 0 offset:36
	buffer_store_dword v1, off, s[0:3], 0 offset:32
	;; [unrolled: 1-line block ×4, first 2 shown]
.LBB86_163:
	s_or_b32 exec_lo, exec_lo, s8
	v_mov_b32_e32 v4, s28
	v_cmp_lt_u32_e64 s4, 1, v0
	s_clause 0x3
	buffer_load_dword v1, v4, s[0:3], 0 offen
	buffer_load_dword v2, v4, s[0:3], 0 offen offset:4
	buffer_load_dword v3, v4, s[0:3], 0 offen offset:8
	;; [unrolled: 1-line block ×3, first 2 shown]
	s_waitcnt vmcnt(0)
	ds_write_b128 v52, v[1:4]
	s_waitcnt lgkmcnt(0)
	s_waitcnt_vscnt null, 0x0
	s_barrier
	buffer_gl0_inv
	s_and_saveexec_b32 s8, s4
	s_cbranch_execz .LBB86_171
; %bb.164:
	ds_read_b128 v[1:4], v52
	s_andn2_b32 vcc_lo, exec_lo, s29
	s_cbranch_vccnz .LBB86_166
; %bb.165:
	s_clause 0x3
	buffer_load_dword v53, v51, s[0:3], 0 offen offset:8
	buffer_load_dword v54, v51, s[0:3], 0 offen offset:12
	buffer_load_dword v55, v51, s[0:3], 0 offen
	buffer_load_dword v56, v51, s[0:3], 0 offen offset:4
	s_waitcnt vmcnt(2) lgkmcnt(0)
	v_mul_f64 v[58:59], v[3:4], v[53:54]
	v_mul_f64 v[53:54], v[1:2], v[53:54]
	s_waitcnt vmcnt(0)
	v_fma_f64 v[1:2], v[1:2], v[55:56], -v[58:59]
	v_fma_f64 v[3:4], v[3:4], v[55:56], v[53:54]
.LBB86_166:
	s_and_saveexec_b32 s30, s5
	s_cbranch_execz .LBB86_170
; %bb.167:
	v_add_nc_u32_e32 v53, -2, v0
	s_movk_i32 s31, 0x190
	s_mov_b32 s5, 0
	s_mov_b32 s33, s27
	.p2align	6
.LBB86_168:                             ; =>This Inner Loop Header: Depth=1
	v_mov_b32_e32 v56, s33
	v_add_nc_u32_e32 v53, -1, v53
	s_add_i32 s33, s33, 16
	s_clause 0x3
	buffer_load_dword v54, v56, s[0:3], 0 offen offset:8
	buffer_load_dword v55, v56, s[0:3], 0 offen offset:12
	buffer_load_dword v62, v56, s[0:3], 0 offen
	buffer_load_dword v63, v56, s[0:3], 0 offen offset:4
	v_mov_b32_e32 v56, s31
	v_cmp_eq_u32_e32 vcc_lo, 0, v53
	s_add_i32 s31, s31, 16
	ds_read_b128 v[58:61], v56
	s_or_b32 s5, vcc_lo, s5
	s_waitcnt vmcnt(2) lgkmcnt(0)
	v_mul_f64 v[64:65], v[60:61], v[54:55]
	v_mul_f64 v[54:55], v[58:59], v[54:55]
	s_waitcnt vmcnt(0)
	v_fma_f64 v[58:59], v[58:59], v[62:63], -v[64:65]
	v_fma_f64 v[54:55], v[60:61], v[62:63], v[54:55]
	v_add_f64 v[1:2], v[1:2], v[58:59]
	v_add_f64 v[3:4], v[3:4], v[54:55]
	s_andn2_b32 exec_lo, exec_lo, s5
	s_cbranch_execnz .LBB86_168
; %bb.169:
	s_or_b32 exec_lo, exec_lo, s5
.LBB86_170:
	s_or_b32 exec_lo, exec_lo, s30
	v_mov_b32_e32 v53, 0
	ds_read_b128 v[53:56], v53 offset:16
	s_waitcnt lgkmcnt(0)
	v_mul_f64 v[58:59], v[3:4], v[55:56]
	v_mul_f64 v[55:56], v[1:2], v[55:56]
	v_fma_f64 v[1:2], v[1:2], v[53:54], -v[58:59]
	v_fma_f64 v[3:4], v[3:4], v[53:54], v[55:56]
	buffer_store_dword v2, off, s[0:3], 0 offset:20
	buffer_store_dword v1, off, s[0:3], 0 offset:16
	buffer_store_dword v4, off, s[0:3], 0 offset:28
	buffer_store_dword v3, off, s[0:3], 0 offset:24
.LBB86_171:
	s_or_b32 exec_lo, exec_lo, s8
	s_clause 0x3
	buffer_load_dword v1, off, s[0:3], 0
	buffer_load_dword v2, off, s[0:3], 0 offset:4
	buffer_load_dword v3, off, s[0:3], 0 offset:8
	;; [unrolled: 1-line block ×3, first 2 shown]
	s_mov_b32 s8, 0
	s_mov_b32 s5, 0
	s_mov_b32 s30, exec_lo
                                        ; implicit-def: $sgpr31
	s_waitcnt vmcnt(0)
	ds_write_b128 v52, v[1:4]
	s_waitcnt lgkmcnt(0)
	s_waitcnt_vscnt null, 0x0
	s_barrier
	buffer_gl0_inv
                                        ; implicit-def: $vgpr1_vgpr2
	v_cmpx_ne_u32_e32 0, v0
	s_cbranch_execz .LBB86_179
; %bb.172:
	ds_read_b128 v[1:4], v52
	s_andn2_b32 vcc_lo, exec_lo, s29
	s_cbranch_vccnz .LBB86_174
; %bb.173:
	s_clause 0x3
	buffer_load_dword v53, v51, s[0:3], 0 offen offset:8
	buffer_load_dword v54, v51, s[0:3], 0 offen offset:12
	buffer_load_dword v55, v51, s[0:3], 0 offen
	buffer_load_dword v56, v51, s[0:3], 0 offen offset:4
	s_waitcnt vmcnt(2) lgkmcnt(0)
	v_mul_f64 v[58:59], v[3:4], v[53:54]
	v_mul_f64 v[53:54], v[1:2], v[53:54]
	s_waitcnt vmcnt(0)
	v_fma_f64 v[1:2], v[1:2], v[55:56], -v[58:59]
	v_fma_f64 v[3:4], v[3:4], v[55:56], v[53:54]
.LBB86_174:
	s_and_saveexec_b32 s5, s4
	s_cbranch_execz .LBB86_178
; %bb.175:
	v_add_nc_u32_e32 v53, -1, v0
	s_movk_i32 s31, 0x180
	s_mov_b32 s4, 0
	s_mov_b32 s33, s28
	.p2align	6
.LBB86_176:                             ; =>This Inner Loop Header: Depth=1
	v_mov_b32_e32 v56, s33
	v_add_nc_u32_e32 v53, -1, v53
	s_add_i32 s33, s33, 16
	s_clause 0x3
	buffer_load_dword v54, v56, s[0:3], 0 offen offset:8
	buffer_load_dword v55, v56, s[0:3], 0 offen offset:12
	buffer_load_dword v62, v56, s[0:3], 0 offen
	buffer_load_dword v63, v56, s[0:3], 0 offen offset:4
	v_mov_b32_e32 v56, s31
	v_cmp_eq_u32_e32 vcc_lo, 0, v53
	s_add_i32 s31, s31, 16
	ds_read_b128 v[58:61], v56
	s_or_b32 s4, vcc_lo, s4
	s_waitcnt vmcnt(2) lgkmcnt(0)
	v_mul_f64 v[64:65], v[60:61], v[54:55]
	v_mul_f64 v[54:55], v[58:59], v[54:55]
	s_waitcnt vmcnt(0)
	v_fma_f64 v[58:59], v[58:59], v[62:63], -v[64:65]
	v_fma_f64 v[54:55], v[60:61], v[62:63], v[54:55]
	v_add_f64 v[1:2], v[1:2], v[58:59]
	v_add_f64 v[3:4], v[3:4], v[54:55]
	s_andn2_b32 exec_lo, exec_lo, s4
	s_cbranch_execnz .LBB86_176
; %bb.177:
	s_or_b32 exec_lo, exec_lo, s4
.LBB86_178:
	s_or_b32 exec_lo, exec_lo, s5
	v_mov_b32_e32 v53, 0
	s_mov_b32 s5, exec_lo
	s_or_b32 s31, 0, 8
	ds_read_b128 v[53:56], v53
	s_waitcnt lgkmcnt(0)
	v_mul_f64 v[58:59], v[3:4], v[55:56]
	v_mul_f64 v[55:56], v[1:2], v[55:56]
	v_fma_f64 v[58:59], v[1:2], v[53:54], -v[58:59]
	v_fma_f64 v[1:2], v[3:4], v[53:54], v[55:56]
	buffer_store_dword v59, off, s[0:3], 0 offset:4
	buffer_store_dword v58, off, s[0:3], 0
.LBB86_179:
	s_or_b32 exec_lo, exec_lo, s30
	s_and_b32 vcc_lo, exec_lo, s8
	s_cbranch_vccnz .LBB86_181
	s_branch .LBB86_352
.LBB86_180:
	s_mov_b32 s5, 0
                                        ; implicit-def: $vgpr1_vgpr2
                                        ; implicit-def: $sgpr31
	s_cbranch_execz .LBB86_352
.LBB86_181:
	v_mov_b32_e32 v4, s28
	v_cmp_eq_u32_e64 s4, 0, v0
	v_cndmask_b32_e64 v53, 0, 1, s29
	s_clause 0x3
	buffer_load_dword v1, v4, s[0:3], 0 offen
	buffer_load_dword v2, v4, s[0:3], 0 offen offset:4
	buffer_load_dword v3, v4, s[0:3], 0 offen offset:8
	;; [unrolled: 1-line block ×3, first 2 shown]
	s_waitcnt vmcnt(0)
	ds_write_b128 v52, v[1:4]
	s_waitcnt lgkmcnt(0)
	s_waitcnt_vscnt null, 0x0
	s_barrier
	buffer_gl0_inv
	s_and_saveexec_b32 s8, s4
	s_cbranch_execz .LBB86_185
; %bb.182:
	ds_read_b128 v[1:4], v52
	s_andn2_b32 vcc_lo, exec_lo, s29
	s_cbranch_vccnz .LBB86_184
; %bb.183:
	s_clause 0x3
	buffer_load_dword v54, v51, s[0:3], 0 offen offset:8
	buffer_load_dword v55, v51, s[0:3], 0 offen offset:12
	buffer_load_dword v58, v51, s[0:3], 0 offen
	buffer_load_dword v59, v51, s[0:3], 0 offen offset:4
	s_waitcnt vmcnt(2) lgkmcnt(0)
	v_mul_f64 v[60:61], v[3:4], v[54:55]
	v_mul_f64 v[54:55], v[1:2], v[54:55]
	s_waitcnt vmcnt(0)
	v_fma_f64 v[1:2], v[1:2], v[58:59], -v[60:61]
	v_fma_f64 v[3:4], v[3:4], v[58:59], v[54:55]
.LBB86_184:
	v_mov_b32_e32 v54, 0
	ds_read_b128 v[58:61], v54 offset:16
	s_waitcnt lgkmcnt(0)
	v_mul_f64 v[54:55], v[3:4], v[60:61]
	v_mul_f64 v[60:61], v[1:2], v[60:61]
	v_fma_f64 v[1:2], v[1:2], v[58:59], -v[54:55]
	v_fma_f64 v[3:4], v[3:4], v[58:59], v[60:61]
	buffer_store_dword v2, off, s[0:3], 0 offset:20
	buffer_store_dword v1, off, s[0:3], 0 offset:16
	;; [unrolled: 1-line block ×4, first 2 shown]
.LBB86_185:
	s_or_b32 exec_lo, exec_lo, s8
	v_mov_b32_e32 v4, s27
	s_mov_b32 s8, exec_lo
	s_clause 0x3
	buffer_load_dword v1, v4, s[0:3], 0 offen
	buffer_load_dword v2, v4, s[0:3], 0 offen offset:4
	buffer_load_dword v3, v4, s[0:3], 0 offen offset:8
	;; [unrolled: 1-line block ×3, first 2 shown]
	s_waitcnt vmcnt(0)
	ds_write_b128 v52, v[1:4]
	s_waitcnt lgkmcnt(0)
	s_waitcnt_vscnt null, 0x0
	s_barrier
	buffer_gl0_inv
	v_cmpx_gt_u32_e32 2, v0
	s_cbranch_execz .LBB86_191
; %bb.186:
	ds_read_b128 v[1:4], v52
	v_cmp_ne_u32_e32 vcc_lo, 1, v53
	s_cbranch_vccnz .LBB86_188
; %bb.187:
	s_clause 0x3
	buffer_load_dword v54, v51, s[0:3], 0 offen offset:8
	buffer_load_dword v55, v51, s[0:3], 0 offen offset:12
	buffer_load_dword v58, v51, s[0:3], 0 offen
	buffer_load_dword v59, v51, s[0:3], 0 offen offset:4
	s_waitcnt vmcnt(2) lgkmcnt(0)
	v_mul_f64 v[60:61], v[3:4], v[54:55]
	v_mul_f64 v[54:55], v[1:2], v[54:55]
	s_waitcnt vmcnt(0)
	v_fma_f64 v[1:2], v[1:2], v[58:59], -v[60:61]
	v_fma_f64 v[3:4], v[3:4], v[58:59], v[54:55]
.LBB86_188:
	s_and_saveexec_b32 s29, s4
	s_cbranch_execz .LBB86_190
; %bb.189:
	s_clause 0x3
	buffer_load_dword v54, off, s[0:3], 0 offset:24
	buffer_load_dword v55, off, s[0:3], 0 offset:28
	;; [unrolled: 1-line block ×4, first 2 shown]
	v_mov_b32_e32 v56, 0
	ds_read_b128 v[58:61], v56 offset:384
	s_waitcnt vmcnt(2) lgkmcnt(0)
	v_mul_f64 v[64:65], v[60:61], v[54:55]
	v_mul_f64 v[54:55], v[58:59], v[54:55]
	s_waitcnt vmcnt(0)
	v_fma_f64 v[58:59], v[58:59], v[62:63], -v[64:65]
	v_fma_f64 v[54:55], v[60:61], v[62:63], v[54:55]
	v_add_f64 v[1:2], v[1:2], v[58:59]
	v_add_f64 v[3:4], v[3:4], v[54:55]
.LBB86_190:
	s_or_b32 exec_lo, exec_lo, s29
	v_mov_b32_e32 v54, 0
	ds_read_b128 v[58:61], v54 offset:32
	s_waitcnt lgkmcnt(0)
	v_mul_f64 v[54:55], v[3:4], v[60:61]
	v_mul_f64 v[60:61], v[1:2], v[60:61]
	v_fma_f64 v[1:2], v[1:2], v[58:59], -v[54:55]
	v_fma_f64 v[3:4], v[3:4], v[58:59], v[60:61]
	buffer_store_dword v2, off, s[0:3], 0 offset:36
	buffer_store_dword v1, off, s[0:3], 0 offset:32
	;; [unrolled: 1-line block ×4, first 2 shown]
.LBB86_191:
	s_or_b32 exec_lo, exec_lo, s8
	v_mov_b32_e32 v4, s26
	s_mov_b32 s8, exec_lo
	s_clause 0x3
	buffer_load_dword v1, v4, s[0:3], 0 offen
	buffer_load_dword v2, v4, s[0:3], 0 offen offset:4
	buffer_load_dword v3, v4, s[0:3], 0 offen offset:8
	;; [unrolled: 1-line block ×3, first 2 shown]
	s_waitcnt vmcnt(0)
	ds_write_b128 v52, v[1:4]
	s_waitcnt lgkmcnt(0)
	s_waitcnt_vscnt null, 0x0
	s_barrier
	buffer_gl0_inv
	v_cmpx_gt_u32_e32 3, v0
	s_cbranch_execz .LBB86_199
; %bb.192:
	ds_read_b128 v[1:4], v52
	v_cmp_ne_u32_e32 vcc_lo, 1, v53
	s_cbranch_vccnz .LBB86_194
; %bb.193:
	s_clause 0x3
	buffer_load_dword v54, v51, s[0:3], 0 offen offset:8
	buffer_load_dword v55, v51, s[0:3], 0 offen offset:12
	buffer_load_dword v58, v51, s[0:3], 0 offen
	buffer_load_dword v59, v51, s[0:3], 0 offen offset:4
	s_waitcnt vmcnt(2) lgkmcnt(0)
	v_mul_f64 v[60:61], v[3:4], v[54:55]
	v_mul_f64 v[54:55], v[1:2], v[54:55]
	s_waitcnt vmcnt(0)
	v_fma_f64 v[1:2], v[1:2], v[58:59], -v[60:61]
	v_fma_f64 v[3:4], v[3:4], v[58:59], v[54:55]
.LBB86_194:
	s_mov_b32 s29, exec_lo
	v_cmpx_ne_u32_e32 2, v0
	s_cbranch_execz .LBB86_198
; %bb.195:
	s_clause 0x3
	buffer_load_dword v54, v51, s[0:3], 0 offen offset:24
	buffer_load_dword v55, v51, s[0:3], 0 offen offset:28
	;; [unrolled: 1-line block ×4, first 2 shown]
	ds_read_b128 v[58:61], v52 offset:16
	s_waitcnt vmcnt(2) lgkmcnt(0)
	v_mul_f64 v[64:65], v[60:61], v[54:55]
	v_mul_f64 v[54:55], v[58:59], v[54:55]
	s_waitcnt vmcnt(0)
	v_fma_f64 v[58:59], v[58:59], v[62:63], -v[64:65]
	v_fma_f64 v[54:55], v[60:61], v[62:63], v[54:55]
	v_add_f64 v[1:2], v[1:2], v[58:59]
	v_add_f64 v[3:4], v[3:4], v[54:55]
	s_and_saveexec_b32 s30, s4
	s_cbranch_execz .LBB86_197
; %bb.196:
	s_clause 0x3
	buffer_load_dword v54, off, s[0:3], 0 offset:40
	buffer_load_dword v55, off, s[0:3], 0 offset:44
	;; [unrolled: 1-line block ×4, first 2 shown]
	v_mov_b32_e32 v56, 0
	ds_read_b128 v[58:61], v56 offset:400
	s_waitcnt vmcnt(2) lgkmcnt(0)
	v_mul_f64 v[64:65], v[58:59], v[54:55]
	v_mul_f64 v[54:55], v[60:61], v[54:55]
	s_waitcnt vmcnt(0)
	v_fma_f64 v[60:61], v[60:61], v[62:63], v[64:65]
	v_fma_f64 v[54:55], v[58:59], v[62:63], -v[54:55]
	v_add_f64 v[3:4], v[3:4], v[60:61]
	v_add_f64 v[1:2], v[1:2], v[54:55]
.LBB86_197:
	s_or_b32 exec_lo, exec_lo, s30
.LBB86_198:
	s_or_b32 exec_lo, exec_lo, s29
	v_mov_b32_e32 v54, 0
	ds_read_b128 v[58:61], v54 offset:48
	s_waitcnt lgkmcnt(0)
	v_mul_f64 v[54:55], v[3:4], v[60:61]
	v_mul_f64 v[60:61], v[1:2], v[60:61]
	v_fma_f64 v[1:2], v[1:2], v[58:59], -v[54:55]
	v_fma_f64 v[3:4], v[3:4], v[58:59], v[60:61]
	buffer_store_dword v2, off, s[0:3], 0 offset:52
	buffer_store_dword v1, off, s[0:3], 0 offset:48
	;; [unrolled: 1-line block ×4, first 2 shown]
.LBB86_199:
	s_or_b32 exec_lo, exec_lo, s8
	v_mov_b32_e32 v4, s25
	s_mov_b32 s4, exec_lo
	s_clause 0x3
	buffer_load_dword v1, v4, s[0:3], 0 offen
	buffer_load_dword v2, v4, s[0:3], 0 offen offset:4
	buffer_load_dword v3, v4, s[0:3], 0 offen offset:8
	buffer_load_dword v4, v4, s[0:3], 0 offen offset:12
	s_waitcnt vmcnt(0)
	ds_write_b128 v52, v[1:4]
	s_waitcnt lgkmcnt(0)
	s_waitcnt_vscnt null, 0x0
	s_barrier
	buffer_gl0_inv
	v_cmpx_gt_u32_e32 4, v0
	s_cbranch_execz .LBB86_207
; %bb.200:
	ds_read_b128 v[1:4], v52
	v_cmp_ne_u32_e32 vcc_lo, 1, v53
	s_cbranch_vccnz .LBB86_202
; %bb.201:
	s_clause 0x3
	buffer_load_dword v54, v51, s[0:3], 0 offen offset:8
	buffer_load_dword v55, v51, s[0:3], 0 offen offset:12
	buffer_load_dword v58, v51, s[0:3], 0 offen
	buffer_load_dword v59, v51, s[0:3], 0 offen offset:4
	s_waitcnt vmcnt(2) lgkmcnt(0)
	v_mul_f64 v[60:61], v[3:4], v[54:55]
	v_mul_f64 v[54:55], v[1:2], v[54:55]
	s_waitcnt vmcnt(0)
	v_fma_f64 v[1:2], v[1:2], v[58:59], -v[60:61]
	v_fma_f64 v[3:4], v[3:4], v[58:59], v[54:55]
.LBB86_202:
	s_mov_b32 s8, exec_lo
	v_cmpx_ne_u32_e32 3, v0
	s_cbranch_execz .LBB86_206
; %bb.203:
	v_add_nc_u32_e32 v54, 0x180, v57
	v_add3_u32 v55, 0, v57, 16
	v_mov_b32_e32 v56, v0
	s_mov_b32 s29, 0
	.p2align	6
.LBB86_204:                             ; =>This Inner Loop Header: Depth=1
	s_clause 0x3
	buffer_load_dword v62, v55, s[0:3], 0 offen offset:8
	buffer_load_dword v63, v55, s[0:3], 0 offen offset:12
	buffer_load_dword v64, v55, s[0:3], 0 offen
	buffer_load_dword v65, v55, s[0:3], 0 offen offset:4
	ds_read_b128 v[58:61], v54
	v_add_nc_u32_e32 v56, 1, v56
	v_add_nc_u32_e32 v54, 16, v54
	v_add_nc_u32_e32 v55, 16, v55
	v_cmp_lt_u32_e32 vcc_lo, 2, v56
	s_or_b32 s29, vcc_lo, s29
	s_waitcnt vmcnt(2) lgkmcnt(0)
	v_mul_f64 v[66:67], v[60:61], v[62:63]
	v_mul_f64 v[62:63], v[58:59], v[62:63]
	s_waitcnt vmcnt(0)
	v_fma_f64 v[58:59], v[58:59], v[64:65], -v[66:67]
	v_fma_f64 v[60:61], v[60:61], v[64:65], v[62:63]
	v_add_f64 v[1:2], v[1:2], v[58:59]
	v_add_f64 v[3:4], v[3:4], v[60:61]
	s_andn2_b32 exec_lo, exec_lo, s29
	s_cbranch_execnz .LBB86_204
; %bb.205:
	s_or_b32 exec_lo, exec_lo, s29
.LBB86_206:
	s_or_b32 exec_lo, exec_lo, s8
	v_mov_b32_e32 v54, 0
	ds_read_b128 v[58:61], v54 offset:64
	s_waitcnt lgkmcnt(0)
	v_mul_f64 v[54:55], v[3:4], v[60:61]
	v_mul_f64 v[60:61], v[1:2], v[60:61]
	v_fma_f64 v[1:2], v[1:2], v[58:59], -v[54:55]
	v_fma_f64 v[3:4], v[3:4], v[58:59], v[60:61]
	buffer_store_dword v2, off, s[0:3], 0 offset:68
	buffer_store_dword v1, off, s[0:3], 0 offset:64
	;; [unrolled: 1-line block ×4, first 2 shown]
.LBB86_207:
	s_or_b32 exec_lo, exec_lo, s4
	v_mov_b32_e32 v4, s24
	s_mov_b32 s4, exec_lo
	s_clause 0x3
	buffer_load_dword v1, v4, s[0:3], 0 offen
	buffer_load_dword v2, v4, s[0:3], 0 offen offset:4
	buffer_load_dword v3, v4, s[0:3], 0 offen offset:8
	buffer_load_dword v4, v4, s[0:3], 0 offen offset:12
	s_waitcnt vmcnt(0)
	ds_write_b128 v52, v[1:4]
	s_waitcnt lgkmcnt(0)
	s_waitcnt_vscnt null, 0x0
	s_barrier
	buffer_gl0_inv
	v_cmpx_gt_u32_e32 5, v0
	s_cbranch_execz .LBB86_215
; %bb.208:
	ds_read_b128 v[1:4], v52
	v_cmp_ne_u32_e32 vcc_lo, 1, v53
	s_cbranch_vccnz .LBB86_210
; %bb.209:
	s_clause 0x3
	buffer_load_dword v54, v51, s[0:3], 0 offen offset:8
	buffer_load_dword v55, v51, s[0:3], 0 offen offset:12
	buffer_load_dword v58, v51, s[0:3], 0 offen
	buffer_load_dword v59, v51, s[0:3], 0 offen offset:4
	s_waitcnt vmcnt(2) lgkmcnt(0)
	v_mul_f64 v[60:61], v[3:4], v[54:55]
	v_mul_f64 v[54:55], v[1:2], v[54:55]
	s_waitcnt vmcnt(0)
	v_fma_f64 v[1:2], v[1:2], v[58:59], -v[60:61]
	v_fma_f64 v[3:4], v[3:4], v[58:59], v[54:55]
.LBB86_210:
	s_mov_b32 s8, exec_lo
	v_cmpx_ne_u32_e32 4, v0
	s_cbranch_execz .LBB86_214
; %bb.211:
	v_add_nc_u32_e32 v54, 0x180, v57
	v_add3_u32 v55, 0, v57, 16
	v_mov_b32_e32 v56, v0
	s_mov_b32 s29, 0
	.p2align	6
.LBB86_212:                             ; =>This Inner Loop Header: Depth=1
	s_clause 0x3
	buffer_load_dword v62, v55, s[0:3], 0 offen offset:8
	buffer_load_dword v63, v55, s[0:3], 0 offen offset:12
	buffer_load_dword v64, v55, s[0:3], 0 offen
	buffer_load_dword v65, v55, s[0:3], 0 offen offset:4
	ds_read_b128 v[58:61], v54
	v_add_nc_u32_e32 v56, 1, v56
	v_add_nc_u32_e32 v54, 16, v54
	;; [unrolled: 1-line block ×3, first 2 shown]
	v_cmp_lt_u32_e32 vcc_lo, 3, v56
	s_or_b32 s29, vcc_lo, s29
	s_waitcnt vmcnt(2) lgkmcnt(0)
	v_mul_f64 v[66:67], v[60:61], v[62:63]
	v_mul_f64 v[62:63], v[58:59], v[62:63]
	s_waitcnt vmcnt(0)
	v_fma_f64 v[58:59], v[58:59], v[64:65], -v[66:67]
	v_fma_f64 v[60:61], v[60:61], v[64:65], v[62:63]
	v_add_f64 v[1:2], v[1:2], v[58:59]
	v_add_f64 v[3:4], v[3:4], v[60:61]
	s_andn2_b32 exec_lo, exec_lo, s29
	s_cbranch_execnz .LBB86_212
; %bb.213:
	s_or_b32 exec_lo, exec_lo, s29
.LBB86_214:
	s_or_b32 exec_lo, exec_lo, s8
	v_mov_b32_e32 v54, 0
	ds_read_b128 v[58:61], v54 offset:80
	s_waitcnt lgkmcnt(0)
	v_mul_f64 v[54:55], v[3:4], v[60:61]
	v_mul_f64 v[60:61], v[1:2], v[60:61]
	v_fma_f64 v[1:2], v[1:2], v[58:59], -v[54:55]
	v_fma_f64 v[3:4], v[3:4], v[58:59], v[60:61]
	buffer_store_dword v2, off, s[0:3], 0 offset:84
	buffer_store_dword v1, off, s[0:3], 0 offset:80
	;; [unrolled: 1-line block ×4, first 2 shown]
.LBB86_215:
	s_or_b32 exec_lo, exec_lo, s4
	v_mov_b32_e32 v4, s23
	s_mov_b32 s4, exec_lo
	s_clause 0x3
	buffer_load_dword v1, v4, s[0:3], 0 offen
	buffer_load_dword v2, v4, s[0:3], 0 offen offset:4
	buffer_load_dword v3, v4, s[0:3], 0 offen offset:8
	;; [unrolled: 1-line block ×3, first 2 shown]
	s_waitcnt vmcnt(0)
	ds_write_b128 v52, v[1:4]
	s_waitcnt lgkmcnt(0)
	s_waitcnt_vscnt null, 0x0
	s_barrier
	buffer_gl0_inv
	v_cmpx_gt_u32_e32 6, v0
	s_cbranch_execz .LBB86_223
; %bb.216:
	ds_read_b128 v[1:4], v52
	v_cmp_ne_u32_e32 vcc_lo, 1, v53
	s_cbranch_vccnz .LBB86_218
; %bb.217:
	s_clause 0x3
	buffer_load_dword v54, v51, s[0:3], 0 offen offset:8
	buffer_load_dword v55, v51, s[0:3], 0 offen offset:12
	buffer_load_dword v58, v51, s[0:3], 0 offen
	buffer_load_dword v59, v51, s[0:3], 0 offen offset:4
	s_waitcnt vmcnt(2) lgkmcnt(0)
	v_mul_f64 v[60:61], v[3:4], v[54:55]
	v_mul_f64 v[54:55], v[1:2], v[54:55]
	s_waitcnt vmcnt(0)
	v_fma_f64 v[1:2], v[1:2], v[58:59], -v[60:61]
	v_fma_f64 v[3:4], v[3:4], v[58:59], v[54:55]
.LBB86_218:
	s_mov_b32 s8, exec_lo
	v_cmpx_ne_u32_e32 5, v0
	s_cbranch_execz .LBB86_222
; %bb.219:
	v_add_nc_u32_e32 v54, 0x180, v57
	v_add3_u32 v55, 0, v57, 16
	v_mov_b32_e32 v56, v0
	s_mov_b32 s29, 0
	.p2align	6
.LBB86_220:                             ; =>This Inner Loop Header: Depth=1
	s_clause 0x3
	buffer_load_dword v62, v55, s[0:3], 0 offen offset:8
	buffer_load_dword v63, v55, s[0:3], 0 offen offset:12
	buffer_load_dword v64, v55, s[0:3], 0 offen
	buffer_load_dword v65, v55, s[0:3], 0 offen offset:4
	ds_read_b128 v[58:61], v54
	v_add_nc_u32_e32 v56, 1, v56
	v_add_nc_u32_e32 v54, 16, v54
	;; [unrolled: 1-line block ×3, first 2 shown]
	v_cmp_lt_u32_e32 vcc_lo, 4, v56
	s_or_b32 s29, vcc_lo, s29
	s_waitcnt vmcnt(2) lgkmcnt(0)
	v_mul_f64 v[66:67], v[60:61], v[62:63]
	v_mul_f64 v[62:63], v[58:59], v[62:63]
	s_waitcnt vmcnt(0)
	v_fma_f64 v[58:59], v[58:59], v[64:65], -v[66:67]
	v_fma_f64 v[60:61], v[60:61], v[64:65], v[62:63]
	v_add_f64 v[1:2], v[1:2], v[58:59]
	v_add_f64 v[3:4], v[3:4], v[60:61]
	s_andn2_b32 exec_lo, exec_lo, s29
	s_cbranch_execnz .LBB86_220
; %bb.221:
	s_or_b32 exec_lo, exec_lo, s29
.LBB86_222:
	s_or_b32 exec_lo, exec_lo, s8
	v_mov_b32_e32 v54, 0
	ds_read_b128 v[58:61], v54 offset:96
	s_waitcnt lgkmcnt(0)
	v_mul_f64 v[54:55], v[3:4], v[60:61]
	v_mul_f64 v[60:61], v[1:2], v[60:61]
	v_fma_f64 v[1:2], v[1:2], v[58:59], -v[54:55]
	v_fma_f64 v[3:4], v[3:4], v[58:59], v[60:61]
	buffer_store_dword v2, off, s[0:3], 0 offset:100
	buffer_store_dword v1, off, s[0:3], 0 offset:96
	;; [unrolled: 1-line block ×4, first 2 shown]
.LBB86_223:
	s_or_b32 exec_lo, exec_lo, s4
	v_mov_b32_e32 v4, s22
	s_mov_b32 s4, exec_lo
	s_clause 0x3
	buffer_load_dword v1, v4, s[0:3], 0 offen
	buffer_load_dword v2, v4, s[0:3], 0 offen offset:4
	buffer_load_dword v3, v4, s[0:3], 0 offen offset:8
	;; [unrolled: 1-line block ×3, first 2 shown]
	s_waitcnt vmcnt(0)
	ds_write_b128 v52, v[1:4]
	s_waitcnt lgkmcnt(0)
	s_waitcnt_vscnt null, 0x0
	s_barrier
	buffer_gl0_inv
	v_cmpx_gt_u32_e32 7, v0
	s_cbranch_execz .LBB86_231
; %bb.224:
	ds_read_b128 v[1:4], v52
	v_cmp_ne_u32_e32 vcc_lo, 1, v53
	s_cbranch_vccnz .LBB86_226
; %bb.225:
	s_clause 0x3
	buffer_load_dword v54, v51, s[0:3], 0 offen offset:8
	buffer_load_dword v55, v51, s[0:3], 0 offen offset:12
	buffer_load_dword v58, v51, s[0:3], 0 offen
	buffer_load_dword v59, v51, s[0:3], 0 offen offset:4
	s_waitcnt vmcnt(2) lgkmcnt(0)
	v_mul_f64 v[60:61], v[3:4], v[54:55]
	v_mul_f64 v[54:55], v[1:2], v[54:55]
	s_waitcnt vmcnt(0)
	v_fma_f64 v[1:2], v[1:2], v[58:59], -v[60:61]
	v_fma_f64 v[3:4], v[3:4], v[58:59], v[54:55]
.LBB86_226:
	s_mov_b32 s8, exec_lo
	v_cmpx_ne_u32_e32 6, v0
	s_cbranch_execz .LBB86_230
; %bb.227:
	v_add_nc_u32_e32 v54, 0x180, v57
	v_add3_u32 v55, 0, v57, 16
	v_mov_b32_e32 v56, v0
	s_mov_b32 s29, 0
	.p2align	6
.LBB86_228:                             ; =>This Inner Loop Header: Depth=1
	s_clause 0x3
	buffer_load_dword v62, v55, s[0:3], 0 offen offset:8
	buffer_load_dword v63, v55, s[0:3], 0 offen offset:12
	buffer_load_dword v64, v55, s[0:3], 0 offen
	buffer_load_dword v65, v55, s[0:3], 0 offen offset:4
	ds_read_b128 v[58:61], v54
	v_add_nc_u32_e32 v56, 1, v56
	v_add_nc_u32_e32 v54, 16, v54
	;; [unrolled: 1-line block ×3, first 2 shown]
	v_cmp_lt_u32_e32 vcc_lo, 5, v56
	s_or_b32 s29, vcc_lo, s29
	s_waitcnt vmcnt(2) lgkmcnt(0)
	v_mul_f64 v[66:67], v[60:61], v[62:63]
	v_mul_f64 v[62:63], v[58:59], v[62:63]
	s_waitcnt vmcnt(0)
	v_fma_f64 v[58:59], v[58:59], v[64:65], -v[66:67]
	v_fma_f64 v[60:61], v[60:61], v[64:65], v[62:63]
	v_add_f64 v[1:2], v[1:2], v[58:59]
	v_add_f64 v[3:4], v[3:4], v[60:61]
	s_andn2_b32 exec_lo, exec_lo, s29
	s_cbranch_execnz .LBB86_228
; %bb.229:
	s_or_b32 exec_lo, exec_lo, s29
.LBB86_230:
	s_or_b32 exec_lo, exec_lo, s8
	v_mov_b32_e32 v54, 0
	ds_read_b128 v[58:61], v54 offset:112
	s_waitcnt lgkmcnt(0)
	v_mul_f64 v[54:55], v[3:4], v[60:61]
	v_mul_f64 v[60:61], v[1:2], v[60:61]
	v_fma_f64 v[1:2], v[1:2], v[58:59], -v[54:55]
	v_fma_f64 v[3:4], v[3:4], v[58:59], v[60:61]
	buffer_store_dword v2, off, s[0:3], 0 offset:116
	buffer_store_dword v1, off, s[0:3], 0 offset:112
	;; [unrolled: 1-line block ×4, first 2 shown]
.LBB86_231:
	s_or_b32 exec_lo, exec_lo, s4
	v_mov_b32_e32 v4, s21
	s_mov_b32 s4, exec_lo
	s_clause 0x3
	buffer_load_dword v1, v4, s[0:3], 0 offen
	buffer_load_dword v2, v4, s[0:3], 0 offen offset:4
	buffer_load_dword v3, v4, s[0:3], 0 offen offset:8
	;; [unrolled: 1-line block ×3, first 2 shown]
	s_waitcnt vmcnt(0)
	ds_write_b128 v52, v[1:4]
	s_waitcnt lgkmcnt(0)
	s_waitcnt_vscnt null, 0x0
	s_barrier
	buffer_gl0_inv
	v_cmpx_gt_u32_e32 8, v0
	s_cbranch_execz .LBB86_239
; %bb.232:
	ds_read_b128 v[1:4], v52
	v_cmp_ne_u32_e32 vcc_lo, 1, v53
	s_cbranch_vccnz .LBB86_234
; %bb.233:
	s_clause 0x3
	buffer_load_dword v54, v51, s[0:3], 0 offen offset:8
	buffer_load_dword v55, v51, s[0:3], 0 offen offset:12
	buffer_load_dword v58, v51, s[0:3], 0 offen
	buffer_load_dword v59, v51, s[0:3], 0 offen offset:4
	s_waitcnt vmcnt(2) lgkmcnt(0)
	v_mul_f64 v[60:61], v[3:4], v[54:55]
	v_mul_f64 v[54:55], v[1:2], v[54:55]
	s_waitcnt vmcnt(0)
	v_fma_f64 v[1:2], v[1:2], v[58:59], -v[60:61]
	v_fma_f64 v[3:4], v[3:4], v[58:59], v[54:55]
.LBB86_234:
	s_mov_b32 s8, exec_lo
	v_cmpx_ne_u32_e32 7, v0
	s_cbranch_execz .LBB86_238
; %bb.235:
	v_add_nc_u32_e32 v54, 0x180, v57
	v_add3_u32 v55, 0, v57, 16
	v_mov_b32_e32 v56, v0
	s_mov_b32 s29, 0
	.p2align	6
.LBB86_236:                             ; =>This Inner Loop Header: Depth=1
	s_clause 0x3
	buffer_load_dword v62, v55, s[0:3], 0 offen offset:8
	buffer_load_dword v63, v55, s[0:3], 0 offen offset:12
	buffer_load_dword v64, v55, s[0:3], 0 offen
	buffer_load_dword v65, v55, s[0:3], 0 offen offset:4
	ds_read_b128 v[58:61], v54
	v_add_nc_u32_e32 v56, 1, v56
	v_add_nc_u32_e32 v54, 16, v54
	;; [unrolled: 1-line block ×3, first 2 shown]
	v_cmp_lt_u32_e32 vcc_lo, 6, v56
	s_or_b32 s29, vcc_lo, s29
	s_waitcnt vmcnt(2) lgkmcnt(0)
	v_mul_f64 v[66:67], v[60:61], v[62:63]
	v_mul_f64 v[62:63], v[58:59], v[62:63]
	s_waitcnt vmcnt(0)
	v_fma_f64 v[58:59], v[58:59], v[64:65], -v[66:67]
	v_fma_f64 v[60:61], v[60:61], v[64:65], v[62:63]
	v_add_f64 v[1:2], v[1:2], v[58:59]
	v_add_f64 v[3:4], v[3:4], v[60:61]
	s_andn2_b32 exec_lo, exec_lo, s29
	s_cbranch_execnz .LBB86_236
; %bb.237:
	s_or_b32 exec_lo, exec_lo, s29
.LBB86_238:
	s_or_b32 exec_lo, exec_lo, s8
	v_mov_b32_e32 v54, 0
	ds_read_b128 v[58:61], v54 offset:128
	s_waitcnt lgkmcnt(0)
	v_mul_f64 v[54:55], v[3:4], v[60:61]
	v_mul_f64 v[60:61], v[1:2], v[60:61]
	v_fma_f64 v[1:2], v[1:2], v[58:59], -v[54:55]
	v_fma_f64 v[3:4], v[3:4], v[58:59], v[60:61]
	buffer_store_dword v2, off, s[0:3], 0 offset:132
	buffer_store_dword v1, off, s[0:3], 0 offset:128
	;; [unrolled: 1-line block ×4, first 2 shown]
.LBB86_239:
	s_or_b32 exec_lo, exec_lo, s4
	v_mov_b32_e32 v4, s20
	s_mov_b32 s4, exec_lo
	s_clause 0x3
	buffer_load_dword v1, v4, s[0:3], 0 offen
	buffer_load_dword v2, v4, s[0:3], 0 offen offset:4
	buffer_load_dword v3, v4, s[0:3], 0 offen offset:8
	buffer_load_dword v4, v4, s[0:3], 0 offen offset:12
	s_waitcnt vmcnt(0)
	ds_write_b128 v52, v[1:4]
	s_waitcnt lgkmcnt(0)
	s_waitcnt_vscnt null, 0x0
	s_barrier
	buffer_gl0_inv
	v_cmpx_gt_u32_e32 9, v0
	s_cbranch_execz .LBB86_247
; %bb.240:
	ds_read_b128 v[1:4], v52
	v_cmp_ne_u32_e32 vcc_lo, 1, v53
	s_cbranch_vccnz .LBB86_242
; %bb.241:
	s_clause 0x3
	buffer_load_dword v54, v51, s[0:3], 0 offen offset:8
	buffer_load_dword v55, v51, s[0:3], 0 offen offset:12
	buffer_load_dword v58, v51, s[0:3], 0 offen
	buffer_load_dword v59, v51, s[0:3], 0 offen offset:4
	s_waitcnt vmcnt(2) lgkmcnt(0)
	v_mul_f64 v[60:61], v[3:4], v[54:55]
	v_mul_f64 v[54:55], v[1:2], v[54:55]
	s_waitcnt vmcnt(0)
	v_fma_f64 v[1:2], v[1:2], v[58:59], -v[60:61]
	v_fma_f64 v[3:4], v[3:4], v[58:59], v[54:55]
.LBB86_242:
	s_mov_b32 s8, exec_lo
	v_cmpx_ne_u32_e32 8, v0
	s_cbranch_execz .LBB86_246
; %bb.243:
	v_add_nc_u32_e32 v54, 0x180, v57
	v_add3_u32 v55, 0, v57, 16
	v_mov_b32_e32 v56, v0
	s_mov_b32 s29, 0
	.p2align	6
.LBB86_244:                             ; =>This Inner Loop Header: Depth=1
	s_clause 0x3
	buffer_load_dword v62, v55, s[0:3], 0 offen offset:8
	buffer_load_dword v63, v55, s[0:3], 0 offen offset:12
	buffer_load_dword v64, v55, s[0:3], 0 offen
	buffer_load_dword v65, v55, s[0:3], 0 offen offset:4
	ds_read_b128 v[58:61], v54
	v_add_nc_u32_e32 v56, 1, v56
	v_add_nc_u32_e32 v54, 16, v54
	;; [unrolled: 1-line block ×3, first 2 shown]
	v_cmp_lt_u32_e32 vcc_lo, 7, v56
	s_or_b32 s29, vcc_lo, s29
	s_waitcnt vmcnt(2) lgkmcnt(0)
	v_mul_f64 v[66:67], v[60:61], v[62:63]
	v_mul_f64 v[62:63], v[58:59], v[62:63]
	s_waitcnt vmcnt(0)
	v_fma_f64 v[58:59], v[58:59], v[64:65], -v[66:67]
	v_fma_f64 v[60:61], v[60:61], v[64:65], v[62:63]
	v_add_f64 v[1:2], v[1:2], v[58:59]
	v_add_f64 v[3:4], v[3:4], v[60:61]
	s_andn2_b32 exec_lo, exec_lo, s29
	s_cbranch_execnz .LBB86_244
; %bb.245:
	s_or_b32 exec_lo, exec_lo, s29
.LBB86_246:
	s_or_b32 exec_lo, exec_lo, s8
	v_mov_b32_e32 v54, 0
	ds_read_b128 v[58:61], v54 offset:144
	s_waitcnt lgkmcnt(0)
	v_mul_f64 v[54:55], v[3:4], v[60:61]
	v_mul_f64 v[60:61], v[1:2], v[60:61]
	v_fma_f64 v[1:2], v[1:2], v[58:59], -v[54:55]
	v_fma_f64 v[3:4], v[3:4], v[58:59], v[60:61]
	buffer_store_dword v2, off, s[0:3], 0 offset:148
	buffer_store_dword v1, off, s[0:3], 0 offset:144
	;; [unrolled: 1-line block ×4, first 2 shown]
.LBB86_247:
	s_or_b32 exec_lo, exec_lo, s4
	v_mov_b32_e32 v4, s19
	s_mov_b32 s4, exec_lo
	s_clause 0x3
	buffer_load_dword v1, v4, s[0:3], 0 offen
	buffer_load_dword v2, v4, s[0:3], 0 offen offset:4
	buffer_load_dword v3, v4, s[0:3], 0 offen offset:8
	;; [unrolled: 1-line block ×3, first 2 shown]
	s_waitcnt vmcnt(0)
	ds_write_b128 v52, v[1:4]
	s_waitcnt lgkmcnt(0)
	s_waitcnt_vscnt null, 0x0
	s_barrier
	buffer_gl0_inv
	v_cmpx_gt_u32_e32 10, v0
	s_cbranch_execz .LBB86_255
; %bb.248:
	ds_read_b128 v[1:4], v52
	v_cmp_ne_u32_e32 vcc_lo, 1, v53
	s_cbranch_vccnz .LBB86_250
; %bb.249:
	s_clause 0x3
	buffer_load_dword v54, v51, s[0:3], 0 offen offset:8
	buffer_load_dword v55, v51, s[0:3], 0 offen offset:12
	buffer_load_dword v58, v51, s[0:3], 0 offen
	buffer_load_dword v59, v51, s[0:3], 0 offen offset:4
	s_waitcnt vmcnt(2) lgkmcnt(0)
	v_mul_f64 v[60:61], v[3:4], v[54:55]
	v_mul_f64 v[54:55], v[1:2], v[54:55]
	s_waitcnt vmcnt(0)
	v_fma_f64 v[1:2], v[1:2], v[58:59], -v[60:61]
	v_fma_f64 v[3:4], v[3:4], v[58:59], v[54:55]
.LBB86_250:
	s_mov_b32 s8, exec_lo
	v_cmpx_ne_u32_e32 9, v0
	s_cbranch_execz .LBB86_254
; %bb.251:
	v_add_nc_u32_e32 v54, 0x180, v57
	v_add3_u32 v55, 0, v57, 16
	v_mov_b32_e32 v56, v0
	s_mov_b32 s29, 0
	.p2align	6
.LBB86_252:                             ; =>This Inner Loop Header: Depth=1
	s_clause 0x3
	buffer_load_dword v62, v55, s[0:3], 0 offen offset:8
	buffer_load_dword v63, v55, s[0:3], 0 offen offset:12
	buffer_load_dword v64, v55, s[0:3], 0 offen
	buffer_load_dword v65, v55, s[0:3], 0 offen offset:4
	ds_read_b128 v[58:61], v54
	v_add_nc_u32_e32 v56, 1, v56
	v_add_nc_u32_e32 v54, 16, v54
	;; [unrolled: 1-line block ×3, first 2 shown]
	v_cmp_lt_u32_e32 vcc_lo, 8, v56
	s_or_b32 s29, vcc_lo, s29
	s_waitcnt vmcnt(2) lgkmcnt(0)
	v_mul_f64 v[66:67], v[60:61], v[62:63]
	v_mul_f64 v[62:63], v[58:59], v[62:63]
	s_waitcnt vmcnt(0)
	v_fma_f64 v[58:59], v[58:59], v[64:65], -v[66:67]
	v_fma_f64 v[60:61], v[60:61], v[64:65], v[62:63]
	v_add_f64 v[1:2], v[1:2], v[58:59]
	v_add_f64 v[3:4], v[3:4], v[60:61]
	s_andn2_b32 exec_lo, exec_lo, s29
	s_cbranch_execnz .LBB86_252
; %bb.253:
	s_or_b32 exec_lo, exec_lo, s29
.LBB86_254:
	s_or_b32 exec_lo, exec_lo, s8
	v_mov_b32_e32 v54, 0
	ds_read_b128 v[58:61], v54 offset:160
	s_waitcnt lgkmcnt(0)
	v_mul_f64 v[54:55], v[3:4], v[60:61]
	v_mul_f64 v[60:61], v[1:2], v[60:61]
	v_fma_f64 v[1:2], v[1:2], v[58:59], -v[54:55]
	v_fma_f64 v[3:4], v[3:4], v[58:59], v[60:61]
	buffer_store_dword v2, off, s[0:3], 0 offset:164
	buffer_store_dword v1, off, s[0:3], 0 offset:160
	;; [unrolled: 1-line block ×4, first 2 shown]
.LBB86_255:
	s_or_b32 exec_lo, exec_lo, s4
	v_mov_b32_e32 v4, s18
	s_mov_b32 s4, exec_lo
	s_clause 0x3
	buffer_load_dword v1, v4, s[0:3], 0 offen
	buffer_load_dword v2, v4, s[0:3], 0 offen offset:4
	buffer_load_dword v3, v4, s[0:3], 0 offen offset:8
	;; [unrolled: 1-line block ×3, first 2 shown]
	s_waitcnt vmcnt(0)
	ds_write_b128 v52, v[1:4]
	s_waitcnt lgkmcnt(0)
	s_waitcnt_vscnt null, 0x0
	s_barrier
	buffer_gl0_inv
	v_cmpx_gt_u32_e32 11, v0
	s_cbranch_execz .LBB86_263
; %bb.256:
	ds_read_b128 v[1:4], v52
	v_cmp_ne_u32_e32 vcc_lo, 1, v53
	s_cbranch_vccnz .LBB86_258
; %bb.257:
	s_clause 0x3
	buffer_load_dword v54, v51, s[0:3], 0 offen offset:8
	buffer_load_dword v55, v51, s[0:3], 0 offen offset:12
	buffer_load_dword v58, v51, s[0:3], 0 offen
	buffer_load_dword v59, v51, s[0:3], 0 offen offset:4
	s_waitcnt vmcnt(2) lgkmcnt(0)
	v_mul_f64 v[60:61], v[3:4], v[54:55]
	v_mul_f64 v[54:55], v[1:2], v[54:55]
	s_waitcnt vmcnt(0)
	v_fma_f64 v[1:2], v[1:2], v[58:59], -v[60:61]
	v_fma_f64 v[3:4], v[3:4], v[58:59], v[54:55]
.LBB86_258:
	s_mov_b32 s8, exec_lo
	v_cmpx_ne_u32_e32 10, v0
	s_cbranch_execz .LBB86_262
; %bb.259:
	v_add_nc_u32_e32 v54, 0x180, v57
	v_add3_u32 v55, 0, v57, 16
	v_mov_b32_e32 v56, v0
	s_mov_b32 s29, 0
	.p2align	6
.LBB86_260:                             ; =>This Inner Loop Header: Depth=1
	s_clause 0x3
	buffer_load_dword v62, v55, s[0:3], 0 offen offset:8
	buffer_load_dword v63, v55, s[0:3], 0 offen offset:12
	buffer_load_dword v64, v55, s[0:3], 0 offen
	buffer_load_dword v65, v55, s[0:3], 0 offen offset:4
	ds_read_b128 v[58:61], v54
	v_add_nc_u32_e32 v56, 1, v56
	v_add_nc_u32_e32 v54, 16, v54
	;; [unrolled: 1-line block ×3, first 2 shown]
	v_cmp_lt_u32_e32 vcc_lo, 9, v56
	s_or_b32 s29, vcc_lo, s29
	s_waitcnt vmcnt(2) lgkmcnt(0)
	v_mul_f64 v[66:67], v[60:61], v[62:63]
	v_mul_f64 v[62:63], v[58:59], v[62:63]
	s_waitcnt vmcnt(0)
	v_fma_f64 v[58:59], v[58:59], v[64:65], -v[66:67]
	v_fma_f64 v[60:61], v[60:61], v[64:65], v[62:63]
	v_add_f64 v[1:2], v[1:2], v[58:59]
	v_add_f64 v[3:4], v[3:4], v[60:61]
	s_andn2_b32 exec_lo, exec_lo, s29
	s_cbranch_execnz .LBB86_260
; %bb.261:
	s_or_b32 exec_lo, exec_lo, s29
.LBB86_262:
	s_or_b32 exec_lo, exec_lo, s8
	v_mov_b32_e32 v54, 0
	ds_read_b128 v[58:61], v54 offset:176
	s_waitcnt lgkmcnt(0)
	v_mul_f64 v[54:55], v[3:4], v[60:61]
	v_mul_f64 v[60:61], v[1:2], v[60:61]
	v_fma_f64 v[1:2], v[1:2], v[58:59], -v[54:55]
	v_fma_f64 v[3:4], v[3:4], v[58:59], v[60:61]
	buffer_store_dword v2, off, s[0:3], 0 offset:180
	buffer_store_dword v1, off, s[0:3], 0 offset:176
	;; [unrolled: 1-line block ×4, first 2 shown]
.LBB86_263:
	s_or_b32 exec_lo, exec_lo, s4
	v_mov_b32_e32 v4, s17
	s_mov_b32 s4, exec_lo
	s_clause 0x3
	buffer_load_dword v1, v4, s[0:3], 0 offen
	buffer_load_dword v2, v4, s[0:3], 0 offen offset:4
	buffer_load_dword v3, v4, s[0:3], 0 offen offset:8
	;; [unrolled: 1-line block ×3, first 2 shown]
	s_waitcnt vmcnt(0)
	ds_write_b128 v52, v[1:4]
	s_waitcnt lgkmcnt(0)
	s_waitcnt_vscnt null, 0x0
	s_barrier
	buffer_gl0_inv
	v_cmpx_gt_u32_e32 12, v0
	s_cbranch_execz .LBB86_271
; %bb.264:
	ds_read_b128 v[1:4], v52
	v_cmp_ne_u32_e32 vcc_lo, 1, v53
	s_cbranch_vccnz .LBB86_266
; %bb.265:
	s_clause 0x3
	buffer_load_dword v54, v51, s[0:3], 0 offen offset:8
	buffer_load_dword v55, v51, s[0:3], 0 offen offset:12
	buffer_load_dword v58, v51, s[0:3], 0 offen
	buffer_load_dword v59, v51, s[0:3], 0 offen offset:4
	s_waitcnt vmcnt(2) lgkmcnt(0)
	v_mul_f64 v[60:61], v[3:4], v[54:55]
	v_mul_f64 v[54:55], v[1:2], v[54:55]
	s_waitcnt vmcnt(0)
	v_fma_f64 v[1:2], v[1:2], v[58:59], -v[60:61]
	v_fma_f64 v[3:4], v[3:4], v[58:59], v[54:55]
.LBB86_266:
	s_mov_b32 s8, exec_lo
	v_cmpx_ne_u32_e32 11, v0
	s_cbranch_execz .LBB86_270
; %bb.267:
	v_add_nc_u32_e32 v54, 0x180, v57
	v_add3_u32 v55, 0, v57, 16
	v_mov_b32_e32 v56, v0
	s_mov_b32 s29, 0
	.p2align	6
.LBB86_268:                             ; =>This Inner Loop Header: Depth=1
	s_clause 0x3
	buffer_load_dword v62, v55, s[0:3], 0 offen offset:8
	buffer_load_dword v63, v55, s[0:3], 0 offen offset:12
	buffer_load_dword v64, v55, s[0:3], 0 offen
	buffer_load_dword v65, v55, s[0:3], 0 offen offset:4
	ds_read_b128 v[58:61], v54
	v_add_nc_u32_e32 v56, 1, v56
	v_add_nc_u32_e32 v54, 16, v54
	;; [unrolled: 1-line block ×3, first 2 shown]
	v_cmp_lt_u32_e32 vcc_lo, 10, v56
	s_or_b32 s29, vcc_lo, s29
	s_waitcnt vmcnt(2) lgkmcnt(0)
	v_mul_f64 v[66:67], v[60:61], v[62:63]
	v_mul_f64 v[62:63], v[58:59], v[62:63]
	s_waitcnt vmcnt(0)
	v_fma_f64 v[58:59], v[58:59], v[64:65], -v[66:67]
	v_fma_f64 v[60:61], v[60:61], v[64:65], v[62:63]
	v_add_f64 v[1:2], v[1:2], v[58:59]
	v_add_f64 v[3:4], v[3:4], v[60:61]
	s_andn2_b32 exec_lo, exec_lo, s29
	s_cbranch_execnz .LBB86_268
; %bb.269:
	s_or_b32 exec_lo, exec_lo, s29
.LBB86_270:
	s_or_b32 exec_lo, exec_lo, s8
	v_mov_b32_e32 v54, 0
	ds_read_b128 v[58:61], v54 offset:192
	s_waitcnt lgkmcnt(0)
	v_mul_f64 v[54:55], v[3:4], v[60:61]
	v_mul_f64 v[60:61], v[1:2], v[60:61]
	v_fma_f64 v[1:2], v[1:2], v[58:59], -v[54:55]
	v_fma_f64 v[3:4], v[3:4], v[58:59], v[60:61]
	buffer_store_dword v2, off, s[0:3], 0 offset:196
	buffer_store_dword v1, off, s[0:3], 0 offset:192
	;; [unrolled: 1-line block ×4, first 2 shown]
.LBB86_271:
	s_or_b32 exec_lo, exec_lo, s4
	v_mov_b32_e32 v4, s16
	s_mov_b32 s4, exec_lo
	s_clause 0x3
	buffer_load_dword v1, v4, s[0:3], 0 offen
	buffer_load_dword v2, v4, s[0:3], 0 offen offset:4
	buffer_load_dword v3, v4, s[0:3], 0 offen offset:8
	;; [unrolled: 1-line block ×3, first 2 shown]
	s_waitcnt vmcnt(0)
	ds_write_b128 v52, v[1:4]
	s_waitcnt lgkmcnt(0)
	s_waitcnt_vscnt null, 0x0
	s_barrier
	buffer_gl0_inv
	v_cmpx_gt_u32_e32 13, v0
	s_cbranch_execz .LBB86_279
; %bb.272:
	ds_read_b128 v[1:4], v52
	v_cmp_ne_u32_e32 vcc_lo, 1, v53
	s_cbranch_vccnz .LBB86_274
; %bb.273:
	s_clause 0x3
	buffer_load_dword v54, v51, s[0:3], 0 offen offset:8
	buffer_load_dword v55, v51, s[0:3], 0 offen offset:12
	buffer_load_dword v58, v51, s[0:3], 0 offen
	buffer_load_dword v59, v51, s[0:3], 0 offen offset:4
	s_waitcnt vmcnt(2) lgkmcnt(0)
	v_mul_f64 v[60:61], v[3:4], v[54:55]
	v_mul_f64 v[54:55], v[1:2], v[54:55]
	s_waitcnt vmcnt(0)
	v_fma_f64 v[1:2], v[1:2], v[58:59], -v[60:61]
	v_fma_f64 v[3:4], v[3:4], v[58:59], v[54:55]
.LBB86_274:
	s_mov_b32 s8, exec_lo
	v_cmpx_ne_u32_e32 12, v0
	s_cbranch_execz .LBB86_278
; %bb.275:
	v_add_nc_u32_e32 v54, 0x180, v57
	v_add3_u32 v55, 0, v57, 16
	v_mov_b32_e32 v56, v0
	s_mov_b32 s29, 0
	.p2align	6
.LBB86_276:                             ; =>This Inner Loop Header: Depth=1
	s_clause 0x3
	buffer_load_dword v62, v55, s[0:3], 0 offen offset:8
	buffer_load_dword v63, v55, s[0:3], 0 offen offset:12
	buffer_load_dword v64, v55, s[0:3], 0 offen
	buffer_load_dword v65, v55, s[0:3], 0 offen offset:4
	ds_read_b128 v[58:61], v54
	v_add_nc_u32_e32 v56, 1, v56
	v_add_nc_u32_e32 v54, 16, v54
	;; [unrolled: 1-line block ×3, first 2 shown]
	v_cmp_lt_u32_e32 vcc_lo, 11, v56
	s_or_b32 s29, vcc_lo, s29
	s_waitcnt vmcnt(2) lgkmcnt(0)
	v_mul_f64 v[66:67], v[60:61], v[62:63]
	v_mul_f64 v[62:63], v[58:59], v[62:63]
	s_waitcnt vmcnt(0)
	v_fma_f64 v[58:59], v[58:59], v[64:65], -v[66:67]
	v_fma_f64 v[60:61], v[60:61], v[64:65], v[62:63]
	v_add_f64 v[1:2], v[1:2], v[58:59]
	v_add_f64 v[3:4], v[3:4], v[60:61]
	s_andn2_b32 exec_lo, exec_lo, s29
	s_cbranch_execnz .LBB86_276
; %bb.277:
	s_or_b32 exec_lo, exec_lo, s29
.LBB86_278:
	s_or_b32 exec_lo, exec_lo, s8
	v_mov_b32_e32 v54, 0
	ds_read_b128 v[58:61], v54 offset:208
	s_waitcnt lgkmcnt(0)
	v_mul_f64 v[54:55], v[3:4], v[60:61]
	v_mul_f64 v[60:61], v[1:2], v[60:61]
	v_fma_f64 v[1:2], v[1:2], v[58:59], -v[54:55]
	v_fma_f64 v[3:4], v[3:4], v[58:59], v[60:61]
	buffer_store_dword v2, off, s[0:3], 0 offset:212
	buffer_store_dword v1, off, s[0:3], 0 offset:208
	buffer_store_dword v4, off, s[0:3], 0 offset:220
	buffer_store_dword v3, off, s[0:3], 0 offset:216
.LBB86_279:
	s_or_b32 exec_lo, exec_lo, s4
	v_mov_b32_e32 v4, s15
	s_mov_b32 s4, exec_lo
	s_clause 0x3
	buffer_load_dword v1, v4, s[0:3], 0 offen
	buffer_load_dword v2, v4, s[0:3], 0 offen offset:4
	buffer_load_dword v3, v4, s[0:3], 0 offen offset:8
	;; [unrolled: 1-line block ×3, first 2 shown]
	s_waitcnt vmcnt(0)
	ds_write_b128 v52, v[1:4]
	s_waitcnt lgkmcnt(0)
	s_waitcnt_vscnt null, 0x0
	s_barrier
	buffer_gl0_inv
	v_cmpx_gt_u32_e32 14, v0
	s_cbranch_execz .LBB86_287
; %bb.280:
	ds_read_b128 v[1:4], v52
	v_cmp_ne_u32_e32 vcc_lo, 1, v53
	s_cbranch_vccnz .LBB86_282
; %bb.281:
	s_clause 0x3
	buffer_load_dword v54, v51, s[0:3], 0 offen offset:8
	buffer_load_dword v55, v51, s[0:3], 0 offen offset:12
	buffer_load_dword v58, v51, s[0:3], 0 offen
	buffer_load_dword v59, v51, s[0:3], 0 offen offset:4
	s_waitcnt vmcnt(2) lgkmcnt(0)
	v_mul_f64 v[60:61], v[3:4], v[54:55]
	v_mul_f64 v[54:55], v[1:2], v[54:55]
	s_waitcnt vmcnt(0)
	v_fma_f64 v[1:2], v[1:2], v[58:59], -v[60:61]
	v_fma_f64 v[3:4], v[3:4], v[58:59], v[54:55]
.LBB86_282:
	s_mov_b32 s8, exec_lo
	v_cmpx_ne_u32_e32 13, v0
	s_cbranch_execz .LBB86_286
; %bb.283:
	v_add_nc_u32_e32 v54, 0x180, v57
	v_add3_u32 v55, 0, v57, 16
	v_mov_b32_e32 v56, v0
	s_mov_b32 s29, 0
	.p2align	6
.LBB86_284:                             ; =>This Inner Loop Header: Depth=1
	s_clause 0x3
	buffer_load_dword v62, v55, s[0:3], 0 offen offset:8
	buffer_load_dword v63, v55, s[0:3], 0 offen offset:12
	buffer_load_dword v64, v55, s[0:3], 0 offen
	buffer_load_dword v65, v55, s[0:3], 0 offen offset:4
	ds_read_b128 v[58:61], v54
	v_add_nc_u32_e32 v56, 1, v56
	v_add_nc_u32_e32 v54, 16, v54
	;; [unrolled: 1-line block ×3, first 2 shown]
	v_cmp_lt_u32_e32 vcc_lo, 12, v56
	s_or_b32 s29, vcc_lo, s29
	s_waitcnt vmcnt(2) lgkmcnt(0)
	v_mul_f64 v[66:67], v[60:61], v[62:63]
	v_mul_f64 v[62:63], v[58:59], v[62:63]
	s_waitcnt vmcnt(0)
	v_fma_f64 v[58:59], v[58:59], v[64:65], -v[66:67]
	v_fma_f64 v[60:61], v[60:61], v[64:65], v[62:63]
	v_add_f64 v[1:2], v[1:2], v[58:59]
	v_add_f64 v[3:4], v[3:4], v[60:61]
	s_andn2_b32 exec_lo, exec_lo, s29
	s_cbranch_execnz .LBB86_284
; %bb.285:
	s_or_b32 exec_lo, exec_lo, s29
.LBB86_286:
	s_or_b32 exec_lo, exec_lo, s8
	v_mov_b32_e32 v54, 0
	ds_read_b128 v[58:61], v54 offset:224
	s_waitcnt lgkmcnt(0)
	v_mul_f64 v[54:55], v[3:4], v[60:61]
	v_mul_f64 v[60:61], v[1:2], v[60:61]
	v_fma_f64 v[1:2], v[1:2], v[58:59], -v[54:55]
	v_fma_f64 v[3:4], v[3:4], v[58:59], v[60:61]
	buffer_store_dword v2, off, s[0:3], 0 offset:228
	buffer_store_dword v1, off, s[0:3], 0 offset:224
	;; [unrolled: 1-line block ×4, first 2 shown]
.LBB86_287:
	s_or_b32 exec_lo, exec_lo, s4
	v_mov_b32_e32 v4, s14
	s_mov_b32 s4, exec_lo
	s_clause 0x3
	buffer_load_dword v1, v4, s[0:3], 0 offen
	buffer_load_dword v2, v4, s[0:3], 0 offen offset:4
	buffer_load_dword v3, v4, s[0:3], 0 offen offset:8
	;; [unrolled: 1-line block ×3, first 2 shown]
	s_waitcnt vmcnt(0)
	ds_write_b128 v52, v[1:4]
	s_waitcnt lgkmcnt(0)
	s_waitcnt_vscnt null, 0x0
	s_barrier
	buffer_gl0_inv
	v_cmpx_gt_u32_e32 15, v0
	s_cbranch_execz .LBB86_295
; %bb.288:
	ds_read_b128 v[1:4], v52
	v_cmp_ne_u32_e32 vcc_lo, 1, v53
	s_cbranch_vccnz .LBB86_290
; %bb.289:
	s_clause 0x3
	buffer_load_dword v54, v51, s[0:3], 0 offen offset:8
	buffer_load_dword v55, v51, s[0:3], 0 offen offset:12
	buffer_load_dword v58, v51, s[0:3], 0 offen
	buffer_load_dword v59, v51, s[0:3], 0 offen offset:4
	s_waitcnt vmcnt(2) lgkmcnt(0)
	v_mul_f64 v[60:61], v[3:4], v[54:55]
	v_mul_f64 v[54:55], v[1:2], v[54:55]
	s_waitcnt vmcnt(0)
	v_fma_f64 v[1:2], v[1:2], v[58:59], -v[60:61]
	v_fma_f64 v[3:4], v[3:4], v[58:59], v[54:55]
.LBB86_290:
	s_mov_b32 s8, exec_lo
	v_cmpx_ne_u32_e32 14, v0
	s_cbranch_execz .LBB86_294
; %bb.291:
	v_add_nc_u32_e32 v54, 0x180, v57
	v_add3_u32 v55, 0, v57, 16
	v_mov_b32_e32 v56, v0
	s_mov_b32 s29, 0
	.p2align	6
.LBB86_292:                             ; =>This Inner Loop Header: Depth=1
	s_clause 0x3
	buffer_load_dword v62, v55, s[0:3], 0 offen offset:8
	buffer_load_dword v63, v55, s[0:3], 0 offen offset:12
	buffer_load_dword v64, v55, s[0:3], 0 offen
	buffer_load_dword v65, v55, s[0:3], 0 offen offset:4
	ds_read_b128 v[58:61], v54
	v_add_nc_u32_e32 v56, 1, v56
	v_add_nc_u32_e32 v54, 16, v54
	;; [unrolled: 1-line block ×3, first 2 shown]
	v_cmp_lt_u32_e32 vcc_lo, 13, v56
	s_or_b32 s29, vcc_lo, s29
	s_waitcnt vmcnt(2) lgkmcnt(0)
	v_mul_f64 v[66:67], v[60:61], v[62:63]
	v_mul_f64 v[62:63], v[58:59], v[62:63]
	s_waitcnt vmcnt(0)
	v_fma_f64 v[58:59], v[58:59], v[64:65], -v[66:67]
	v_fma_f64 v[60:61], v[60:61], v[64:65], v[62:63]
	v_add_f64 v[1:2], v[1:2], v[58:59]
	v_add_f64 v[3:4], v[3:4], v[60:61]
	s_andn2_b32 exec_lo, exec_lo, s29
	s_cbranch_execnz .LBB86_292
; %bb.293:
	s_or_b32 exec_lo, exec_lo, s29
.LBB86_294:
	s_or_b32 exec_lo, exec_lo, s8
	v_mov_b32_e32 v54, 0
	ds_read_b128 v[58:61], v54 offset:240
	s_waitcnt lgkmcnt(0)
	v_mul_f64 v[54:55], v[3:4], v[60:61]
	v_mul_f64 v[60:61], v[1:2], v[60:61]
	v_fma_f64 v[1:2], v[1:2], v[58:59], -v[54:55]
	v_fma_f64 v[3:4], v[3:4], v[58:59], v[60:61]
	buffer_store_dword v2, off, s[0:3], 0 offset:244
	buffer_store_dword v1, off, s[0:3], 0 offset:240
	;; [unrolled: 1-line block ×4, first 2 shown]
.LBB86_295:
	s_or_b32 exec_lo, exec_lo, s4
	v_mov_b32_e32 v4, s13
	s_mov_b32 s4, exec_lo
	s_clause 0x3
	buffer_load_dword v1, v4, s[0:3], 0 offen
	buffer_load_dword v2, v4, s[0:3], 0 offen offset:4
	buffer_load_dword v3, v4, s[0:3], 0 offen offset:8
	;; [unrolled: 1-line block ×3, first 2 shown]
	s_waitcnt vmcnt(0)
	ds_write_b128 v52, v[1:4]
	s_waitcnt lgkmcnt(0)
	s_waitcnt_vscnt null, 0x0
	s_barrier
	buffer_gl0_inv
	v_cmpx_gt_u32_e32 16, v0
	s_cbranch_execz .LBB86_303
; %bb.296:
	ds_read_b128 v[1:4], v52
	v_cmp_ne_u32_e32 vcc_lo, 1, v53
	s_cbranch_vccnz .LBB86_298
; %bb.297:
	s_clause 0x3
	buffer_load_dword v54, v51, s[0:3], 0 offen offset:8
	buffer_load_dword v55, v51, s[0:3], 0 offen offset:12
	buffer_load_dword v58, v51, s[0:3], 0 offen
	buffer_load_dword v59, v51, s[0:3], 0 offen offset:4
	s_waitcnt vmcnt(2) lgkmcnt(0)
	v_mul_f64 v[60:61], v[3:4], v[54:55]
	v_mul_f64 v[54:55], v[1:2], v[54:55]
	s_waitcnt vmcnt(0)
	v_fma_f64 v[1:2], v[1:2], v[58:59], -v[60:61]
	v_fma_f64 v[3:4], v[3:4], v[58:59], v[54:55]
.LBB86_298:
	s_mov_b32 s8, exec_lo
	v_cmpx_ne_u32_e32 15, v0
	s_cbranch_execz .LBB86_302
; %bb.299:
	v_add_nc_u32_e32 v54, 0x180, v57
	v_add3_u32 v55, 0, v57, 16
	v_mov_b32_e32 v56, v0
	s_mov_b32 s29, 0
	.p2align	6
.LBB86_300:                             ; =>This Inner Loop Header: Depth=1
	s_clause 0x3
	buffer_load_dword v62, v55, s[0:3], 0 offen offset:8
	buffer_load_dword v63, v55, s[0:3], 0 offen offset:12
	buffer_load_dword v64, v55, s[0:3], 0 offen
	buffer_load_dword v65, v55, s[0:3], 0 offen offset:4
	ds_read_b128 v[58:61], v54
	v_add_nc_u32_e32 v56, 1, v56
	v_add_nc_u32_e32 v54, 16, v54
	;; [unrolled: 1-line block ×3, first 2 shown]
	v_cmp_lt_u32_e32 vcc_lo, 14, v56
	s_or_b32 s29, vcc_lo, s29
	s_waitcnt vmcnt(2) lgkmcnt(0)
	v_mul_f64 v[66:67], v[60:61], v[62:63]
	v_mul_f64 v[62:63], v[58:59], v[62:63]
	s_waitcnt vmcnt(0)
	v_fma_f64 v[58:59], v[58:59], v[64:65], -v[66:67]
	v_fma_f64 v[60:61], v[60:61], v[64:65], v[62:63]
	v_add_f64 v[1:2], v[1:2], v[58:59]
	v_add_f64 v[3:4], v[3:4], v[60:61]
	s_andn2_b32 exec_lo, exec_lo, s29
	s_cbranch_execnz .LBB86_300
; %bb.301:
	s_or_b32 exec_lo, exec_lo, s29
.LBB86_302:
	s_or_b32 exec_lo, exec_lo, s8
	v_mov_b32_e32 v54, 0
	ds_read_b128 v[58:61], v54 offset:256
	s_waitcnt lgkmcnt(0)
	v_mul_f64 v[54:55], v[3:4], v[60:61]
	v_mul_f64 v[60:61], v[1:2], v[60:61]
	v_fma_f64 v[1:2], v[1:2], v[58:59], -v[54:55]
	v_fma_f64 v[3:4], v[3:4], v[58:59], v[60:61]
	buffer_store_dword v2, off, s[0:3], 0 offset:260
	buffer_store_dword v1, off, s[0:3], 0 offset:256
	;; [unrolled: 1-line block ×4, first 2 shown]
.LBB86_303:
	s_or_b32 exec_lo, exec_lo, s4
	v_mov_b32_e32 v4, s12
	s_mov_b32 s4, exec_lo
	s_clause 0x3
	buffer_load_dword v1, v4, s[0:3], 0 offen
	buffer_load_dword v2, v4, s[0:3], 0 offen offset:4
	buffer_load_dword v3, v4, s[0:3], 0 offen offset:8
	;; [unrolled: 1-line block ×3, first 2 shown]
	s_waitcnt vmcnt(0)
	ds_write_b128 v52, v[1:4]
	s_waitcnt lgkmcnt(0)
	s_waitcnt_vscnt null, 0x0
	s_barrier
	buffer_gl0_inv
	v_cmpx_gt_u32_e32 17, v0
	s_cbranch_execz .LBB86_311
; %bb.304:
	ds_read_b128 v[1:4], v52
	v_cmp_ne_u32_e32 vcc_lo, 1, v53
	s_cbranch_vccnz .LBB86_306
; %bb.305:
	s_clause 0x3
	buffer_load_dword v54, v51, s[0:3], 0 offen offset:8
	buffer_load_dword v55, v51, s[0:3], 0 offen offset:12
	buffer_load_dword v58, v51, s[0:3], 0 offen
	buffer_load_dword v59, v51, s[0:3], 0 offen offset:4
	s_waitcnt vmcnt(2) lgkmcnt(0)
	v_mul_f64 v[60:61], v[3:4], v[54:55]
	v_mul_f64 v[54:55], v[1:2], v[54:55]
	s_waitcnt vmcnt(0)
	v_fma_f64 v[1:2], v[1:2], v[58:59], -v[60:61]
	v_fma_f64 v[3:4], v[3:4], v[58:59], v[54:55]
.LBB86_306:
	s_mov_b32 s8, exec_lo
	v_cmpx_ne_u32_e32 16, v0
	s_cbranch_execz .LBB86_310
; %bb.307:
	v_add_nc_u32_e32 v54, 0x180, v57
	v_add3_u32 v55, 0, v57, 16
	v_mov_b32_e32 v56, v0
	s_mov_b32 s29, 0
	.p2align	6
.LBB86_308:                             ; =>This Inner Loop Header: Depth=1
	s_clause 0x3
	buffer_load_dword v62, v55, s[0:3], 0 offen offset:8
	buffer_load_dword v63, v55, s[0:3], 0 offen offset:12
	buffer_load_dword v64, v55, s[0:3], 0 offen
	buffer_load_dword v65, v55, s[0:3], 0 offen offset:4
	ds_read_b128 v[58:61], v54
	v_add_nc_u32_e32 v56, 1, v56
	v_add_nc_u32_e32 v54, 16, v54
	v_add_nc_u32_e32 v55, 16, v55
	v_cmp_lt_u32_e32 vcc_lo, 15, v56
	s_or_b32 s29, vcc_lo, s29
	s_waitcnt vmcnt(2) lgkmcnt(0)
	v_mul_f64 v[66:67], v[60:61], v[62:63]
	v_mul_f64 v[62:63], v[58:59], v[62:63]
	s_waitcnt vmcnt(0)
	v_fma_f64 v[58:59], v[58:59], v[64:65], -v[66:67]
	v_fma_f64 v[60:61], v[60:61], v[64:65], v[62:63]
	v_add_f64 v[1:2], v[1:2], v[58:59]
	v_add_f64 v[3:4], v[3:4], v[60:61]
	s_andn2_b32 exec_lo, exec_lo, s29
	s_cbranch_execnz .LBB86_308
; %bb.309:
	s_or_b32 exec_lo, exec_lo, s29
.LBB86_310:
	s_or_b32 exec_lo, exec_lo, s8
	v_mov_b32_e32 v54, 0
	ds_read_b128 v[58:61], v54 offset:272
	s_waitcnt lgkmcnt(0)
	v_mul_f64 v[54:55], v[3:4], v[60:61]
	v_mul_f64 v[60:61], v[1:2], v[60:61]
	v_fma_f64 v[1:2], v[1:2], v[58:59], -v[54:55]
	v_fma_f64 v[3:4], v[3:4], v[58:59], v[60:61]
	buffer_store_dword v2, off, s[0:3], 0 offset:276
	buffer_store_dword v1, off, s[0:3], 0 offset:272
	buffer_store_dword v4, off, s[0:3], 0 offset:284
	buffer_store_dword v3, off, s[0:3], 0 offset:280
.LBB86_311:
	s_or_b32 exec_lo, exec_lo, s4
	v_mov_b32_e32 v4, s11
	s_mov_b32 s4, exec_lo
	s_clause 0x3
	buffer_load_dword v1, v4, s[0:3], 0 offen
	buffer_load_dword v2, v4, s[0:3], 0 offen offset:4
	buffer_load_dword v3, v4, s[0:3], 0 offen offset:8
	;; [unrolled: 1-line block ×3, first 2 shown]
	s_waitcnt vmcnt(0)
	ds_write_b128 v52, v[1:4]
	s_waitcnt lgkmcnt(0)
	s_waitcnt_vscnt null, 0x0
	s_barrier
	buffer_gl0_inv
	v_cmpx_gt_u32_e32 18, v0
	s_cbranch_execz .LBB86_319
; %bb.312:
	ds_read_b128 v[1:4], v52
	v_cmp_ne_u32_e32 vcc_lo, 1, v53
	s_cbranch_vccnz .LBB86_314
; %bb.313:
	s_clause 0x3
	buffer_load_dword v54, v51, s[0:3], 0 offen offset:8
	buffer_load_dword v55, v51, s[0:3], 0 offen offset:12
	buffer_load_dword v58, v51, s[0:3], 0 offen
	buffer_load_dword v59, v51, s[0:3], 0 offen offset:4
	s_waitcnt vmcnt(2) lgkmcnt(0)
	v_mul_f64 v[60:61], v[3:4], v[54:55]
	v_mul_f64 v[54:55], v[1:2], v[54:55]
	s_waitcnt vmcnt(0)
	v_fma_f64 v[1:2], v[1:2], v[58:59], -v[60:61]
	v_fma_f64 v[3:4], v[3:4], v[58:59], v[54:55]
.LBB86_314:
	s_mov_b32 s8, exec_lo
	v_cmpx_ne_u32_e32 17, v0
	s_cbranch_execz .LBB86_318
; %bb.315:
	v_add_nc_u32_e32 v54, 0x180, v57
	v_add3_u32 v55, 0, v57, 16
	v_mov_b32_e32 v56, v0
	s_mov_b32 s29, 0
	.p2align	6
.LBB86_316:                             ; =>This Inner Loop Header: Depth=1
	s_clause 0x3
	buffer_load_dword v62, v55, s[0:3], 0 offen offset:8
	buffer_load_dword v63, v55, s[0:3], 0 offen offset:12
	buffer_load_dword v64, v55, s[0:3], 0 offen
	buffer_load_dword v65, v55, s[0:3], 0 offen offset:4
	ds_read_b128 v[58:61], v54
	v_add_nc_u32_e32 v56, 1, v56
	v_add_nc_u32_e32 v54, 16, v54
	;; [unrolled: 1-line block ×3, first 2 shown]
	v_cmp_lt_u32_e32 vcc_lo, 16, v56
	s_or_b32 s29, vcc_lo, s29
	s_waitcnt vmcnt(2) lgkmcnt(0)
	v_mul_f64 v[66:67], v[60:61], v[62:63]
	v_mul_f64 v[62:63], v[58:59], v[62:63]
	s_waitcnt vmcnt(0)
	v_fma_f64 v[58:59], v[58:59], v[64:65], -v[66:67]
	v_fma_f64 v[60:61], v[60:61], v[64:65], v[62:63]
	v_add_f64 v[1:2], v[1:2], v[58:59]
	v_add_f64 v[3:4], v[3:4], v[60:61]
	s_andn2_b32 exec_lo, exec_lo, s29
	s_cbranch_execnz .LBB86_316
; %bb.317:
	s_or_b32 exec_lo, exec_lo, s29
.LBB86_318:
	s_or_b32 exec_lo, exec_lo, s8
	v_mov_b32_e32 v54, 0
	ds_read_b128 v[58:61], v54 offset:288
	s_waitcnt lgkmcnt(0)
	v_mul_f64 v[54:55], v[3:4], v[60:61]
	v_mul_f64 v[60:61], v[1:2], v[60:61]
	v_fma_f64 v[1:2], v[1:2], v[58:59], -v[54:55]
	v_fma_f64 v[3:4], v[3:4], v[58:59], v[60:61]
	buffer_store_dword v2, off, s[0:3], 0 offset:292
	buffer_store_dword v1, off, s[0:3], 0 offset:288
	;; [unrolled: 1-line block ×4, first 2 shown]
.LBB86_319:
	s_or_b32 exec_lo, exec_lo, s4
	v_mov_b32_e32 v4, s10
	s_mov_b32 s4, exec_lo
	s_clause 0x3
	buffer_load_dword v1, v4, s[0:3], 0 offen
	buffer_load_dword v2, v4, s[0:3], 0 offen offset:4
	buffer_load_dword v3, v4, s[0:3], 0 offen offset:8
	;; [unrolled: 1-line block ×3, first 2 shown]
	s_waitcnt vmcnt(0)
	ds_write_b128 v52, v[1:4]
	s_waitcnt lgkmcnt(0)
	s_waitcnt_vscnt null, 0x0
	s_barrier
	buffer_gl0_inv
	v_cmpx_gt_u32_e32 19, v0
	s_cbranch_execz .LBB86_327
; %bb.320:
	ds_read_b128 v[1:4], v52
	v_cmp_ne_u32_e32 vcc_lo, 1, v53
	s_cbranch_vccnz .LBB86_322
; %bb.321:
	s_clause 0x3
	buffer_load_dword v54, v51, s[0:3], 0 offen offset:8
	buffer_load_dword v55, v51, s[0:3], 0 offen offset:12
	buffer_load_dword v58, v51, s[0:3], 0 offen
	buffer_load_dword v59, v51, s[0:3], 0 offen offset:4
	s_waitcnt vmcnt(2) lgkmcnt(0)
	v_mul_f64 v[60:61], v[3:4], v[54:55]
	v_mul_f64 v[54:55], v[1:2], v[54:55]
	s_waitcnt vmcnt(0)
	v_fma_f64 v[1:2], v[1:2], v[58:59], -v[60:61]
	v_fma_f64 v[3:4], v[3:4], v[58:59], v[54:55]
.LBB86_322:
	s_mov_b32 s8, exec_lo
	v_cmpx_ne_u32_e32 18, v0
	s_cbranch_execz .LBB86_326
; %bb.323:
	v_add_nc_u32_e32 v54, 0x180, v57
	v_add3_u32 v55, 0, v57, 16
	v_mov_b32_e32 v56, v0
	s_mov_b32 s29, 0
	.p2align	6
.LBB86_324:                             ; =>This Inner Loop Header: Depth=1
	s_clause 0x3
	buffer_load_dword v62, v55, s[0:3], 0 offen offset:8
	buffer_load_dword v63, v55, s[0:3], 0 offen offset:12
	buffer_load_dword v64, v55, s[0:3], 0 offen
	buffer_load_dword v65, v55, s[0:3], 0 offen offset:4
	ds_read_b128 v[58:61], v54
	v_add_nc_u32_e32 v56, 1, v56
	v_add_nc_u32_e32 v54, 16, v54
	v_add_nc_u32_e32 v55, 16, v55
	v_cmp_lt_u32_e32 vcc_lo, 17, v56
	s_or_b32 s29, vcc_lo, s29
	s_waitcnt vmcnt(2) lgkmcnt(0)
	v_mul_f64 v[66:67], v[60:61], v[62:63]
	v_mul_f64 v[62:63], v[58:59], v[62:63]
	s_waitcnt vmcnt(0)
	v_fma_f64 v[58:59], v[58:59], v[64:65], -v[66:67]
	v_fma_f64 v[60:61], v[60:61], v[64:65], v[62:63]
	v_add_f64 v[1:2], v[1:2], v[58:59]
	v_add_f64 v[3:4], v[3:4], v[60:61]
	s_andn2_b32 exec_lo, exec_lo, s29
	s_cbranch_execnz .LBB86_324
; %bb.325:
	s_or_b32 exec_lo, exec_lo, s29
.LBB86_326:
	s_or_b32 exec_lo, exec_lo, s8
	v_mov_b32_e32 v54, 0
	ds_read_b128 v[58:61], v54 offset:304
	s_waitcnt lgkmcnt(0)
	v_mul_f64 v[54:55], v[3:4], v[60:61]
	v_mul_f64 v[60:61], v[1:2], v[60:61]
	v_fma_f64 v[1:2], v[1:2], v[58:59], -v[54:55]
	v_fma_f64 v[3:4], v[3:4], v[58:59], v[60:61]
	buffer_store_dword v2, off, s[0:3], 0 offset:308
	buffer_store_dword v1, off, s[0:3], 0 offset:304
	;; [unrolled: 1-line block ×4, first 2 shown]
.LBB86_327:
	s_or_b32 exec_lo, exec_lo, s4
	v_mov_b32_e32 v4, s9
	s_mov_b32 s4, exec_lo
	s_clause 0x3
	buffer_load_dword v1, v4, s[0:3], 0 offen
	buffer_load_dword v2, v4, s[0:3], 0 offen offset:4
	buffer_load_dword v3, v4, s[0:3], 0 offen offset:8
	;; [unrolled: 1-line block ×3, first 2 shown]
	s_waitcnt vmcnt(0)
	ds_write_b128 v52, v[1:4]
	s_waitcnt lgkmcnt(0)
	s_waitcnt_vscnt null, 0x0
	s_barrier
	buffer_gl0_inv
	v_cmpx_gt_u32_e32 20, v0
	s_cbranch_execz .LBB86_335
; %bb.328:
	ds_read_b128 v[1:4], v52
	v_cmp_ne_u32_e32 vcc_lo, 1, v53
	s_cbranch_vccnz .LBB86_330
; %bb.329:
	s_clause 0x3
	buffer_load_dword v54, v51, s[0:3], 0 offen offset:8
	buffer_load_dword v55, v51, s[0:3], 0 offen offset:12
	buffer_load_dword v58, v51, s[0:3], 0 offen
	buffer_load_dword v59, v51, s[0:3], 0 offen offset:4
	s_waitcnt vmcnt(2) lgkmcnt(0)
	v_mul_f64 v[60:61], v[3:4], v[54:55]
	v_mul_f64 v[54:55], v[1:2], v[54:55]
	s_waitcnt vmcnt(0)
	v_fma_f64 v[1:2], v[1:2], v[58:59], -v[60:61]
	v_fma_f64 v[3:4], v[3:4], v[58:59], v[54:55]
.LBB86_330:
	s_mov_b32 s8, exec_lo
	v_cmpx_ne_u32_e32 19, v0
	s_cbranch_execz .LBB86_334
; %bb.331:
	v_add_nc_u32_e32 v54, 0x180, v57
	v_add3_u32 v55, 0, v57, 16
	v_mov_b32_e32 v56, v0
	s_mov_b32 s29, 0
	.p2align	6
.LBB86_332:                             ; =>This Inner Loop Header: Depth=1
	s_clause 0x3
	buffer_load_dword v62, v55, s[0:3], 0 offen offset:8
	buffer_load_dword v63, v55, s[0:3], 0 offen offset:12
	buffer_load_dword v64, v55, s[0:3], 0 offen
	buffer_load_dword v65, v55, s[0:3], 0 offen offset:4
	ds_read_b128 v[58:61], v54
	v_add_nc_u32_e32 v56, 1, v56
	v_add_nc_u32_e32 v54, 16, v54
	;; [unrolled: 1-line block ×3, first 2 shown]
	v_cmp_lt_u32_e32 vcc_lo, 18, v56
	s_or_b32 s29, vcc_lo, s29
	s_waitcnt vmcnt(2) lgkmcnt(0)
	v_mul_f64 v[66:67], v[60:61], v[62:63]
	v_mul_f64 v[62:63], v[58:59], v[62:63]
	s_waitcnt vmcnt(0)
	v_fma_f64 v[58:59], v[58:59], v[64:65], -v[66:67]
	v_fma_f64 v[60:61], v[60:61], v[64:65], v[62:63]
	v_add_f64 v[1:2], v[1:2], v[58:59]
	v_add_f64 v[3:4], v[3:4], v[60:61]
	s_andn2_b32 exec_lo, exec_lo, s29
	s_cbranch_execnz .LBB86_332
; %bb.333:
	s_or_b32 exec_lo, exec_lo, s29
.LBB86_334:
	s_or_b32 exec_lo, exec_lo, s8
	v_mov_b32_e32 v54, 0
	ds_read_b128 v[58:61], v54 offset:320
	s_waitcnt lgkmcnt(0)
	v_mul_f64 v[54:55], v[3:4], v[60:61]
	v_mul_f64 v[60:61], v[1:2], v[60:61]
	v_fma_f64 v[1:2], v[1:2], v[58:59], -v[54:55]
	v_fma_f64 v[3:4], v[3:4], v[58:59], v[60:61]
	buffer_store_dword v2, off, s[0:3], 0 offset:324
	buffer_store_dword v1, off, s[0:3], 0 offset:320
	buffer_store_dword v4, off, s[0:3], 0 offset:332
	buffer_store_dword v3, off, s[0:3], 0 offset:328
.LBB86_335:
	s_or_b32 exec_lo, exec_lo, s4
	v_mov_b32_e32 v4, s7
	v_cmp_gt_u32_e64 s4, 21, v0
	s_clause 0x3
	buffer_load_dword v1, v4, s[0:3], 0 offen
	buffer_load_dword v2, v4, s[0:3], 0 offen offset:4
	buffer_load_dword v3, v4, s[0:3], 0 offen offset:8
	;; [unrolled: 1-line block ×3, first 2 shown]
	s_waitcnt vmcnt(0)
	ds_write_b128 v52, v[1:4]
	s_waitcnt lgkmcnt(0)
	s_waitcnt_vscnt null, 0x0
	s_barrier
	buffer_gl0_inv
	s_and_saveexec_b32 s8, s4
	s_cbranch_execz .LBB86_343
; %bb.336:
	ds_read_b128 v[1:4], v52
	v_cmp_ne_u32_e32 vcc_lo, 1, v53
	s_cbranch_vccnz .LBB86_338
; %bb.337:
	s_clause 0x3
	buffer_load_dword v54, v51, s[0:3], 0 offen offset:8
	buffer_load_dword v55, v51, s[0:3], 0 offen offset:12
	buffer_load_dword v58, v51, s[0:3], 0 offen
	buffer_load_dword v59, v51, s[0:3], 0 offen offset:4
	s_waitcnt vmcnt(2) lgkmcnt(0)
	v_mul_f64 v[60:61], v[3:4], v[54:55]
	v_mul_f64 v[54:55], v[1:2], v[54:55]
	s_waitcnt vmcnt(0)
	v_fma_f64 v[1:2], v[1:2], v[58:59], -v[60:61]
	v_fma_f64 v[3:4], v[3:4], v[58:59], v[54:55]
.LBB86_338:
	s_mov_b32 s29, exec_lo
	v_cmpx_ne_u32_e32 20, v0
	s_cbranch_execz .LBB86_342
; %bb.339:
	v_add_nc_u32_e32 v54, 0x180, v57
	v_add3_u32 v55, 0, v57, 16
	v_mov_b32_e32 v56, v0
	s_mov_b32 s30, 0
	.p2align	6
.LBB86_340:                             ; =>This Inner Loop Header: Depth=1
	s_clause 0x3
	buffer_load_dword v62, v55, s[0:3], 0 offen offset:8
	buffer_load_dword v63, v55, s[0:3], 0 offen offset:12
	buffer_load_dword v64, v55, s[0:3], 0 offen
	buffer_load_dword v65, v55, s[0:3], 0 offen offset:4
	ds_read_b128 v[58:61], v54
	v_add_nc_u32_e32 v56, 1, v56
	v_add_nc_u32_e32 v54, 16, v54
	;; [unrolled: 1-line block ×3, first 2 shown]
	v_cmp_lt_u32_e32 vcc_lo, 19, v56
	s_or_b32 s30, vcc_lo, s30
	s_waitcnt vmcnt(2) lgkmcnt(0)
	v_mul_f64 v[66:67], v[60:61], v[62:63]
	v_mul_f64 v[62:63], v[58:59], v[62:63]
	s_waitcnt vmcnt(0)
	v_fma_f64 v[58:59], v[58:59], v[64:65], -v[66:67]
	v_fma_f64 v[60:61], v[60:61], v[64:65], v[62:63]
	v_add_f64 v[1:2], v[1:2], v[58:59]
	v_add_f64 v[3:4], v[3:4], v[60:61]
	s_andn2_b32 exec_lo, exec_lo, s30
	s_cbranch_execnz .LBB86_340
; %bb.341:
	s_or_b32 exec_lo, exec_lo, s30
.LBB86_342:
	s_or_b32 exec_lo, exec_lo, s29
	v_mov_b32_e32 v54, 0
	ds_read_b128 v[58:61], v54 offset:336
	s_waitcnt lgkmcnt(0)
	v_mul_f64 v[54:55], v[3:4], v[60:61]
	v_mul_f64 v[60:61], v[1:2], v[60:61]
	v_fma_f64 v[1:2], v[1:2], v[58:59], -v[54:55]
	v_fma_f64 v[3:4], v[3:4], v[58:59], v[60:61]
	buffer_store_dword v2, off, s[0:3], 0 offset:340
	buffer_store_dword v1, off, s[0:3], 0 offset:336
	;; [unrolled: 1-line block ×4, first 2 shown]
.LBB86_343:
	s_or_b32 exec_lo, exec_lo, s8
	v_mov_b32_e32 v4, s6
	s_mov_b32 s8, exec_lo
                                        ; implicit-def: $sgpr31
	s_clause 0x3
	buffer_load_dword v1, v4, s[0:3], 0 offen
	buffer_load_dword v2, v4, s[0:3], 0 offen offset:4
	buffer_load_dword v3, v4, s[0:3], 0 offen offset:8
	buffer_load_dword v4, v4, s[0:3], 0 offen offset:12
	s_waitcnt vmcnt(0)
	ds_write_b128 v52, v[1:4]
	s_waitcnt lgkmcnt(0)
	s_waitcnt_vscnt null, 0x0
	s_barrier
	buffer_gl0_inv
                                        ; implicit-def: $vgpr1_vgpr2
	v_cmpx_ne_u32_e32 22, v0
	s_cbranch_execz .LBB86_351
; %bb.344:
	ds_read_b128 v[1:4], v52
	v_cmp_ne_u32_e32 vcc_lo, 1, v53
	s_cbranch_vccnz .LBB86_346
; %bb.345:
	s_clause 0x3
	buffer_load_dword v52, v51, s[0:3], 0 offen offset:8
	buffer_load_dword v53, v51, s[0:3], 0 offen offset:12
	buffer_load_dword v54, v51, s[0:3], 0 offen
	buffer_load_dword v55, v51, s[0:3], 0 offen offset:4
	s_waitcnt vmcnt(2) lgkmcnt(0)
	v_mul_f64 v[58:59], v[3:4], v[52:53]
	v_mul_f64 v[51:52], v[1:2], v[52:53]
	s_waitcnt vmcnt(0)
	v_fma_f64 v[1:2], v[1:2], v[54:55], -v[58:59]
	v_fma_f64 v[3:4], v[3:4], v[54:55], v[51:52]
.LBB86_346:
	s_and_saveexec_b32 s29, s4
	s_cbranch_execz .LBB86_350
; %bb.347:
	v_add_nc_u32_e32 v51, 0x180, v57
	v_add3_u32 v52, 0, v57, 16
	s_mov_b32 s4, 0
	.p2align	6
.LBB86_348:                             ; =>This Inner Loop Header: Depth=1
	s_clause 0x3
	buffer_load_dword v57, v52, s[0:3], 0 offen offset:8
	buffer_load_dword v58, v52, s[0:3], 0 offen offset:12
	buffer_load_dword v59, v52, s[0:3], 0 offen
	buffer_load_dword v60, v52, s[0:3], 0 offen offset:4
	ds_read_b128 v[53:56], v51
	v_add_nc_u32_e32 v0, 1, v0
	v_add_nc_u32_e32 v51, 16, v51
	;; [unrolled: 1-line block ×3, first 2 shown]
	v_cmp_lt_u32_e32 vcc_lo, 20, v0
	s_or_b32 s4, vcc_lo, s4
	s_waitcnt vmcnt(2) lgkmcnt(0)
	v_mul_f64 v[61:62], v[55:56], v[57:58]
	v_mul_f64 v[57:58], v[53:54], v[57:58]
	s_waitcnt vmcnt(0)
	v_fma_f64 v[53:54], v[53:54], v[59:60], -v[61:62]
	v_fma_f64 v[55:56], v[55:56], v[59:60], v[57:58]
	v_add_f64 v[1:2], v[1:2], v[53:54]
	v_add_f64 v[3:4], v[3:4], v[55:56]
	s_andn2_b32 exec_lo, exec_lo, s4
	s_cbranch_execnz .LBB86_348
; %bb.349:
	s_or_b32 exec_lo, exec_lo, s4
.LBB86_350:
	s_or_b32 exec_lo, exec_lo, s29
	v_mov_b32_e32 v0, 0
	s_movk_i32 s31, 0x168
	s_or_b32 s5, s5, exec_lo
	ds_read_b128 v[51:54], v0 offset:352
	s_waitcnt lgkmcnt(0)
	v_mul_f64 v[55:56], v[3:4], v[53:54]
	v_mul_f64 v[53:54], v[1:2], v[53:54]
	v_fma_f64 v[55:56], v[1:2], v[51:52], -v[55:56]
	v_fma_f64 v[1:2], v[3:4], v[51:52], v[53:54]
	buffer_store_dword v56, off, s[0:3], 0 offset:356
	buffer_store_dword v55, off, s[0:3], 0 offset:352
.LBB86_351:
	s_or_b32 exec_lo, exec_lo, s8
.LBB86_352:
	s_and_saveexec_b32 s4, s5
	s_cbranch_execz .LBB86_354
; %bb.353:
	v_mov_b32_e32 v0, s31
	buffer_store_dword v2, v0, s[0:3], 0 offen offset:4
	buffer_store_dword v1, v0, s[0:3], 0 offen
.LBB86_354:
	s_or_b32 exec_lo, exec_lo, s4
	s_clause 0x3
	buffer_load_dword v0, off, s[0:3], 0
	buffer_load_dword v1, off, s[0:3], 0 offset:4
	buffer_load_dword v2, off, s[0:3], 0 offset:8
	;; [unrolled: 1-line block ×3, first 2 shown]
	v_mov_b32_e32 v4, s28
	s_waitcnt vmcnt(0)
	flat_store_dwordx4 v[5:6], v[0:3]
	s_clause 0x3
	buffer_load_dword v0, v4, s[0:3], 0 offen
	buffer_load_dword v1, v4, s[0:3], 0 offen offset:4
	buffer_load_dword v2, v4, s[0:3], 0 offen offset:8
	buffer_load_dword v3, v4, s[0:3], 0 offen offset:12
	v_mov_b32_e32 v4, s27
	s_waitcnt vmcnt(0)
	flat_store_dwordx4 v[7:8], v[0:3]
	s_clause 0x3
	buffer_load_dword v0, v4, s[0:3], 0 offen
	buffer_load_dword v1, v4, s[0:3], 0 offen offset:4
	buffer_load_dword v2, v4, s[0:3], 0 offen offset:8
	buffer_load_dword v3, v4, s[0:3], 0 offen offset:12
	v_mov_b32_e32 v4, s26
	s_waitcnt vmcnt(0)
	flat_store_dwordx4 v[9:10], v[0:3]
	s_clause 0x3
	buffer_load_dword v0, v4, s[0:3], 0 offen
	buffer_load_dword v1, v4, s[0:3], 0 offen offset:4
	buffer_load_dword v2, v4, s[0:3], 0 offen offset:8
	buffer_load_dword v3, v4, s[0:3], 0 offen offset:12
	v_mov_b32_e32 v4, s25
	s_waitcnt vmcnt(0)
	flat_store_dwordx4 v[11:12], v[0:3]
	s_clause 0x3
	buffer_load_dword v0, v4, s[0:3], 0 offen
	buffer_load_dword v1, v4, s[0:3], 0 offen offset:4
	buffer_load_dword v2, v4, s[0:3], 0 offen offset:8
	buffer_load_dword v3, v4, s[0:3], 0 offen offset:12
	v_mov_b32_e32 v4, s24
	s_waitcnt vmcnt(0)
	flat_store_dwordx4 v[13:14], v[0:3]
	s_clause 0x3
	buffer_load_dword v0, v4, s[0:3], 0 offen
	buffer_load_dword v1, v4, s[0:3], 0 offen offset:4
	buffer_load_dword v2, v4, s[0:3], 0 offen offset:8
	buffer_load_dword v3, v4, s[0:3], 0 offen offset:12
	v_mov_b32_e32 v4, s23
	s_waitcnt vmcnt(0)
	flat_store_dwordx4 v[15:16], v[0:3]
	s_clause 0x3
	buffer_load_dword v0, v4, s[0:3], 0 offen
	buffer_load_dword v1, v4, s[0:3], 0 offen offset:4
	buffer_load_dword v2, v4, s[0:3], 0 offen offset:8
	buffer_load_dword v3, v4, s[0:3], 0 offen offset:12
	v_mov_b32_e32 v4, s22
	s_waitcnt vmcnt(0)
	flat_store_dwordx4 v[17:18], v[0:3]
	s_clause 0x3
	buffer_load_dword v0, v4, s[0:3], 0 offen
	buffer_load_dword v1, v4, s[0:3], 0 offen offset:4
	buffer_load_dword v2, v4, s[0:3], 0 offen offset:8
	buffer_load_dword v3, v4, s[0:3], 0 offen offset:12
	v_mov_b32_e32 v4, s21
	s_waitcnt vmcnt(0)
	flat_store_dwordx4 v[19:20], v[0:3]
	s_clause 0x3
	buffer_load_dword v0, v4, s[0:3], 0 offen
	buffer_load_dword v1, v4, s[0:3], 0 offen offset:4
	buffer_load_dword v2, v4, s[0:3], 0 offen offset:8
	buffer_load_dword v3, v4, s[0:3], 0 offen offset:12
	v_mov_b32_e32 v4, s20
	s_waitcnt vmcnt(0)
	flat_store_dwordx4 v[21:22], v[0:3]
	s_clause 0x3
	buffer_load_dword v0, v4, s[0:3], 0 offen
	buffer_load_dword v1, v4, s[0:3], 0 offen offset:4
	buffer_load_dword v2, v4, s[0:3], 0 offen offset:8
	buffer_load_dword v3, v4, s[0:3], 0 offen offset:12
	v_mov_b32_e32 v4, s19
	s_waitcnt vmcnt(0)
	flat_store_dwordx4 v[23:24], v[0:3]
	s_clause 0x3
	buffer_load_dword v0, v4, s[0:3], 0 offen
	buffer_load_dword v1, v4, s[0:3], 0 offen offset:4
	buffer_load_dword v2, v4, s[0:3], 0 offen offset:8
	buffer_load_dword v3, v4, s[0:3], 0 offen offset:12
	v_mov_b32_e32 v4, s18
	s_waitcnt vmcnt(0)
	flat_store_dwordx4 v[25:26], v[0:3]
	s_clause 0x3
	buffer_load_dword v0, v4, s[0:3], 0 offen
	buffer_load_dword v1, v4, s[0:3], 0 offen offset:4
	buffer_load_dword v2, v4, s[0:3], 0 offen offset:8
	buffer_load_dword v3, v4, s[0:3], 0 offen offset:12
	v_mov_b32_e32 v4, s17
	s_waitcnt vmcnt(0)
	flat_store_dwordx4 v[27:28], v[0:3]
	s_clause 0x3
	buffer_load_dword v0, v4, s[0:3], 0 offen
	buffer_load_dword v1, v4, s[0:3], 0 offen offset:4
	buffer_load_dword v2, v4, s[0:3], 0 offen offset:8
	buffer_load_dword v3, v4, s[0:3], 0 offen offset:12
	v_mov_b32_e32 v4, s16
	s_waitcnt vmcnt(0)
	flat_store_dwordx4 v[29:30], v[0:3]
	s_clause 0x3
	buffer_load_dword v0, v4, s[0:3], 0 offen
	buffer_load_dword v1, v4, s[0:3], 0 offen offset:4
	buffer_load_dword v2, v4, s[0:3], 0 offen offset:8
	buffer_load_dword v3, v4, s[0:3], 0 offen offset:12
	v_mov_b32_e32 v4, s15
	s_waitcnt vmcnt(0)
	flat_store_dwordx4 v[31:32], v[0:3]
	s_clause 0x3
	buffer_load_dword v0, v4, s[0:3], 0 offen
	buffer_load_dword v1, v4, s[0:3], 0 offen offset:4
	buffer_load_dword v2, v4, s[0:3], 0 offen offset:8
	buffer_load_dword v3, v4, s[0:3], 0 offen offset:12
	v_mov_b32_e32 v4, s14
	s_waitcnt vmcnt(0)
	flat_store_dwordx4 v[33:34], v[0:3]
	s_clause 0x3
	buffer_load_dword v0, v4, s[0:3], 0 offen
	buffer_load_dword v1, v4, s[0:3], 0 offen offset:4
	buffer_load_dword v2, v4, s[0:3], 0 offen offset:8
	buffer_load_dword v3, v4, s[0:3], 0 offen offset:12
	v_mov_b32_e32 v4, s13
	s_waitcnt vmcnt(0)
	flat_store_dwordx4 v[35:36], v[0:3]
	s_clause 0x3
	buffer_load_dword v0, v4, s[0:3], 0 offen
	buffer_load_dword v1, v4, s[0:3], 0 offen offset:4
	buffer_load_dword v2, v4, s[0:3], 0 offen offset:8
	buffer_load_dword v3, v4, s[0:3], 0 offen offset:12
	v_mov_b32_e32 v4, s12
	s_waitcnt vmcnt(0)
	flat_store_dwordx4 v[37:38], v[0:3]
	s_clause 0x3
	buffer_load_dword v0, v4, s[0:3], 0 offen
	buffer_load_dword v1, v4, s[0:3], 0 offen offset:4
	buffer_load_dword v2, v4, s[0:3], 0 offen offset:8
	buffer_load_dword v3, v4, s[0:3], 0 offen offset:12
	v_mov_b32_e32 v4, s11
	s_waitcnt vmcnt(0)
	flat_store_dwordx4 v[39:40], v[0:3]
	s_clause 0x3
	buffer_load_dword v0, v4, s[0:3], 0 offen
	buffer_load_dword v1, v4, s[0:3], 0 offen offset:4
	buffer_load_dword v2, v4, s[0:3], 0 offen offset:8
	buffer_load_dword v3, v4, s[0:3], 0 offen offset:12
	v_mov_b32_e32 v4, s10
	s_waitcnt vmcnt(0)
	flat_store_dwordx4 v[41:42], v[0:3]
	s_clause 0x3
	buffer_load_dword v0, v4, s[0:3], 0 offen
	buffer_load_dword v1, v4, s[0:3], 0 offen offset:4
	buffer_load_dword v2, v4, s[0:3], 0 offen offset:8
	buffer_load_dword v3, v4, s[0:3], 0 offen offset:12
	v_mov_b32_e32 v4, s9
	s_waitcnt vmcnt(0)
	flat_store_dwordx4 v[43:44], v[0:3]
	s_clause 0x3
	buffer_load_dword v0, v4, s[0:3], 0 offen
	buffer_load_dword v1, v4, s[0:3], 0 offen offset:4
	buffer_load_dword v2, v4, s[0:3], 0 offen offset:8
	buffer_load_dword v3, v4, s[0:3], 0 offen offset:12
	v_mov_b32_e32 v4, s7
	s_waitcnt vmcnt(0)
	flat_store_dwordx4 v[45:46], v[0:3]
	s_clause 0x3
	buffer_load_dword v0, v4, s[0:3], 0 offen
	buffer_load_dword v1, v4, s[0:3], 0 offen offset:4
	buffer_load_dword v2, v4, s[0:3], 0 offen offset:8
	buffer_load_dword v3, v4, s[0:3], 0 offen offset:12
	v_mov_b32_e32 v4, s6
	s_waitcnt vmcnt(0)
	flat_store_dwordx4 v[47:48], v[0:3]
	s_clause 0x3
	buffer_load_dword v0, v4, s[0:3], 0 offen
	buffer_load_dword v1, v4, s[0:3], 0 offen offset:4
	buffer_load_dword v2, v4, s[0:3], 0 offen offset:8
	buffer_load_dword v3, v4, s[0:3], 0 offen offset:12
	s_waitcnt vmcnt(0)
	flat_store_dwordx4 v[49:50], v[0:3]
.LBB86_355:
	s_endpgm
	.section	.rodata,"a",@progbits
	.p2align	6, 0x0
	.amdhsa_kernel _ZN9rocsolver6v33100L18trti2_kernel_smallILi23E19rocblas_complex_numIdEPKPS3_EEv13rocblas_fill_17rocblas_diagonal_T1_iil
		.amdhsa_group_segment_fixed_size 736
		.amdhsa_private_segment_fixed_size 384
		.amdhsa_kernarg_size 32
		.amdhsa_user_sgpr_count 6
		.amdhsa_user_sgpr_private_segment_buffer 1
		.amdhsa_user_sgpr_dispatch_ptr 0
		.amdhsa_user_sgpr_queue_ptr 0
		.amdhsa_user_sgpr_kernarg_segment_ptr 1
		.amdhsa_user_sgpr_dispatch_id 0
		.amdhsa_user_sgpr_flat_scratch_init 0
		.amdhsa_user_sgpr_private_segment_size 0
		.amdhsa_wavefront_size32 1
		.amdhsa_uses_dynamic_stack 0
		.amdhsa_system_sgpr_private_segment_wavefront_offset 1
		.amdhsa_system_sgpr_workgroup_id_x 1
		.amdhsa_system_sgpr_workgroup_id_y 0
		.amdhsa_system_sgpr_workgroup_id_z 0
		.amdhsa_system_sgpr_workgroup_info 0
		.amdhsa_system_vgpr_workitem_id 0
		.amdhsa_next_free_vgpr 68
		.amdhsa_next_free_sgpr 39
		.amdhsa_reserve_vcc 1
		.amdhsa_reserve_flat_scratch 0
		.amdhsa_float_round_mode_32 0
		.amdhsa_float_round_mode_16_64 0
		.amdhsa_float_denorm_mode_32 3
		.amdhsa_float_denorm_mode_16_64 3
		.amdhsa_dx10_clamp 1
		.amdhsa_ieee_mode 1
		.amdhsa_fp16_overflow 0
		.amdhsa_workgroup_processor_mode 1
		.amdhsa_memory_ordered 1
		.amdhsa_forward_progress 1
		.amdhsa_shared_vgpr_count 0
		.amdhsa_exception_fp_ieee_invalid_op 0
		.amdhsa_exception_fp_denorm_src 0
		.amdhsa_exception_fp_ieee_div_zero 0
		.amdhsa_exception_fp_ieee_overflow 0
		.amdhsa_exception_fp_ieee_underflow 0
		.amdhsa_exception_fp_ieee_inexact 0
		.amdhsa_exception_int_div_zero 0
	.end_amdhsa_kernel
	.section	.text._ZN9rocsolver6v33100L18trti2_kernel_smallILi23E19rocblas_complex_numIdEPKPS3_EEv13rocblas_fill_17rocblas_diagonal_T1_iil,"axG",@progbits,_ZN9rocsolver6v33100L18trti2_kernel_smallILi23E19rocblas_complex_numIdEPKPS3_EEv13rocblas_fill_17rocblas_diagonal_T1_iil,comdat
.Lfunc_end86:
	.size	_ZN9rocsolver6v33100L18trti2_kernel_smallILi23E19rocblas_complex_numIdEPKPS3_EEv13rocblas_fill_17rocblas_diagonal_T1_iil, .Lfunc_end86-_ZN9rocsolver6v33100L18trti2_kernel_smallILi23E19rocblas_complex_numIdEPKPS3_EEv13rocblas_fill_17rocblas_diagonal_T1_iil
                                        ; -- End function
	.set _ZN9rocsolver6v33100L18trti2_kernel_smallILi23E19rocblas_complex_numIdEPKPS3_EEv13rocblas_fill_17rocblas_diagonal_T1_iil.num_vgpr, 68
	.set _ZN9rocsolver6v33100L18trti2_kernel_smallILi23E19rocblas_complex_numIdEPKPS3_EEv13rocblas_fill_17rocblas_diagonal_T1_iil.num_agpr, 0
	.set _ZN9rocsolver6v33100L18trti2_kernel_smallILi23E19rocblas_complex_numIdEPKPS3_EEv13rocblas_fill_17rocblas_diagonal_T1_iil.numbered_sgpr, 39
	.set _ZN9rocsolver6v33100L18trti2_kernel_smallILi23E19rocblas_complex_numIdEPKPS3_EEv13rocblas_fill_17rocblas_diagonal_T1_iil.num_named_barrier, 0
	.set _ZN9rocsolver6v33100L18trti2_kernel_smallILi23E19rocblas_complex_numIdEPKPS3_EEv13rocblas_fill_17rocblas_diagonal_T1_iil.private_seg_size, 384
	.set _ZN9rocsolver6v33100L18trti2_kernel_smallILi23E19rocblas_complex_numIdEPKPS3_EEv13rocblas_fill_17rocblas_diagonal_T1_iil.uses_vcc, 1
	.set _ZN9rocsolver6v33100L18trti2_kernel_smallILi23E19rocblas_complex_numIdEPKPS3_EEv13rocblas_fill_17rocblas_diagonal_T1_iil.uses_flat_scratch, 0
	.set _ZN9rocsolver6v33100L18trti2_kernel_smallILi23E19rocblas_complex_numIdEPKPS3_EEv13rocblas_fill_17rocblas_diagonal_T1_iil.has_dyn_sized_stack, 0
	.set _ZN9rocsolver6v33100L18trti2_kernel_smallILi23E19rocblas_complex_numIdEPKPS3_EEv13rocblas_fill_17rocblas_diagonal_T1_iil.has_recursion, 0
	.set _ZN9rocsolver6v33100L18trti2_kernel_smallILi23E19rocblas_complex_numIdEPKPS3_EEv13rocblas_fill_17rocblas_diagonal_T1_iil.has_indirect_call, 0
	.section	.AMDGPU.csdata,"",@progbits
; Kernel info:
; codeLenInByte = 23072
; TotalNumSgprs: 41
; NumVgprs: 68
; ScratchSize: 384
; MemoryBound: 0
; FloatMode: 240
; IeeeMode: 1
; LDSByteSize: 736 bytes/workgroup (compile time only)
; SGPRBlocks: 0
; VGPRBlocks: 8
; NumSGPRsForWavesPerEU: 41
; NumVGPRsForWavesPerEU: 68
; Occupancy: 12
; WaveLimiterHint : 1
; COMPUTE_PGM_RSRC2:SCRATCH_EN: 1
; COMPUTE_PGM_RSRC2:USER_SGPR: 6
; COMPUTE_PGM_RSRC2:TRAP_HANDLER: 0
; COMPUTE_PGM_RSRC2:TGID_X_EN: 1
; COMPUTE_PGM_RSRC2:TGID_Y_EN: 0
; COMPUTE_PGM_RSRC2:TGID_Z_EN: 0
; COMPUTE_PGM_RSRC2:TIDIG_COMP_CNT: 0
	.section	.text._ZN9rocsolver6v33100L18trti2_kernel_smallILi24E19rocblas_complex_numIdEPKPS3_EEv13rocblas_fill_17rocblas_diagonal_T1_iil,"axG",@progbits,_ZN9rocsolver6v33100L18trti2_kernel_smallILi24E19rocblas_complex_numIdEPKPS3_EEv13rocblas_fill_17rocblas_diagonal_T1_iil,comdat
	.globl	_ZN9rocsolver6v33100L18trti2_kernel_smallILi24E19rocblas_complex_numIdEPKPS3_EEv13rocblas_fill_17rocblas_diagonal_T1_iil ; -- Begin function _ZN9rocsolver6v33100L18trti2_kernel_smallILi24E19rocblas_complex_numIdEPKPS3_EEv13rocblas_fill_17rocblas_diagonal_T1_iil
	.p2align	8
	.type	_ZN9rocsolver6v33100L18trti2_kernel_smallILi24E19rocblas_complex_numIdEPKPS3_EEv13rocblas_fill_17rocblas_diagonal_T1_iil,@function
_ZN9rocsolver6v33100L18trti2_kernel_smallILi24E19rocblas_complex_numIdEPKPS3_EEv13rocblas_fill_17rocblas_diagonal_T1_iil: ; @_ZN9rocsolver6v33100L18trti2_kernel_smallILi24E19rocblas_complex_numIdEPKPS3_EEv13rocblas_fill_17rocblas_diagonal_T1_iil
; %bb.0:
	s_add_u32 s0, s0, s7
	s_addc_u32 s1, s1, 0
	s_mov_b32 s7, exec_lo
	v_cmpx_gt_u32_e32 24, v0
	s_cbranch_execz .LBB87_371
; %bb.1:
	s_clause 0x1
	s_load_dwordx2 s[12:13], s[4:5], 0x10
	s_load_dwordx4 s[8:11], s[4:5], 0x0
	s_ashr_i32 s7, s6, 31
	v_lshlrev_b32_e32 v59, 4, v0
	s_lshl_b64 s[4:5], s[6:7], 3
	s_movk_i32 s14, 0xd0
	s_movk_i32 s15, 0xe0
	;; [unrolled: 1-line block ×11, first 2 shown]
	s_waitcnt lgkmcnt(0)
	s_ashr_i32 s7, s12, 31
	s_add_u32 s4, s10, s4
	s_addc_u32 s5, s11, s5
	s_mov_b32 s6, s12
	s_load_dwordx2 s[4:5], s[4:5], 0x0
	s_lshl_b64 s[6:7], s[6:7], 4
	v_add3_u32 v11, s13, s13, v0
	s_movk_i32 s10, 0x90
	s_movk_i32 s11, 0xa0
	s_movk_i32 s12, 0xb0
	v_ashrrev_i32_e32 v12, 31, v11
	v_add_nc_u32_e32 v13, s13, v11
	v_lshlrev_b64 v[9:10], 4, v[11:12]
	v_ashrrev_i32_e32 v14, 31, v13
	v_add_nc_u32_e32 v15, s13, v13
	v_lshlrev_b64 v[11:12], 4, v[13:14]
	v_ashrrev_i32_e32 v16, 31, v15
	s_waitcnt lgkmcnt(0)
	s_add_u32 s4, s4, s6
	s_addc_u32 s5, s5, s7
	v_add_co_u32 v5, s6, s4, v59
	v_add_co_ci_u32_e64 v6, null, s5, 0, s6
	s_mov_b32 s6, s13
	s_ashr_i32 s7, s13, 31
	v_lshlrev_b64 v[13:14], 4, v[15:16]
	flat_load_dwordx4 v[1:4], v[5:6]
	s_lshl_b64 s[6:7], s[6:7], 4
	v_add_nc_u32_e32 v17, s13, v15
	v_add_co_u32 v7, vcc_lo, v5, s6
	v_add_co_ci_u32_e64 v8, null, s7, v6, vcc_lo
	v_add_co_u32 v9, vcc_lo, s4, v9
	v_add_co_ci_u32_e64 v10, null, s5, v10, vcc_lo
	;; [unrolled: 2-line block ×4, first 2 shown]
	v_ashrrev_i32_e32 v18, 31, v17
	v_add_nc_u32_e32 v19, s13, v17
	s_cmpk_lg_i32 s9, 0x84
	s_movk_i32 s6, 0x70
	s_movk_i32 s7, 0x80
	v_lshlrev_b64 v[15:16], 4, v[17:18]
	v_ashrrev_i32_e32 v20, 31, v19
	v_add_nc_u32_e32 v21, s13, v19
	s_cselect_b32 s31, -1, 0
	s_cmpk_eq_i32 s9, 0x84
	s_waitcnt vmcnt(0) lgkmcnt(0)
	buffer_store_dword v4, off, s[0:3], 0 offset:12
	buffer_store_dword v3, off, s[0:3], 0 offset:8
	;; [unrolled: 1-line block ×3, first 2 shown]
	buffer_store_dword v1, off, s[0:3], 0
	flat_load_dwordx4 v[1:4], v[7:8]
	v_add_co_u32 v15, vcc_lo, s4, v15
	v_add_co_ci_u32_e64 v16, null, s5, v16, vcc_lo
	v_lshlrev_b64 v[17:18], 4, v[19:20]
	v_ashrrev_i32_e32 v22, 31, v21
	v_add_nc_u32_e32 v23, s13, v21
	s_waitcnt vmcnt(0) lgkmcnt(0)
	buffer_store_dword v4, off, s[0:3], 0 offset:28
	buffer_store_dword v3, off, s[0:3], 0 offset:24
	buffer_store_dword v2, off, s[0:3], 0 offset:20
	buffer_store_dword v1, off, s[0:3], 0 offset:16
	flat_load_dwordx4 v[1:4], v[9:10]
	v_add_co_u32 v17, vcc_lo, s4, v17
	v_add_co_ci_u32_e64 v18, null, s5, v18, vcc_lo
	v_lshlrev_b64 v[19:20], 4, v[21:22]
	v_ashrrev_i32_e32 v24, 31, v23
	v_add_nc_u32_e32 v25, s13, v23
	s_waitcnt vmcnt(0) lgkmcnt(0)
	buffer_store_dword v4, off, s[0:3], 0 offset:44
	buffer_store_dword v3, off, s[0:3], 0 offset:40
	buffer_store_dword v2, off, s[0:3], 0 offset:36
	buffer_store_dword v1, off, s[0:3], 0 offset:32
	;; [unrolled: 11-line block ×15, first 2 shown]
	flat_load_dwordx4 v[1:4], v[37:38]
	v_add_co_u32 v45, vcc_lo, s4, v45
	v_add_co_ci_u32_e64 v46, null, s5, v46, vcc_lo
	v_lshlrev_b64 v[47:48], 4, v[49:50]
	v_ashrrev_i32_e32 v52, 31, v51
	s_waitcnt vmcnt(0) lgkmcnt(0)
	buffer_store_dword v4, off, s[0:3], 0 offset:268
	buffer_store_dword v3, off, s[0:3], 0 offset:264
	;; [unrolled: 1-line block ×4, first 2 shown]
	flat_load_dwordx4 v[1:4], v[39:40]
	v_add_co_u32 v47, vcc_lo, s4, v47
	v_add_co_ci_u32_e64 v48, null, s5, v48, vcc_lo
	v_lshlrev_b64 v[49:50], 4, v[51:52]
	v_add_nc_u32_e32 v51, s13, v51
	s_movk_i32 s13, 0xc0
	s_waitcnt vmcnt(0) lgkmcnt(0)
	buffer_store_dword v4, off, s[0:3], 0 offset:284
	buffer_store_dword v3, off, s[0:3], 0 offset:280
	;; [unrolled: 1-line block ×4, first 2 shown]
	flat_load_dwordx4 v[1:4], v[41:42]
	v_add_co_u32 v49, vcc_lo, s4, v49
	v_add_co_ci_u32_e64 v50, null, s5, v50, vcc_lo
	v_ashrrev_i32_e32 v52, 31, v51
	s_waitcnt vmcnt(0) lgkmcnt(0)
	buffer_store_dword v4, off, s[0:3], 0 offset:300
	buffer_store_dword v3, off, s[0:3], 0 offset:296
	;; [unrolled: 1-line block ×4, first 2 shown]
	flat_load_dwordx4 v[1:4], v[43:44]
	v_lshlrev_b64 v[51:52], 4, v[51:52]
	s_waitcnt vmcnt(0) lgkmcnt(0)
	buffer_store_dword v4, off, s[0:3], 0 offset:316
	buffer_store_dword v3, off, s[0:3], 0 offset:312
	;; [unrolled: 1-line block ×4, first 2 shown]
	flat_load_dwordx4 v[1:4], v[45:46]
	v_add_co_u32 v51, vcc_lo, s4, v51
	v_add_co_ci_u32_e64 v52, null, s5, v52, vcc_lo
	s_movk_i32 s4, 0x50
	s_movk_i32 s5, 0x60
	s_waitcnt vmcnt(0) lgkmcnt(0)
	buffer_store_dword v4, off, s[0:3], 0 offset:332
	buffer_store_dword v3, off, s[0:3], 0 offset:328
	buffer_store_dword v2, off, s[0:3], 0 offset:324
	buffer_store_dword v1, off, s[0:3], 0 offset:320
	flat_load_dwordx4 v[1:4], v[47:48]
	s_waitcnt vmcnt(0) lgkmcnt(0)
	buffer_store_dword v4, off, s[0:3], 0 offset:348
	buffer_store_dword v3, off, s[0:3], 0 offset:344
	buffer_store_dword v2, off, s[0:3], 0 offset:340
	buffer_store_dword v1, off, s[0:3], 0 offset:336
	flat_load_dwordx4 v[1:4], v[49:50]
	;; [unrolled: 6-line block ×3, first 2 shown]
	s_waitcnt vmcnt(0) lgkmcnt(0)
	buffer_store_dword v4, off, s[0:3], 0 offset:380
	buffer_store_dword v3, off, s[0:3], 0 offset:376
	buffer_store_dword v2, off, s[0:3], 0 offset:372
	buffer_store_dword v1, off, s[0:3], 0 offset:368
	s_cbranch_scc1 .LBB87_7
; %bb.2:
	v_lshl_add_u32 v60, v0, 4, 0
                                        ; implicit-def: $vgpr55_vgpr56
                                        ; implicit-def: $vgpr3_vgpr4
	s_clause 0x3
	buffer_load_dword v53, v60, s[0:3], 0 offen
	buffer_load_dword v54, v60, s[0:3], 0 offen offset:4
	buffer_load_dword v57, v60, s[0:3], 0 offen offset:8
	;; [unrolled: 1-line block ×3, first 2 shown]
	s_waitcnt vmcnt(0)
	v_cmp_ngt_f64_e64 s9, |v[53:54]|, |v[57:58]|
	s_and_saveexec_b32 s17, s9
	s_xor_b32 s9, exec_lo, s17
	s_cbranch_execz .LBB87_4
; %bb.3:
	v_div_scale_f64 v[1:2], null, v[57:58], v[57:58], v[53:54]
	v_div_scale_f64 v[61:62], vcc_lo, v[53:54], v[57:58], v[53:54]
	v_rcp_f64_e32 v[3:4], v[1:2]
	v_fma_f64 v[55:56], -v[1:2], v[3:4], 1.0
	v_fma_f64 v[3:4], v[3:4], v[55:56], v[3:4]
	v_fma_f64 v[55:56], -v[1:2], v[3:4], 1.0
	v_fma_f64 v[3:4], v[3:4], v[55:56], v[3:4]
	v_mul_f64 v[55:56], v[61:62], v[3:4]
	v_fma_f64 v[1:2], -v[1:2], v[55:56], v[61:62]
	v_div_fmas_f64 v[1:2], v[1:2], v[3:4], v[55:56]
	v_div_fixup_f64 v[1:2], v[1:2], v[57:58], v[53:54]
	v_fma_f64 v[3:4], v[53:54], v[1:2], v[57:58]
	v_div_scale_f64 v[53:54], null, v[3:4], v[3:4], 1.0
	v_div_scale_f64 v[61:62], vcc_lo, 1.0, v[3:4], 1.0
	v_rcp_f64_e32 v[55:56], v[53:54]
	v_fma_f64 v[57:58], -v[53:54], v[55:56], 1.0
	v_fma_f64 v[55:56], v[55:56], v[57:58], v[55:56]
	v_fma_f64 v[57:58], -v[53:54], v[55:56], 1.0
	v_fma_f64 v[55:56], v[55:56], v[57:58], v[55:56]
	v_mul_f64 v[57:58], v[61:62], v[55:56]
	v_fma_f64 v[53:54], -v[53:54], v[57:58], v[61:62]
	v_div_fmas_f64 v[53:54], v[53:54], v[55:56], v[57:58]
                                        ; implicit-def: $vgpr57_vgpr58
	v_div_fixup_f64 v[3:4], v[53:54], v[3:4], 1.0
                                        ; implicit-def: $vgpr53_vgpr54
	v_mul_f64 v[55:56], v[1:2], v[3:4]
	v_xor_b32_e32 v4, 0x80000000, v4
	v_xor_b32_e32 v2, 0x80000000, v56
	v_mov_b32_e32 v1, v55
.LBB87_4:
	s_andn2_saveexec_b32 s9, s9
	s_cbranch_execz .LBB87_6
; %bb.5:
	v_div_scale_f64 v[1:2], null, v[53:54], v[53:54], v[57:58]
	v_div_scale_f64 v[61:62], vcc_lo, v[57:58], v[53:54], v[57:58]
	v_rcp_f64_e32 v[3:4], v[1:2]
	v_fma_f64 v[55:56], -v[1:2], v[3:4], 1.0
	v_fma_f64 v[3:4], v[3:4], v[55:56], v[3:4]
	v_fma_f64 v[55:56], -v[1:2], v[3:4], 1.0
	v_fma_f64 v[3:4], v[3:4], v[55:56], v[3:4]
	v_mul_f64 v[55:56], v[61:62], v[3:4]
	v_fma_f64 v[1:2], -v[1:2], v[55:56], v[61:62]
	v_div_fmas_f64 v[1:2], v[1:2], v[3:4], v[55:56]
	v_div_fixup_f64 v[1:2], v[1:2], v[53:54], v[57:58]
	v_fma_f64 v[3:4], v[57:58], v[1:2], v[53:54]
	v_div_scale_f64 v[53:54], null, v[3:4], v[3:4], 1.0
	v_rcp_f64_e32 v[55:56], v[53:54]
	v_fma_f64 v[57:58], -v[53:54], v[55:56], 1.0
	v_fma_f64 v[55:56], v[55:56], v[57:58], v[55:56]
	v_fma_f64 v[57:58], -v[53:54], v[55:56], 1.0
	v_fma_f64 v[55:56], v[55:56], v[57:58], v[55:56]
	v_div_scale_f64 v[57:58], vcc_lo, 1.0, v[3:4], 1.0
	v_mul_f64 v[61:62], v[57:58], v[55:56]
	v_fma_f64 v[53:54], -v[53:54], v[61:62], v[57:58]
	v_div_fmas_f64 v[53:54], v[53:54], v[55:56], v[61:62]
	v_div_fixup_f64 v[55:56], v[53:54], v[3:4], 1.0
	v_mul_f64 v[3:4], v[1:2], -v[55:56]
	v_xor_b32_e32 v2, 0x80000000, v56
	v_mov_b32_e32 v1, v55
.LBB87_6:
	s_or_b32 exec_lo, exec_lo, s9
	buffer_store_dword v4, v60, s[0:3], 0 offen offset:12
	v_xor_b32_e32 v4, 0x80000000, v4
	buffer_store_dword v56, v60, s[0:3], 0 offen offset:4
	buffer_store_dword v55, v60, s[0:3], 0 offen
	buffer_store_dword v3, v60, s[0:3], 0 offen offset:8
	s_branch .LBB87_8
.LBB87_7:
	v_mov_b32_e32 v1, 0
	v_mov_b32_e32 v3, 0
	v_mov_b32_e32 v2, 0xbff00000
	v_mov_b32_e32 v4, 0
.LBB87_8:
	v_add_nc_u32_e32 v54, 0x180, v59
	v_mov_b32_e32 v53, v59
	s_mov_b32 s30, 16
	s_mov_b32 s29, 32
	;; [unrolled: 1-line block ×22, first 2 shown]
	s_cmpk_eq_i32 s8, 0x79
	ds_write_b128 v59, v[1:4]
	s_cbranch_scc1 .LBB87_188
; %bb.9:
	v_mov_b32_e32 v4, s9
	v_cmp_eq_u32_e64 s4, 23, v0
	s_clause 0x3
	buffer_load_dword v1, v4, s[0:3], 0 offen
	buffer_load_dword v2, v4, s[0:3], 0 offen offset:4
	buffer_load_dword v3, v4, s[0:3], 0 offen offset:8
	;; [unrolled: 1-line block ×3, first 2 shown]
	s_waitcnt vmcnt(0)
	ds_write_b128 v54, v[1:4]
	s_waitcnt lgkmcnt(0)
	s_waitcnt_vscnt null, 0x0
	s_barrier
	buffer_gl0_inv
	s_and_saveexec_b32 s5, s4
	s_cbranch_execz .LBB87_13
; %bb.10:
	ds_read_b128 v[1:4], v54
	s_andn2_b32 vcc_lo, exec_lo, s31
	s_cbranch_vccnz .LBB87_12
; %bb.11:
	s_clause 0x3
	buffer_load_dword v55, v53, s[0:3], 0 offen offset:8
	buffer_load_dword v56, v53, s[0:3], 0 offen offset:12
	buffer_load_dword v57, v53, s[0:3], 0 offen
	buffer_load_dword v58, v53, s[0:3], 0 offen offset:4
	s_waitcnt vmcnt(2) lgkmcnt(0)
	v_mul_f64 v[60:61], v[3:4], v[55:56]
	v_mul_f64 v[55:56], v[1:2], v[55:56]
	s_waitcnt vmcnt(0)
	v_fma_f64 v[1:2], v[1:2], v[57:58], -v[60:61]
	v_fma_f64 v[3:4], v[3:4], v[57:58], v[55:56]
.LBB87_12:
	v_mov_b32_e32 v55, 0
	ds_read_b128 v[55:58], v55 offset:352
	s_waitcnt lgkmcnt(0)
	v_mul_f64 v[60:61], v[3:4], v[57:58]
	v_mul_f64 v[57:58], v[1:2], v[57:58]
	v_fma_f64 v[1:2], v[1:2], v[55:56], -v[60:61]
	v_fma_f64 v[3:4], v[3:4], v[55:56], v[57:58]
	buffer_store_dword v2, off, s[0:3], 0 offset:356
	buffer_store_dword v1, off, s[0:3], 0 offset:352
	;; [unrolled: 1-line block ×4, first 2 shown]
.LBB87_13:
	s_or_b32 exec_lo, exec_lo, s5
	v_mov_b32_e32 v4, s10
	v_cmp_lt_u32_e64 s5, 21, v0
	s_clause 0x3
	buffer_load_dword v1, v4, s[0:3], 0 offen
	buffer_load_dword v2, v4, s[0:3], 0 offen offset:4
	buffer_load_dword v3, v4, s[0:3], 0 offen offset:8
	;; [unrolled: 1-line block ×3, first 2 shown]
	s_waitcnt vmcnt(0)
	ds_write_b128 v54, v[1:4]
	s_waitcnt lgkmcnt(0)
	s_waitcnt_vscnt null, 0x0
	s_barrier
	buffer_gl0_inv
	s_and_saveexec_b32 s6, s5
	s_cbranch_execz .LBB87_19
; %bb.14:
	ds_read_b128 v[1:4], v54
	s_andn2_b32 vcc_lo, exec_lo, s31
	s_cbranch_vccnz .LBB87_16
; %bb.15:
	s_clause 0x3
	buffer_load_dword v55, v53, s[0:3], 0 offen offset:8
	buffer_load_dword v56, v53, s[0:3], 0 offen offset:12
	buffer_load_dword v57, v53, s[0:3], 0 offen
	buffer_load_dword v58, v53, s[0:3], 0 offen offset:4
	s_waitcnt vmcnt(2) lgkmcnt(0)
	v_mul_f64 v[60:61], v[3:4], v[55:56]
	v_mul_f64 v[55:56], v[1:2], v[55:56]
	s_waitcnt vmcnt(0)
	v_fma_f64 v[1:2], v[1:2], v[57:58], -v[60:61]
	v_fma_f64 v[3:4], v[3:4], v[57:58], v[55:56]
.LBB87_16:
	s_and_saveexec_b32 s8, s4
	s_cbranch_execz .LBB87_18
; %bb.17:
	s_clause 0x3
	buffer_load_dword v60, off, s[0:3], 0 offset:360
	buffer_load_dword v61, off, s[0:3], 0 offset:364
	;; [unrolled: 1-line block ×4, first 2 shown]
	v_mov_b32_e32 v55, 0
	ds_read_b128 v[55:58], v55 offset:736
	s_waitcnt vmcnt(2) lgkmcnt(0)
	v_mul_f64 v[64:65], v[55:56], v[60:61]
	v_mul_f64 v[60:61], v[57:58], v[60:61]
	s_waitcnt vmcnt(0)
	v_fma_f64 v[57:58], v[57:58], v[62:63], v[64:65]
	v_fma_f64 v[55:56], v[55:56], v[62:63], -v[60:61]
	v_add_f64 v[3:4], v[3:4], v[57:58]
	v_add_f64 v[1:2], v[1:2], v[55:56]
.LBB87_18:
	s_or_b32 exec_lo, exec_lo, s8
	v_mov_b32_e32 v55, 0
	ds_read_b128 v[55:58], v55 offset:336
	s_waitcnt lgkmcnt(0)
	v_mul_f64 v[60:61], v[3:4], v[57:58]
	v_mul_f64 v[57:58], v[1:2], v[57:58]
	v_fma_f64 v[1:2], v[1:2], v[55:56], -v[60:61]
	v_fma_f64 v[3:4], v[3:4], v[55:56], v[57:58]
	buffer_store_dword v2, off, s[0:3], 0 offset:340
	buffer_store_dword v1, off, s[0:3], 0 offset:336
	buffer_store_dword v4, off, s[0:3], 0 offset:348
	buffer_store_dword v3, off, s[0:3], 0 offset:344
.LBB87_19:
	s_or_b32 exec_lo, exec_lo, s6
	v_mov_b32_e32 v4, s11
	v_cmp_lt_u32_e64 s4, 20, v0
	s_clause 0x3
	buffer_load_dword v1, v4, s[0:3], 0 offen
	buffer_load_dword v2, v4, s[0:3], 0 offen offset:4
	buffer_load_dword v3, v4, s[0:3], 0 offen offset:8
	;; [unrolled: 1-line block ×3, first 2 shown]
	s_waitcnt vmcnt(0)
	ds_write_b128 v54, v[1:4]
	s_waitcnt lgkmcnt(0)
	s_waitcnt_vscnt null, 0x0
	s_barrier
	buffer_gl0_inv
	s_and_saveexec_b32 s6, s4
	s_cbranch_execz .LBB87_27
; %bb.20:
	ds_read_b128 v[1:4], v54
	s_andn2_b32 vcc_lo, exec_lo, s31
	s_cbranch_vccnz .LBB87_22
; %bb.21:
	s_clause 0x3
	buffer_load_dword v55, v53, s[0:3], 0 offen offset:8
	buffer_load_dword v56, v53, s[0:3], 0 offen offset:12
	buffer_load_dword v57, v53, s[0:3], 0 offen
	buffer_load_dword v58, v53, s[0:3], 0 offen offset:4
	s_waitcnt vmcnt(2) lgkmcnt(0)
	v_mul_f64 v[60:61], v[3:4], v[55:56]
	v_mul_f64 v[55:56], v[1:2], v[55:56]
	s_waitcnt vmcnt(0)
	v_fma_f64 v[1:2], v[1:2], v[57:58], -v[60:61]
	v_fma_f64 v[3:4], v[3:4], v[57:58], v[55:56]
.LBB87_22:
	s_and_saveexec_b32 s8, s5
	s_cbranch_execz .LBB87_26
; %bb.23:
	v_subrev_nc_u32_e32 v55, 21, v0
	s_movk_i32 s33, 0x2d0
	s_mov_b32 s5, 0
	s_mov_b32 s34, s10
	.p2align	6
.LBB87_24:                              ; =>This Inner Loop Header: Depth=1
	v_mov_b32_e32 v58, s34
	v_add_nc_u32_e32 v55, -1, v55
	s_add_i32 s34, s34, 16
	s_clause 0x3
	buffer_load_dword v56, v58, s[0:3], 0 offen offset:8
	buffer_load_dword v57, v58, s[0:3], 0 offen offset:12
	buffer_load_dword v64, v58, s[0:3], 0 offen
	buffer_load_dword v65, v58, s[0:3], 0 offen offset:4
	v_mov_b32_e32 v58, s33
	v_cmp_eq_u32_e32 vcc_lo, 0, v55
	s_add_i32 s33, s33, 16
	ds_read_b128 v[60:63], v58
	s_or_b32 s5, vcc_lo, s5
	s_waitcnt vmcnt(2) lgkmcnt(0)
	v_mul_f64 v[66:67], v[62:63], v[56:57]
	v_mul_f64 v[56:57], v[60:61], v[56:57]
	s_waitcnt vmcnt(0)
	v_fma_f64 v[60:61], v[60:61], v[64:65], -v[66:67]
	v_fma_f64 v[56:57], v[62:63], v[64:65], v[56:57]
	v_add_f64 v[1:2], v[1:2], v[60:61]
	v_add_f64 v[3:4], v[3:4], v[56:57]
	s_andn2_b32 exec_lo, exec_lo, s5
	s_cbranch_execnz .LBB87_24
; %bb.25:
	s_or_b32 exec_lo, exec_lo, s5
.LBB87_26:
	s_or_b32 exec_lo, exec_lo, s8
	v_mov_b32_e32 v55, 0
	ds_read_b128 v[55:58], v55 offset:320
	s_waitcnt lgkmcnt(0)
	v_mul_f64 v[60:61], v[3:4], v[57:58]
	v_mul_f64 v[57:58], v[1:2], v[57:58]
	v_fma_f64 v[1:2], v[1:2], v[55:56], -v[60:61]
	v_fma_f64 v[3:4], v[3:4], v[55:56], v[57:58]
	buffer_store_dword v2, off, s[0:3], 0 offset:324
	buffer_store_dword v1, off, s[0:3], 0 offset:320
	;; [unrolled: 1-line block ×4, first 2 shown]
.LBB87_27:
	s_or_b32 exec_lo, exec_lo, s6
	v_mov_b32_e32 v4, s12
	v_cmp_lt_u32_e64 s5, 19, v0
	s_clause 0x3
	buffer_load_dword v1, v4, s[0:3], 0 offen
	buffer_load_dword v2, v4, s[0:3], 0 offen offset:4
	buffer_load_dword v3, v4, s[0:3], 0 offen offset:8
	;; [unrolled: 1-line block ×3, first 2 shown]
	s_waitcnt vmcnt(0)
	ds_write_b128 v54, v[1:4]
	s_waitcnt lgkmcnt(0)
	s_waitcnt_vscnt null, 0x0
	s_barrier
	buffer_gl0_inv
	s_and_saveexec_b32 s6, s5
	s_cbranch_execz .LBB87_35
; %bb.28:
	ds_read_b128 v[1:4], v54
	s_andn2_b32 vcc_lo, exec_lo, s31
	s_cbranch_vccnz .LBB87_30
; %bb.29:
	s_clause 0x3
	buffer_load_dword v55, v53, s[0:3], 0 offen offset:8
	buffer_load_dword v56, v53, s[0:3], 0 offen offset:12
	buffer_load_dword v57, v53, s[0:3], 0 offen
	buffer_load_dword v58, v53, s[0:3], 0 offen offset:4
	s_waitcnt vmcnt(2) lgkmcnt(0)
	v_mul_f64 v[60:61], v[3:4], v[55:56]
	v_mul_f64 v[55:56], v[1:2], v[55:56]
	s_waitcnt vmcnt(0)
	v_fma_f64 v[1:2], v[1:2], v[57:58], -v[60:61]
	v_fma_f64 v[3:4], v[3:4], v[57:58], v[55:56]
.LBB87_30:
	s_and_saveexec_b32 s8, s4
	s_cbranch_execz .LBB87_34
; %bb.31:
	v_subrev_nc_u32_e32 v55, 20, v0
	s_movk_i32 s33, 0x2c0
	s_mov_b32 s4, 0
	s_mov_b32 s34, s11
	.p2align	6
.LBB87_32:                              ; =>This Inner Loop Header: Depth=1
	v_mov_b32_e32 v58, s34
	v_add_nc_u32_e32 v55, -1, v55
	s_add_i32 s34, s34, 16
	s_clause 0x3
	buffer_load_dword v56, v58, s[0:3], 0 offen offset:8
	buffer_load_dword v57, v58, s[0:3], 0 offen offset:12
	buffer_load_dword v64, v58, s[0:3], 0 offen
	buffer_load_dword v65, v58, s[0:3], 0 offen offset:4
	v_mov_b32_e32 v58, s33
	v_cmp_eq_u32_e32 vcc_lo, 0, v55
	s_add_i32 s33, s33, 16
	ds_read_b128 v[60:63], v58
	s_or_b32 s4, vcc_lo, s4
	s_waitcnt vmcnt(2) lgkmcnt(0)
	v_mul_f64 v[66:67], v[62:63], v[56:57]
	v_mul_f64 v[56:57], v[60:61], v[56:57]
	s_waitcnt vmcnt(0)
	v_fma_f64 v[60:61], v[60:61], v[64:65], -v[66:67]
	v_fma_f64 v[56:57], v[62:63], v[64:65], v[56:57]
	v_add_f64 v[1:2], v[1:2], v[60:61]
	v_add_f64 v[3:4], v[3:4], v[56:57]
	s_andn2_b32 exec_lo, exec_lo, s4
	s_cbranch_execnz .LBB87_32
; %bb.33:
	s_or_b32 exec_lo, exec_lo, s4
.LBB87_34:
	s_or_b32 exec_lo, exec_lo, s8
	v_mov_b32_e32 v55, 0
	ds_read_b128 v[55:58], v55 offset:304
	s_waitcnt lgkmcnt(0)
	v_mul_f64 v[60:61], v[3:4], v[57:58]
	v_mul_f64 v[57:58], v[1:2], v[57:58]
	v_fma_f64 v[1:2], v[1:2], v[55:56], -v[60:61]
	v_fma_f64 v[3:4], v[3:4], v[55:56], v[57:58]
	buffer_store_dword v2, off, s[0:3], 0 offset:308
	buffer_store_dword v1, off, s[0:3], 0 offset:304
	;; [unrolled: 1-line block ×4, first 2 shown]
.LBB87_35:
	s_or_b32 exec_lo, exec_lo, s6
	v_mov_b32_e32 v4, s13
	v_cmp_lt_u32_e64 s4, 18, v0
	s_clause 0x3
	buffer_load_dword v1, v4, s[0:3], 0 offen
	buffer_load_dword v2, v4, s[0:3], 0 offen offset:4
	buffer_load_dword v3, v4, s[0:3], 0 offen offset:8
	;; [unrolled: 1-line block ×3, first 2 shown]
	s_waitcnt vmcnt(0)
	ds_write_b128 v54, v[1:4]
	s_waitcnt lgkmcnt(0)
	s_waitcnt_vscnt null, 0x0
	s_barrier
	buffer_gl0_inv
	s_and_saveexec_b32 s6, s4
	s_cbranch_execz .LBB87_43
; %bb.36:
	ds_read_b128 v[1:4], v54
	s_andn2_b32 vcc_lo, exec_lo, s31
	s_cbranch_vccnz .LBB87_38
; %bb.37:
	s_clause 0x3
	buffer_load_dword v55, v53, s[0:3], 0 offen offset:8
	buffer_load_dword v56, v53, s[0:3], 0 offen offset:12
	buffer_load_dword v57, v53, s[0:3], 0 offen
	buffer_load_dword v58, v53, s[0:3], 0 offen offset:4
	s_waitcnt vmcnt(2) lgkmcnt(0)
	v_mul_f64 v[60:61], v[3:4], v[55:56]
	v_mul_f64 v[55:56], v[1:2], v[55:56]
	s_waitcnt vmcnt(0)
	v_fma_f64 v[1:2], v[1:2], v[57:58], -v[60:61]
	v_fma_f64 v[3:4], v[3:4], v[57:58], v[55:56]
.LBB87_38:
	s_and_saveexec_b32 s8, s5
	s_cbranch_execz .LBB87_42
; %bb.39:
	v_subrev_nc_u32_e32 v55, 19, v0
	s_movk_i32 s33, 0x2b0
	s_mov_b32 s5, 0
	s_mov_b32 s34, s12
	.p2align	6
.LBB87_40:                              ; =>This Inner Loop Header: Depth=1
	v_mov_b32_e32 v58, s34
	v_add_nc_u32_e32 v55, -1, v55
	s_add_i32 s34, s34, 16
	s_clause 0x3
	buffer_load_dword v56, v58, s[0:3], 0 offen offset:8
	buffer_load_dword v57, v58, s[0:3], 0 offen offset:12
	buffer_load_dword v64, v58, s[0:3], 0 offen
	buffer_load_dword v65, v58, s[0:3], 0 offen offset:4
	v_mov_b32_e32 v58, s33
	v_cmp_eq_u32_e32 vcc_lo, 0, v55
	s_add_i32 s33, s33, 16
	ds_read_b128 v[60:63], v58
	s_or_b32 s5, vcc_lo, s5
	s_waitcnt vmcnt(2) lgkmcnt(0)
	v_mul_f64 v[66:67], v[62:63], v[56:57]
	v_mul_f64 v[56:57], v[60:61], v[56:57]
	s_waitcnt vmcnt(0)
	v_fma_f64 v[60:61], v[60:61], v[64:65], -v[66:67]
	v_fma_f64 v[56:57], v[62:63], v[64:65], v[56:57]
	v_add_f64 v[1:2], v[1:2], v[60:61]
	v_add_f64 v[3:4], v[3:4], v[56:57]
	s_andn2_b32 exec_lo, exec_lo, s5
	s_cbranch_execnz .LBB87_40
; %bb.41:
	s_or_b32 exec_lo, exec_lo, s5
.LBB87_42:
	s_or_b32 exec_lo, exec_lo, s8
	v_mov_b32_e32 v55, 0
	ds_read_b128 v[55:58], v55 offset:288
	s_waitcnt lgkmcnt(0)
	v_mul_f64 v[60:61], v[3:4], v[57:58]
	v_mul_f64 v[57:58], v[1:2], v[57:58]
	v_fma_f64 v[1:2], v[1:2], v[55:56], -v[60:61]
	v_fma_f64 v[3:4], v[3:4], v[55:56], v[57:58]
	buffer_store_dword v2, off, s[0:3], 0 offset:292
	buffer_store_dword v1, off, s[0:3], 0 offset:288
	;; [unrolled: 1-line block ×4, first 2 shown]
.LBB87_43:
	s_or_b32 exec_lo, exec_lo, s6
	v_mov_b32_e32 v4, s14
	v_cmp_lt_u32_e64 s5, 17, v0
	s_clause 0x3
	buffer_load_dword v1, v4, s[0:3], 0 offen
	buffer_load_dword v2, v4, s[0:3], 0 offen offset:4
	buffer_load_dword v3, v4, s[0:3], 0 offen offset:8
	;; [unrolled: 1-line block ×3, first 2 shown]
	s_waitcnt vmcnt(0)
	ds_write_b128 v54, v[1:4]
	s_waitcnt lgkmcnt(0)
	s_waitcnt_vscnt null, 0x0
	s_barrier
	buffer_gl0_inv
	s_and_saveexec_b32 s6, s5
	s_cbranch_execz .LBB87_51
; %bb.44:
	ds_read_b128 v[1:4], v54
	s_andn2_b32 vcc_lo, exec_lo, s31
	s_cbranch_vccnz .LBB87_46
; %bb.45:
	s_clause 0x3
	buffer_load_dword v55, v53, s[0:3], 0 offen offset:8
	buffer_load_dword v56, v53, s[0:3], 0 offen offset:12
	buffer_load_dword v57, v53, s[0:3], 0 offen
	buffer_load_dword v58, v53, s[0:3], 0 offen offset:4
	s_waitcnt vmcnt(2) lgkmcnt(0)
	v_mul_f64 v[60:61], v[3:4], v[55:56]
	v_mul_f64 v[55:56], v[1:2], v[55:56]
	s_waitcnt vmcnt(0)
	v_fma_f64 v[1:2], v[1:2], v[57:58], -v[60:61]
	v_fma_f64 v[3:4], v[3:4], v[57:58], v[55:56]
.LBB87_46:
	s_and_saveexec_b32 s8, s4
	s_cbranch_execz .LBB87_50
; %bb.47:
	v_subrev_nc_u32_e32 v55, 18, v0
	s_movk_i32 s33, 0x2a0
	s_mov_b32 s4, 0
	s_mov_b32 s34, s13
	.p2align	6
.LBB87_48:                              ; =>This Inner Loop Header: Depth=1
	v_mov_b32_e32 v58, s34
	v_add_nc_u32_e32 v55, -1, v55
	s_add_i32 s34, s34, 16
	s_clause 0x3
	buffer_load_dword v56, v58, s[0:3], 0 offen offset:8
	buffer_load_dword v57, v58, s[0:3], 0 offen offset:12
	buffer_load_dword v64, v58, s[0:3], 0 offen
	buffer_load_dword v65, v58, s[0:3], 0 offen offset:4
	v_mov_b32_e32 v58, s33
	v_cmp_eq_u32_e32 vcc_lo, 0, v55
	s_add_i32 s33, s33, 16
	ds_read_b128 v[60:63], v58
	s_or_b32 s4, vcc_lo, s4
	s_waitcnt vmcnt(2) lgkmcnt(0)
	v_mul_f64 v[66:67], v[62:63], v[56:57]
	v_mul_f64 v[56:57], v[60:61], v[56:57]
	s_waitcnt vmcnt(0)
	v_fma_f64 v[60:61], v[60:61], v[64:65], -v[66:67]
	v_fma_f64 v[56:57], v[62:63], v[64:65], v[56:57]
	v_add_f64 v[1:2], v[1:2], v[60:61]
	v_add_f64 v[3:4], v[3:4], v[56:57]
	s_andn2_b32 exec_lo, exec_lo, s4
	s_cbranch_execnz .LBB87_48
; %bb.49:
	s_or_b32 exec_lo, exec_lo, s4
.LBB87_50:
	s_or_b32 exec_lo, exec_lo, s8
	v_mov_b32_e32 v55, 0
	ds_read_b128 v[55:58], v55 offset:272
	s_waitcnt lgkmcnt(0)
	v_mul_f64 v[60:61], v[3:4], v[57:58]
	v_mul_f64 v[57:58], v[1:2], v[57:58]
	v_fma_f64 v[1:2], v[1:2], v[55:56], -v[60:61]
	v_fma_f64 v[3:4], v[3:4], v[55:56], v[57:58]
	buffer_store_dword v2, off, s[0:3], 0 offset:276
	buffer_store_dword v1, off, s[0:3], 0 offset:272
	buffer_store_dword v4, off, s[0:3], 0 offset:284
	buffer_store_dword v3, off, s[0:3], 0 offset:280
.LBB87_51:
	s_or_b32 exec_lo, exec_lo, s6
	v_mov_b32_e32 v4, s15
	v_cmp_lt_u32_e64 s4, 16, v0
	s_clause 0x3
	buffer_load_dword v1, v4, s[0:3], 0 offen
	buffer_load_dword v2, v4, s[0:3], 0 offen offset:4
	buffer_load_dword v3, v4, s[0:3], 0 offen offset:8
	;; [unrolled: 1-line block ×3, first 2 shown]
	s_waitcnt vmcnt(0)
	ds_write_b128 v54, v[1:4]
	s_waitcnt lgkmcnt(0)
	s_waitcnt_vscnt null, 0x0
	s_barrier
	buffer_gl0_inv
	s_and_saveexec_b32 s6, s4
	s_cbranch_execz .LBB87_59
; %bb.52:
	ds_read_b128 v[1:4], v54
	s_andn2_b32 vcc_lo, exec_lo, s31
	s_cbranch_vccnz .LBB87_54
; %bb.53:
	s_clause 0x3
	buffer_load_dword v55, v53, s[0:3], 0 offen offset:8
	buffer_load_dword v56, v53, s[0:3], 0 offen offset:12
	buffer_load_dword v57, v53, s[0:3], 0 offen
	buffer_load_dword v58, v53, s[0:3], 0 offen offset:4
	s_waitcnt vmcnt(2) lgkmcnt(0)
	v_mul_f64 v[60:61], v[3:4], v[55:56]
	v_mul_f64 v[55:56], v[1:2], v[55:56]
	s_waitcnt vmcnt(0)
	v_fma_f64 v[1:2], v[1:2], v[57:58], -v[60:61]
	v_fma_f64 v[3:4], v[3:4], v[57:58], v[55:56]
.LBB87_54:
	s_and_saveexec_b32 s8, s5
	s_cbranch_execz .LBB87_58
; %bb.55:
	v_subrev_nc_u32_e32 v55, 17, v0
	s_movk_i32 s33, 0x290
	s_mov_b32 s5, 0
	s_mov_b32 s34, s14
	.p2align	6
.LBB87_56:                              ; =>This Inner Loop Header: Depth=1
	v_mov_b32_e32 v58, s34
	v_add_nc_u32_e32 v55, -1, v55
	s_add_i32 s34, s34, 16
	s_clause 0x3
	buffer_load_dword v56, v58, s[0:3], 0 offen offset:8
	buffer_load_dword v57, v58, s[0:3], 0 offen offset:12
	buffer_load_dword v64, v58, s[0:3], 0 offen
	buffer_load_dword v65, v58, s[0:3], 0 offen offset:4
	v_mov_b32_e32 v58, s33
	v_cmp_eq_u32_e32 vcc_lo, 0, v55
	s_add_i32 s33, s33, 16
	ds_read_b128 v[60:63], v58
	s_or_b32 s5, vcc_lo, s5
	s_waitcnt vmcnt(2) lgkmcnt(0)
	v_mul_f64 v[66:67], v[62:63], v[56:57]
	v_mul_f64 v[56:57], v[60:61], v[56:57]
	s_waitcnt vmcnt(0)
	v_fma_f64 v[60:61], v[60:61], v[64:65], -v[66:67]
	v_fma_f64 v[56:57], v[62:63], v[64:65], v[56:57]
	v_add_f64 v[1:2], v[1:2], v[60:61]
	v_add_f64 v[3:4], v[3:4], v[56:57]
	s_andn2_b32 exec_lo, exec_lo, s5
	s_cbranch_execnz .LBB87_56
; %bb.57:
	s_or_b32 exec_lo, exec_lo, s5
.LBB87_58:
	s_or_b32 exec_lo, exec_lo, s8
	v_mov_b32_e32 v55, 0
	ds_read_b128 v[55:58], v55 offset:256
	s_waitcnt lgkmcnt(0)
	v_mul_f64 v[60:61], v[3:4], v[57:58]
	v_mul_f64 v[57:58], v[1:2], v[57:58]
	v_fma_f64 v[1:2], v[1:2], v[55:56], -v[60:61]
	v_fma_f64 v[3:4], v[3:4], v[55:56], v[57:58]
	buffer_store_dword v2, off, s[0:3], 0 offset:260
	buffer_store_dword v1, off, s[0:3], 0 offset:256
	;; [unrolled: 1-line block ×4, first 2 shown]
.LBB87_59:
	s_or_b32 exec_lo, exec_lo, s6
	v_mov_b32_e32 v4, s16
	v_cmp_lt_u32_e64 s5, 15, v0
	s_clause 0x3
	buffer_load_dword v1, v4, s[0:3], 0 offen
	buffer_load_dword v2, v4, s[0:3], 0 offen offset:4
	buffer_load_dword v3, v4, s[0:3], 0 offen offset:8
	;; [unrolled: 1-line block ×3, first 2 shown]
	s_waitcnt vmcnt(0)
	ds_write_b128 v54, v[1:4]
	s_waitcnt lgkmcnt(0)
	s_waitcnt_vscnt null, 0x0
	s_barrier
	buffer_gl0_inv
	s_and_saveexec_b32 s6, s5
	s_cbranch_execz .LBB87_67
; %bb.60:
	ds_read_b128 v[1:4], v54
	s_andn2_b32 vcc_lo, exec_lo, s31
	s_cbranch_vccnz .LBB87_62
; %bb.61:
	s_clause 0x3
	buffer_load_dword v55, v53, s[0:3], 0 offen offset:8
	buffer_load_dword v56, v53, s[0:3], 0 offen offset:12
	buffer_load_dword v57, v53, s[0:3], 0 offen
	buffer_load_dword v58, v53, s[0:3], 0 offen offset:4
	s_waitcnt vmcnt(2) lgkmcnt(0)
	v_mul_f64 v[60:61], v[3:4], v[55:56]
	v_mul_f64 v[55:56], v[1:2], v[55:56]
	s_waitcnt vmcnt(0)
	v_fma_f64 v[1:2], v[1:2], v[57:58], -v[60:61]
	v_fma_f64 v[3:4], v[3:4], v[57:58], v[55:56]
.LBB87_62:
	s_and_saveexec_b32 s8, s4
	s_cbranch_execz .LBB87_66
; %bb.63:
	v_add_nc_u32_e32 v55, -16, v0
	s_movk_i32 s33, 0x280
	s_mov_b32 s4, 0
	s_mov_b32 s34, s15
	.p2align	6
.LBB87_64:                              ; =>This Inner Loop Header: Depth=1
	v_mov_b32_e32 v58, s34
	v_add_nc_u32_e32 v55, -1, v55
	s_add_i32 s34, s34, 16
	s_clause 0x3
	buffer_load_dword v56, v58, s[0:3], 0 offen offset:8
	buffer_load_dword v57, v58, s[0:3], 0 offen offset:12
	buffer_load_dword v64, v58, s[0:3], 0 offen
	buffer_load_dword v65, v58, s[0:3], 0 offen offset:4
	v_mov_b32_e32 v58, s33
	v_cmp_eq_u32_e32 vcc_lo, 0, v55
	s_add_i32 s33, s33, 16
	ds_read_b128 v[60:63], v58
	s_or_b32 s4, vcc_lo, s4
	s_waitcnt vmcnt(2) lgkmcnt(0)
	v_mul_f64 v[66:67], v[62:63], v[56:57]
	v_mul_f64 v[56:57], v[60:61], v[56:57]
	s_waitcnt vmcnt(0)
	v_fma_f64 v[60:61], v[60:61], v[64:65], -v[66:67]
	v_fma_f64 v[56:57], v[62:63], v[64:65], v[56:57]
	v_add_f64 v[1:2], v[1:2], v[60:61]
	v_add_f64 v[3:4], v[3:4], v[56:57]
	s_andn2_b32 exec_lo, exec_lo, s4
	s_cbranch_execnz .LBB87_64
; %bb.65:
	s_or_b32 exec_lo, exec_lo, s4
.LBB87_66:
	s_or_b32 exec_lo, exec_lo, s8
	v_mov_b32_e32 v55, 0
	ds_read_b128 v[55:58], v55 offset:240
	s_waitcnt lgkmcnt(0)
	v_mul_f64 v[60:61], v[3:4], v[57:58]
	v_mul_f64 v[57:58], v[1:2], v[57:58]
	v_fma_f64 v[1:2], v[1:2], v[55:56], -v[60:61]
	v_fma_f64 v[3:4], v[3:4], v[55:56], v[57:58]
	buffer_store_dword v2, off, s[0:3], 0 offset:244
	buffer_store_dword v1, off, s[0:3], 0 offset:240
	;; [unrolled: 1-line block ×4, first 2 shown]
.LBB87_67:
	s_or_b32 exec_lo, exec_lo, s6
	v_mov_b32_e32 v4, s17
	v_cmp_lt_u32_e64 s4, 14, v0
	s_clause 0x3
	buffer_load_dword v1, v4, s[0:3], 0 offen
	buffer_load_dword v2, v4, s[0:3], 0 offen offset:4
	buffer_load_dword v3, v4, s[0:3], 0 offen offset:8
	;; [unrolled: 1-line block ×3, first 2 shown]
	s_waitcnt vmcnt(0)
	ds_write_b128 v54, v[1:4]
	s_waitcnt lgkmcnt(0)
	s_waitcnt_vscnt null, 0x0
	s_barrier
	buffer_gl0_inv
	s_and_saveexec_b32 s6, s4
	s_cbranch_execz .LBB87_75
; %bb.68:
	ds_read_b128 v[1:4], v54
	s_andn2_b32 vcc_lo, exec_lo, s31
	s_cbranch_vccnz .LBB87_70
; %bb.69:
	s_clause 0x3
	buffer_load_dword v55, v53, s[0:3], 0 offen offset:8
	buffer_load_dword v56, v53, s[0:3], 0 offen offset:12
	buffer_load_dword v57, v53, s[0:3], 0 offen
	buffer_load_dword v58, v53, s[0:3], 0 offen offset:4
	s_waitcnt vmcnt(2) lgkmcnt(0)
	v_mul_f64 v[60:61], v[3:4], v[55:56]
	v_mul_f64 v[55:56], v[1:2], v[55:56]
	s_waitcnt vmcnt(0)
	v_fma_f64 v[1:2], v[1:2], v[57:58], -v[60:61]
	v_fma_f64 v[3:4], v[3:4], v[57:58], v[55:56]
.LBB87_70:
	s_and_saveexec_b32 s8, s5
	s_cbranch_execz .LBB87_74
; %bb.71:
	v_add_nc_u32_e32 v55, -15, v0
	s_movk_i32 s33, 0x270
	s_mov_b32 s5, 0
	s_mov_b32 s34, s16
	.p2align	6
.LBB87_72:                              ; =>This Inner Loop Header: Depth=1
	v_mov_b32_e32 v58, s34
	v_add_nc_u32_e32 v55, -1, v55
	s_add_i32 s34, s34, 16
	s_clause 0x3
	buffer_load_dword v56, v58, s[0:3], 0 offen offset:8
	buffer_load_dword v57, v58, s[0:3], 0 offen offset:12
	buffer_load_dword v64, v58, s[0:3], 0 offen
	buffer_load_dword v65, v58, s[0:3], 0 offen offset:4
	v_mov_b32_e32 v58, s33
	v_cmp_eq_u32_e32 vcc_lo, 0, v55
	s_add_i32 s33, s33, 16
	ds_read_b128 v[60:63], v58
	s_or_b32 s5, vcc_lo, s5
	s_waitcnt vmcnt(2) lgkmcnt(0)
	v_mul_f64 v[66:67], v[62:63], v[56:57]
	v_mul_f64 v[56:57], v[60:61], v[56:57]
	s_waitcnt vmcnt(0)
	v_fma_f64 v[60:61], v[60:61], v[64:65], -v[66:67]
	v_fma_f64 v[56:57], v[62:63], v[64:65], v[56:57]
	v_add_f64 v[1:2], v[1:2], v[60:61]
	v_add_f64 v[3:4], v[3:4], v[56:57]
	s_andn2_b32 exec_lo, exec_lo, s5
	s_cbranch_execnz .LBB87_72
; %bb.73:
	s_or_b32 exec_lo, exec_lo, s5
.LBB87_74:
	s_or_b32 exec_lo, exec_lo, s8
	v_mov_b32_e32 v55, 0
	ds_read_b128 v[55:58], v55 offset:224
	s_waitcnt lgkmcnt(0)
	v_mul_f64 v[60:61], v[3:4], v[57:58]
	v_mul_f64 v[57:58], v[1:2], v[57:58]
	v_fma_f64 v[1:2], v[1:2], v[55:56], -v[60:61]
	v_fma_f64 v[3:4], v[3:4], v[55:56], v[57:58]
	buffer_store_dword v2, off, s[0:3], 0 offset:228
	buffer_store_dword v1, off, s[0:3], 0 offset:224
	;; [unrolled: 1-line block ×4, first 2 shown]
.LBB87_75:
	s_or_b32 exec_lo, exec_lo, s6
	v_mov_b32_e32 v4, s18
	v_cmp_lt_u32_e64 s5, 13, v0
	s_clause 0x3
	buffer_load_dword v1, v4, s[0:3], 0 offen
	buffer_load_dword v2, v4, s[0:3], 0 offen offset:4
	buffer_load_dword v3, v4, s[0:3], 0 offen offset:8
	;; [unrolled: 1-line block ×3, first 2 shown]
	s_waitcnt vmcnt(0)
	ds_write_b128 v54, v[1:4]
	s_waitcnt lgkmcnt(0)
	s_waitcnt_vscnt null, 0x0
	s_barrier
	buffer_gl0_inv
	s_and_saveexec_b32 s6, s5
	s_cbranch_execz .LBB87_83
; %bb.76:
	ds_read_b128 v[1:4], v54
	s_andn2_b32 vcc_lo, exec_lo, s31
	s_cbranch_vccnz .LBB87_78
; %bb.77:
	s_clause 0x3
	buffer_load_dword v55, v53, s[0:3], 0 offen offset:8
	buffer_load_dword v56, v53, s[0:3], 0 offen offset:12
	buffer_load_dword v57, v53, s[0:3], 0 offen
	buffer_load_dword v58, v53, s[0:3], 0 offen offset:4
	s_waitcnt vmcnt(2) lgkmcnt(0)
	v_mul_f64 v[60:61], v[3:4], v[55:56]
	v_mul_f64 v[55:56], v[1:2], v[55:56]
	s_waitcnt vmcnt(0)
	v_fma_f64 v[1:2], v[1:2], v[57:58], -v[60:61]
	v_fma_f64 v[3:4], v[3:4], v[57:58], v[55:56]
.LBB87_78:
	s_and_saveexec_b32 s8, s4
	s_cbranch_execz .LBB87_82
; %bb.79:
	v_add_nc_u32_e32 v55, -14, v0
	s_movk_i32 s33, 0x260
	s_mov_b32 s4, 0
	s_mov_b32 s34, s17
	.p2align	6
.LBB87_80:                              ; =>This Inner Loop Header: Depth=1
	v_mov_b32_e32 v58, s34
	v_add_nc_u32_e32 v55, -1, v55
	s_add_i32 s34, s34, 16
	s_clause 0x3
	buffer_load_dword v56, v58, s[0:3], 0 offen offset:8
	buffer_load_dword v57, v58, s[0:3], 0 offen offset:12
	buffer_load_dword v64, v58, s[0:3], 0 offen
	buffer_load_dword v65, v58, s[0:3], 0 offen offset:4
	v_mov_b32_e32 v58, s33
	v_cmp_eq_u32_e32 vcc_lo, 0, v55
	s_add_i32 s33, s33, 16
	ds_read_b128 v[60:63], v58
	s_or_b32 s4, vcc_lo, s4
	s_waitcnt vmcnt(2) lgkmcnt(0)
	v_mul_f64 v[66:67], v[62:63], v[56:57]
	v_mul_f64 v[56:57], v[60:61], v[56:57]
	s_waitcnt vmcnt(0)
	v_fma_f64 v[60:61], v[60:61], v[64:65], -v[66:67]
	v_fma_f64 v[56:57], v[62:63], v[64:65], v[56:57]
	v_add_f64 v[1:2], v[1:2], v[60:61]
	v_add_f64 v[3:4], v[3:4], v[56:57]
	s_andn2_b32 exec_lo, exec_lo, s4
	s_cbranch_execnz .LBB87_80
; %bb.81:
	s_or_b32 exec_lo, exec_lo, s4
.LBB87_82:
	s_or_b32 exec_lo, exec_lo, s8
	v_mov_b32_e32 v55, 0
	ds_read_b128 v[55:58], v55 offset:208
	s_waitcnt lgkmcnt(0)
	v_mul_f64 v[60:61], v[3:4], v[57:58]
	v_mul_f64 v[57:58], v[1:2], v[57:58]
	v_fma_f64 v[1:2], v[1:2], v[55:56], -v[60:61]
	v_fma_f64 v[3:4], v[3:4], v[55:56], v[57:58]
	buffer_store_dword v2, off, s[0:3], 0 offset:212
	buffer_store_dword v1, off, s[0:3], 0 offset:208
	;; [unrolled: 1-line block ×4, first 2 shown]
.LBB87_83:
	s_or_b32 exec_lo, exec_lo, s6
	v_mov_b32_e32 v4, s19
	v_cmp_lt_u32_e64 s4, 12, v0
	s_clause 0x3
	buffer_load_dword v1, v4, s[0:3], 0 offen
	buffer_load_dword v2, v4, s[0:3], 0 offen offset:4
	buffer_load_dword v3, v4, s[0:3], 0 offen offset:8
	;; [unrolled: 1-line block ×3, first 2 shown]
	s_waitcnt vmcnt(0)
	ds_write_b128 v54, v[1:4]
	s_waitcnt lgkmcnt(0)
	s_waitcnt_vscnt null, 0x0
	s_barrier
	buffer_gl0_inv
	s_and_saveexec_b32 s6, s4
	s_cbranch_execz .LBB87_91
; %bb.84:
	ds_read_b128 v[1:4], v54
	s_andn2_b32 vcc_lo, exec_lo, s31
	s_cbranch_vccnz .LBB87_86
; %bb.85:
	s_clause 0x3
	buffer_load_dword v55, v53, s[0:3], 0 offen offset:8
	buffer_load_dword v56, v53, s[0:3], 0 offen offset:12
	buffer_load_dword v57, v53, s[0:3], 0 offen
	buffer_load_dword v58, v53, s[0:3], 0 offen offset:4
	s_waitcnt vmcnt(2) lgkmcnt(0)
	v_mul_f64 v[60:61], v[3:4], v[55:56]
	v_mul_f64 v[55:56], v[1:2], v[55:56]
	s_waitcnt vmcnt(0)
	v_fma_f64 v[1:2], v[1:2], v[57:58], -v[60:61]
	v_fma_f64 v[3:4], v[3:4], v[57:58], v[55:56]
.LBB87_86:
	s_and_saveexec_b32 s8, s5
	s_cbranch_execz .LBB87_90
; %bb.87:
	v_add_nc_u32_e32 v55, -13, v0
	s_movk_i32 s33, 0x250
	s_mov_b32 s5, 0
	s_mov_b32 s34, s18
	.p2align	6
.LBB87_88:                              ; =>This Inner Loop Header: Depth=1
	v_mov_b32_e32 v58, s34
	v_add_nc_u32_e32 v55, -1, v55
	s_add_i32 s34, s34, 16
	s_clause 0x3
	buffer_load_dword v56, v58, s[0:3], 0 offen offset:8
	buffer_load_dword v57, v58, s[0:3], 0 offen offset:12
	buffer_load_dword v64, v58, s[0:3], 0 offen
	buffer_load_dword v65, v58, s[0:3], 0 offen offset:4
	v_mov_b32_e32 v58, s33
	v_cmp_eq_u32_e32 vcc_lo, 0, v55
	s_add_i32 s33, s33, 16
	ds_read_b128 v[60:63], v58
	s_or_b32 s5, vcc_lo, s5
	s_waitcnt vmcnt(2) lgkmcnt(0)
	v_mul_f64 v[66:67], v[62:63], v[56:57]
	v_mul_f64 v[56:57], v[60:61], v[56:57]
	s_waitcnt vmcnt(0)
	v_fma_f64 v[60:61], v[60:61], v[64:65], -v[66:67]
	v_fma_f64 v[56:57], v[62:63], v[64:65], v[56:57]
	v_add_f64 v[1:2], v[1:2], v[60:61]
	v_add_f64 v[3:4], v[3:4], v[56:57]
	s_andn2_b32 exec_lo, exec_lo, s5
	s_cbranch_execnz .LBB87_88
; %bb.89:
	s_or_b32 exec_lo, exec_lo, s5
.LBB87_90:
	s_or_b32 exec_lo, exec_lo, s8
	v_mov_b32_e32 v55, 0
	ds_read_b128 v[55:58], v55 offset:192
	s_waitcnt lgkmcnt(0)
	v_mul_f64 v[60:61], v[3:4], v[57:58]
	v_mul_f64 v[57:58], v[1:2], v[57:58]
	v_fma_f64 v[1:2], v[1:2], v[55:56], -v[60:61]
	v_fma_f64 v[3:4], v[3:4], v[55:56], v[57:58]
	buffer_store_dword v2, off, s[0:3], 0 offset:196
	buffer_store_dword v1, off, s[0:3], 0 offset:192
	;; [unrolled: 1-line block ×4, first 2 shown]
.LBB87_91:
	s_or_b32 exec_lo, exec_lo, s6
	v_mov_b32_e32 v4, s20
	v_cmp_lt_u32_e64 s5, 11, v0
	s_clause 0x3
	buffer_load_dword v1, v4, s[0:3], 0 offen
	buffer_load_dword v2, v4, s[0:3], 0 offen offset:4
	buffer_load_dword v3, v4, s[0:3], 0 offen offset:8
	;; [unrolled: 1-line block ×3, first 2 shown]
	s_waitcnt vmcnt(0)
	ds_write_b128 v54, v[1:4]
	s_waitcnt lgkmcnt(0)
	s_waitcnt_vscnt null, 0x0
	s_barrier
	buffer_gl0_inv
	s_and_saveexec_b32 s6, s5
	s_cbranch_execz .LBB87_99
; %bb.92:
	ds_read_b128 v[1:4], v54
	s_andn2_b32 vcc_lo, exec_lo, s31
	s_cbranch_vccnz .LBB87_94
; %bb.93:
	s_clause 0x3
	buffer_load_dword v55, v53, s[0:3], 0 offen offset:8
	buffer_load_dword v56, v53, s[0:3], 0 offen offset:12
	buffer_load_dword v57, v53, s[0:3], 0 offen
	buffer_load_dword v58, v53, s[0:3], 0 offen offset:4
	s_waitcnt vmcnt(2) lgkmcnt(0)
	v_mul_f64 v[60:61], v[3:4], v[55:56]
	v_mul_f64 v[55:56], v[1:2], v[55:56]
	s_waitcnt vmcnt(0)
	v_fma_f64 v[1:2], v[1:2], v[57:58], -v[60:61]
	v_fma_f64 v[3:4], v[3:4], v[57:58], v[55:56]
.LBB87_94:
	s_and_saveexec_b32 s8, s4
	s_cbranch_execz .LBB87_98
; %bb.95:
	v_add_nc_u32_e32 v55, -12, v0
	s_movk_i32 s33, 0x240
	s_mov_b32 s4, 0
	s_mov_b32 s34, s19
	.p2align	6
.LBB87_96:                              ; =>This Inner Loop Header: Depth=1
	v_mov_b32_e32 v58, s34
	v_add_nc_u32_e32 v55, -1, v55
	s_add_i32 s34, s34, 16
	s_clause 0x3
	buffer_load_dword v56, v58, s[0:3], 0 offen offset:8
	buffer_load_dword v57, v58, s[0:3], 0 offen offset:12
	buffer_load_dword v64, v58, s[0:3], 0 offen
	buffer_load_dword v65, v58, s[0:3], 0 offen offset:4
	v_mov_b32_e32 v58, s33
	v_cmp_eq_u32_e32 vcc_lo, 0, v55
	s_add_i32 s33, s33, 16
	ds_read_b128 v[60:63], v58
	s_or_b32 s4, vcc_lo, s4
	s_waitcnt vmcnt(2) lgkmcnt(0)
	v_mul_f64 v[66:67], v[62:63], v[56:57]
	v_mul_f64 v[56:57], v[60:61], v[56:57]
	s_waitcnt vmcnt(0)
	v_fma_f64 v[60:61], v[60:61], v[64:65], -v[66:67]
	v_fma_f64 v[56:57], v[62:63], v[64:65], v[56:57]
	v_add_f64 v[1:2], v[1:2], v[60:61]
	v_add_f64 v[3:4], v[3:4], v[56:57]
	s_andn2_b32 exec_lo, exec_lo, s4
	s_cbranch_execnz .LBB87_96
; %bb.97:
	s_or_b32 exec_lo, exec_lo, s4
.LBB87_98:
	s_or_b32 exec_lo, exec_lo, s8
	v_mov_b32_e32 v55, 0
	ds_read_b128 v[55:58], v55 offset:176
	s_waitcnt lgkmcnt(0)
	v_mul_f64 v[60:61], v[3:4], v[57:58]
	v_mul_f64 v[57:58], v[1:2], v[57:58]
	v_fma_f64 v[1:2], v[1:2], v[55:56], -v[60:61]
	v_fma_f64 v[3:4], v[3:4], v[55:56], v[57:58]
	buffer_store_dword v2, off, s[0:3], 0 offset:180
	buffer_store_dword v1, off, s[0:3], 0 offset:176
	;; [unrolled: 1-line block ×4, first 2 shown]
.LBB87_99:
	s_or_b32 exec_lo, exec_lo, s6
	v_mov_b32_e32 v4, s21
	v_cmp_lt_u32_e64 s4, 10, v0
	s_clause 0x3
	buffer_load_dword v1, v4, s[0:3], 0 offen
	buffer_load_dword v2, v4, s[0:3], 0 offen offset:4
	buffer_load_dword v3, v4, s[0:3], 0 offen offset:8
	;; [unrolled: 1-line block ×3, first 2 shown]
	s_waitcnt vmcnt(0)
	ds_write_b128 v54, v[1:4]
	s_waitcnt lgkmcnt(0)
	s_waitcnt_vscnt null, 0x0
	s_barrier
	buffer_gl0_inv
	s_and_saveexec_b32 s6, s4
	s_cbranch_execz .LBB87_107
; %bb.100:
	ds_read_b128 v[1:4], v54
	s_andn2_b32 vcc_lo, exec_lo, s31
	s_cbranch_vccnz .LBB87_102
; %bb.101:
	s_clause 0x3
	buffer_load_dword v55, v53, s[0:3], 0 offen offset:8
	buffer_load_dword v56, v53, s[0:3], 0 offen offset:12
	buffer_load_dword v57, v53, s[0:3], 0 offen
	buffer_load_dword v58, v53, s[0:3], 0 offen offset:4
	s_waitcnt vmcnt(2) lgkmcnt(0)
	v_mul_f64 v[60:61], v[3:4], v[55:56]
	v_mul_f64 v[55:56], v[1:2], v[55:56]
	s_waitcnt vmcnt(0)
	v_fma_f64 v[1:2], v[1:2], v[57:58], -v[60:61]
	v_fma_f64 v[3:4], v[3:4], v[57:58], v[55:56]
.LBB87_102:
	s_and_saveexec_b32 s8, s5
	s_cbranch_execz .LBB87_106
; %bb.103:
	v_add_nc_u32_e32 v55, -11, v0
	s_movk_i32 s33, 0x230
	s_mov_b32 s5, 0
	s_mov_b32 s34, s20
	.p2align	6
.LBB87_104:                             ; =>This Inner Loop Header: Depth=1
	v_mov_b32_e32 v58, s34
	v_add_nc_u32_e32 v55, -1, v55
	s_add_i32 s34, s34, 16
	s_clause 0x3
	buffer_load_dword v56, v58, s[0:3], 0 offen offset:8
	buffer_load_dword v57, v58, s[0:3], 0 offen offset:12
	buffer_load_dword v64, v58, s[0:3], 0 offen
	buffer_load_dword v65, v58, s[0:3], 0 offen offset:4
	v_mov_b32_e32 v58, s33
	v_cmp_eq_u32_e32 vcc_lo, 0, v55
	s_add_i32 s33, s33, 16
	ds_read_b128 v[60:63], v58
	s_or_b32 s5, vcc_lo, s5
	s_waitcnt vmcnt(2) lgkmcnt(0)
	v_mul_f64 v[66:67], v[62:63], v[56:57]
	v_mul_f64 v[56:57], v[60:61], v[56:57]
	s_waitcnt vmcnt(0)
	v_fma_f64 v[60:61], v[60:61], v[64:65], -v[66:67]
	v_fma_f64 v[56:57], v[62:63], v[64:65], v[56:57]
	v_add_f64 v[1:2], v[1:2], v[60:61]
	v_add_f64 v[3:4], v[3:4], v[56:57]
	s_andn2_b32 exec_lo, exec_lo, s5
	s_cbranch_execnz .LBB87_104
; %bb.105:
	s_or_b32 exec_lo, exec_lo, s5
.LBB87_106:
	s_or_b32 exec_lo, exec_lo, s8
	v_mov_b32_e32 v55, 0
	ds_read_b128 v[55:58], v55 offset:160
	s_waitcnt lgkmcnt(0)
	v_mul_f64 v[60:61], v[3:4], v[57:58]
	v_mul_f64 v[57:58], v[1:2], v[57:58]
	v_fma_f64 v[1:2], v[1:2], v[55:56], -v[60:61]
	v_fma_f64 v[3:4], v[3:4], v[55:56], v[57:58]
	buffer_store_dword v2, off, s[0:3], 0 offset:164
	buffer_store_dword v1, off, s[0:3], 0 offset:160
	;; [unrolled: 1-line block ×4, first 2 shown]
.LBB87_107:
	s_or_b32 exec_lo, exec_lo, s6
	v_mov_b32_e32 v4, s22
	v_cmp_lt_u32_e64 s5, 9, v0
	s_clause 0x3
	buffer_load_dword v1, v4, s[0:3], 0 offen
	buffer_load_dword v2, v4, s[0:3], 0 offen offset:4
	buffer_load_dword v3, v4, s[0:3], 0 offen offset:8
	;; [unrolled: 1-line block ×3, first 2 shown]
	s_waitcnt vmcnt(0)
	ds_write_b128 v54, v[1:4]
	s_waitcnt lgkmcnt(0)
	s_waitcnt_vscnt null, 0x0
	s_barrier
	buffer_gl0_inv
	s_and_saveexec_b32 s6, s5
	s_cbranch_execz .LBB87_115
; %bb.108:
	ds_read_b128 v[1:4], v54
	s_andn2_b32 vcc_lo, exec_lo, s31
	s_cbranch_vccnz .LBB87_110
; %bb.109:
	s_clause 0x3
	buffer_load_dword v55, v53, s[0:3], 0 offen offset:8
	buffer_load_dword v56, v53, s[0:3], 0 offen offset:12
	buffer_load_dword v57, v53, s[0:3], 0 offen
	buffer_load_dword v58, v53, s[0:3], 0 offen offset:4
	s_waitcnt vmcnt(2) lgkmcnt(0)
	v_mul_f64 v[60:61], v[3:4], v[55:56]
	v_mul_f64 v[55:56], v[1:2], v[55:56]
	s_waitcnt vmcnt(0)
	v_fma_f64 v[1:2], v[1:2], v[57:58], -v[60:61]
	v_fma_f64 v[3:4], v[3:4], v[57:58], v[55:56]
.LBB87_110:
	s_and_saveexec_b32 s8, s4
	s_cbranch_execz .LBB87_114
; %bb.111:
	v_add_nc_u32_e32 v55, -10, v0
	s_movk_i32 s33, 0x220
	s_mov_b32 s4, 0
	s_mov_b32 s34, s21
	.p2align	6
.LBB87_112:                             ; =>This Inner Loop Header: Depth=1
	v_mov_b32_e32 v58, s34
	v_add_nc_u32_e32 v55, -1, v55
	s_add_i32 s34, s34, 16
	s_clause 0x3
	buffer_load_dword v56, v58, s[0:3], 0 offen offset:8
	buffer_load_dword v57, v58, s[0:3], 0 offen offset:12
	buffer_load_dword v64, v58, s[0:3], 0 offen
	buffer_load_dword v65, v58, s[0:3], 0 offen offset:4
	v_mov_b32_e32 v58, s33
	v_cmp_eq_u32_e32 vcc_lo, 0, v55
	s_add_i32 s33, s33, 16
	ds_read_b128 v[60:63], v58
	s_or_b32 s4, vcc_lo, s4
	s_waitcnt vmcnt(2) lgkmcnt(0)
	v_mul_f64 v[66:67], v[62:63], v[56:57]
	v_mul_f64 v[56:57], v[60:61], v[56:57]
	s_waitcnt vmcnt(0)
	v_fma_f64 v[60:61], v[60:61], v[64:65], -v[66:67]
	v_fma_f64 v[56:57], v[62:63], v[64:65], v[56:57]
	v_add_f64 v[1:2], v[1:2], v[60:61]
	v_add_f64 v[3:4], v[3:4], v[56:57]
	s_andn2_b32 exec_lo, exec_lo, s4
	s_cbranch_execnz .LBB87_112
; %bb.113:
	s_or_b32 exec_lo, exec_lo, s4
.LBB87_114:
	s_or_b32 exec_lo, exec_lo, s8
	v_mov_b32_e32 v55, 0
	ds_read_b128 v[55:58], v55 offset:144
	s_waitcnt lgkmcnt(0)
	v_mul_f64 v[60:61], v[3:4], v[57:58]
	v_mul_f64 v[57:58], v[1:2], v[57:58]
	v_fma_f64 v[1:2], v[1:2], v[55:56], -v[60:61]
	v_fma_f64 v[3:4], v[3:4], v[55:56], v[57:58]
	buffer_store_dword v2, off, s[0:3], 0 offset:148
	buffer_store_dword v1, off, s[0:3], 0 offset:144
	;; [unrolled: 1-line block ×4, first 2 shown]
.LBB87_115:
	s_or_b32 exec_lo, exec_lo, s6
	v_mov_b32_e32 v4, s23
	v_cmp_lt_u32_e64 s4, 8, v0
	s_clause 0x3
	buffer_load_dword v1, v4, s[0:3], 0 offen
	buffer_load_dword v2, v4, s[0:3], 0 offen offset:4
	buffer_load_dword v3, v4, s[0:3], 0 offen offset:8
	;; [unrolled: 1-line block ×3, first 2 shown]
	s_waitcnt vmcnt(0)
	ds_write_b128 v54, v[1:4]
	s_waitcnt lgkmcnt(0)
	s_waitcnt_vscnt null, 0x0
	s_barrier
	buffer_gl0_inv
	s_and_saveexec_b32 s6, s4
	s_cbranch_execz .LBB87_123
; %bb.116:
	ds_read_b128 v[1:4], v54
	s_andn2_b32 vcc_lo, exec_lo, s31
	s_cbranch_vccnz .LBB87_118
; %bb.117:
	s_clause 0x3
	buffer_load_dword v55, v53, s[0:3], 0 offen offset:8
	buffer_load_dword v56, v53, s[0:3], 0 offen offset:12
	buffer_load_dword v57, v53, s[0:3], 0 offen
	buffer_load_dword v58, v53, s[0:3], 0 offen offset:4
	s_waitcnt vmcnt(2) lgkmcnt(0)
	v_mul_f64 v[60:61], v[3:4], v[55:56]
	v_mul_f64 v[55:56], v[1:2], v[55:56]
	s_waitcnt vmcnt(0)
	v_fma_f64 v[1:2], v[1:2], v[57:58], -v[60:61]
	v_fma_f64 v[3:4], v[3:4], v[57:58], v[55:56]
.LBB87_118:
	s_and_saveexec_b32 s8, s5
	s_cbranch_execz .LBB87_122
; %bb.119:
	v_add_nc_u32_e32 v55, -9, v0
	s_movk_i32 s33, 0x210
	s_mov_b32 s5, 0
	s_mov_b32 s34, s22
	.p2align	6
.LBB87_120:                             ; =>This Inner Loop Header: Depth=1
	v_mov_b32_e32 v58, s34
	v_add_nc_u32_e32 v55, -1, v55
	s_add_i32 s34, s34, 16
	s_clause 0x3
	buffer_load_dword v56, v58, s[0:3], 0 offen offset:8
	buffer_load_dword v57, v58, s[0:3], 0 offen offset:12
	buffer_load_dword v64, v58, s[0:3], 0 offen
	buffer_load_dword v65, v58, s[0:3], 0 offen offset:4
	v_mov_b32_e32 v58, s33
	v_cmp_eq_u32_e32 vcc_lo, 0, v55
	s_add_i32 s33, s33, 16
	ds_read_b128 v[60:63], v58
	s_or_b32 s5, vcc_lo, s5
	s_waitcnt vmcnt(2) lgkmcnt(0)
	v_mul_f64 v[66:67], v[62:63], v[56:57]
	v_mul_f64 v[56:57], v[60:61], v[56:57]
	s_waitcnt vmcnt(0)
	v_fma_f64 v[60:61], v[60:61], v[64:65], -v[66:67]
	v_fma_f64 v[56:57], v[62:63], v[64:65], v[56:57]
	v_add_f64 v[1:2], v[1:2], v[60:61]
	v_add_f64 v[3:4], v[3:4], v[56:57]
	s_andn2_b32 exec_lo, exec_lo, s5
	s_cbranch_execnz .LBB87_120
; %bb.121:
	s_or_b32 exec_lo, exec_lo, s5
.LBB87_122:
	s_or_b32 exec_lo, exec_lo, s8
	v_mov_b32_e32 v55, 0
	ds_read_b128 v[55:58], v55 offset:128
	s_waitcnt lgkmcnt(0)
	v_mul_f64 v[60:61], v[3:4], v[57:58]
	v_mul_f64 v[57:58], v[1:2], v[57:58]
	v_fma_f64 v[1:2], v[1:2], v[55:56], -v[60:61]
	v_fma_f64 v[3:4], v[3:4], v[55:56], v[57:58]
	buffer_store_dword v2, off, s[0:3], 0 offset:132
	buffer_store_dword v1, off, s[0:3], 0 offset:128
	;; [unrolled: 1-line block ×4, first 2 shown]
.LBB87_123:
	s_or_b32 exec_lo, exec_lo, s6
	v_mov_b32_e32 v4, s24
	v_cmp_lt_u32_e64 s5, 7, v0
	s_clause 0x3
	buffer_load_dword v1, v4, s[0:3], 0 offen
	buffer_load_dword v2, v4, s[0:3], 0 offen offset:4
	buffer_load_dword v3, v4, s[0:3], 0 offen offset:8
	;; [unrolled: 1-line block ×3, first 2 shown]
	s_waitcnt vmcnt(0)
	ds_write_b128 v54, v[1:4]
	s_waitcnt lgkmcnt(0)
	s_waitcnt_vscnt null, 0x0
	s_barrier
	buffer_gl0_inv
	s_and_saveexec_b32 s6, s5
	s_cbranch_execz .LBB87_131
; %bb.124:
	ds_read_b128 v[1:4], v54
	s_andn2_b32 vcc_lo, exec_lo, s31
	s_cbranch_vccnz .LBB87_126
; %bb.125:
	s_clause 0x3
	buffer_load_dword v55, v53, s[0:3], 0 offen offset:8
	buffer_load_dword v56, v53, s[0:3], 0 offen offset:12
	buffer_load_dword v57, v53, s[0:3], 0 offen
	buffer_load_dword v58, v53, s[0:3], 0 offen offset:4
	s_waitcnt vmcnt(2) lgkmcnt(0)
	v_mul_f64 v[60:61], v[3:4], v[55:56]
	v_mul_f64 v[55:56], v[1:2], v[55:56]
	s_waitcnt vmcnt(0)
	v_fma_f64 v[1:2], v[1:2], v[57:58], -v[60:61]
	v_fma_f64 v[3:4], v[3:4], v[57:58], v[55:56]
.LBB87_126:
	s_and_saveexec_b32 s8, s4
	s_cbranch_execz .LBB87_130
; %bb.127:
	v_add_nc_u32_e32 v55, -8, v0
	s_movk_i32 s33, 0x200
	s_mov_b32 s4, 0
	s_mov_b32 s34, s23
	.p2align	6
.LBB87_128:                             ; =>This Inner Loop Header: Depth=1
	v_mov_b32_e32 v58, s34
	v_add_nc_u32_e32 v55, -1, v55
	s_add_i32 s34, s34, 16
	s_clause 0x3
	buffer_load_dword v56, v58, s[0:3], 0 offen offset:8
	buffer_load_dword v57, v58, s[0:3], 0 offen offset:12
	buffer_load_dword v64, v58, s[0:3], 0 offen
	buffer_load_dword v65, v58, s[0:3], 0 offen offset:4
	v_mov_b32_e32 v58, s33
	v_cmp_eq_u32_e32 vcc_lo, 0, v55
	s_add_i32 s33, s33, 16
	ds_read_b128 v[60:63], v58
	s_or_b32 s4, vcc_lo, s4
	s_waitcnt vmcnt(2) lgkmcnt(0)
	v_mul_f64 v[66:67], v[62:63], v[56:57]
	v_mul_f64 v[56:57], v[60:61], v[56:57]
	s_waitcnt vmcnt(0)
	v_fma_f64 v[60:61], v[60:61], v[64:65], -v[66:67]
	v_fma_f64 v[56:57], v[62:63], v[64:65], v[56:57]
	v_add_f64 v[1:2], v[1:2], v[60:61]
	v_add_f64 v[3:4], v[3:4], v[56:57]
	s_andn2_b32 exec_lo, exec_lo, s4
	s_cbranch_execnz .LBB87_128
; %bb.129:
	s_or_b32 exec_lo, exec_lo, s4
.LBB87_130:
	s_or_b32 exec_lo, exec_lo, s8
	v_mov_b32_e32 v55, 0
	ds_read_b128 v[55:58], v55 offset:112
	s_waitcnt lgkmcnt(0)
	v_mul_f64 v[60:61], v[3:4], v[57:58]
	v_mul_f64 v[57:58], v[1:2], v[57:58]
	v_fma_f64 v[1:2], v[1:2], v[55:56], -v[60:61]
	v_fma_f64 v[3:4], v[3:4], v[55:56], v[57:58]
	buffer_store_dword v2, off, s[0:3], 0 offset:116
	buffer_store_dword v1, off, s[0:3], 0 offset:112
	;; [unrolled: 1-line block ×4, first 2 shown]
.LBB87_131:
	s_or_b32 exec_lo, exec_lo, s6
	v_mov_b32_e32 v4, s25
	v_cmp_lt_u32_e64 s4, 6, v0
	s_clause 0x3
	buffer_load_dword v1, v4, s[0:3], 0 offen
	buffer_load_dword v2, v4, s[0:3], 0 offen offset:4
	buffer_load_dword v3, v4, s[0:3], 0 offen offset:8
	;; [unrolled: 1-line block ×3, first 2 shown]
	s_waitcnt vmcnt(0)
	ds_write_b128 v54, v[1:4]
	s_waitcnt lgkmcnt(0)
	s_waitcnt_vscnt null, 0x0
	s_barrier
	buffer_gl0_inv
	s_and_saveexec_b32 s6, s4
	s_cbranch_execz .LBB87_139
; %bb.132:
	ds_read_b128 v[1:4], v54
	s_andn2_b32 vcc_lo, exec_lo, s31
	s_cbranch_vccnz .LBB87_134
; %bb.133:
	s_clause 0x3
	buffer_load_dword v55, v53, s[0:3], 0 offen offset:8
	buffer_load_dword v56, v53, s[0:3], 0 offen offset:12
	buffer_load_dword v57, v53, s[0:3], 0 offen
	buffer_load_dword v58, v53, s[0:3], 0 offen offset:4
	s_waitcnt vmcnt(2) lgkmcnt(0)
	v_mul_f64 v[60:61], v[3:4], v[55:56]
	v_mul_f64 v[55:56], v[1:2], v[55:56]
	s_waitcnt vmcnt(0)
	v_fma_f64 v[1:2], v[1:2], v[57:58], -v[60:61]
	v_fma_f64 v[3:4], v[3:4], v[57:58], v[55:56]
.LBB87_134:
	s_and_saveexec_b32 s8, s5
	s_cbranch_execz .LBB87_138
; %bb.135:
	v_add_nc_u32_e32 v55, -7, v0
	s_movk_i32 s33, 0x1f0
	s_mov_b32 s5, 0
	s_mov_b32 s34, s24
	.p2align	6
.LBB87_136:                             ; =>This Inner Loop Header: Depth=1
	v_mov_b32_e32 v58, s34
	v_add_nc_u32_e32 v55, -1, v55
	s_add_i32 s34, s34, 16
	s_clause 0x3
	buffer_load_dword v56, v58, s[0:3], 0 offen offset:8
	buffer_load_dword v57, v58, s[0:3], 0 offen offset:12
	buffer_load_dword v64, v58, s[0:3], 0 offen
	buffer_load_dword v65, v58, s[0:3], 0 offen offset:4
	v_mov_b32_e32 v58, s33
	v_cmp_eq_u32_e32 vcc_lo, 0, v55
	s_add_i32 s33, s33, 16
	ds_read_b128 v[60:63], v58
	s_or_b32 s5, vcc_lo, s5
	s_waitcnt vmcnt(2) lgkmcnt(0)
	v_mul_f64 v[66:67], v[62:63], v[56:57]
	v_mul_f64 v[56:57], v[60:61], v[56:57]
	s_waitcnt vmcnt(0)
	v_fma_f64 v[60:61], v[60:61], v[64:65], -v[66:67]
	v_fma_f64 v[56:57], v[62:63], v[64:65], v[56:57]
	v_add_f64 v[1:2], v[1:2], v[60:61]
	v_add_f64 v[3:4], v[3:4], v[56:57]
	s_andn2_b32 exec_lo, exec_lo, s5
	s_cbranch_execnz .LBB87_136
; %bb.137:
	s_or_b32 exec_lo, exec_lo, s5
.LBB87_138:
	s_or_b32 exec_lo, exec_lo, s8
	v_mov_b32_e32 v55, 0
	ds_read_b128 v[55:58], v55 offset:96
	s_waitcnt lgkmcnt(0)
	v_mul_f64 v[60:61], v[3:4], v[57:58]
	v_mul_f64 v[57:58], v[1:2], v[57:58]
	v_fma_f64 v[1:2], v[1:2], v[55:56], -v[60:61]
	v_fma_f64 v[3:4], v[3:4], v[55:56], v[57:58]
	buffer_store_dword v2, off, s[0:3], 0 offset:100
	buffer_store_dword v1, off, s[0:3], 0 offset:96
	;; [unrolled: 1-line block ×4, first 2 shown]
.LBB87_139:
	s_or_b32 exec_lo, exec_lo, s6
	v_mov_b32_e32 v4, s26
	v_cmp_lt_u32_e64 s5, 5, v0
	s_clause 0x3
	buffer_load_dword v1, v4, s[0:3], 0 offen
	buffer_load_dword v2, v4, s[0:3], 0 offen offset:4
	buffer_load_dword v3, v4, s[0:3], 0 offen offset:8
	;; [unrolled: 1-line block ×3, first 2 shown]
	s_waitcnt vmcnt(0)
	ds_write_b128 v54, v[1:4]
	s_waitcnt lgkmcnt(0)
	s_waitcnt_vscnt null, 0x0
	s_barrier
	buffer_gl0_inv
	s_and_saveexec_b32 s6, s5
	s_cbranch_execz .LBB87_147
; %bb.140:
	ds_read_b128 v[1:4], v54
	s_andn2_b32 vcc_lo, exec_lo, s31
	s_cbranch_vccnz .LBB87_142
; %bb.141:
	s_clause 0x3
	buffer_load_dword v55, v53, s[0:3], 0 offen offset:8
	buffer_load_dword v56, v53, s[0:3], 0 offen offset:12
	buffer_load_dword v57, v53, s[0:3], 0 offen
	buffer_load_dword v58, v53, s[0:3], 0 offen offset:4
	s_waitcnt vmcnt(2) lgkmcnt(0)
	v_mul_f64 v[60:61], v[3:4], v[55:56]
	v_mul_f64 v[55:56], v[1:2], v[55:56]
	s_waitcnt vmcnt(0)
	v_fma_f64 v[1:2], v[1:2], v[57:58], -v[60:61]
	v_fma_f64 v[3:4], v[3:4], v[57:58], v[55:56]
.LBB87_142:
	s_and_saveexec_b32 s8, s4
	s_cbranch_execz .LBB87_146
; %bb.143:
	v_add_nc_u32_e32 v55, -6, v0
	s_movk_i32 s33, 0x1e0
	s_mov_b32 s4, 0
	s_mov_b32 s34, s25
	.p2align	6
.LBB87_144:                             ; =>This Inner Loop Header: Depth=1
	v_mov_b32_e32 v58, s34
	v_add_nc_u32_e32 v55, -1, v55
	s_add_i32 s34, s34, 16
	s_clause 0x3
	buffer_load_dword v56, v58, s[0:3], 0 offen offset:8
	buffer_load_dword v57, v58, s[0:3], 0 offen offset:12
	buffer_load_dword v64, v58, s[0:3], 0 offen
	buffer_load_dword v65, v58, s[0:3], 0 offen offset:4
	v_mov_b32_e32 v58, s33
	v_cmp_eq_u32_e32 vcc_lo, 0, v55
	s_add_i32 s33, s33, 16
	ds_read_b128 v[60:63], v58
	s_or_b32 s4, vcc_lo, s4
	s_waitcnt vmcnt(2) lgkmcnt(0)
	v_mul_f64 v[66:67], v[62:63], v[56:57]
	v_mul_f64 v[56:57], v[60:61], v[56:57]
	s_waitcnt vmcnt(0)
	v_fma_f64 v[60:61], v[60:61], v[64:65], -v[66:67]
	v_fma_f64 v[56:57], v[62:63], v[64:65], v[56:57]
	v_add_f64 v[1:2], v[1:2], v[60:61]
	v_add_f64 v[3:4], v[3:4], v[56:57]
	s_andn2_b32 exec_lo, exec_lo, s4
	s_cbranch_execnz .LBB87_144
; %bb.145:
	s_or_b32 exec_lo, exec_lo, s4
.LBB87_146:
	s_or_b32 exec_lo, exec_lo, s8
	v_mov_b32_e32 v55, 0
	ds_read_b128 v[55:58], v55 offset:80
	s_waitcnt lgkmcnt(0)
	v_mul_f64 v[60:61], v[3:4], v[57:58]
	v_mul_f64 v[57:58], v[1:2], v[57:58]
	v_fma_f64 v[1:2], v[1:2], v[55:56], -v[60:61]
	v_fma_f64 v[3:4], v[3:4], v[55:56], v[57:58]
	buffer_store_dword v2, off, s[0:3], 0 offset:84
	buffer_store_dword v1, off, s[0:3], 0 offset:80
	buffer_store_dword v4, off, s[0:3], 0 offset:92
	buffer_store_dword v3, off, s[0:3], 0 offset:88
.LBB87_147:
	s_or_b32 exec_lo, exec_lo, s6
	v_mov_b32_e32 v4, s27
	v_cmp_lt_u32_e64 s4, 4, v0
	s_clause 0x3
	buffer_load_dword v1, v4, s[0:3], 0 offen
	buffer_load_dword v2, v4, s[0:3], 0 offen offset:4
	buffer_load_dword v3, v4, s[0:3], 0 offen offset:8
	;; [unrolled: 1-line block ×3, first 2 shown]
	s_waitcnt vmcnt(0)
	ds_write_b128 v54, v[1:4]
	s_waitcnt lgkmcnt(0)
	s_waitcnt_vscnt null, 0x0
	s_barrier
	buffer_gl0_inv
	s_and_saveexec_b32 s6, s4
	s_cbranch_execz .LBB87_155
; %bb.148:
	ds_read_b128 v[1:4], v54
	s_andn2_b32 vcc_lo, exec_lo, s31
	s_cbranch_vccnz .LBB87_150
; %bb.149:
	s_clause 0x3
	buffer_load_dword v55, v53, s[0:3], 0 offen offset:8
	buffer_load_dword v56, v53, s[0:3], 0 offen offset:12
	buffer_load_dword v57, v53, s[0:3], 0 offen
	buffer_load_dword v58, v53, s[0:3], 0 offen offset:4
	s_waitcnt vmcnt(2) lgkmcnt(0)
	v_mul_f64 v[60:61], v[3:4], v[55:56]
	v_mul_f64 v[55:56], v[1:2], v[55:56]
	s_waitcnt vmcnt(0)
	v_fma_f64 v[1:2], v[1:2], v[57:58], -v[60:61]
	v_fma_f64 v[3:4], v[3:4], v[57:58], v[55:56]
.LBB87_150:
	s_and_saveexec_b32 s8, s5
	s_cbranch_execz .LBB87_154
; %bb.151:
	v_add_nc_u32_e32 v55, -5, v0
	s_movk_i32 s33, 0x1d0
	s_mov_b32 s5, 0
	s_mov_b32 s34, s26
	.p2align	6
.LBB87_152:                             ; =>This Inner Loop Header: Depth=1
	v_mov_b32_e32 v58, s34
	v_add_nc_u32_e32 v55, -1, v55
	s_add_i32 s34, s34, 16
	s_clause 0x3
	buffer_load_dword v56, v58, s[0:3], 0 offen offset:8
	buffer_load_dword v57, v58, s[0:3], 0 offen offset:12
	buffer_load_dword v64, v58, s[0:3], 0 offen
	buffer_load_dword v65, v58, s[0:3], 0 offen offset:4
	v_mov_b32_e32 v58, s33
	v_cmp_eq_u32_e32 vcc_lo, 0, v55
	s_add_i32 s33, s33, 16
	ds_read_b128 v[60:63], v58
	s_or_b32 s5, vcc_lo, s5
	s_waitcnt vmcnt(2) lgkmcnt(0)
	v_mul_f64 v[66:67], v[62:63], v[56:57]
	v_mul_f64 v[56:57], v[60:61], v[56:57]
	s_waitcnt vmcnt(0)
	v_fma_f64 v[60:61], v[60:61], v[64:65], -v[66:67]
	v_fma_f64 v[56:57], v[62:63], v[64:65], v[56:57]
	v_add_f64 v[1:2], v[1:2], v[60:61]
	v_add_f64 v[3:4], v[3:4], v[56:57]
	s_andn2_b32 exec_lo, exec_lo, s5
	s_cbranch_execnz .LBB87_152
; %bb.153:
	s_or_b32 exec_lo, exec_lo, s5
.LBB87_154:
	s_or_b32 exec_lo, exec_lo, s8
	v_mov_b32_e32 v55, 0
	ds_read_b128 v[55:58], v55 offset:64
	s_waitcnt lgkmcnt(0)
	v_mul_f64 v[60:61], v[3:4], v[57:58]
	v_mul_f64 v[57:58], v[1:2], v[57:58]
	v_fma_f64 v[1:2], v[1:2], v[55:56], -v[60:61]
	v_fma_f64 v[3:4], v[3:4], v[55:56], v[57:58]
	buffer_store_dword v2, off, s[0:3], 0 offset:68
	buffer_store_dword v1, off, s[0:3], 0 offset:64
	;; [unrolled: 1-line block ×4, first 2 shown]
.LBB87_155:
	s_or_b32 exec_lo, exec_lo, s6
	v_mov_b32_e32 v4, s28
	v_cmp_lt_u32_e64 s5, 3, v0
	s_clause 0x3
	buffer_load_dword v1, v4, s[0:3], 0 offen
	buffer_load_dword v2, v4, s[0:3], 0 offen offset:4
	buffer_load_dword v3, v4, s[0:3], 0 offen offset:8
	buffer_load_dword v4, v4, s[0:3], 0 offen offset:12
	s_waitcnt vmcnt(0)
	ds_write_b128 v54, v[1:4]
	s_waitcnt lgkmcnt(0)
	s_waitcnt_vscnt null, 0x0
	s_barrier
	buffer_gl0_inv
	s_and_saveexec_b32 s6, s5
	s_cbranch_execz .LBB87_163
; %bb.156:
	ds_read_b128 v[1:4], v54
	s_andn2_b32 vcc_lo, exec_lo, s31
	s_cbranch_vccnz .LBB87_158
; %bb.157:
	s_clause 0x3
	buffer_load_dword v55, v53, s[0:3], 0 offen offset:8
	buffer_load_dword v56, v53, s[0:3], 0 offen offset:12
	buffer_load_dword v57, v53, s[0:3], 0 offen
	buffer_load_dword v58, v53, s[0:3], 0 offen offset:4
	s_waitcnt vmcnt(2) lgkmcnt(0)
	v_mul_f64 v[60:61], v[3:4], v[55:56]
	v_mul_f64 v[55:56], v[1:2], v[55:56]
	s_waitcnt vmcnt(0)
	v_fma_f64 v[1:2], v[1:2], v[57:58], -v[60:61]
	v_fma_f64 v[3:4], v[3:4], v[57:58], v[55:56]
.LBB87_158:
	s_and_saveexec_b32 s8, s4
	s_cbranch_execz .LBB87_162
; %bb.159:
	v_add_nc_u32_e32 v55, -4, v0
	s_movk_i32 s33, 0x1c0
	s_mov_b32 s4, 0
	s_mov_b32 s34, s27
	.p2align	6
.LBB87_160:                             ; =>This Inner Loop Header: Depth=1
	v_mov_b32_e32 v58, s34
	v_add_nc_u32_e32 v55, -1, v55
	s_add_i32 s34, s34, 16
	s_clause 0x3
	buffer_load_dword v56, v58, s[0:3], 0 offen offset:8
	buffer_load_dword v57, v58, s[0:3], 0 offen offset:12
	buffer_load_dword v64, v58, s[0:3], 0 offen
	buffer_load_dword v65, v58, s[0:3], 0 offen offset:4
	v_mov_b32_e32 v58, s33
	v_cmp_eq_u32_e32 vcc_lo, 0, v55
	s_add_i32 s33, s33, 16
	ds_read_b128 v[60:63], v58
	s_or_b32 s4, vcc_lo, s4
	s_waitcnt vmcnt(2) lgkmcnt(0)
	v_mul_f64 v[66:67], v[62:63], v[56:57]
	v_mul_f64 v[56:57], v[60:61], v[56:57]
	s_waitcnt vmcnt(0)
	v_fma_f64 v[60:61], v[60:61], v[64:65], -v[66:67]
	v_fma_f64 v[56:57], v[62:63], v[64:65], v[56:57]
	v_add_f64 v[1:2], v[1:2], v[60:61]
	v_add_f64 v[3:4], v[3:4], v[56:57]
	s_andn2_b32 exec_lo, exec_lo, s4
	s_cbranch_execnz .LBB87_160
; %bb.161:
	s_or_b32 exec_lo, exec_lo, s4
.LBB87_162:
	s_or_b32 exec_lo, exec_lo, s8
	v_mov_b32_e32 v55, 0
	ds_read_b128 v[55:58], v55 offset:48
	s_waitcnt lgkmcnt(0)
	v_mul_f64 v[60:61], v[3:4], v[57:58]
	v_mul_f64 v[57:58], v[1:2], v[57:58]
	v_fma_f64 v[1:2], v[1:2], v[55:56], -v[60:61]
	v_fma_f64 v[3:4], v[3:4], v[55:56], v[57:58]
	buffer_store_dword v2, off, s[0:3], 0 offset:52
	buffer_store_dword v1, off, s[0:3], 0 offset:48
	;; [unrolled: 1-line block ×4, first 2 shown]
.LBB87_163:
	s_or_b32 exec_lo, exec_lo, s6
	v_mov_b32_e32 v4, s29
	v_cmp_lt_u32_e64 s6, 2, v0
	s_clause 0x3
	buffer_load_dword v1, v4, s[0:3], 0 offen
	buffer_load_dword v2, v4, s[0:3], 0 offen offset:4
	buffer_load_dword v3, v4, s[0:3], 0 offen offset:8
	;; [unrolled: 1-line block ×3, first 2 shown]
	s_waitcnt vmcnt(0)
	ds_write_b128 v54, v[1:4]
	s_waitcnt lgkmcnt(0)
	s_waitcnt_vscnt null, 0x0
	s_barrier
	buffer_gl0_inv
	s_and_saveexec_b32 s4, s6
	s_cbranch_execz .LBB87_171
; %bb.164:
	ds_read_b128 v[1:4], v54
	s_andn2_b32 vcc_lo, exec_lo, s31
	s_cbranch_vccnz .LBB87_166
; %bb.165:
	s_clause 0x3
	buffer_load_dword v55, v53, s[0:3], 0 offen offset:8
	buffer_load_dword v56, v53, s[0:3], 0 offen offset:12
	buffer_load_dword v57, v53, s[0:3], 0 offen
	buffer_load_dword v58, v53, s[0:3], 0 offen offset:4
	s_waitcnt vmcnt(2) lgkmcnt(0)
	v_mul_f64 v[60:61], v[3:4], v[55:56]
	v_mul_f64 v[55:56], v[1:2], v[55:56]
	s_waitcnt vmcnt(0)
	v_fma_f64 v[1:2], v[1:2], v[57:58], -v[60:61]
	v_fma_f64 v[3:4], v[3:4], v[57:58], v[55:56]
.LBB87_166:
	s_and_saveexec_b32 s8, s5
	s_cbranch_execz .LBB87_170
; %bb.167:
	v_add_nc_u32_e32 v55, -3, v0
	s_movk_i32 s33, 0x1b0
	s_mov_b32 s5, 0
	s_mov_b32 s34, s28
	.p2align	6
.LBB87_168:                             ; =>This Inner Loop Header: Depth=1
	v_mov_b32_e32 v58, s34
	v_add_nc_u32_e32 v55, -1, v55
	s_add_i32 s34, s34, 16
	s_clause 0x3
	buffer_load_dword v56, v58, s[0:3], 0 offen offset:8
	buffer_load_dword v57, v58, s[0:3], 0 offen offset:12
	buffer_load_dword v64, v58, s[0:3], 0 offen
	buffer_load_dword v65, v58, s[0:3], 0 offen offset:4
	v_mov_b32_e32 v58, s33
	v_cmp_eq_u32_e32 vcc_lo, 0, v55
	s_add_i32 s33, s33, 16
	ds_read_b128 v[60:63], v58
	s_or_b32 s5, vcc_lo, s5
	s_waitcnt vmcnt(2) lgkmcnt(0)
	v_mul_f64 v[66:67], v[62:63], v[56:57]
	v_mul_f64 v[56:57], v[60:61], v[56:57]
	s_waitcnt vmcnt(0)
	v_fma_f64 v[60:61], v[60:61], v[64:65], -v[66:67]
	v_fma_f64 v[56:57], v[62:63], v[64:65], v[56:57]
	v_add_f64 v[1:2], v[1:2], v[60:61]
	v_add_f64 v[3:4], v[3:4], v[56:57]
	s_andn2_b32 exec_lo, exec_lo, s5
	s_cbranch_execnz .LBB87_168
; %bb.169:
	s_or_b32 exec_lo, exec_lo, s5
.LBB87_170:
	s_or_b32 exec_lo, exec_lo, s8
	v_mov_b32_e32 v55, 0
	ds_read_b128 v[55:58], v55 offset:32
	s_waitcnt lgkmcnt(0)
	v_mul_f64 v[60:61], v[3:4], v[57:58]
	v_mul_f64 v[57:58], v[1:2], v[57:58]
	v_fma_f64 v[1:2], v[1:2], v[55:56], -v[60:61]
	v_fma_f64 v[3:4], v[3:4], v[55:56], v[57:58]
	buffer_store_dword v2, off, s[0:3], 0 offset:36
	buffer_store_dword v1, off, s[0:3], 0 offset:32
	;; [unrolled: 1-line block ×4, first 2 shown]
.LBB87_171:
	s_or_b32 exec_lo, exec_lo, s4
	v_mov_b32_e32 v4, s30
	v_cmp_lt_u32_e64 s4, 1, v0
	s_clause 0x3
	buffer_load_dword v1, v4, s[0:3], 0 offen
	buffer_load_dword v2, v4, s[0:3], 0 offen offset:4
	buffer_load_dword v3, v4, s[0:3], 0 offen offset:8
	buffer_load_dword v4, v4, s[0:3], 0 offen offset:12
	s_waitcnt vmcnt(0)
	ds_write_b128 v54, v[1:4]
	s_waitcnt lgkmcnt(0)
	s_waitcnt_vscnt null, 0x0
	s_barrier
	buffer_gl0_inv
	s_and_saveexec_b32 s5, s4
	s_cbranch_execz .LBB87_179
; %bb.172:
	ds_read_b128 v[1:4], v54
	s_andn2_b32 vcc_lo, exec_lo, s31
	s_cbranch_vccnz .LBB87_174
; %bb.173:
	s_clause 0x3
	buffer_load_dword v55, v53, s[0:3], 0 offen offset:8
	buffer_load_dword v56, v53, s[0:3], 0 offen offset:12
	buffer_load_dword v57, v53, s[0:3], 0 offen
	buffer_load_dword v58, v53, s[0:3], 0 offen offset:4
	s_waitcnt vmcnt(2) lgkmcnt(0)
	v_mul_f64 v[60:61], v[3:4], v[55:56]
	v_mul_f64 v[55:56], v[1:2], v[55:56]
	s_waitcnt vmcnt(0)
	v_fma_f64 v[1:2], v[1:2], v[57:58], -v[60:61]
	v_fma_f64 v[3:4], v[3:4], v[57:58], v[55:56]
.LBB87_174:
	s_and_saveexec_b32 s8, s6
	s_cbranch_execz .LBB87_178
; %bb.175:
	v_add_nc_u32_e32 v55, -2, v0
	s_movk_i32 s33, 0x1a0
	s_mov_b32 s6, 0
	s_mov_b32 s34, s29
	.p2align	6
.LBB87_176:                             ; =>This Inner Loop Header: Depth=1
	v_mov_b32_e32 v58, s34
	v_add_nc_u32_e32 v55, -1, v55
	s_add_i32 s34, s34, 16
	s_clause 0x3
	buffer_load_dword v56, v58, s[0:3], 0 offen offset:8
	buffer_load_dword v57, v58, s[0:3], 0 offen offset:12
	buffer_load_dword v64, v58, s[0:3], 0 offen
	buffer_load_dword v65, v58, s[0:3], 0 offen offset:4
	v_mov_b32_e32 v58, s33
	v_cmp_eq_u32_e32 vcc_lo, 0, v55
	s_add_i32 s33, s33, 16
	ds_read_b128 v[60:63], v58
	s_or_b32 s6, vcc_lo, s6
	s_waitcnt vmcnt(2) lgkmcnt(0)
	v_mul_f64 v[66:67], v[62:63], v[56:57]
	v_mul_f64 v[56:57], v[60:61], v[56:57]
	s_waitcnt vmcnt(0)
	v_fma_f64 v[60:61], v[60:61], v[64:65], -v[66:67]
	v_fma_f64 v[56:57], v[62:63], v[64:65], v[56:57]
	v_add_f64 v[1:2], v[1:2], v[60:61]
	v_add_f64 v[3:4], v[3:4], v[56:57]
	s_andn2_b32 exec_lo, exec_lo, s6
	s_cbranch_execnz .LBB87_176
; %bb.177:
	s_or_b32 exec_lo, exec_lo, s6
.LBB87_178:
	s_or_b32 exec_lo, exec_lo, s8
	v_mov_b32_e32 v55, 0
	ds_read_b128 v[55:58], v55 offset:16
	s_waitcnt lgkmcnt(0)
	v_mul_f64 v[60:61], v[3:4], v[57:58]
	v_mul_f64 v[57:58], v[1:2], v[57:58]
	v_fma_f64 v[1:2], v[1:2], v[55:56], -v[60:61]
	v_fma_f64 v[3:4], v[3:4], v[55:56], v[57:58]
	buffer_store_dword v2, off, s[0:3], 0 offset:20
	buffer_store_dword v1, off, s[0:3], 0 offset:16
	;; [unrolled: 1-line block ×4, first 2 shown]
.LBB87_179:
	s_or_b32 exec_lo, exec_lo, s5
	s_clause 0x3
	buffer_load_dword v1, off, s[0:3], 0
	buffer_load_dword v2, off, s[0:3], 0 offset:4
	buffer_load_dword v3, off, s[0:3], 0 offset:8
	;; [unrolled: 1-line block ×3, first 2 shown]
	s_mov_b32 s6, 0
	s_mov_b32 s5, 0
	s_mov_b32 s8, exec_lo
                                        ; implicit-def: $sgpr33
	s_waitcnt vmcnt(0)
	ds_write_b128 v54, v[1:4]
	s_waitcnt lgkmcnt(0)
	s_waitcnt_vscnt null, 0x0
	s_barrier
	buffer_gl0_inv
                                        ; implicit-def: $vgpr1_vgpr2
	v_cmpx_ne_u32_e32 0, v0
	s_cbranch_execz .LBB87_187
; %bb.180:
	ds_read_b128 v[1:4], v54
	s_andn2_b32 vcc_lo, exec_lo, s31
	s_cbranch_vccnz .LBB87_182
; %bb.181:
	s_clause 0x3
	buffer_load_dword v55, v53, s[0:3], 0 offen offset:8
	buffer_load_dword v56, v53, s[0:3], 0 offen offset:12
	buffer_load_dword v57, v53, s[0:3], 0 offen
	buffer_load_dword v58, v53, s[0:3], 0 offen offset:4
	s_waitcnt vmcnt(2) lgkmcnt(0)
	v_mul_f64 v[60:61], v[3:4], v[55:56]
	v_mul_f64 v[55:56], v[1:2], v[55:56]
	s_waitcnt vmcnt(0)
	v_fma_f64 v[1:2], v[1:2], v[57:58], -v[60:61]
	v_fma_f64 v[3:4], v[3:4], v[57:58], v[55:56]
.LBB87_182:
	s_and_saveexec_b32 s5, s4
	s_cbranch_execz .LBB87_186
; %bb.183:
	v_add_nc_u32_e32 v55, -1, v0
	s_movk_i32 s33, 0x190
	s_mov_b32 s4, 0
	s_mov_b32 s34, s30
	.p2align	6
.LBB87_184:                             ; =>This Inner Loop Header: Depth=1
	v_mov_b32_e32 v58, s34
	v_add_nc_u32_e32 v55, -1, v55
	s_add_i32 s34, s34, 16
	s_clause 0x3
	buffer_load_dword v56, v58, s[0:3], 0 offen offset:8
	buffer_load_dword v57, v58, s[0:3], 0 offen offset:12
	buffer_load_dword v64, v58, s[0:3], 0 offen
	buffer_load_dword v65, v58, s[0:3], 0 offen offset:4
	v_mov_b32_e32 v58, s33
	v_cmp_eq_u32_e32 vcc_lo, 0, v55
	s_add_i32 s33, s33, 16
	ds_read_b128 v[60:63], v58
	s_or_b32 s4, vcc_lo, s4
	s_waitcnt vmcnt(2) lgkmcnt(0)
	v_mul_f64 v[66:67], v[62:63], v[56:57]
	v_mul_f64 v[56:57], v[60:61], v[56:57]
	s_waitcnt vmcnt(0)
	v_fma_f64 v[60:61], v[60:61], v[64:65], -v[66:67]
	v_fma_f64 v[56:57], v[62:63], v[64:65], v[56:57]
	v_add_f64 v[1:2], v[1:2], v[60:61]
	v_add_f64 v[3:4], v[3:4], v[56:57]
	s_andn2_b32 exec_lo, exec_lo, s4
	s_cbranch_execnz .LBB87_184
; %bb.185:
	s_or_b32 exec_lo, exec_lo, s4
.LBB87_186:
	s_or_b32 exec_lo, exec_lo, s5
	v_mov_b32_e32 v55, 0
	s_mov_b32 s5, exec_lo
	s_or_b32 s33, 0, 8
	ds_read_b128 v[55:58], v55
	s_waitcnt lgkmcnt(0)
	v_mul_f64 v[60:61], v[3:4], v[57:58]
	v_mul_f64 v[57:58], v[1:2], v[57:58]
	v_fma_f64 v[60:61], v[1:2], v[55:56], -v[60:61]
	v_fma_f64 v[1:2], v[3:4], v[55:56], v[57:58]
	buffer_store_dword v61, off, s[0:3], 0 offset:4
	buffer_store_dword v60, off, s[0:3], 0
.LBB87_187:
	s_or_b32 exec_lo, exec_lo, s8
	s_and_b32 vcc_lo, exec_lo, s6
	s_cbranch_vccnz .LBB87_189
	s_branch .LBB87_368
.LBB87_188:
	s_mov_b32 s5, 0
                                        ; implicit-def: $vgpr1_vgpr2
                                        ; implicit-def: $sgpr33
	s_cbranch_execz .LBB87_368
.LBB87_189:
	v_mov_b32_e32 v4, s30
	v_cmp_eq_u32_e64 s4, 0, v0
	v_cndmask_b32_e64 v55, 0, 1, s31
	s_clause 0x3
	buffer_load_dword v1, v4, s[0:3], 0 offen
	buffer_load_dword v2, v4, s[0:3], 0 offen offset:4
	buffer_load_dword v3, v4, s[0:3], 0 offen offset:8
	;; [unrolled: 1-line block ×3, first 2 shown]
	s_waitcnt vmcnt(0)
	ds_write_b128 v54, v[1:4]
	s_waitcnt lgkmcnt(0)
	s_waitcnt_vscnt null, 0x0
	s_barrier
	buffer_gl0_inv
	s_and_saveexec_b32 s6, s4
	s_cbranch_execz .LBB87_193
; %bb.190:
	ds_read_b128 v[1:4], v54
	s_andn2_b32 vcc_lo, exec_lo, s31
	s_cbranch_vccnz .LBB87_192
; %bb.191:
	s_clause 0x3
	buffer_load_dword v56, v53, s[0:3], 0 offen offset:8
	buffer_load_dword v57, v53, s[0:3], 0 offen offset:12
	buffer_load_dword v60, v53, s[0:3], 0 offen
	buffer_load_dword v61, v53, s[0:3], 0 offen offset:4
	s_waitcnt vmcnt(2) lgkmcnt(0)
	v_mul_f64 v[62:63], v[3:4], v[56:57]
	v_mul_f64 v[56:57], v[1:2], v[56:57]
	s_waitcnt vmcnt(0)
	v_fma_f64 v[1:2], v[1:2], v[60:61], -v[62:63]
	v_fma_f64 v[3:4], v[3:4], v[60:61], v[56:57]
.LBB87_192:
	v_mov_b32_e32 v56, 0
	ds_read_b128 v[60:63], v56 offset:16
	s_waitcnt lgkmcnt(0)
	v_mul_f64 v[56:57], v[3:4], v[62:63]
	v_mul_f64 v[62:63], v[1:2], v[62:63]
	v_fma_f64 v[1:2], v[1:2], v[60:61], -v[56:57]
	v_fma_f64 v[3:4], v[3:4], v[60:61], v[62:63]
	buffer_store_dword v2, off, s[0:3], 0 offset:20
	buffer_store_dword v1, off, s[0:3], 0 offset:16
	;; [unrolled: 1-line block ×4, first 2 shown]
.LBB87_193:
	s_or_b32 exec_lo, exec_lo, s6
	v_mov_b32_e32 v4, s29
	s_mov_b32 s6, exec_lo
	s_clause 0x3
	buffer_load_dword v1, v4, s[0:3], 0 offen
	buffer_load_dword v2, v4, s[0:3], 0 offen offset:4
	buffer_load_dword v3, v4, s[0:3], 0 offen offset:8
	;; [unrolled: 1-line block ×3, first 2 shown]
	s_waitcnt vmcnt(0)
	ds_write_b128 v54, v[1:4]
	s_waitcnt lgkmcnt(0)
	s_waitcnt_vscnt null, 0x0
	s_barrier
	buffer_gl0_inv
	v_cmpx_gt_u32_e32 2, v0
	s_cbranch_execz .LBB87_199
; %bb.194:
	ds_read_b128 v[1:4], v54
	v_cmp_ne_u32_e32 vcc_lo, 1, v55
	s_cbranch_vccnz .LBB87_196
; %bb.195:
	s_clause 0x3
	buffer_load_dword v56, v53, s[0:3], 0 offen offset:8
	buffer_load_dword v57, v53, s[0:3], 0 offen offset:12
	buffer_load_dword v60, v53, s[0:3], 0 offen
	buffer_load_dword v61, v53, s[0:3], 0 offen offset:4
	s_waitcnt vmcnt(2) lgkmcnt(0)
	v_mul_f64 v[62:63], v[3:4], v[56:57]
	v_mul_f64 v[56:57], v[1:2], v[56:57]
	s_waitcnt vmcnt(0)
	v_fma_f64 v[1:2], v[1:2], v[60:61], -v[62:63]
	v_fma_f64 v[3:4], v[3:4], v[60:61], v[56:57]
.LBB87_196:
	s_and_saveexec_b32 s8, s4
	s_cbranch_execz .LBB87_198
; %bb.197:
	s_clause 0x3
	buffer_load_dword v56, off, s[0:3], 0 offset:24
	buffer_load_dword v57, off, s[0:3], 0 offset:28
	;; [unrolled: 1-line block ×4, first 2 shown]
	v_mov_b32_e32 v58, 0
	ds_read_b128 v[60:63], v58 offset:400
	s_waitcnt vmcnt(2) lgkmcnt(0)
	v_mul_f64 v[66:67], v[62:63], v[56:57]
	v_mul_f64 v[56:57], v[60:61], v[56:57]
	s_waitcnt vmcnt(0)
	v_fma_f64 v[60:61], v[60:61], v[64:65], -v[66:67]
	v_fma_f64 v[56:57], v[62:63], v[64:65], v[56:57]
	v_add_f64 v[1:2], v[1:2], v[60:61]
	v_add_f64 v[3:4], v[3:4], v[56:57]
.LBB87_198:
	s_or_b32 exec_lo, exec_lo, s8
	v_mov_b32_e32 v56, 0
	ds_read_b128 v[60:63], v56 offset:32
	s_waitcnt lgkmcnt(0)
	v_mul_f64 v[56:57], v[3:4], v[62:63]
	v_mul_f64 v[62:63], v[1:2], v[62:63]
	v_fma_f64 v[1:2], v[1:2], v[60:61], -v[56:57]
	v_fma_f64 v[3:4], v[3:4], v[60:61], v[62:63]
	buffer_store_dword v2, off, s[0:3], 0 offset:36
	buffer_store_dword v1, off, s[0:3], 0 offset:32
	;; [unrolled: 1-line block ×4, first 2 shown]
.LBB87_199:
	s_or_b32 exec_lo, exec_lo, s6
	v_mov_b32_e32 v4, s28
	s_mov_b32 s6, exec_lo
	s_clause 0x3
	buffer_load_dword v1, v4, s[0:3], 0 offen
	buffer_load_dword v2, v4, s[0:3], 0 offen offset:4
	buffer_load_dword v3, v4, s[0:3], 0 offen offset:8
	;; [unrolled: 1-line block ×3, first 2 shown]
	s_waitcnt vmcnt(0)
	ds_write_b128 v54, v[1:4]
	s_waitcnt lgkmcnt(0)
	s_waitcnt_vscnt null, 0x0
	s_barrier
	buffer_gl0_inv
	v_cmpx_gt_u32_e32 3, v0
	s_cbranch_execz .LBB87_207
; %bb.200:
	ds_read_b128 v[1:4], v54
	v_cmp_ne_u32_e32 vcc_lo, 1, v55
	s_cbranch_vccnz .LBB87_202
; %bb.201:
	s_clause 0x3
	buffer_load_dword v56, v53, s[0:3], 0 offen offset:8
	buffer_load_dword v57, v53, s[0:3], 0 offen offset:12
	buffer_load_dword v60, v53, s[0:3], 0 offen
	buffer_load_dword v61, v53, s[0:3], 0 offen offset:4
	s_waitcnt vmcnt(2) lgkmcnt(0)
	v_mul_f64 v[62:63], v[3:4], v[56:57]
	v_mul_f64 v[56:57], v[1:2], v[56:57]
	s_waitcnt vmcnt(0)
	v_fma_f64 v[1:2], v[1:2], v[60:61], -v[62:63]
	v_fma_f64 v[3:4], v[3:4], v[60:61], v[56:57]
.LBB87_202:
	s_mov_b32 s8, exec_lo
	v_cmpx_ne_u32_e32 2, v0
	s_cbranch_execz .LBB87_206
; %bb.203:
	s_clause 0x3
	buffer_load_dword v56, v53, s[0:3], 0 offen offset:24
	buffer_load_dword v57, v53, s[0:3], 0 offen offset:28
	;; [unrolled: 1-line block ×4, first 2 shown]
	ds_read_b128 v[60:63], v54 offset:16
	s_waitcnt vmcnt(2) lgkmcnt(0)
	v_mul_f64 v[66:67], v[62:63], v[56:57]
	v_mul_f64 v[56:57], v[60:61], v[56:57]
	s_waitcnt vmcnt(0)
	v_fma_f64 v[60:61], v[60:61], v[64:65], -v[66:67]
	v_fma_f64 v[56:57], v[62:63], v[64:65], v[56:57]
	v_add_f64 v[1:2], v[1:2], v[60:61]
	v_add_f64 v[3:4], v[3:4], v[56:57]
	s_and_saveexec_b32 s31, s4
	s_cbranch_execz .LBB87_205
; %bb.204:
	s_clause 0x3
	buffer_load_dword v56, off, s[0:3], 0 offset:40
	buffer_load_dword v57, off, s[0:3], 0 offset:44
	;; [unrolled: 1-line block ×4, first 2 shown]
	v_mov_b32_e32 v58, 0
	ds_read_b128 v[60:63], v58 offset:416
	s_waitcnt vmcnt(2) lgkmcnt(0)
	v_mul_f64 v[66:67], v[60:61], v[56:57]
	v_mul_f64 v[56:57], v[62:63], v[56:57]
	s_waitcnt vmcnt(0)
	v_fma_f64 v[62:63], v[62:63], v[64:65], v[66:67]
	v_fma_f64 v[56:57], v[60:61], v[64:65], -v[56:57]
	v_add_f64 v[3:4], v[3:4], v[62:63]
	v_add_f64 v[1:2], v[1:2], v[56:57]
.LBB87_205:
	s_or_b32 exec_lo, exec_lo, s31
.LBB87_206:
	s_or_b32 exec_lo, exec_lo, s8
	v_mov_b32_e32 v56, 0
	ds_read_b128 v[60:63], v56 offset:48
	s_waitcnt lgkmcnt(0)
	v_mul_f64 v[56:57], v[3:4], v[62:63]
	v_mul_f64 v[62:63], v[1:2], v[62:63]
	v_fma_f64 v[1:2], v[1:2], v[60:61], -v[56:57]
	v_fma_f64 v[3:4], v[3:4], v[60:61], v[62:63]
	buffer_store_dword v2, off, s[0:3], 0 offset:52
	buffer_store_dword v1, off, s[0:3], 0 offset:48
	;; [unrolled: 1-line block ×4, first 2 shown]
.LBB87_207:
	s_or_b32 exec_lo, exec_lo, s6
	v_mov_b32_e32 v4, s27
	s_mov_b32 s4, exec_lo
	s_clause 0x3
	buffer_load_dword v1, v4, s[0:3], 0 offen
	buffer_load_dword v2, v4, s[0:3], 0 offen offset:4
	buffer_load_dword v3, v4, s[0:3], 0 offen offset:8
	;; [unrolled: 1-line block ×3, first 2 shown]
	s_waitcnt vmcnt(0)
	ds_write_b128 v54, v[1:4]
	s_waitcnt lgkmcnt(0)
	s_waitcnt_vscnt null, 0x0
	s_barrier
	buffer_gl0_inv
	v_cmpx_gt_u32_e32 4, v0
	s_cbranch_execz .LBB87_215
; %bb.208:
	ds_read_b128 v[1:4], v54
	v_cmp_ne_u32_e32 vcc_lo, 1, v55
	s_cbranch_vccnz .LBB87_210
; %bb.209:
	s_clause 0x3
	buffer_load_dword v56, v53, s[0:3], 0 offen offset:8
	buffer_load_dword v57, v53, s[0:3], 0 offen offset:12
	buffer_load_dword v60, v53, s[0:3], 0 offen
	buffer_load_dword v61, v53, s[0:3], 0 offen offset:4
	s_waitcnt vmcnt(2) lgkmcnt(0)
	v_mul_f64 v[62:63], v[3:4], v[56:57]
	v_mul_f64 v[56:57], v[1:2], v[56:57]
	s_waitcnt vmcnt(0)
	v_fma_f64 v[1:2], v[1:2], v[60:61], -v[62:63]
	v_fma_f64 v[3:4], v[3:4], v[60:61], v[56:57]
.LBB87_210:
	s_mov_b32 s6, exec_lo
	v_cmpx_ne_u32_e32 3, v0
	s_cbranch_execz .LBB87_214
; %bb.211:
	v_add_nc_u32_e32 v56, 0x190, v59
	v_add3_u32 v57, 0, v59, 16
	v_mov_b32_e32 v58, v0
	s_mov_b32 s8, 0
	.p2align	6
.LBB87_212:                             ; =>This Inner Loop Header: Depth=1
	s_clause 0x3
	buffer_load_dword v64, v57, s[0:3], 0 offen offset:8
	buffer_load_dword v65, v57, s[0:3], 0 offen offset:12
	buffer_load_dword v66, v57, s[0:3], 0 offen
	buffer_load_dword v67, v57, s[0:3], 0 offen offset:4
	ds_read_b128 v[60:63], v56
	v_add_nc_u32_e32 v58, 1, v58
	v_add_nc_u32_e32 v56, 16, v56
	;; [unrolled: 1-line block ×3, first 2 shown]
	v_cmp_lt_u32_e32 vcc_lo, 2, v58
	s_or_b32 s8, vcc_lo, s8
	s_waitcnt vmcnt(2) lgkmcnt(0)
	v_mul_f64 v[68:69], v[62:63], v[64:65]
	v_mul_f64 v[64:65], v[60:61], v[64:65]
	s_waitcnt vmcnt(0)
	v_fma_f64 v[60:61], v[60:61], v[66:67], -v[68:69]
	v_fma_f64 v[62:63], v[62:63], v[66:67], v[64:65]
	v_add_f64 v[1:2], v[1:2], v[60:61]
	v_add_f64 v[3:4], v[3:4], v[62:63]
	s_andn2_b32 exec_lo, exec_lo, s8
	s_cbranch_execnz .LBB87_212
; %bb.213:
	s_or_b32 exec_lo, exec_lo, s8
.LBB87_214:
	s_or_b32 exec_lo, exec_lo, s6
	v_mov_b32_e32 v56, 0
	ds_read_b128 v[60:63], v56 offset:64
	s_waitcnt lgkmcnt(0)
	v_mul_f64 v[56:57], v[3:4], v[62:63]
	v_mul_f64 v[62:63], v[1:2], v[62:63]
	v_fma_f64 v[1:2], v[1:2], v[60:61], -v[56:57]
	v_fma_f64 v[3:4], v[3:4], v[60:61], v[62:63]
	buffer_store_dword v2, off, s[0:3], 0 offset:68
	buffer_store_dword v1, off, s[0:3], 0 offset:64
	;; [unrolled: 1-line block ×4, first 2 shown]
.LBB87_215:
	s_or_b32 exec_lo, exec_lo, s4
	v_mov_b32_e32 v4, s26
	s_mov_b32 s4, exec_lo
	s_clause 0x3
	buffer_load_dword v1, v4, s[0:3], 0 offen
	buffer_load_dword v2, v4, s[0:3], 0 offen offset:4
	buffer_load_dword v3, v4, s[0:3], 0 offen offset:8
	;; [unrolled: 1-line block ×3, first 2 shown]
	s_waitcnt vmcnt(0)
	ds_write_b128 v54, v[1:4]
	s_waitcnt lgkmcnt(0)
	s_waitcnt_vscnt null, 0x0
	s_barrier
	buffer_gl0_inv
	v_cmpx_gt_u32_e32 5, v0
	s_cbranch_execz .LBB87_223
; %bb.216:
	ds_read_b128 v[1:4], v54
	v_cmp_ne_u32_e32 vcc_lo, 1, v55
	s_cbranch_vccnz .LBB87_218
; %bb.217:
	s_clause 0x3
	buffer_load_dword v56, v53, s[0:3], 0 offen offset:8
	buffer_load_dword v57, v53, s[0:3], 0 offen offset:12
	buffer_load_dword v60, v53, s[0:3], 0 offen
	buffer_load_dword v61, v53, s[0:3], 0 offen offset:4
	s_waitcnt vmcnt(2) lgkmcnt(0)
	v_mul_f64 v[62:63], v[3:4], v[56:57]
	v_mul_f64 v[56:57], v[1:2], v[56:57]
	s_waitcnt vmcnt(0)
	v_fma_f64 v[1:2], v[1:2], v[60:61], -v[62:63]
	v_fma_f64 v[3:4], v[3:4], v[60:61], v[56:57]
.LBB87_218:
	s_mov_b32 s6, exec_lo
	v_cmpx_ne_u32_e32 4, v0
	s_cbranch_execz .LBB87_222
; %bb.219:
	v_add_nc_u32_e32 v56, 0x190, v59
	v_add3_u32 v57, 0, v59, 16
	v_mov_b32_e32 v58, v0
	s_mov_b32 s8, 0
	.p2align	6
.LBB87_220:                             ; =>This Inner Loop Header: Depth=1
	s_clause 0x3
	buffer_load_dword v64, v57, s[0:3], 0 offen offset:8
	buffer_load_dword v65, v57, s[0:3], 0 offen offset:12
	buffer_load_dword v66, v57, s[0:3], 0 offen
	buffer_load_dword v67, v57, s[0:3], 0 offen offset:4
	ds_read_b128 v[60:63], v56
	v_add_nc_u32_e32 v58, 1, v58
	v_add_nc_u32_e32 v56, 16, v56
	;; [unrolled: 1-line block ×3, first 2 shown]
	v_cmp_lt_u32_e32 vcc_lo, 3, v58
	s_or_b32 s8, vcc_lo, s8
	s_waitcnt vmcnt(2) lgkmcnt(0)
	v_mul_f64 v[68:69], v[62:63], v[64:65]
	v_mul_f64 v[64:65], v[60:61], v[64:65]
	s_waitcnt vmcnt(0)
	v_fma_f64 v[60:61], v[60:61], v[66:67], -v[68:69]
	v_fma_f64 v[62:63], v[62:63], v[66:67], v[64:65]
	v_add_f64 v[1:2], v[1:2], v[60:61]
	v_add_f64 v[3:4], v[3:4], v[62:63]
	s_andn2_b32 exec_lo, exec_lo, s8
	s_cbranch_execnz .LBB87_220
; %bb.221:
	s_or_b32 exec_lo, exec_lo, s8
.LBB87_222:
	s_or_b32 exec_lo, exec_lo, s6
	v_mov_b32_e32 v56, 0
	ds_read_b128 v[60:63], v56 offset:80
	s_waitcnt lgkmcnt(0)
	v_mul_f64 v[56:57], v[3:4], v[62:63]
	v_mul_f64 v[62:63], v[1:2], v[62:63]
	v_fma_f64 v[1:2], v[1:2], v[60:61], -v[56:57]
	v_fma_f64 v[3:4], v[3:4], v[60:61], v[62:63]
	buffer_store_dword v2, off, s[0:3], 0 offset:84
	buffer_store_dword v1, off, s[0:3], 0 offset:80
	;; [unrolled: 1-line block ×4, first 2 shown]
.LBB87_223:
	s_or_b32 exec_lo, exec_lo, s4
	v_mov_b32_e32 v4, s25
	s_mov_b32 s4, exec_lo
	s_clause 0x3
	buffer_load_dword v1, v4, s[0:3], 0 offen
	buffer_load_dword v2, v4, s[0:3], 0 offen offset:4
	buffer_load_dword v3, v4, s[0:3], 0 offen offset:8
	;; [unrolled: 1-line block ×3, first 2 shown]
	s_waitcnt vmcnt(0)
	ds_write_b128 v54, v[1:4]
	s_waitcnt lgkmcnt(0)
	s_waitcnt_vscnt null, 0x0
	s_barrier
	buffer_gl0_inv
	v_cmpx_gt_u32_e32 6, v0
	s_cbranch_execz .LBB87_231
; %bb.224:
	ds_read_b128 v[1:4], v54
	v_cmp_ne_u32_e32 vcc_lo, 1, v55
	s_cbranch_vccnz .LBB87_226
; %bb.225:
	s_clause 0x3
	buffer_load_dword v56, v53, s[0:3], 0 offen offset:8
	buffer_load_dword v57, v53, s[0:3], 0 offen offset:12
	buffer_load_dword v60, v53, s[0:3], 0 offen
	buffer_load_dword v61, v53, s[0:3], 0 offen offset:4
	s_waitcnt vmcnt(2) lgkmcnt(0)
	v_mul_f64 v[62:63], v[3:4], v[56:57]
	v_mul_f64 v[56:57], v[1:2], v[56:57]
	s_waitcnt vmcnt(0)
	v_fma_f64 v[1:2], v[1:2], v[60:61], -v[62:63]
	v_fma_f64 v[3:4], v[3:4], v[60:61], v[56:57]
.LBB87_226:
	s_mov_b32 s6, exec_lo
	v_cmpx_ne_u32_e32 5, v0
	s_cbranch_execz .LBB87_230
; %bb.227:
	v_add_nc_u32_e32 v56, 0x190, v59
	v_add3_u32 v57, 0, v59, 16
	v_mov_b32_e32 v58, v0
	s_mov_b32 s8, 0
	.p2align	6
.LBB87_228:                             ; =>This Inner Loop Header: Depth=1
	s_clause 0x3
	buffer_load_dword v64, v57, s[0:3], 0 offen offset:8
	buffer_load_dword v65, v57, s[0:3], 0 offen offset:12
	buffer_load_dword v66, v57, s[0:3], 0 offen
	buffer_load_dword v67, v57, s[0:3], 0 offen offset:4
	ds_read_b128 v[60:63], v56
	v_add_nc_u32_e32 v58, 1, v58
	v_add_nc_u32_e32 v56, 16, v56
	;; [unrolled: 1-line block ×3, first 2 shown]
	v_cmp_lt_u32_e32 vcc_lo, 4, v58
	s_or_b32 s8, vcc_lo, s8
	s_waitcnt vmcnt(2) lgkmcnt(0)
	v_mul_f64 v[68:69], v[62:63], v[64:65]
	v_mul_f64 v[64:65], v[60:61], v[64:65]
	s_waitcnt vmcnt(0)
	v_fma_f64 v[60:61], v[60:61], v[66:67], -v[68:69]
	v_fma_f64 v[62:63], v[62:63], v[66:67], v[64:65]
	v_add_f64 v[1:2], v[1:2], v[60:61]
	v_add_f64 v[3:4], v[3:4], v[62:63]
	s_andn2_b32 exec_lo, exec_lo, s8
	s_cbranch_execnz .LBB87_228
; %bb.229:
	s_or_b32 exec_lo, exec_lo, s8
.LBB87_230:
	s_or_b32 exec_lo, exec_lo, s6
	v_mov_b32_e32 v56, 0
	ds_read_b128 v[60:63], v56 offset:96
	s_waitcnt lgkmcnt(0)
	v_mul_f64 v[56:57], v[3:4], v[62:63]
	v_mul_f64 v[62:63], v[1:2], v[62:63]
	v_fma_f64 v[1:2], v[1:2], v[60:61], -v[56:57]
	v_fma_f64 v[3:4], v[3:4], v[60:61], v[62:63]
	buffer_store_dword v2, off, s[0:3], 0 offset:100
	buffer_store_dword v1, off, s[0:3], 0 offset:96
	;; [unrolled: 1-line block ×4, first 2 shown]
.LBB87_231:
	s_or_b32 exec_lo, exec_lo, s4
	v_mov_b32_e32 v4, s24
	s_mov_b32 s4, exec_lo
	s_clause 0x3
	buffer_load_dword v1, v4, s[0:3], 0 offen
	buffer_load_dword v2, v4, s[0:3], 0 offen offset:4
	buffer_load_dword v3, v4, s[0:3], 0 offen offset:8
	buffer_load_dword v4, v4, s[0:3], 0 offen offset:12
	s_waitcnt vmcnt(0)
	ds_write_b128 v54, v[1:4]
	s_waitcnt lgkmcnt(0)
	s_waitcnt_vscnt null, 0x0
	s_barrier
	buffer_gl0_inv
	v_cmpx_gt_u32_e32 7, v0
	s_cbranch_execz .LBB87_239
; %bb.232:
	ds_read_b128 v[1:4], v54
	v_cmp_ne_u32_e32 vcc_lo, 1, v55
	s_cbranch_vccnz .LBB87_234
; %bb.233:
	s_clause 0x3
	buffer_load_dword v56, v53, s[0:3], 0 offen offset:8
	buffer_load_dword v57, v53, s[0:3], 0 offen offset:12
	buffer_load_dword v60, v53, s[0:3], 0 offen
	buffer_load_dword v61, v53, s[0:3], 0 offen offset:4
	s_waitcnt vmcnt(2) lgkmcnt(0)
	v_mul_f64 v[62:63], v[3:4], v[56:57]
	v_mul_f64 v[56:57], v[1:2], v[56:57]
	s_waitcnt vmcnt(0)
	v_fma_f64 v[1:2], v[1:2], v[60:61], -v[62:63]
	v_fma_f64 v[3:4], v[3:4], v[60:61], v[56:57]
.LBB87_234:
	s_mov_b32 s6, exec_lo
	v_cmpx_ne_u32_e32 6, v0
	s_cbranch_execz .LBB87_238
; %bb.235:
	v_add_nc_u32_e32 v56, 0x190, v59
	v_add3_u32 v57, 0, v59, 16
	v_mov_b32_e32 v58, v0
	s_mov_b32 s8, 0
	.p2align	6
.LBB87_236:                             ; =>This Inner Loop Header: Depth=1
	s_clause 0x3
	buffer_load_dword v64, v57, s[0:3], 0 offen offset:8
	buffer_load_dword v65, v57, s[0:3], 0 offen offset:12
	buffer_load_dword v66, v57, s[0:3], 0 offen
	buffer_load_dword v67, v57, s[0:3], 0 offen offset:4
	ds_read_b128 v[60:63], v56
	v_add_nc_u32_e32 v58, 1, v58
	v_add_nc_u32_e32 v56, 16, v56
	;; [unrolled: 1-line block ×3, first 2 shown]
	v_cmp_lt_u32_e32 vcc_lo, 5, v58
	s_or_b32 s8, vcc_lo, s8
	s_waitcnt vmcnt(2) lgkmcnt(0)
	v_mul_f64 v[68:69], v[62:63], v[64:65]
	v_mul_f64 v[64:65], v[60:61], v[64:65]
	s_waitcnt vmcnt(0)
	v_fma_f64 v[60:61], v[60:61], v[66:67], -v[68:69]
	v_fma_f64 v[62:63], v[62:63], v[66:67], v[64:65]
	v_add_f64 v[1:2], v[1:2], v[60:61]
	v_add_f64 v[3:4], v[3:4], v[62:63]
	s_andn2_b32 exec_lo, exec_lo, s8
	s_cbranch_execnz .LBB87_236
; %bb.237:
	s_or_b32 exec_lo, exec_lo, s8
.LBB87_238:
	s_or_b32 exec_lo, exec_lo, s6
	v_mov_b32_e32 v56, 0
	ds_read_b128 v[60:63], v56 offset:112
	s_waitcnt lgkmcnt(0)
	v_mul_f64 v[56:57], v[3:4], v[62:63]
	v_mul_f64 v[62:63], v[1:2], v[62:63]
	v_fma_f64 v[1:2], v[1:2], v[60:61], -v[56:57]
	v_fma_f64 v[3:4], v[3:4], v[60:61], v[62:63]
	buffer_store_dword v2, off, s[0:3], 0 offset:116
	buffer_store_dword v1, off, s[0:3], 0 offset:112
	;; [unrolled: 1-line block ×4, first 2 shown]
.LBB87_239:
	s_or_b32 exec_lo, exec_lo, s4
	v_mov_b32_e32 v4, s23
	s_mov_b32 s4, exec_lo
	s_clause 0x3
	buffer_load_dword v1, v4, s[0:3], 0 offen
	buffer_load_dword v2, v4, s[0:3], 0 offen offset:4
	buffer_load_dword v3, v4, s[0:3], 0 offen offset:8
	;; [unrolled: 1-line block ×3, first 2 shown]
	s_waitcnt vmcnt(0)
	ds_write_b128 v54, v[1:4]
	s_waitcnt lgkmcnt(0)
	s_waitcnt_vscnt null, 0x0
	s_barrier
	buffer_gl0_inv
	v_cmpx_gt_u32_e32 8, v0
	s_cbranch_execz .LBB87_247
; %bb.240:
	ds_read_b128 v[1:4], v54
	v_cmp_ne_u32_e32 vcc_lo, 1, v55
	s_cbranch_vccnz .LBB87_242
; %bb.241:
	s_clause 0x3
	buffer_load_dword v56, v53, s[0:3], 0 offen offset:8
	buffer_load_dword v57, v53, s[0:3], 0 offen offset:12
	buffer_load_dword v60, v53, s[0:3], 0 offen
	buffer_load_dword v61, v53, s[0:3], 0 offen offset:4
	s_waitcnt vmcnt(2) lgkmcnt(0)
	v_mul_f64 v[62:63], v[3:4], v[56:57]
	v_mul_f64 v[56:57], v[1:2], v[56:57]
	s_waitcnt vmcnt(0)
	v_fma_f64 v[1:2], v[1:2], v[60:61], -v[62:63]
	v_fma_f64 v[3:4], v[3:4], v[60:61], v[56:57]
.LBB87_242:
	s_mov_b32 s6, exec_lo
	v_cmpx_ne_u32_e32 7, v0
	s_cbranch_execz .LBB87_246
; %bb.243:
	v_add_nc_u32_e32 v56, 0x190, v59
	v_add3_u32 v57, 0, v59, 16
	v_mov_b32_e32 v58, v0
	s_mov_b32 s8, 0
	.p2align	6
.LBB87_244:                             ; =>This Inner Loop Header: Depth=1
	s_clause 0x3
	buffer_load_dword v64, v57, s[0:3], 0 offen offset:8
	buffer_load_dword v65, v57, s[0:3], 0 offen offset:12
	buffer_load_dword v66, v57, s[0:3], 0 offen
	buffer_load_dword v67, v57, s[0:3], 0 offen offset:4
	ds_read_b128 v[60:63], v56
	v_add_nc_u32_e32 v58, 1, v58
	v_add_nc_u32_e32 v56, 16, v56
	;; [unrolled: 1-line block ×3, first 2 shown]
	v_cmp_lt_u32_e32 vcc_lo, 6, v58
	s_or_b32 s8, vcc_lo, s8
	s_waitcnt vmcnt(2) lgkmcnt(0)
	v_mul_f64 v[68:69], v[62:63], v[64:65]
	v_mul_f64 v[64:65], v[60:61], v[64:65]
	s_waitcnt vmcnt(0)
	v_fma_f64 v[60:61], v[60:61], v[66:67], -v[68:69]
	v_fma_f64 v[62:63], v[62:63], v[66:67], v[64:65]
	v_add_f64 v[1:2], v[1:2], v[60:61]
	v_add_f64 v[3:4], v[3:4], v[62:63]
	s_andn2_b32 exec_lo, exec_lo, s8
	s_cbranch_execnz .LBB87_244
; %bb.245:
	s_or_b32 exec_lo, exec_lo, s8
.LBB87_246:
	s_or_b32 exec_lo, exec_lo, s6
	v_mov_b32_e32 v56, 0
	ds_read_b128 v[60:63], v56 offset:128
	s_waitcnt lgkmcnt(0)
	v_mul_f64 v[56:57], v[3:4], v[62:63]
	v_mul_f64 v[62:63], v[1:2], v[62:63]
	v_fma_f64 v[1:2], v[1:2], v[60:61], -v[56:57]
	v_fma_f64 v[3:4], v[3:4], v[60:61], v[62:63]
	buffer_store_dword v2, off, s[0:3], 0 offset:132
	buffer_store_dword v1, off, s[0:3], 0 offset:128
	;; [unrolled: 1-line block ×4, first 2 shown]
.LBB87_247:
	s_or_b32 exec_lo, exec_lo, s4
	v_mov_b32_e32 v4, s22
	s_mov_b32 s4, exec_lo
	s_clause 0x3
	buffer_load_dword v1, v4, s[0:3], 0 offen
	buffer_load_dword v2, v4, s[0:3], 0 offen offset:4
	buffer_load_dword v3, v4, s[0:3], 0 offen offset:8
	;; [unrolled: 1-line block ×3, first 2 shown]
	s_waitcnt vmcnt(0)
	ds_write_b128 v54, v[1:4]
	s_waitcnt lgkmcnt(0)
	s_waitcnt_vscnt null, 0x0
	s_barrier
	buffer_gl0_inv
	v_cmpx_gt_u32_e32 9, v0
	s_cbranch_execz .LBB87_255
; %bb.248:
	ds_read_b128 v[1:4], v54
	v_cmp_ne_u32_e32 vcc_lo, 1, v55
	s_cbranch_vccnz .LBB87_250
; %bb.249:
	s_clause 0x3
	buffer_load_dword v56, v53, s[0:3], 0 offen offset:8
	buffer_load_dword v57, v53, s[0:3], 0 offen offset:12
	buffer_load_dword v60, v53, s[0:3], 0 offen
	buffer_load_dword v61, v53, s[0:3], 0 offen offset:4
	s_waitcnt vmcnt(2) lgkmcnt(0)
	v_mul_f64 v[62:63], v[3:4], v[56:57]
	v_mul_f64 v[56:57], v[1:2], v[56:57]
	s_waitcnt vmcnt(0)
	v_fma_f64 v[1:2], v[1:2], v[60:61], -v[62:63]
	v_fma_f64 v[3:4], v[3:4], v[60:61], v[56:57]
.LBB87_250:
	s_mov_b32 s6, exec_lo
	v_cmpx_ne_u32_e32 8, v0
	s_cbranch_execz .LBB87_254
; %bb.251:
	v_add_nc_u32_e32 v56, 0x190, v59
	v_add3_u32 v57, 0, v59, 16
	v_mov_b32_e32 v58, v0
	s_mov_b32 s8, 0
	.p2align	6
.LBB87_252:                             ; =>This Inner Loop Header: Depth=1
	s_clause 0x3
	buffer_load_dword v64, v57, s[0:3], 0 offen offset:8
	buffer_load_dword v65, v57, s[0:3], 0 offen offset:12
	buffer_load_dword v66, v57, s[0:3], 0 offen
	buffer_load_dword v67, v57, s[0:3], 0 offen offset:4
	ds_read_b128 v[60:63], v56
	v_add_nc_u32_e32 v58, 1, v58
	v_add_nc_u32_e32 v56, 16, v56
	;; [unrolled: 1-line block ×3, first 2 shown]
	v_cmp_lt_u32_e32 vcc_lo, 7, v58
	s_or_b32 s8, vcc_lo, s8
	s_waitcnt vmcnt(2) lgkmcnt(0)
	v_mul_f64 v[68:69], v[62:63], v[64:65]
	v_mul_f64 v[64:65], v[60:61], v[64:65]
	s_waitcnt vmcnt(0)
	v_fma_f64 v[60:61], v[60:61], v[66:67], -v[68:69]
	v_fma_f64 v[62:63], v[62:63], v[66:67], v[64:65]
	v_add_f64 v[1:2], v[1:2], v[60:61]
	v_add_f64 v[3:4], v[3:4], v[62:63]
	s_andn2_b32 exec_lo, exec_lo, s8
	s_cbranch_execnz .LBB87_252
; %bb.253:
	s_or_b32 exec_lo, exec_lo, s8
.LBB87_254:
	s_or_b32 exec_lo, exec_lo, s6
	v_mov_b32_e32 v56, 0
	ds_read_b128 v[60:63], v56 offset:144
	s_waitcnt lgkmcnt(0)
	v_mul_f64 v[56:57], v[3:4], v[62:63]
	v_mul_f64 v[62:63], v[1:2], v[62:63]
	v_fma_f64 v[1:2], v[1:2], v[60:61], -v[56:57]
	v_fma_f64 v[3:4], v[3:4], v[60:61], v[62:63]
	buffer_store_dword v2, off, s[0:3], 0 offset:148
	buffer_store_dword v1, off, s[0:3], 0 offset:144
	buffer_store_dword v4, off, s[0:3], 0 offset:156
	buffer_store_dword v3, off, s[0:3], 0 offset:152
.LBB87_255:
	s_or_b32 exec_lo, exec_lo, s4
	v_mov_b32_e32 v4, s21
	s_mov_b32 s4, exec_lo
	s_clause 0x3
	buffer_load_dword v1, v4, s[0:3], 0 offen
	buffer_load_dword v2, v4, s[0:3], 0 offen offset:4
	buffer_load_dword v3, v4, s[0:3], 0 offen offset:8
	;; [unrolled: 1-line block ×3, first 2 shown]
	s_waitcnt vmcnt(0)
	ds_write_b128 v54, v[1:4]
	s_waitcnt lgkmcnt(0)
	s_waitcnt_vscnt null, 0x0
	s_barrier
	buffer_gl0_inv
	v_cmpx_gt_u32_e32 10, v0
	s_cbranch_execz .LBB87_263
; %bb.256:
	ds_read_b128 v[1:4], v54
	v_cmp_ne_u32_e32 vcc_lo, 1, v55
	s_cbranch_vccnz .LBB87_258
; %bb.257:
	s_clause 0x3
	buffer_load_dword v56, v53, s[0:3], 0 offen offset:8
	buffer_load_dword v57, v53, s[0:3], 0 offen offset:12
	buffer_load_dword v60, v53, s[0:3], 0 offen
	buffer_load_dword v61, v53, s[0:3], 0 offen offset:4
	s_waitcnt vmcnt(2) lgkmcnt(0)
	v_mul_f64 v[62:63], v[3:4], v[56:57]
	v_mul_f64 v[56:57], v[1:2], v[56:57]
	s_waitcnt vmcnt(0)
	v_fma_f64 v[1:2], v[1:2], v[60:61], -v[62:63]
	v_fma_f64 v[3:4], v[3:4], v[60:61], v[56:57]
.LBB87_258:
	s_mov_b32 s6, exec_lo
	v_cmpx_ne_u32_e32 9, v0
	s_cbranch_execz .LBB87_262
; %bb.259:
	v_add_nc_u32_e32 v56, 0x190, v59
	v_add3_u32 v57, 0, v59, 16
	v_mov_b32_e32 v58, v0
	s_mov_b32 s8, 0
	.p2align	6
.LBB87_260:                             ; =>This Inner Loop Header: Depth=1
	s_clause 0x3
	buffer_load_dword v64, v57, s[0:3], 0 offen offset:8
	buffer_load_dword v65, v57, s[0:3], 0 offen offset:12
	buffer_load_dword v66, v57, s[0:3], 0 offen
	buffer_load_dword v67, v57, s[0:3], 0 offen offset:4
	ds_read_b128 v[60:63], v56
	v_add_nc_u32_e32 v58, 1, v58
	v_add_nc_u32_e32 v56, 16, v56
	;; [unrolled: 1-line block ×3, first 2 shown]
	v_cmp_lt_u32_e32 vcc_lo, 8, v58
	s_or_b32 s8, vcc_lo, s8
	s_waitcnt vmcnt(2) lgkmcnt(0)
	v_mul_f64 v[68:69], v[62:63], v[64:65]
	v_mul_f64 v[64:65], v[60:61], v[64:65]
	s_waitcnt vmcnt(0)
	v_fma_f64 v[60:61], v[60:61], v[66:67], -v[68:69]
	v_fma_f64 v[62:63], v[62:63], v[66:67], v[64:65]
	v_add_f64 v[1:2], v[1:2], v[60:61]
	v_add_f64 v[3:4], v[3:4], v[62:63]
	s_andn2_b32 exec_lo, exec_lo, s8
	s_cbranch_execnz .LBB87_260
; %bb.261:
	s_or_b32 exec_lo, exec_lo, s8
.LBB87_262:
	s_or_b32 exec_lo, exec_lo, s6
	v_mov_b32_e32 v56, 0
	ds_read_b128 v[60:63], v56 offset:160
	s_waitcnt lgkmcnt(0)
	v_mul_f64 v[56:57], v[3:4], v[62:63]
	v_mul_f64 v[62:63], v[1:2], v[62:63]
	v_fma_f64 v[1:2], v[1:2], v[60:61], -v[56:57]
	v_fma_f64 v[3:4], v[3:4], v[60:61], v[62:63]
	buffer_store_dword v2, off, s[0:3], 0 offset:164
	buffer_store_dword v1, off, s[0:3], 0 offset:160
	buffer_store_dword v4, off, s[0:3], 0 offset:172
	buffer_store_dword v3, off, s[0:3], 0 offset:168
.LBB87_263:
	s_or_b32 exec_lo, exec_lo, s4
	v_mov_b32_e32 v4, s20
	s_mov_b32 s4, exec_lo
	s_clause 0x3
	buffer_load_dword v1, v4, s[0:3], 0 offen
	buffer_load_dword v2, v4, s[0:3], 0 offen offset:4
	buffer_load_dword v3, v4, s[0:3], 0 offen offset:8
	;; [unrolled: 1-line block ×3, first 2 shown]
	s_waitcnt vmcnt(0)
	ds_write_b128 v54, v[1:4]
	s_waitcnt lgkmcnt(0)
	s_waitcnt_vscnt null, 0x0
	s_barrier
	buffer_gl0_inv
	v_cmpx_gt_u32_e32 11, v0
	s_cbranch_execz .LBB87_271
; %bb.264:
	ds_read_b128 v[1:4], v54
	v_cmp_ne_u32_e32 vcc_lo, 1, v55
	s_cbranch_vccnz .LBB87_266
; %bb.265:
	s_clause 0x3
	buffer_load_dword v56, v53, s[0:3], 0 offen offset:8
	buffer_load_dword v57, v53, s[0:3], 0 offen offset:12
	buffer_load_dword v60, v53, s[0:3], 0 offen
	buffer_load_dword v61, v53, s[0:3], 0 offen offset:4
	s_waitcnt vmcnt(2) lgkmcnt(0)
	v_mul_f64 v[62:63], v[3:4], v[56:57]
	v_mul_f64 v[56:57], v[1:2], v[56:57]
	s_waitcnt vmcnt(0)
	v_fma_f64 v[1:2], v[1:2], v[60:61], -v[62:63]
	v_fma_f64 v[3:4], v[3:4], v[60:61], v[56:57]
.LBB87_266:
	s_mov_b32 s6, exec_lo
	v_cmpx_ne_u32_e32 10, v0
	s_cbranch_execz .LBB87_270
; %bb.267:
	v_add_nc_u32_e32 v56, 0x190, v59
	v_add3_u32 v57, 0, v59, 16
	v_mov_b32_e32 v58, v0
	s_mov_b32 s8, 0
	.p2align	6
.LBB87_268:                             ; =>This Inner Loop Header: Depth=1
	s_clause 0x3
	buffer_load_dword v64, v57, s[0:3], 0 offen offset:8
	buffer_load_dword v65, v57, s[0:3], 0 offen offset:12
	buffer_load_dword v66, v57, s[0:3], 0 offen
	buffer_load_dword v67, v57, s[0:3], 0 offen offset:4
	ds_read_b128 v[60:63], v56
	v_add_nc_u32_e32 v58, 1, v58
	v_add_nc_u32_e32 v56, 16, v56
	;; [unrolled: 1-line block ×3, first 2 shown]
	v_cmp_lt_u32_e32 vcc_lo, 9, v58
	s_or_b32 s8, vcc_lo, s8
	s_waitcnt vmcnt(2) lgkmcnt(0)
	v_mul_f64 v[68:69], v[62:63], v[64:65]
	v_mul_f64 v[64:65], v[60:61], v[64:65]
	s_waitcnt vmcnt(0)
	v_fma_f64 v[60:61], v[60:61], v[66:67], -v[68:69]
	v_fma_f64 v[62:63], v[62:63], v[66:67], v[64:65]
	v_add_f64 v[1:2], v[1:2], v[60:61]
	v_add_f64 v[3:4], v[3:4], v[62:63]
	s_andn2_b32 exec_lo, exec_lo, s8
	s_cbranch_execnz .LBB87_268
; %bb.269:
	s_or_b32 exec_lo, exec_lo, s8
.LBB87_270:
	s_or_b32 exec_lo, exec_lo, s6
	v_mov_b32_e32 v56, 0
	ds_read_b128 v[60:63], v56 offset:176
	s_waitcnt lgkmcnt(0)
	v_mul_f64 v[56:57], v[3:4], v[62:63]
	v_mul_f64 v[62:63], v[1:2], v[62:63]
	v_fma_f64 v[1:2], v[1:2], v[60:61], -v[56:57]
	v_fma_f64 v[3:4], v[3:4], v[60:61], v[62:63]
	buffer_store_dword v2, off, s[0:3], 0 offset:180
	buffer_store_dword v1, off, s[0:3], 0 offset:176
	;; [unrolled: 1-line block ×4, first 2 shown]
.LBB87_271:
	s_or_b32 exec_lo, exec_lo, s4
	v_mov_b32_e32 v4, s19
	s_mov_b32 s4, exec_lo
	s_clause 0x3
	buffer_load_dword v1, v4, s[0:3], 0 offen
	buffer_load_dword v2, v4, s[0:3], 0 offen offset:4
	buffer_load_dword v3, v4, s[0:3], 0 offen offset:8
	;; [unrolled: 1-line block ×3, first 2 shown]
	s_waitcnt vmcnt(0)
	ds_write_b128 v54, v[1:4]
	s_waitcnt lgkmcnt(0)
	s_waitcnt_vscnt null, 0x0
	s_barrier
	buffer_gl0_inv
	v_cmpx_gt_u32_e32 12, v0
	s_cbranch_execz .LBB87_279
; %bb.272:
	ds_read_b128 v[1:4], v54
	v_cmp_ne_u32_e32 vcc_lo, 1, v55
	s_cbranch_vccnz .LBB87_274
; %bb.273:
	s_clause 0x3
	buffer_load_dword v56, v53, s[0:3], 0 offen offset:8
	buffer_load_dword v57, v53, s[0:3], 0 offen offset:12
	buffer_load_dword v60, v53, s[0:3], 0 offen
	buffer_load_dword v61, v53, s[0:3], 0 offen offset:4
	s_waitcnt vmcnt(2) lgkmcnt(0)
	v_mul_f64 v[62:63], v[3:4], v[56:57]
	v_mul_f64 v[56:57], v[1:2], v[56:57]
	s_waitcnt vmcnt(0)
	v_fma_f64 v[1:2], v[1:2], v[60:61], -v[62:63]
	v_fma_f64 v[3:4], v[3:4], v[60:61], v[56:57]
.LBB87_274:
	s_mov_b32 s6, exec_lo
	v_cmpx_ne_u32_e32 11, v0
	s_cbranch_execz .LBB87_278
; %bb.275:
	v_add_nc_u32_e32 v56, 0x190, v59
	v_add3_u32 v57, 0, v59, 16
	v_mov_b32_e32 v58, v0
	s_mov_b32 s8, 0
	.p2align	6
.LBB87_276:                             ; =>This Inner Loop Header: Depth=1
	s_clause 0x3
	buffer_load_dword v64, v57, s[0:3], 0 offen offset:8
	buffer_load_dword v65, v57, s[0:3], 0 offen offset:12
	buffer_load_dword v66, v57, s[0:3], 0 offen
	buffer_load_dword v67, v57, s[0:3], 0 offen offset:4
	ds_read_b128 v[60:63], v56
	v_add_nc_u32_e32 v58, 1, v58
	v_add_nc_u32_e32 v56, 16, v56
	;; [unrolled: 1-line block ×3, first 2 shown]
	v_cmp_lt_u32_e32 vcc_lo, 10, v58
	s_or_b32 s8, vcc_lo, s8
	s_waitcnt vmcnt(2) lgkmcnt(0)
	v_mul_f64 v[68:69], v[62:63], v[64:65]
	v_mul_f64 v[64:65], v[60:61], v[64:65]
	s_waitcnt vmcnt(0)
	v_fma_f64 v[60:61], v[60:61], v[66:67], -v[68:69]
	v_fma_f64 v[62:63], v[62:63], v[66:67], v[64:65]
	v_add_f64 v[1:2], v[1:2], v[60:61]
	v_add_f64 v[3:4], v[3:4], v[62:63]
	s_andn2_b32 exec_lo, exec_lo, s8
	s_cbranch_execnz .LBB87_276
; %bb.277:
	s_or_b32 exec_lo, exec_lo, s8
.LBB87_278:
	s_or_b32 exec_lo, exec_lo, s6
	v_mov_b32_e32 v56, 0
	ds_read_b128 v[60:63], v56 offset:192
	s_waitcnt lgkmcnt(0)
	v_mul_f64 v[56:57], v[3:4], v[62:63]
	v_mul_f64 v[62:63], v[1:2], v[62:63]
	v_fma_f64 v[1:2], v[1:2], v[60:61], -v[56:57]
	v_fma_f64 v[3:4], v[3:4], v[60:61], v[62:63]
	buffer_store_dword v2, off, s[0:3], 0 offset:196
	buffer_store_dword v1, off, s[0:3], 0 offset:192
	;; [unrolled: 1-line block ×4, first 2 shown]
.LBB87_279:
	s_or_b32 exec_lo, exec_lo, s4
	v_mov_b32_e32 v4, s18
	s_mov_b32 s4, exec_lo
	s_clause 0x3
	buffer_load_dword v1, v4, s[0:3], 0 offen
	buffer_load_dword v2, v4, s[0:3], 0 offen offset:4
	buffer_load_dword v3, v4, s[0:3], 0 offen offset:8
	;; [unrolled: 1-line block ×3, first 2 shown]
	s_waitcnt vmcnt(0)
	ds_write_b128 v54, v[1:4]
	s_waitcnt lgkmcnt(0)
	s_waitcnt_vscnt null, 0x0
	s_barrier
	buffer_gl0_inv
	v_cmpx_gt_u32_e32 13, v0
	s_cbranch_execz .LBB87_287
; %bb.280:
	ds_read_b128 v[1:4], v54
	v_cmp_ne_u32_e32 vcc_lo, 1, v55
	s_cbranch_vccnz .LBB87_282
; %bb.281:
	s_clause 0x3
	buffer_load_dword v56, v53, s[0:3], 0 offen offset:8
	buffer_load_dword v57, v53, s[0:3], 0 offen offset:12
	buffer_load_dword v60, v53, s[0:3], 0 offen
	buffer_load_dword v61, v53, s[0:3], 0 offen offset:4
	s_waitcnt vmcnt(2) lgkmcnt(0)
	v_mul_f64 v[62:63], v[3:4], v[56:57]
	v_mul_f64 v[56:57], v[1:2], v[56:57]
	s_waitcnt vmcnt(0)
	v_fma_f64 v[1:2], v[1:2], v[60:61], -v[62:63]
	v_fma_f64 v[3:4], v[3:4], v[60:61], v[56:57]
.LBB87_282:
	s_mov_b32 s6, exec_lo
	v_cmpx_ne_u32_e32 12, v0
	s_cbranch_execz .LBB87_286
; %bb.283:
	v_add_nc_u32_e32 v56, 0x190, v59
	v_add3_u32 v57, 0, v59, 16
	v_mov_b32_e32 v58, v0
	s_mov_b32 s8, 0
	.p2align	6
.LBB87_284:                             ; =>This Inner Loop Header: Depth=1
	s_clause 0x3
	buffer_load_dword v64, v57, s[0:3], 0 offen offset:8
	buffer_load_dword v65, v57, s[0:3], 0 offen offset:12
	buffer_load_dword v66, v57, s[0:3], 0 offen
	buffer_load_dword v67, v57, s[0:3], 0 offen offset:4
	ds_read_b128 v[60:63], v56
	v_add_nc_u32_e32 v58, 1, v58
	v_add_nc_u32_e32 v56, 16, v56
	;; [unrolled: 1-line block ×3, first 2 shown]
	v_cmp_lt_u32_e32 vcc_lo, 11, v58
	s_or_b32 s8, vcc_lo, s8
	s_waitcnt vmcnt(2) lgkmcnt(0)
	v_mul_f64 v[68:69], v[62:63], v[64:65]
	v_mul_f64 v[64:65], v[60:61], v[64:65]
	s_waitcnt vmcnt(0)
	v_fma_f64 v[60:61], v[60:61], v[66:67], -v[68:69]
	v_fma_f64 v[62:63], v[62:63], v[66:67], v[64:65]
	v_add_f64 v[1:2], v[1:2], v[60:61]
	v_add_f64 v[3:4], v[3:4], v[62:63]
	s_andn2_b32 exec_lo, exec_lo, s8
	s_cbranch_execnz .LBB87_284
; %bb.285:
	s_or_b32 exec_lo, exec_lo, s8
.LBB87_286:
	s_or_b32 exec_lo, exec_lo, s6
	v_mov_b32_e32 v56, 0
	ds_read_b128 v[60:63], v56 offset:208
	s_waitcnt lgkmcnt(0)
	v_mul_f64 v[56:57], v[3:4], v[62:63]
	v_mul_f64 v[62:63], v[1:2], v[62:63]
	v_fma_f64 v[1:2], v[1:2], v[60:61], -v[56:57]
	v_fma_f64 v[3:4], v[3:4], v[60:61], v[62:63]
	buffer_store_dword v2, off, s[0:3], 0 offset:212
	buffer_store_dword v1, off, s[0:3], 0 offset:208
	;; [unrolled: 1-line block ×4, first 2 shown]
.LBB87_287:
	s_or_b32 exec_lo, exec_lo, s4
	v_mov_b32_e32 v4, s17
	s_mov_b32 s4, exec_lo
	s_clause 0x3
	buffer_load_dword v1, v4, s[0:3], 0 offen
	buffer_load_dword v2, v4, s[0:3], 0 offen offset:4
	buffer_load_dword v3, v4, s[0:3], 0 offen offset:8
	;; [unrolled: 1-line block ×3, first 2 shown]
	s_waitcnt vmcnt(0)
	ds_write_b128 v54, v[1:4]
	s_waitcnt lgkmcnt(0)
	s_waitcnt_vscnt null, 0x0
	s_barrier
	buffer_gl0_inv
	v_cmpx_gt_u32_e32 14, v0
	s_cbranch_execz .LBB87_295
; %bb.288:
	ds_read_b128 v[1:4], v54
	v_cmp_ne_u32_e32 vcc_lo, 1, v55
	s_cbranch_vccnz .LBB87_290
; %bb.289:
	s_clause 0x3
	buffer_load_dword v56, v53, s[0:3], 0 offen offset:8
	buffer_load_dword v57, v53, s[0:3], 0 offen offset:12
	buffer_load_dword v60, v53, s[0:3], 0 offen
	buffer_load_dword v61, v53, s[0:3], 0 offen offset:4
	s_waitcnt vmcnt(2) lgkmcnt(0)
	v_mul_f64 v[62:63], v[3:4], v[56:57]
	v_mul_f64 v[56:57], v[1:2], v[56:57]
	s_waitcnt vmcnt(0)
	v_fma_f64 v[1:2], v[1:2], v[60:61], -v[62:63]
	v_fma_f64 v[3:4], v[3:4], v[60:61], v[56:57]
.LBB87_290:
	s_mov_b32 s6, exec_lo
	v_cmpx_ne_u32_e32 13, v0
	s_cbranch_execz .LBB87_294
; %bb.291:
	v_add_nc_u32_e32 v56, 0x190, v59
	v_add3_u32 v57, 0, v59, 16
	v_mov_b32_e32 v58, v0
	s_mov_b32 s8, 0
	.p2align	6
.LBB87_292:                             ; =>This Inner Loop Header: Depth=1
	s_clause 0x3
	buffer_load_dword v64, v57, s[0:3], 0 offen offset:8
	buffer_load_dword v65, v57, s[0:3], 0 offen offset:12
	buffer_load_dword v66, v57, s[0:3], 0 offen
	buffer_load_dword v67, v57, s[0:3], 0 offen offset:4
	ds_read_b128 v[60:63], v56
	v_add_nc_u32_e32 v58, 1, v58
	v_add_nc_u32_e32 v56, 16, v56
	v_add_nc_u32_e32 v57, 16, v57
	v_cmp_lt_u32_e32 vcc_lo, 12, v58
	s_or_b32 s8, vcc_lo, s8
	s_waitcnt vmcnt(2) lgkmcnt(0)
	v_mul_f64 v[68:69], v[62:63], v[64:65]
	v_mul_f64 v[64:65], v[60:61], v[64:65]
	s_waitcnt vmcnt(0)
	v_fma_f64 v[60:61], v[60:61], v[66:67], -v[68:69]
	v_fma_f64 v[62:63], v[62:63], v[66:67], v[64:65]
	v_add_f64 v[1:2], v[1:2], v[60:61]
	v_add_f64 v[3:4], v[3:4], v[62:63]
	s_andn2_b32 exec_lo, exec_lo, s8
	s_cbranch_execnz .LBB87_292
; %bb.293:
	s_or_b32 exec_lo, exec_lo, s8
.LBB87_294:
	s_or_b32 exec_lo, exec_lo, s6
	v_mov_b32_e32 v56, 0
	ds_read_b128 v[60:63], v56 offset:224
	s_waitcnt lgkmcnt(0)
	v_mul_f64 v[56:57], v[3:4], v[62:63]
	v_mul_f64 v[62:63], v[1:2], v[62:63]
	v_fma_f64 v[1:2], v[1:2], v[60:61], -v[56:57]
	v_fma_f64 v[3:4], v[3:4], v[60:61], v[62:63]
	buffer_store_dword v2, off, s[0:3], 0 offset:228
	buffer_store_dword v1, off, s[0:3], 0 offset:224
	;; [unrolled: 1-line block ×4, first 2 shown]
.LBB87_295:
	s_or_b32 exec_lo, exec_lo, s4
	v_mov_b32_e32 v4, s16
	s_mov_b32 s4, exec_lo
	s_clause 0x3
	buffer_load_dword v1, v4, s[0:3], 0 offen
	buffer_load_dword v2, v4, s[0:3], 0 offen offset:4
	buffer_load_dword v3, v4, s[0:3], 0 offen offset:8
	;; [unrolled: 1-line block ×3, first 2 shown]
	s_waitcnt vmcnt(0)
	ds_write_b128 v54, v[1:4]
	s_waitcnt lgkmcnt(0)
	s_waitcnt_vscnt null, 0x0
	s_barrier
	buffer_gl0_inv
	v_cmpx_gt_u32_e32 15, v0
	s_cbranch_execz .LBB87_303
; %bb.296:
	ds_read_b128 v[1:4], v54
	v_cmp_ne_u32_e32 vcc_lo, 1, v55
	s_cbranch_vccnz .LBB87_298
; %bb.297:
	s_clause 0x3
	buffer_load_dword v56, v53, s[0:3], 0 offen offset:8
	buffer_load_dword v57, v53, s[0:3], 0 offen offset:12
	buffer_load_dword v60, v53, s[0:3], 0 offen
	buffer_load_dword v61, v53, s[0:3], 0 offen offset:4
	s_waitcnt vmcnt(2) lgkmcnt(0)
	v_mul_f64 v[62:63], v[3:4], v[56:57]
	v_mul_f64 v[56:57], v[1:2], v[56:57]
	s_waitcnt vmcnt(0)
	v_fma_f64 v[1:2], v[1:2], v[60:61], -v[62:63]
	v_fma_f64 v[3:4], v[3:4], v[60:61], v[56:57]
.LBB87_298:
	s_mov_b32 s6, exec_lo
	v_cmpx_ne_u32_e32 14, v0
	s_cbranch_execz .LBB87_302
; %bb.299:
	v_add_nc_u32_e32 v56, 0x190, v59
	v_add3_u32 v57, 0, v59, 16
	v_mov_b32_e32 v58, v0
	s_mov_b32 s8, 0
	.p2align	6
.LBB87_300:                             ; =>This Inner Loop Header: Depth=1
	s_clause 0x3
	buffer_load_dword v64, v57, s[0:3], 0 offen offset:8
	buffer_load_dword v65, v57, s[0:3], 0 offen offset:12
	buffer_load_dword v66, v57, s[0:3], 0 offen
	buffer_load_dword v67, v57, s[0:3], 0 offen offset:4
	ds_read_b128 v[60:63], v56
	v_add_nc_u32_e32 v58, 1, v58
	v_add_nc_u32_e32 v56, 16, v56
	;; [unrolled: 1-line block ×3, first 2 shown]
	v_cmp_lt_u32_e32 vcc_lo, 13, v58
	s_or_b32 s8, vcc_lo, s8
	s_waitcnt vmcnt(2) lgkmcnt(0)
	v_mul_f64 v[68:69], v[62:63], v[64:65]
	v_mul_f64 v[64:65], v[60:61], v[64:65]
	s_waitcnt vmcnt(0)
	v_fma_f64 v[60:61], v[60:61], v[66:67], -v[68:69]
	v_fma_f64 v[62:63], v[62:63], v[66:67], v[64:65]
	v_add_f64 v[1:2], v[1:2], v[60:61]
	v_add_f64 v[3:4], v[3:4], v[62:63]
	s_andn2_b32 exec_lo, exec_lo, s8
	s_cbranch_execnz .LBB87_300
; %bb.301:
	s_or_b32 exec_lo, exec_lo, s8
.LBB87_302:
	s_or_b32 exec_lo, exec_lo, s6
	v_mov_b32_e32 v56, 0
	ds_read_b128 v[60:63], v56 offset:240
	s_waitcnt lgkmcnt(0)
	v_mul_f64 v[56:57], v[3:4], v[62:63]
	v_mul_f64 v[62:63], v[1:2], v[62:63]
	v_fma_f64 v[1:2], v[1:2], v[60:61], -v[56:57]
	v_fma_f64 v[3:4], v[3:4], v[60:61], v[62:63]
	buffer_store_dword v2, off, s[0:3], 0 offset:244
	buffer_store_dword v1, off, s[0:3], 0 offset:240
	;; [unrolled: 1-line block ×4, first 2 shown]
.LBB87_303:
	s_or_b32 exec_lo, exec_lo, s4
	v_mov_b32_e32 v4, s15
	s_mov_b32 s4, exec_lo
	s_clause 0x3
	buffer_load_dword v1, v4, s[0:3], 0 offen
	buffer_load_dword v2, v4, s[0:3], 0 offen offset:4
	buffer_load_dword v3, v4, s[0:3], 0 offen offset:8
	;; [unrolled: 1-line block ×3, first 2 shown]
	s_waitcnt vmcnt(0)
	ds_write_b128 v54, v[1:4]
	s_waitcnt lgkmcnt(0)
	s_waitcnt_vscnt null, 0x0
	s_barrier
	buffer_gl0_inv
	v_cmpx_gt_u32_e32 16, v0
	s_cbranch_execz .LBB87_311
; %bb.304:
	ds_read_b128 v[1:4], v54
	v_cmp_ne_u32_e32 vcc_lo, 1, v55
	s_cbranch_vccnz .LBB87_306
; %bb.305:
	s_clause 0x3
	buffer_load_dword v56, v53, s[0:3], 0 offen offset:8
	buffer_load_dword v57, v53, s[0:3], 0 offen offset:12
	buffer_load_dword v60, v53, s[0:3], 0 offen
	buffer_load_dword v61, v53, s[0:3], 0 offen offset:4
	s_waitcnt vmcnt(2) lgkmcnt(0)
	v_mul_f64 v[62:63], v[3:4], v[56:57]
	v_mul_f64 v[56:57], v[1:2], v[56:57]
	s_waitcnt vmcnt(0)
	v_fma_f64 v[1:2], v[1:2], v[60:61], -v[62:63]
	v_fma_f64 v[3:4], v[3:4], v[60:61], v[56:57]
.LBB87_306:
	s_mov_b32 s6, exec_lo
	v_cmpx_ne_u32_e32 15, v0
	s_cbranch_execz .LBB87_310
; %bb.307:
	v_add_nc_u32_e32 v56, 0x190, v59
	v_add3_u32 v57, 0, v59, 16
	v_mov_b32_e32 v58, v0
	s_mov_b32 s8, 0
	.p2align	6
.LBB87_308:                             ; =>This Inner Loop Header: Depth=1
	s_clause 0x3
	buffer_load_dword v64, v57, s[0:3], 0 offen offset:8
	buffer_load_dword v65, v57, s[0:3], 0 offen offset:12
	buffer_load_dword v66, v57, s[0:3], 0 offen
	buffer_load_dword v67, v57, s[0:3], 0 offen offset:4
	ds_read_b128 v[60:63], v56
	v_add_nc_u32_e32 v58, 1, v58
	v_add_nc_u32_e32 v56, 16, v56
	;; [unrolled: 1-line block ×3, first 2 shown]
	v_cmp_lt_u32_e32 vcc_lo, 14, v58
	s_or_b32 s8, vcc_lo, s8
	s_waitcnt vmcnt(2) lgkmcnt(0)
	v_mul_f64 v[68:69], v[62:63], v[64:65]
	v_mul_f64 v[64:65], v[60:61], v[64:65]
	s_waitcnt vmcnt(0)
	v_fma_f64 v[60:61], v[60:61], v[66:67], -v[68:69]
	v_fma_f64 v[62:63], v[62:63], v[66:67], v[64:65]
	v_add_f64 v[1:2], v[1:2], v[60:61]
	v_add_f64 v[3:4], v[3:4], v[62:63]
	s_andn2_b32 exec_lo, exec_lo, s8
	s_cbranch_execnz .LBB87_308
; %bb.309:
	s_or_b32 exec_lo, exec_lo, s8
.LBB87_310:
	s_or_b32 exec_lo, exec_lo, s6
	v_mov_b32_e32 v56, 0
	ds_read_b128 v[60:63], v56 offset:256
	s_waitcnt lgkmcnt(0)
	v_mul_f64 v[56:57], v[3:4], v[62:63]
	v_mul_f64 v[62:63], v[1:2], v[62:63]
	v_fma_f64 v[1:2], v[1:2], v[60:61], -v[56:57]
	v_fma_f64 v[3:4], v[3:4], v[60:61], v[62:63]
	buffer_store_dword v2, off, s[0:3], 0 offset:260
	buffer_store_dword v1, off, s[0:3], 0 offset:256
	;; [unrolled: 1-line block ×4, first 2 shown]
.LBB87_311:
	s_or_b32 exec_lo, exec_lo, s4
	v_mov_b32_e32 v4, s14
	s_mov_b32 s4, exec_lo
	s_clause 0x3
	buffer_load_dword v1, v4, s[0:3], 0 offen
	buffer_load_dword v2, v4, s[0:3], 0 offen offset:4
	buffer_load_dword v3, v4, s[0:3], 0 offen offset:8
	;; [unrolled: 1-line block ×3, first 2 shown]
	s_waitcnt vmcnt(0)
	ds_write_b128 v54, v[1:4]
	s_waitcnt lgkmcnt(0)
	s_waitcnt_vscnt null, 0x0
	s_barrier
	buffer_gl0_inv
	v_cmpx_gt_u32_e32 17, v0
	s_cbranch_execz .LBB87_319
; %bb.312:
	ds_read_b128 v[1:4], v54
	v_cmp_ne_u32_e32 vcc_lo, 1, v55
	s_cbranch_vccnz .LBB87_314
; %bb.313:
	s_clause 0x3
	buffer_load_dword v56, v53, s[0:3], 0 offen offset:8
	buffer_load_dword v57, v53, s[0:3], 0 offen offset:12
	buffer_load_dword v60, v53, s[0:3], 0 offen
	buffer_load_dword v61, v53, s[0:3], 0 offen offset:4
	s_waitcnt vmcnt(2) lgkmcnt(0)
	v_mul_f64 v[62:63], v[3:4], v[56:57]
	v_mul_f64 v[56:57], v[1:2], v[56:57]
	s_waitcnt vmcnt(0)
	v_fma_f64 v[1:2], v[1:2], v[60:61], -v[62:63]
	v_fma_f64 v[3:4], v[3:4], v[60:61], v[56:57]
.LBB87_314:
	s_mov_b32 s6, exec_lo
	v_cmpx_ne_u32_e32 16, v0
	s_cbranch_execz .LBB87_318
; %bb.315:
	v_add_nc_u32_e32 v56, 0x190, v59
	v_add3_u32 v57, 0, v59, 16
	v_mov_b32_e32 v58, v0
	s_mov_b32 s8, 0
	.p2align	6
.LBB87_316:                             ; =>This Inner Loop Header: Depth=1
	s_clause 0x3
	buffer_load_dword v64, v57, s[0:3], 0 offen offset:8
	buffer_load_dword v65, v57, s[0:3], 0 offen offset:12
	buffer_load_dword v66, v57, s[0:3], 0 offen
	buffer_load_dword v67, v57, s[0:3], 0 offen offset:4
	ds_read_b128 v[60:63], v56
	v_add_nc_u32_e32 v58, 1, v58
	v_add_nc_u32_e32 v56, 16, v56
	;; [unrolled: 1-line block ×3, first 2 shown]
	v_cmp_lt_u32_e32 vcc_lo, 15, v58
	s_or_b32 s8, vcc_lo, s8
	s_waitcnt vmcnt(2) lgkmcnt(0)
	v_mul_f64 v[68:69], v[62:63], v[64:65]
	v_mul_f64 v[64:65], v[60:61], v[64:65]
	s_waitcnt vmcnt(0)
	v_fma_f64 v[60:61], v[60:61], v[66:67], -v[68:69]
	v_fma_f64 v[62:63], v[62:63], v[66:67], v[64:65]
	v_add_f64 v[1:2], v[1:2], v[60:61]
	v_add_f64 v[3:4], v[3:4], v[62:63]
	s_andn2_b32 exec_lo, exec_lo, s8
	s_cbranch_execnz .LBB87_316
; %bb.317:
	s_or_b32 exec_lo, exec_lo, s8
.LBB87_318:
	s_or_b32 exec_lo, exec_lo, s6
	v_mov_b32_e32 v56, 0
	ds_read_b128 v[60:63], v56 offset:272
	s_waitcnt lgkmcnt(0)
	v_mul_f64 v[56:57], v[3:4], v[62:63]
	v_mul_f64 v[62:63], v[1:2], v[62:63]
	v_fma_f64 v[1:2], v[1:2], v[60:61], -v[56:57]
	v_fma_f64 v[3:4], v[3:4], v[60:61], v[62:63]
	buffer_store_dword v2, off, s[0:3], 0 offset:276
	buffer_store_dword v1, off, s[0:3], 0 offset:272
	;; [unrolled: 1-line block ×4, first 2 shown]
.LBB87_319:
	s_or_b32 exec_lo, exec_lo, s4
	v_mov_b32_e32 v4, s13
	s_mov_b32 s4, exec_lo
	s_clause 0x3
	buffer_load_dword v1, v4, s[0:3], 0 offen
	buffer_load_dword v2, v4, s[0:3], 0 offen offset:4
	buffer_load_dword v3, v4, s[0:3], 0 offen offset:8
	;; [unrolled: 1-line block ×3, first 2 shown]
	s_waitcnt vmcnt(0)
	ds_write_b128 v54, v[1:4]
	s_waitcnt lgkmcnt(0)
	s_waitcnt_vscnt null, 0x0
	s_barrier
	buffer_gl0_inv
	v_cmpx_gt_u32_e32 18, v0
	s_cbranch_execz .LBB87_327
; %bb.320:
	ds_read_b128 v[1:4], v54
	v_cmp_ne_u32_e32 vcc_lo, 1, v55
	s_cbranch_vccnz .LBB87_322
; %bb.321:
	s_clause 0x3
	buffer_load_dword v56, v53, s[0:3], 0 offen offset:8
	buffer_load_dword v57, v53, s[0:3], 0 offen offset:12
	buffer_load_dword v60, v53, s[0:3], 0 offen
	buffer_load_dword v61, v53, s[0:3], 0 offen offset:4
	s_waitcnt vmcnt(2) lgkmcnt(0)
	v_mul_f64 v[62:63], v[3:4], v[56:57]
	v_mul_f64 v[56:57], v[1:2], v[56:57]
	s_waitcnt vmcnt(0)
	v_fma_f64 v[1:2], v[1:2], v[60:61], -v[62:63]
	v_fma_f64 v[3:4], v[3:4], v[60:61], v[56:57]
.LBB87_322:
	s_mov_b32 s6, exec_lo
	v_cmpx_ne_u32_e32 17, v0
	s_cbranch_execz .LBB87_326
; %bb.323:
	v_add_nc_u32_e32 v56, 0x190, v59
	v_add3_u32 v57, 0, v59, 16
	v_mov_b32_e32 v58, v0
	s_mov_b32 s8, 0
	.p2align	6
.LBB87_324:                             ; =>This Inner Loop Header: Depth=1
	s_clause 0x3
	buffer_load_dword v64, v57, s[0:3], 0 offen offset:8
	buffer_load_dword v65, v57, s[0:3], 0 offen offset:12
	buffer_load_dword v66, v57, s[0:3], 0 offen
	buffer_load_dword v67, v57, s[0:3], 0 offen offset:4
	ds_read_b128 v[60:63], v56
	v_add_nc_u32_e32 v58, 1, v58
	v_add_nc_u32_e32 v56, 16, v56
	;; [unrolled: 1-line block ×3, first 2 shown]
	v_cmp_lt_u32_e32 vcc_lo, 16, v58
	s_or_b32 s8, vcc_lo, s8
	s_waitcnt vmcnt(2) lgkmcnt(0)
	v_mul_f64 v[68:69], v[62:63], v[64:65]
	v_mul_f64 v[64:65], v[60:61], v[64:65]
	s_waitcnt vmcnt(0)
	v_fma_f64 v[60:61], v[60:61], v[66:67], -v[68:69]
	v_fma_f64 v[62:63], v[62:63], v[66:67], v[64:65]
	v_add_f64 v[1:2], v[1:2], v[60:61]
	v_add_f64 v[3:4], v[3:4], v[62:63]
	s_andn2_b32 exec_lo, exec_lo, s8
	s_cbranch_execnz .LBB87_324
; %bb.325:
	s_or_b32 exec_lo, exec_lo, s8
.LBB87_326:
	s_or_b32 exec_lo, exec_lo, s6
	v_mov_b32_e32 v56, 0
	ds_read_b128 v[60:63], v56 offset:288
	s_waitcnt lgkmcnt(0)
	v_mul_f64 v[56:57], v[3:4], v[62:63]
	v_mul_f64 v[62:63], v[1:2], v[62:63]
	v_fma_f64 v[1:2], v[1:2], v[60:61], -v[56:57]
	v_fma_f64 v[3:4], v[3:4], v[60:61], v[62:63]
	buffer_store_dword v2, off, s[0:3], 0 offset:292
	buffer_store_dword v1, off, s[0:3], 0 offset:288
	;; [unrolled: 1-line block ×4, first 2 shown]
.LBB87_327:
	s_or_b32 exec_lo, exec_lo, s4
	v_mov_b32_e32 v4, s12
	s_mov_b32 s4, exec_lo
	s_clause 0x3
	buffer_load_dword v1, v4, s[0:3], 0 offen
	buffer_load_dword v2, v4, s[0:3], 0 offen offset:4
	buffer_load_dword v3, v4, s[0:3], 0 offen offset:8
	buffer_load_dword v4, v4, s[0:3], 0 offen offset:12
	s_waitcnt vmcnt(0)
	ds_write_b128 v54, v[1:4]
	s_waitcnt lgkmcnt(0)
	s_waitcnt_vscnt null, 0x0
	s_barrier
	buffer_gl0_inv
	v_cmpx_gt_u32_e32 19, v0
	s_cbranch_execz .LBB87_335
; %bb.328:
	ds_read_b128 v[1:4], v54
	v_cmp_ne_u32_e32 vcc_lo, 1, v55
	s_cbranch_vccnz .LBB87_330
; %bb.329:
	s_clause 0x3
	buffer_load_dword v56, v53, s[0:3], 0 offen offset:8
	buffer_load_dword v57, v53, s[0:3], 0 offen offset:12
	buffer_load_dword v60, v53, s[0:3], 0 offen
	buffer_load_dword v61, v53, s[0:3], 0 offen offset:4
	s_waitcnt vmcnt(2) lgkmcnt(0)
	v_mul_f64 v[62:63], v[3:4], v[56:57]
	v_mul_f64 v[56:57], v[1:2], v[56:57]
	s_waitcnt vmcnt(0)
	v_fma_f64 v[1:2], v[1:2], v[60:61], -v[62:63]
	v_fma_f64 v[3:4], v[3:4], v[60:61], v[56:57]
.LBB87_330:
	s_mov_b32 s6, exec_lo
	v_cmpx_ne_u32_e32 18, v0
	s_cbranch_execz .LBB87_334
; %bb.331:
	v_add_nc_u32_e32 v56, 0x190, v59
	v_add3_u32 v57, 0, v59, 16
	v_mov_b32_e32 v58, v0
	s_mov_b32 s8, 0
	.p2align	6
.LBB87_332:                             ; =>This Inner Loop Header: Depth=1
	s_clause 0x3
	buffer_load_dword v64, v57, s[0:3], 0 offen offset:8
	buffer_load_dword v65, v57, s[0:3], 0 offen offset:12
	buffer_load_dword v66, v57, s[0:3], 0 offen
	buffer_load_dword v67, v57, s[0:3], 0 offen offset:4
	ds_read_b128 v[60:63], v56
	v_add_nc_u32_e32 v58, 1, v58
	v_add_nc_u32_e32 v56, 16, v56
	v_add_nc_u32_e32 v57, 16, v57
	v_cmp_lt_u32_e32 vcc_lo, 17, v58
	s_or_b32 s8, vcc_lo, s8
	s_waitcnt vmcnt(2) lgkmcnt(0)
	v_mul_f64 v[68:69], v[62:63], v[64:65]
	v_mul_f64 v[64:65], v[60:61], v[64:65]
	s_waitcnt vmcnt(0)
	v_fma_f64 v[60:61], v[60:61], v[66:67], -v[68:69]
	v_fma_f64 v[62:63], v[62:63], v[66:67], v[64:65]
	v_add_f64 v[1:2], v[1:2], v[60:61]
	v_add_f64 v[3:4], v[3:4], v[62:63]
	s_andn2_b32 exec_lo, exec_lo, s8
	s_cbranch_execnz .LBB87_332
; %bb.333:
	s_or_b32 exec_lo, exec_lo, s8
.LBB87_334:
	s_or_b32 exec_lo, exec_lo, s6
	v_mov_b32_e32 v56, 0
	ds_read_b128 v[60:63], v56 offset:304
	s_waitcnt lgkmcnt(0)
	v_mul_f64 v[56:57], v[3:4], v[62:63]
	v_mul_f64 v[62:63], v[1:2], v[62:63]
	v_fma_f64 v[1:2], v[1:2], v[60:61], -v[56:57]
	v_fma_f64 v[3:4], v[3:4], v[60:61], v[62:63]
	buffer_store_dword v2, off, s[0:3], 0 offset:308
	buffer_store_dword v1, off, s[0:3], 0 offset:304
	;; [unrolled: 1-line block ×4, first 2 shown]
.LBB87_335:
	s_or_b32 exec_lo, exec_lo, s4
	v_mov_b32_e32 v4, s11
	s_mov_b32 s4, exec_lo
	s_clause 0x3
	buffer_load_dword v1, v4, s[0:3], 0 offen
	buffer_load_dword v2, v4, s[0:3], 0 offen offset:4
	buffer_load_dword v3, v4, s[0:3], 0 offen offset:8
	;; [unrolled: 1-line block ×3, first 2 shown]
	s_waitcnt vmcnt(0)
	ds_write_b128 v54, v[1:4]
	s_waitcnt lgkmcnt(0)
	s_waitcnt_vscnt null, 0x0
	s_barrier
	buffer_gl0_inv
	v_cmpx_gt_u32_e32 20, v0
	s_cbranch_execz .LBB87_343
; %bb.336:
	ds_read_b128 v[1:4], v54
	v_cmp_ne_u32_e32 vcc_lo, 1, v55
	s_cbranch_vccnz .LBB87_338
; %bb.337:
	s_clause 0x3
	buffer_load_dword v56, v53, s[0:3], 0 offen offset:8
	buffer_load_dword v57, v53, s[0:3], 0 offen offset:12
	buffer_load_dword v60, v53, s[0:3], 0 offen
	buffer_load_dword v61, v53, s[0:3], 0 offen offset:4
	s_waitcnt vmcnt(2) lgkmcnt(0)
	v_mul_f64 v[62:63], v[3:4], v[56:57]
	v_mul_f64 v[56:57], v[1:2], v[56:57]
	s_waitcnt vmcnt(0)
	v_fma_f64 v[1:2], v[1:2], v[60:61], -v[62:63]
	v_fma_f64 v[3:4], v[3:4], v[60:61], v[56:57]
.LBB87_338:
	s_mov_b32 s6, exec_lo
	v_cmpx_ne_u32_e32 19, v0
	s_cbranch_execz .LBB87_342
; %bb.339:
	v_add_nc_u32_e32 v56, 0x190, v59
	v_add3_u32 v57, 0, v59, 16
	v_mov_b32_e32 v58, v0
	s_mov_b32 s8, 0
	.p2align	6
.LBB87_340:                             ; =>This Inner Loop Header: Depth=1
	s_clause 0x3
	buffer_load_dword v64, v57, s[0:3], 0 offen offset:8
	buffer_load_dword v65, v57, s[0:3], 0 offen offset:12
	buffer_load_dword v66, v57, s[0:3], 0 offen
	buffer_load_dword v67, v57, s[0:3], 0 offen offset:4
	ds_read_b128 v[60:63], v56
	v_add_nc_u32_e32 v58, 1, v58
	v_add_nc_u32_e32 v56, 16, v56
	;; [unrolled: 1-line block ×3, first 2 shown]
	v_cmp_lt_u32_e32 vcc_lo, 18, v58
	s_or_b32 s8, vcc_lo, s8
	s_waitcnt vmcnt(2) lgkmcnt(0)
	v_mul_f64 v[68:69], v[62:63], v[64:65]
	v_mul_f64 v[64:65], v[60:61], v[64:65]
	s_waitcnt vmcnt(0)
	v_fma_f64 v[60:61], v[60:61], v[66:67], -v[68:69]
	v_fma_f64 v[62:63], v[62:63], v[66:67], v[64:65]
	v_add_f64 v[1:2], v[1:2], v[60:61]
	v_add_f64 v[3:4], v[3:4], v[62:63]
	s_andn2_b32 exec_lo, exec_lo, s8
	s_cbranch_execnz .LBB87_340
; %bb.341:
	s_or_b32 exec_lo, exec_lo, s8
.LBB87_342:
	s_or_b32 exec_lo, exec_lo, s6
	v_mov_b32_e32 v56, 0
	ds_read_b128 v[60:63], v56 offset:320
	s_waitcnt lgkmcnt(0)
	v_mul_f64 v[56:57], v[3:4], v[62:63]
	v_mul_f64 v[62:63], v[1:2], v[62:63]
	v_fma_f64 v[1:2], v[1:2], v[60:61], -v[56:57]
	v_fma_f64 v[3:4], v[3:4], v[60:61], v[62:63]
	buffer_store_dword v2, off, s[0:3], 0 offset:324
	buffer_store_dword v1, off, s[0:3], 0 offset:320
	;; [unrolled: 1-line block ×4, first 2 shown]
.LBB87_343:
	s_or_b32 exec_lo, exec_lo, s4
	v_mov_b32_e32 v4, s10
	s_mov_b32 s4, exec_lo
	s_clause 0x3
	buffer_load_dword v1, v4, s[0:3], 0 offen
	buffer_load_dword v2, v4, s[0:3], 0 offen offset:4
	buffer_load_dword v3, v4, s[0:3], 0 offen offset:8
	;; [unrolled: 1-line block ×3, first 2 shown]
	s_waitcnt vmcnt(0)
	ds_write_b128 v54, v[1:4]
	s_waitcnt lgkmcnt(0)
	s_waitcnt_vscnt null, 0x0
	s_barrier
	buffer_gl0_inv
	v_cmpx_gt_u32_e32 21, v0
	s_cbranch_execz .LBB87_351
; %bb.344:
	ds_read_b128 v[1:4], v54
	v_cmp_ne_u32_e32 vcc_lo, 1, v55
	s_cbranch_vccnz .LBB87_346
; %bb.345:
	s_clause 0x3
	buffer_load_dword v56, v53, s[0:3], 0 offen offset:8
	buffer_load_dword v57, v53, s[0:3], 0 offen offset:12
	buffer_load_dword v60, v53, s[0:3], 0 offen
	buffer_load_dword v61, v53, s[0:3], 0 offen offset:4
	s_waitcnt vmcnt(2) lgkmcnt(0)
	v_mul_f64 v[62:63], v[3:4], v[56:57]
	v_mul_f64 v[56:57], v[1:2], v[56:57]
	s_waitcnt vmcnt(0)
	v_fma_f64 v[1:2], v[1:2], v[60:61], -v[62:63]
	v_fma_f64 v[3:4], v[3:4], v[60:61], v[56:57]
.LBB87_346:
	s_mov_b32 s6, exec_lo
	v_cmpx_ne_u32_e32 20, v0
	s_cbranch_execz .LBB87_350
; %bb.347:
	v_add_nc_u32_e32 v56, 0x190, v59
	v_add3_u32 v57, 0, v59, 16
	v_mov_b32_e32 v58, v0
	s_mov_b32 s8, 0
	.p2align	6
.LBB87_348:                             ; =>This Inner Loop Header: Depth=1
	s_clause 0x3
	buffer_load_dword v64, v57, s[0:3], 0 offen offset:8
	buffer_load_dword v65, v57, s[0:3], 0 offen offset:12
	buffer_load_dword v66, v57, s[0:3], 0 offen
	buffer_load_dword v67, v57, s[0:3], 0 offen offset:4
	ds_read_b128 v[60:63], v56
	v_add_nc_u32_e32 v58, 1, v58
	v_add_nc_u32_e32 v56, 16, v56
	;; [unrolled: 1-line block ×3, first 2 shown]
	v_cmp_lt_u32_e32 vcc_lo, 19, v58
	s_or_b32 s8, vcc_lo, s8
	s_waitcnt vmcnt(2) lgkmcnt(0)
	v_mul_f64 v[68:69], v[62:63], v[64:65]
	v_mul_f64 v[64:65], v[60:61], v[64:65]
	s_waitcnt vmcnt(0)
	v_fma_f64 v[60:61], v[60:61], v[66:67], -v[68:69]
	v_fma_f64 v[62:63], v[62:63], v[66:67], v[64:65]
	v_add_f64 v[1:2], v[1:2], v[60:61]
	v_add_f64 v[3:4], v[3:4], v[62:63]
	s_andn2_b32 exec_lo, exec_lo, s8
	s_cbranch_execnz .LBB87_348
; %bb.349:
	s_or_b32 exec_lo, exec_lo, s8
.LBB87_350:
	s_or_b32 exec_lo, exec_lo, s6
	v_mov_b32_e32 v56, 0
	ds_read_b128 v[60:63], v56 offset:336
	s_waitcnt lgkmcnt(0)
	v_mul_f64 v[56:57], v[3:4], v[62:63]
	v_mul_f64 v[62:63], v[1:2], v[62:63]
	v_fma_f64 v[1:2], v[1:2], v[60:61], -v[56:57]
	v_fma_f64 v[3:4], v[3:4], v[60:61], v[62:63]
	buffer_store_dword v2, off, s[0:3], 0 offset:340
	buffer_store_dword v1, off, s[0:3], 0 offset:336
	;; [unrolled: 1-line block ×4, first 2 shown]
.LBB87_351:
	s_or_b32 exec_lo, exec_lo, s4
	v_mov_b32_e32 v4, s9
	v_cmp_gt_u32_e64 s4, 22, v0
	s_clause 0x3
	buffer_load_dword v1, v4, s[0:3], 0 offen
	buffer_load_dword v2, v4, s[0:3], 0 offen offset:4
	buffer_load_dword v3, v4, s[0:3], 0 offen offset:8
	;; [unrolled: 1-line block ×3, first 2 shown]
	s_waitcnt vmcnt(0)
	ds_write_b128 v54, v[1:4]
	s_waitcnt lgkmcnt(0)
	s_waitcnt_vscnt null, 0x0
	s_barrier
	buffer_gl0_inv
	s_and_saveexec_b32 s6, s4
	s_cbranch_execz .LBB87_359
; %bb.352:
	ds_read_b128 v[1:4], v54
	v_cmp_ne_u32_e32 vcc_lo, 1, v55
	s_cbranch_vccnz .LBB87_354
; %bb.353:
	s_clause 0x3
	buffer_load_dword v56, v53, s[0:3], 0 offen offset:8
	buffer_load_dword v57, v53, s[0:3], 0 offen offset:12
	buffer_load_dword v60, v53, s[0:3], 0 offen
	buffer_load_dword v61, v53, s[0:3], 0 offen offset:4
	s_waitcnt vmcnt(2) lgkmcnt(0)
	v_mul_f64 v[62:63], v[3:4], v[56:57]
	v_mul_f64 v[56:57], v[1:2], v[56:57]
	s_waitcnt vmcnt(0)
	v_fma_f64 v[1:2], v[1:2], v[60:61], -v[62:63]
	v_fma_f64 v[3:4], v[3:4], v[60:61], v[56:57]
.LBB87_354:
	s_mov_b32 s8, exec_lo
	v_cmpx_ne_u32_e32 21, v0
	s_cbranch_execz .LBB87_358
; %bb.355:
	v_add_nc_u32_e32 v56, 0x190, v59
	v_add3_u32 v57, 0, v59, 16
	v_mov_b32_e32 v58, v0
	s_mov_b32 s31, 0
	.p2align	6
.LBB87_356:                             ; =>This Inner Loop Header: Depth=1
	s_clause 0x3
	buffer_load_dword v64, v57, s[0:3], 0 offen offset:8
	buffer_load_dword v65, v57, s[0:3], 0 offen offset:12
	buffer_load_dword v66, v57, s[0:3], 0 offen
	buffer_load_dword v67, v57, s[0:3], 0 offen offset:4
	ds_read_b128 v[60:63], v56
	v_add_nc_u32_e32 v58, 1, v58
	v_add_nc_u32_e32 v56, 16, v56
	;; [unrolled: 1-line block ×3, first 2 shown]
	v_cmp_lt_u32_e32 vcc_lo, 20, v58
	s_or_b32 s31, vcc_lo, s31
	s_waitcnt vmcnt(2) lgkmcnt(0)
	v_mul_f64 v[68:69], v[62:63], v[64:65]
	v_mul_f64 v[64:65], v[60:61], v[64:65]
	s_waitcnt vmcnt(0)
	v_fma_f64 v[60:61], v[60:61], v[66:67], -v[68:69]
	v_fma_f64 v[62:63], v[62:63], v[66:67], v[64:65]
	v_add_f64 v[1:2], v[1:2], v[60:61]
	v_add_f64 v[3:4], v[3:4], v[62:63]
	s_andn2_b32 exec_lo, exec_lo, s31
	s_cbranch_execnz .LBB87_356
; %bb.357:
	s_or_b32 exec_lo, exec_lo, s31
.LBB87_358:
	s_or_b32 exec_lo, exec_lo, s8
	v_mov_b32_e32 v56, 0
	ds_read_b128 v[60:63], v56 offset:352
	s_waitcnt lgkmcnt(0)
	v_mul_f64 v[56:57], v[3:4], v[62:63]
	v_mul_f64 v[62:63], v[1:2], v[62:63]
	v_fma_f64 v[1:2], v[1:2], v[60:61], -v[56:57]
	v_fma_f64 v[3:4], v[3:4], v[60:61], v[62:63]
	buffer_store_dword v2, off, s[0:3], 0 offset:356
	buffer_store_dword v1, off, s[0:3], 0 offset:352
	;; [unrolled: 1-line block ×4, first 2 shown]
.LBB87_359:
	s_or_b32 exec_lo, exec_lo, s6
	v_mov_b32_e32 v4, s7
	s_mov_b32 s6, exec_lo
                                        ; implicit-def: $sgpr33
	s_clause 0x3
	buffer_load_dword v1, v4, s[0:3], 0 offen
	buffer_load_dword v2, v4, s[0:3], 0 offen offset:4
	buffer_load_dword v3, v4, s[0:3], 0 offen offset:8
	;; [unrolled: 1-line block ×3, first 2 shown]
	s_waitcnt vmcnt(0)
	ds_write_b128 v54, v[1:4]
	s_waitcnt lgkmcnt(0)
	s_waitcnt_vscnt null, 0x0
	s_barrier
	buffer_gl0_inv
                                        ; implicit-def: $vgpr1_vgpr2
	v_cmpx_ne_u32_e32 23, v0
	s_cbranch_execz .LBB87_367
; %bb.360:
	ds_read_b128 v[1:4], v54
	v_cmp_ne_u32_e32 vcc_lo, 1, v55
	s_cbranch_vccnz .LBB87_362
; %bb.361:
	s_clause 0x3
	buffer_load_dword v54, v53, s[0:3], 0 offen offset:8
	buffer_load_dword v55, v53, s[0:3], 0 offen offset:12
	buffer_load_dword v56, v53, s[0:3], 0 offen
	buffer_load_dword v57, v53, s[0:3], 0 offen offset:4
	s_waitcnt vmcnt(2) lgkmcnt(0)
	v_mul_f64 v[60:61], v[3:4], v[54:55]
	v_mul_f64 v[53:54], v[1:2], v[54:55]
	s_waitcnt vmcnt(0)
	v_fma_f64 v[1:2], v[1:2], v[56:57], -v[60:61]
	v_fma_f64 v[3:4], v[3:4], v[56:57], v[53:54]
.LBB87_362:
	s_and_saveexec_b32 s8, s4
	s_cbranch_execz .LBB87_366
; %bb.363:
	v_add_nc_u32_e32 v53, 0x190, v59
	v_add3_u32 v54, 0, v59, 16
	s_mov_b32 s4, 0
	.p2align	6
.LBB87_364:                             ; =>This Inner Loop Header: Depth=1
	s_clause 0x3
	buffer_load_dword v59, v54, s[0:3], 0 offen offset:8
	buffer_load_dword v60, v54, s[0:3], 0 offen offset:12
	buffer_load_dword v61, v54, s[0:3], 0 offen
	buffer_load_dword v62, v54, s[0:3], 0 offen offset:4
	ds_read_b128 v[55:58], v53
	v_add_nc_u32_e32 v0, 1, v0
	v_add_nc_u32_e32 v53, 16, v53
	;; [unrolled: 1-line block ×3, first 2 shown]
	v_cmp_lt_u32_e32 vcc_lo, 21, v0
	s_or_b32 s4, vcc_lo, s4
	s_waitcnt vmcnt(2) lgkmcnt(0)
	v_mul_f64 v[63:64], v[57:58], v[59:60]
	v_mul_f64 v[59:60], v[55:56], v[59:60]
	s_waitcnt vmcnt(0)
	v_fma_f64 v[55:56], v[55:56], v[61:62], -v[63:64]
	v_fma_f64 v[57:58], v[57:58], v[61:62], v[59:60]
	v_add_f64 v[1:2], v[1:2], v[55:56]
	v_add_f64 v[3:4], v[3:4], v[57:58]
	s_andn2_b32 exec_lo, exec_lo, s4
	s_cbranch_execnz .LBB87_364
; %bb.365:
	s_or_b32 exec_lo, exec_lo, s4
.LBB87_366:
	s_or_b32 exec_lo, exec_lo, s8
	v_mov_b32_e32 v0, 0
	s_movk_i32 s33, 0x178
	s_or_b32 s5, s5, exec_lo
	ds_read_b128 v[53:56], v0 offset:368
	s_waitcnt lgkmcnt(0)
	v_mul_f64 v[57:58], v[3:4], v[55:56]
	v_mul_f64 v[55:56], v[1:2], v[55:56]
	v_fma_f64 v[57:58], v[1:2], v[53:54], -v[57:58]
	v_fma_f64 v[1:2], v[3:4], v[53:54], v[55:56]
	buffer_store_dword v58, off, s[0:3], 0 offset:372
	buffer_store_dword v57, off, s[0:3], 0 offset:368
.LBB87_367:
	s_or_b32 exec_lo, exec_lo, s6
.LBB87_368:
	s_and_saveexec_b32 s4, s5
	s_cbranch_execz .LBB87_370
; %bb.369:
	v_mov_b32_e32 v0, s33
	buffer_store_dword v2, v0, s[0:3], 0 offen offset:4
	buffer_store_dword v1, v0, s[0:3], 0 offen
.LBB87_370:
	s_or_b32 exec_lo, exec_lo, s4
	s_clause 0x3
	buffer_load_dword v0, off, s[0:3], 0
	buffer_load_dword v1, off, s[0:3], 0 offset:4
	buffer_load_dword v2, off, s[0:3], 0 offset:8
	;; [unrolled: 1-line block ×3, first 2 shown]
	v_mov_b32_e32 v4, s30
	s_waitcnt vmcnt(0)
	flat_store_dwordx4 v[5:6], v[0:3]
	s_clause 0x3
	buffer_load_dword v0, v4, s[0:3], 0 offen
	buffer_load_dword v1, v4, s[0:3], 0 offen offset:4
	buffer_load_dword v2, v4, s[0:3], 0 offen offset:8
	buffer_load_dword v3, v4, s[0:3], 0 offen offset:12
	v_mov_b32_e32 v4, s29
	s_waitcnt vmcnt(0)
	flat_store_dwordx4 v[7:8], v[0:3]
	s_clause 0x3
	buffer_load_dword v0, v4, s[0:3], 0 offen
	buffer_load_dword v1, v4, s[0:3], 0 offen offset:4
	buffer_load_dword v2, v4, s[0:3], 0 offen offset:8
	buffer_load_dword v3, v4, s[0:3], 0 offen offset:12
	;; [unrolled: 8-line block ×23, first 2 shown]
	s_waitcnt vmcnt(0)
	flat_store_dwordx4 v[51:52], v[0:3]
.LBB87_371:
	s_endpgm
	.section	.rodata,"a",@progbits
	.p2align	6, 0x0
	.amdhsa_kernel _ZN9rocsolver6v33100L18trti2_kernel_smallILi24E19rocblas_complex_numIdEPKPS3_EEv13rocblas_fill_17rocblas_diagonal_T1_iil
		.amdhsa_group_segment_fixed_size 768
		.amdhsa_private_segment_fixed_size 400
		.amdhsa_kernarg_size 32
		.amdhsa_user_sgpr_count 6
		.amdhsa_user_sgpr_private_segment_buffer 1
		.amdhsa_user_sgpr_dispatch_ptr 0
		.amdhsa_user_sgpr_queue_ptr 0
		.amdhsa_user_sgpr_kernarg_segment_ptr 1
		.amdhsa_user_sgpr_dispatch_id 0
		.amdhsa_user_sgpr_flat_scratch_init 0
		.amdhsa_user_sgpr_private_segment_size 0
		.amdhsa_wavefront_size32 1
		.amdhsa_uses_dynamic_stack 0
		.amdhsa_system_sgpr_private_segment_wavefront_offset 1
		.amdhsa_system_sgpr_workgroup_id_x 1
		.amdhsa_system_sgpr_workgroup_id_y 0
		.amdhsa_system_sgpr_workgroup_id_z 0
		.amdhsa_system_sgpr_workgroup_info 0
		.amdhsa_system_vgpr_workitem_id 0
		.amdhsa_next_free_vgpr 70
		.amdhsa_next_free_sgpr 41
		.amdhsa_reserve_vcc 1
		.amdhsa_reserve_flat_scratch 0
		.amdhsa_float_round_mode_32 0
		.amdhsa_float_round_mode_16_64 0
		.amdhsa_float_denorm_mode_32 3
		.amdhsa_float_denorm_mode_16_64 3
		.amdhsa_dx10_clamp 1
		.amdhsa_ieee_mode 1
		.amdhsa_fp16_overflow 0
		.amdhsa_workgroup_processor_mode 1
		.amdhsa_memory_ordered 1
		.amdhsa_forward_progress 1
		.amdhsa_shared_vgpr_count 0
		.amdhsa_exception_fp_ieee_invalid_op 0
		.amdhsa_exception_fp_denorm_src 0
		.amdhsa_exception_fp_ieee_div_zero 0
		.amdhsa_exception_fp_ieee_overflow 0
		.amdhsa_exception_fp_ieee_underflow 0
		.amdhsa_exception_fp_ieee_inexact 0
		.amdhsa_exception_int_div_zero 0
	.end_amdhsa_kernel
	.section	.text._ZN9rocsolver6v33100L18trti2_kernel_smallILi24E19rocblas_complex_numIdEPKPS3_EEv13rocblas_fill_17rocblas_diagonal_T1_iil,"axG",@progbits,_ZN9rocsolver6v33100L18trti2_kernel_smallILi24E19rocblas_complex_numIdEPKPS3_EEv13rocblas_fill_17rocblas_diagonal_T1_iil,comdat
.Lfunc_end87:
	.size	_ZN9rocsolver6v33100L18trti2_kernel_smallILi24E19rocblas_complex_numIdEPKPS3_EEv13rocblas_fill_17rocblas_diagonal_T1_iil, .Lfunc_end87-_ZN9rocsolver6v33100L18trti2_kernel_smallILi24E19rocblas_complex_numIdEPKPS3_EEv13rocblas_fill_17rocblas_diagonal_T1_iil
                                        ; -- End function
	.set _ZN9rocsolver6v33100L18trti2_kernel_smallILi24E19rocblas_complex_numIdEPKPS3_EEv13rocblas_fill_17rocblas_diagonal_T1_iil.num_vgpr, 70
	.set _ZN9rocsolver6v33100L18trti2_kernel_smallILi24E19rocblas_complex_numIdEPKPS3_EEv13rocblas_fill_17rocblas_diagonal_T1_iil.num_agpr, 0
	.set _ZN9rocsolver6v33100L18trti2_kernel_smallILi24E19rocblas_complex_numIdEPKPS3_EEv13rocblas_fill_17rocblas_diagonal_T1_iil.numbered_sgpr, 41
	.set _ZN9rocsolver6v33100L18trti2_kernel_smallILi24E19rocblas_complex_numIdEPKPS3_EEv13rocblas_fill_17rocblas_diagonal_T1_iil.num_named_barrier, 0
	.set _ZN9rocsolver6v33100L18trti2_kernel_smallILi24E19rocblas_complex_numIdEPKPS3_EEv13rocblas_fill_17rocblas_diagonal_T1_iil.private_seg_size, 400
	.set _ZN9rocsolver6v33100L18trti2_kernel_smallILi24E19rocblas_complex_numIdEPKPS3_EEv13rocblas_fill_17rocblas_diagonal_T1_iil.uses_vcc, 1
	.set _ZN9rocsolver6v33100L18trti2_kernel_smallILi24E19rocblas_complex_numIdEPKPS3_EEv13rocblas_fill_17rocblas_diagonal_T1_iil.uses_flat_scratch, 0
	.set _ZN9rocsolver6v33100L18trti2_kernel_smallILi24E19rocblas_complex_numIdEPKPS3_EEv13rocblas_fill_17rocblas_diagonal_T1_iil.has_dyn_sized_stack, 0
	.set _ZN9rocsolver6v33100L18trti2_kernel_smallILi24E19rocblas_complex_numIdEPKPS3_EEv13rocblas_fill_17rocblas_diagonal_T1_iil.has_recursion, 0
	.set _ZN9rocsolver6v33100L18trti2_kernel_smallILi24E19rocblas_complex_numIdEPKPS3_EEv13rocblas_fill_17rocblas_diagonal_T1_iil.has_indirect_call, 0
	.section	.AMDGPU.csdata,"",@progbits
; Kernel info:
; codeLenInByte = 24084
; TotalNumSgprs: 43
; NumVgprs: 70
; ScratchSize: 400
; MemoryBound: 0
; FloatMode: 240
; IeeeMode: 1
; LDSByteSize: 768 bytes/workgroup (compile time only)
; SGPRBlocks: 0
; VGPRBlocks: 8
; NumSGPRsForWavesPerEU: 43
; NumVGPRsForWavesPerEU: 70
; Occupancy: 12
; WaveLimiterHint : 1
; COMPUTE_PGM_RSRC2:SCRATCH_EN: 1
; COMPUTE_PGM_RSRC2:USER_SGPR: 6
; COMPUTE_PGM_RSRC2:TRAP_HANDLER: 0
; COMPUTE_PGM_RSRC2:TGID_X_EN: 1
; COMPUTE_PGM_RSRC2:TGID_Y_EN: 0
; COMPUTE_PGM_RSRC2:TGID_Z_EN: 0
; COMPUTE_PGM_RSRC2:TIDIG_COMP_CNT: 0
	.section	.text._ZN9rocsolver6v33100L18trti2_kernel_smallILi25E19rocblas_complex_numIdEPKPS3_EEv13rocblas_fill_17rocblas_diagonal_T1_iil,"axG",@progbits,_ZN9rocsolver6v33100L18trti2_kernel_smallILi25E19rocblas_complex_numIdEPKPS3_EEv13rocblas_fill_17rocblas_diagonal_T1_iil,comdat
	.globl	_ZN9rocsolver6v33100L18trti2_kernel_smallILi25E19rocblas_complex_numIdEPKPS3_EEv13rocblas_fill_17rocblas_diagonal_T1_iil ; -- Begin function _ZN9rocsolver6v33100L18trti2_kernel_smallILi25E19rocblas_complex_numIdEPKPS3_EEv13rocblas_fill_17rocblas_diagonal_T1_iil
	.p2align	8
	.type	_ZN9rocsolver6v33100L18trti2_kernel_smallILi25E19rocblas_complex_numIdEPKPS3_EEv13rocblas_fill_17rocblas_diagonal_T1_iil,@function
_ZN9rocsolver6v33100L18trti2_kernel_smallILi25E19rocblas_complex_numIdEPKPS3_EEv13rocblas_fill_17rocblas_diagonal_T1_iil: ; @_ZN9rocsolver6v33100L18trti2_kernel_smallILi25E19rocblas_complex_numIdEPKPS3_EEv13rocblas_fill_17rocblas_diagonal_T1_iil
; %bb.0:
	s_add_u32 s0, s0, s7
	s_addc_u32 s1, s1, 0
	s_mov_b32 s7, exec_lo
	v_cmpx_gt_u32_e32 25, v0
	s_cbranch_execz .LBB88_387
; %bb.1:
	s_clause 0x1
	s_load_dwordx2 s[12:13], s[4:5], 0x10
	s_load_dwordx4 s[8:11], s[4:5], 0x0
	s_ashr_i32 s7, s6, 31
	v_lshlrev_b32_e32 v61, 4, v0
	s_lshl_b64 s[4:5], s[6:7], 3
	s_movk_i32 s14, 0xd0
	s_movk_i32 s15, 0xe0
	;; [unrolled: 1-line block ×12, first 2 shown]
	s_waitcnt lgkmcnt(0)
	s_ashr_i32 s7, s12, 31
	s_add_u32 s4, s10, s4
	s_addc_u32 s5, s11, s5
	s_mov_b32 s6, s12
	s_load_dwordx2 s[4:5], s[4:5], 0x0
	s_lshl_b64 s[6:7], s[6:7], 4
	v_add3_u32 v11, s13, s13, v0
	s_movk_i32 s10, 0x90
	s_movk_i32 s11, 0xa0
	s_movk_i32 s12, 0xb0
	v_ashrrev_i32_e32 v12, 31, v11
	v_add_nc_u32_e32 v13, s13, v11
	v_lshlrev_b64 v[9:10], 4, v[11:12]
	v_ashrrev_i32_e32 v14, 31, v13
	v_add_nc_u32_e32 v15, s13, v13
	v_lshlrev_b64 v[11:12], 4, v[13:14]
	v_ashrrev_i32_e32 v16, 31, v15
	s_waitcnt lgkmcnt(0)
	s_add_u32 s4, s4, s6
	s_addc_u32 s5, s5, s7
	v_add_co_u32 v5, s6, s4, v61
	v_add_co_ci_u32_e64 v6, null, s5, 0, s6
	s_mov_b32 s6, s13
	s_ashr_i32 s7, s13, 31
	v_lshlrev_b64 v[13:14], 4, v[15:16]
	flat_load_dwordx4 v[1:4], v[5:6]
	s_lshl_b64 s[6:7], s[6:7], 4
	v_add_nc_u32_e32 v17, s13, v15
	v_add_co_u32 v7, vcc_lo, v5, s6
	v_add_co_ci_u32_e64 v8, null, s7, v6, vcc_lo
	v_add_co_u32 v9, vcc_lo, s4, v9
	v_add_co_ci_u32_e64 v10, null, s5, v10, vcc_lo
	;; [unrolled: 2-line block ×4, first 2 shown]
	v_ashrrev_i32_e32 v18, 31, v17
	v_add_nc_u32_e32 v19, s13, v17
	s_cmpk_lg_i32 s9, 0x84
	s_movk_i32 s6, 0x70
	s_movk_i32 s7, 0x80
	v_lshlrev_b64 v[15:16], 4, v[17:18]
	v_ashrrev_i32_e32 v20, 31, v19
	v_add_nc_u32_e32 v21, s13, v19
	s_cselect_b32 s31, -1, 0
	s_cmpk_eq_i32 s9, 0x84
	s_waitcnt vmcnt(0) lgkmcnt(0)
	buffer_store_dword v4, off, s[0:3], 0 offset:12
	buffer_store_dword v3, off, s[0:3], 0 offset:8
	;; [unrolled: 1-line block ×3, first 2 shown]
	buffer_store_dword v1, off, s[0:3], 0
	flat_load_dwordx4 v[1:4], v[7:8]
	v_add_co_u32 v15, vcc_lo, s4, v15
	v_add_co_ci_u32_e64 v16, null, s5, v16, vcc_lo
	v_lshlrev_b64 v[17:18], 4, v[19:20]
	v_ashrrev_i32_e32 v22, 31, v21
	v_add_nc_u32_e32 v23, s13, v21
	s_waitcnt vmcnt(0) lgkmcnt(0)
	buffer_store_dword v4, off, s[0:3], 0 offset:28
	buffer_store_dword v3, off, s[0:3], 0 offset:24
	buffer_store_dword v2, off, s[0:3], 0 offset:20
	buffer_store_dword v1, off, s[0:3], 0 offset:16
	flat_load_dwordx4 v[1:4], v[9:10]
	v_add_co_u32 v17, vcc_lo, s4, v17
	v_add_co_ci_u32_e64 v18, null, s5, v18, vcc_lo
	v_lshlrev_b64 v[19:20], 4, v[21:22]
	v_ashrrev_i32_e32 v24, 31, v23
	v_add_nc_u32_e32 v25, s13, v23
	s_waitcnt vmcnt(0) lgkmcnt(0)
	buffer_store_dword v4, off, s[0:3], 0 offset:44
	buffer_store_dword v3, off, s[0:3], 0 offset:40
	buffer_store_dword v2, off, s[0:3], 0 offset:36
	buffer_store_dword v1, off, s[0:3], 0 offset:32
	flat_load_dwordx4 v[1:4], v[11:12]
	v_add_co_u32 v19, vcc_lo, s4, v19
	v_add_co_ci_u32_e64 v20, null, s5, v20, vcc_lo
	v_lshlrev_b64 v[21:22], 4, v[23:24]
	v_ashrrev_i32_e32 v26, 31, v25
	v_add_nc_u32_e32 v27, s13, v25
	s_waitcnt vmcnt(0) lgkmcnt(0)
	buffer_store_dword v4, off, s[0:3], 0 offset:60
	buffer_store_dword v3, off, s[0:3], 0 offset:56
	buffer_store_dword v2, off, s[0:3], 0 offset:52
	buffer_store_dword v1, off, s[0:3], 0 offset:48
	flat_load_dwordx4 v[1:4], v[13:14]
	v_add_co_u32 v21, vcc_lo, s4, v21
	v_add_co_ci_u32_e64 v22, null, s5, v22, vcc_lo
	v_lshlrev_b64 v[23:24], 4, v[25:26]
	v_ashrrev_i32_e32 v28, 31, v27
	v_add_nc_u32_e32 v29, s13, v27
	s_waitcnt vmcnt(0) lgkmcnt(0)
	buffer_store_dword v4, off, s[0:3], 0 offset:76
	buffer_store_dword v3, off, s[0:3], 0 offset:72
	buffer_store_dword v2, off, s[0:3], 0 offset:68
	buffer_store_dword v1, off, s[0:3], 0 offset:64
	flat_load_dwordx4 v[1:4], v[15:16]
	v_add_co_u32 v23, vcc_lo, s4, v23
	v_add_co_ci_u32_e64 v24, null, s5, v24, vcc_lo
	v_lshlrev_b64 v[25:26], 4, v[27:28]
	v_ashrrev_i32_e32 v30, 31, v29
	v_add_nc_u32_e32 v31, s13, v29
	s_waitcnt vmcnt(0) lgkmcnt(0)
	buffer_store_dword v4, off, s[0:3], 0 offset:92
	buffer_store_dword v3, off, s[0:3], 0 offset:88
	buffer_store_dword v2, off, s[0:3], 0 offset:84
	buffer_store_dword v1, off, s[0:3], 0 offset:80
	flat_load_dwordx4 v[1:4], v[17:18]
	v_add_co_u32 v25, vcc_lo, s4, v25
	v_add_co_ci_u32_e64 v26, null, s5, v26, vcc_lo
	v_lshlrev_b64 v[27:28], 4, v[29:30]
	v_ashrrev_i32_e32 v32, 31, v31
	v_add_nc_u32_e32 v33, s13, v31
	s_waitcnt vmcnt(0) lgkmcnt(0)
	buffer_store_dword v4, off, s[0:3], 0 offset:108
	buffer_store_dword v3, off, s[0:3], 0 offset:104
	buffer_store_dword v2, off, s[0:3], 0 offset:100
	buffer_store_dword v1, off, s[0:3], 0 offset:96
	flat_load_dwordx4 v[1:4], v[19:20]
	v_add_co_u32 v27, vcc_lo, s4, v27
	v_add_co_ci_u32_e64 v28, null, s5, v28, vcc_lo
	v_lshlrev_b64 v[29:30], 4, v[31:32]
	v_ashrrev_i32_e32 v34, 31, v33
	v_add_nc_u32_e32 v35, s13, v33
	s_waitcnt vmcnt(0) lgkmcnt(0)
	buffer_store_dword v4, off, s[0:3], 0 offset:124
	buffer_store_dword v3, off, s[0:3], 0 offset:120
	buffer_store_dword v2, off, s[0:3], 0 offset:116
	buffer_store_dword v1, off, s[0:3], 0 offset:112
	flat_load_dwordx4 v[1:4], v[21:22]
	v_add_co_u32 v29, vcc_lo, s4, v29
	v_add_co_ci_u32_e64 v30, null, s5, v30, vcc_lo
	v_lshlrev_b64 v[31:32], 4, v[33:34]
	v_ashrrev_i32_e32 v36, 31, v35
	v_add_nc_u32_e32 v37, s13, v35
	s_waitcnt vmcnt(0) lgkmcnt(0)
	buffer_store_dword v4, off, s[0:3], 0 offset:140
	buffer_store_dword v3, off, s[0:3], 0 offset:136
	buffer_store_dword v2, off, s[0:3], 0 offset:132
	buffer_store_dword v1, off, s[0:3], 0 offset:128
	flat_load_dwordx4 v[1:4], v[23:24]
	v_add_co_u32 v31, vcc_lo, s4, v31
	v_add_co_ci_u32_e64 v32, null, s5, v32, vcc_lo
	v_lshlrev_b64 v[33:34], 4, v[35:36]
	v_ashrrev_i32_e32 v38, 31, v37
	v_add_nc_u32_e32 v39, s13, v37
	s_waitcnt vmcnt(0) lgkmcnt(0)
	buffer_store_dword v4, off, s[0:3], 0 offset:156
	buffer_store_dword v3, off, s[0:3], 0 offset:152
	buffer_store_dword v2, off, s[0:3], 0 offset:148
	buffer_store_dword v1, off, s[0:3], 0 offset:144
	flat_load_dwordx4 v[1:4], v[25:26]
	v_add_co_u32 v33, vcc_lo, s4, v33
	v_add_co_ci_u32_e64 v34, null, s5, v34, vcc_lo
	v_lshlrev_b64 v[35:36], 4, v[37:38]
	v_ashrrev_i32_e32 v40, 31, v39
	v_add_nc_u32_e32 v41, s13, v39
	s_waitcnt vmcnt(0) lgkmcnt(0)
	buffer_store_dword v4, off, s[0:3], 0 offset:172
	buffer_store_dword v3, off, s[0:3], 0 offset:168
	buffer_store_dword v2, off, s[0:3], 0 offset:164
	buffer_store_dword v1, off, s[0:3], 0 offset:160
	flat_load_dwordx4 v[1:4], v[27:28]
	v_add_co_u32 v35, vcc_lo, s4, v35
	v_add_co_ci_u32_e64 v36, null, s5, v36, vcc_lo
	v_lshlrev_b64 v[37:38], 4, v[39:40]
	v_ashrrev_i32_e32 v42, 31, v41
	v_add_nc_u32_e32 v43, s13, v41
	s_waitcnt vmcnt(0) lgkmcnt(0)
	buffer_store_dword v4, off, s[0:3], 0 offset:188
	buffer_store_dword v3, off, s[0:3], 0 offset:184
	buffer_store_dword v2, off, s[0:3], 0 offset:180
	buffer_store_dword v1, off, s[0:3], 0 offset:176
	flat_load_dwordx4 v[1:4], v[29:30]
	v_add_co_u32 v37, vcc_lo, s4, v37
	v_add_co_ci_u32_e64 v38, null, s5, v38, vcc_lo
	v_lshlrev_b64 v[39:40], 4, v[41:42]
	v_ashrrev_i32_e32 v44, 31, v43
	v_add_nc_u32_e32 v45, s13, v43
	s_waitcnt vmcnt(0) lgkmcnt(0)
	buffer_store_dword v4, off, s[0:3], 0 offset:204
	buffer_store_dword v3, off, s[0:3], 0 offset:200
	buffer_store_dword v2, off, s[0:3], 0 offset:196
	buffer_store_dword v1, off, s[0:3], 0 offset:192
	flat_load_dwordx4 v[1:4], v[31:32]
	v_add_co_u32 v39, vcc_lo, s4, v39
	v_add_co_ci_u32_e64 v40, null, s5, v40, vcc_lo
	v_lshlrev_b64 v[41:42], 4, v[43:44]
	v_ashrrev_i32_e32 v46, 31, v45
	v_add_nc_u32_e32 v47, s13, v45
	s_waitcnt vmcnt(0) lgkmcnt(0)
	buffer_store_dword v4, off, s[0:3], 0 offset:220
	buffer_store_dword v3, off, s[0:3], 0 offset:216
	buffer_store_dword v2, off, s[0:3], 0 offset:212
	buffer_store_dword v1, off, s[0:3], 0 offset:208
	flat_load_dwordx4 v[1:4], v[33:34]
	v_add_co_u32 v41, vcc_lo, s4, v41
	v_add_co_ci_u32_e64 v42, null, s5, v42, vcc_lo
	v_lshlrev_b64 v[43:44], 4, v[45:46]
	v_ashrrev_i32_e32 v48, 31, v47
	v_add_nc_u32_e32 v49, s13, v47
	s_waitcnt vmcnt(0) lgkmcnt(0)
	buffer_store_dword v4, off, s[0:3], 0 offset:236
	buffer_store_dword v3, off, s[0:3], 0 offset:232
	buffer_store_dword v2, off, s[0:3], 0 offset:228
	buffer_store_dword v1, off, s[0:3], 0 offset:224
	flat_load_dwordx4 v[1:4], v[35:36]
	v_add_co_u32 v43, vcc_lo, s4, v43
	v_add_co_ci_u32_e64 v44, null, s5, v44, vcc_lo
	v_lshlrev_b64 v[45:46], 4, v[47:48]
	v_ashrrev_i32_e32 v50, 31, v49
	v_add_nc_u32_e32 v51, s13, v49
	s_waitcnt vmcnt(0) lgkmcnt(0)
	buffer_store_dword v4, off, s[0:3], 0 offset:252
	buffer_store_dword v3, off, s[0:3], 0 offset:248
	buffer_store_dword v2, off, s[0:3], 0 offset:244
	buffer_store_dword v1, off, s[0:3], 0 offset:240
	flat_load_dwordx4 v[1:4], v[37:38]
	v_add_co_u32 v45, vcc_lo, s4, v45
	v_add_co_ci_u32_e64 v46, null, s5, v46, vcc_lo
	v_lshlrev_b64 v[47:48], 4, v[49:50]
	v_ashrrev_i32_e32 v52, 31, v51
	v_add_nc_u32_e32 v53, s13, v51
	s_waitcnt vmcnt(0) lgkmcnt(0)
	buffer_store_dword v4, off, s[0:3], 0 offset:268
	buffer_store_dword v3, off, s[0:3], 0 offset:264
	buffer_store_dword v2, off, s[0:3], 0 offset:260
	buffer_store_dword v1, off, s[0:3], 0 offset:256
	flat_load_dwordx4 v[1:4], v[39:40]
	v_add_co_u32 v47, vcc_lo, s4, v47
	v_add_co_ci_u32_e64 v48, null, s5, v48, vcc_lo
	v_lshlrev_b64 v[49:50], 4, v[51:52]
	v_ashrrev_i32_e32 v54, 31, v53
	s_waitcnt vmcnt(0) lgkmcnt(0)
	buffer_store_dword v4, off, s[0:3], 0 offset:284
	buffer_store_dword v3, off, s[0:3], 0 offset:280
	;; [unrolled: 1-line block ×4, first 2 shown]
	flat_load_dwordx4 v[1:4], v[41:42]
	v_add_co_u32 v49, vcc_lo, s4, v49
	v_add_co_ci_u32_e64 v50, null, s5, v50, vcc_lo
	v_lshlrev_b64 v[51:52], 4, v[53:54]
	v_add_nc_u32_e32 v53, s13, v53
	s_movk_i32 s13, 0xc0
	s_waitcnt vmcnt(0) lgkmcnt(0)
	buffer_store_dword v4, off, s[0:3], 0 offset:300
	buffer_store_dword v3, off, s[0:3], 0 offset:296
	;; [unrolled: 1-line block ×4, first 2 shown]
	flat_load_dwordx4 v[1:4], v[43:44]
	v_add_co_u32 v51, vcc_lo, s4, v51
	v_add_co_ci_u32_e64 v52, null, s5, v52, vcc_lo
	v_ashrrev_i32_e32 v54, 31, v53
	s_waitcnt vmcnt(0) lgkmcnt(0)
	buffer_store_dword v4, off, s[0:3], 0 offset:316
	buffer_store_dword v3, off, s[0:3], 0 offset:312
	;; [unrolled: 1-line block ×4, first 2 shown]
	flat_load_dwordx4 v[1:4], v[45:46]
	v_lshlrev_b64 v[53:54], 4, v[53:54]
	s_waitcnt vmcnt(0) lgkmcnt(0)
	buffer_store_dword v4, off, s[0:3], 0 offset:332
	buffer_store_dword v3, off, s[0:3], 0 offset:328
	;; [unrolled: 1-line block ×4, first 2 shown]
	flat_load_dwordx4 v[1:4], v[47:48]
	v_add_co_u32 v53, vcc_lo, s4, v53
	v_add_co_ci_u32_e64 v54, null, s5, v54, vcc_lo
	s_movk_i32 s4, 0x50
	s_movk_i32 s5, 0x60
	s_waitcnt vmcnt(0) lgkmcnt(0)
	buffer_store_dword v4, off, s[0:3], 0 offset:348
	buffer_store_dword v3, off, s[0:3], 0 offset:344
	buffer_store_dword v2, off, s[0:3], 0 offset:340
	buffer_store_dword v1, off, s[0:3], 0 offset:336
	flat_load_dwordx4 v[1:4], v[49:50]
	s_waitcnt vmcnt(0) lgkmcnt(0)
	buffer_store_dword v4, off, s[0:3], 0 offset:364
	buffer_store_dword v3, off, s[0:3], 0 offset:360
	buffer_store_dword v2, off, s[0:3], 0 offset:356
	buffer_store_dword v1, off, s[0:3], 0 offset:352
	flat_load_dwordx4 v[1:4], v[51:52]
	;; [unrolled: 6-line block ×3, first 2 shown]
	s_waitcnt vmcnt(0) lgkmcnt(0)
	buffer_store_dword v4, off, s[0:3], 0 offset:396
	buffer_store_dword v3, off, s[0:3], 0 offset:392
	;; [unrolled: 1-line block ×4, first 2 shown]
	s_cbranch_scc1 .LBB88_7
; %bb.2:
	v_lshl_add_u32 v62, v0, 4, 0
                                        ; implicit-def: $vgpr57_vgpr58
                                        ; implicit-def: $vgpr3_vgpr4
	s_clause 0x3
	buffer_load_dword v55, v62, s[0:3], 0 offen
	buffer_load_dword v56, v62, s[0:3], 0 offen offset:4
	buffer_load_dword v59, v62, s[0:3], 0 offen offset:8
	;; [unrolled: 1-line block ×3, first 2 shown]
	s_waitcnt vmcnt(0)
	v_cmp_ngt_f64_e64 s9, |v[55:56]|, |v[59:60]|
	s_and_saveexec_b32 s17, s9
	s_xor_b32 s9, exec_lo, s17
	s_cbranch_execz .LBB88_4
; %bb.3:
	v_div_scale_f64 v[1:2], null, v[59:60], v[59:60], v[55:56]
	v_div_scale_f64 v[63:64], vcc_lo, v[55:56], v[59:60], v[55:56]
	v_rcp_f64_e32 v[3:4], v[1:2]
	v_fma_f64 v[57:58], -v[1:2], v[3:4], 1.0
	v_fma_f64 v[3:4], v[3:4], v[57:58], v[3:4]
	v_fma_f64 v[57:58], -v[1:2], v[3:4], 1.0
	v_fma_f64 v[3:4], v[3:4], v[57:58], v[3:4]
	v_mul_f64 v[57:58], v[63:64], v[3:4]
	v_fma_f64 v[1:2], -v[1:2], v[57:58], v[63:64]
	v_div_fmas_f64 v[1:2], v[1:2], v[3:4], v[57:58]
	v_div_fixup_f64 v[1:2], v[1:2], v[59:60], v[55:56]
	v_fma_f64 v[3:4], v[55:56], v[1:2], v[59:60]
	v_div_scale_f64 v[55:56], null, v[3:4], v[3:4], 1.0
	v_div_scale_f64 v[63:64], vcc_lo, 1.0, v[3:4], 1.0
	v_rcp_f64_e32 v[57:58], v[55:56]
	v_fma_f64 v[59:60], -v[55:56], v[57:58], 1.0
	v_fma_f64 v[57:58], v[57:58], v[59:60], v[57:58]
	v_fma_f64 v[59:60], -v[55:56], v[57:58], 1.0
	v_fma_f64 v[57:58], v[57:58], v[59:60], v[57:58]
	v_mul_f64 v[59:60], v[63:64], v[57:58]
	v_fma_f64 v[55:56], -v[55:56], v[59:60], v[63:64]
	v_div_fmas_f64 v[55:56], v[55:56], v[57:58], v[59:60]
                                        ; implicit-def: $vgpr59_vgpr60
	v_div_fixup_f64 v[3:4], v[55:56], v[3:4], 1.0
                                        ; implicit-def: $vgpr55_vgpr56
	v_mul_f64 v[57:58], v[1:2], v[3:4]
	v_xor_b32_e32 v4, 0x80000000, v4
	v_xor_b32_e32 v2, 0x80000000, v58
	v_mov_b32_e32 v1, v57
.LBB88_4:
	s_andn2_saveexec_b32 s9, s9
	s_cbranch_execz .LBB88_6
; %bb.5:
	v_div_scale_f64 v[1:2], null, v[55:56], v[55:56], v[59:60]
	v_div_scale_f64 v[63:64], vcc_lo, v[59:60], v[55:56], v[59:60]
	v_rcp_f64_e32 v[3:4], v[1:2]
	v_fma_f64 v[57:58], -v[1:2], v[3:4], 1.0
	v_fma_f64 v[3:4], v[3:4], v[57:58], v[3:4]
	v_fma_f64 v[57:58], -v[1:2], v[3:4], 1.0
	v_fma_f64 v[3:4], v[3:4], v[57:58], v[3:4]
	v_mul_f64 v[57:58], v[63:64], v[3:4]
	v_fma_f64 v[1:2], -v[1:2], v[57:58], v[63:64]
	v_div_fmas_f64 v[1:2], v[1:2], v[3:4], v[57:58]
	v_div_fixup_f64 v[1:2], v[1:2], v[55:56], v[59:60]
	v_fma_f64 v[3:4], v[59:60], v[1:2], v[55:56]
	v_div_scale_f64 v[55:56], null, v[3:4], v[3:4], 1.0
	v_rcp_f64_e32 v[57:58], v[55:56]
	v_fma_f64 v[59:60], -v[55:56], v[57:58], 1.0
	v_fma_f64 v[57:58], v[57:58], v[59:60], v[57:58]
	v_fma_f64 v[59:60], -v[55:56], v[57:58], 1.0
	v_fma_f64 v[57:58], v[57:58], v[59:60], v[57:58]
	v_div_scale_f64 v[59:60], vcc_lo, 1.0, v[3:4], 1.0
	v_mul_f64 v[63:64], v[59:60], v[57:58]
	v_fma_f64 v[55:56], -v[55:56], v[63:64], v[59:60]
	v_div_fmas_f64 v[55:56], v[55:56], v[57:58], v[63:64]
	v_div_fixup_f64 v[57:58], v[55:56], v[3:4], 1.0
	v_mul_f64 v[3:4], v[1:2], -v[57:58]
	v_xor_b32_e32 v2, 0x80000000, v58
	v_mov_b32_e32 v1, v57
.LBB88_6:
	s_or_b32 exec_lo, exec_lo, s9
	buffer_store_dword v4, v62, s[0:3], 0 offen offset:12
	v_xor_b32_e32 v4, 0x80000000, v4
	buffer_store_dword v58, v62, s[0:3], 0 offen offset:4
	buffer_store_dword v57, v62, s[0:3], 0 offen
	buffer_store_dword v3, v62, s[0:3], 0 offen offset:8
	s_branch .LBB88_8
.LBB88_7:
	v_mov_b32_e32 v1, 0
	v_mov_b32_e32 v3, 0
	;; [unrolled: 1-line block ×4, first 2 shown]
.LBB88_8:
	v_add_nc_u32_e32 v56, 0x190, v61
	v_mov_b32_e32 v55, v61
	s_mov_b32 s30, 16
	s_mov_b32 s29, 32
	;; [unrolled: 1-line block ×23, first 2 shown]
	s_cmpk_eq_i32 s8, 0x79
	ds_write_b128 v61, v[1:4]
	s_cbranch_scc1 .LBB88_196
; %bb.9:
	v_mov_b32_e32 v4, s7
	v_cmp_eq_u32_e64 s4, 24, v0
	s_clause 0x3
	buffer_load_dword v1, v4, s[0:3], 0 offen
	buffer_load_dword v2, v4, s[0:3], 0 offen offset:4
	buffer_load_dword v3, v4, s[0:3], 0 offen offset:8
	;; [unrolled: 1-line block ×3, first 2 shown]
	s_waitcnt vmcnt(0)
	ds_write_b128 v56, v[1:4]
	s_waitcnt lgkmcnt(0)
	s_waitcnt_vscnt null, 0x0
	s_barrier
	buffer_gl0_inv
	s_and_saveexec_b32 s5, s4
	s_cbranch_execz .LBB88_13
; %bb.10:
	ds_read_b128 v[1:4], v56
	s_andn2_b32 vcc_lo, exec_lo, s31
	s_cbranch_vccnz .LBB88_12
; %bb.11:
	s_clause 0x3
	buffer_load_dword v57, v55, s[0:3], 0 offen offset:8
	buffer_load_dword v58, v55, s[0:3], 0 offen offset:12
	buffer_load_dword v59, v55, s[0:3], 0 offen
	buffer_load_dword v60, v55, s[0:3], 0 offen offset:4
	s_waitcnt vmcnt(2) lgkmcnt(0)
	v_mul_f64 v[62:63], v[3:4], v[57:58]
	v_mul_f64 v[57:58], v[1:2], v[57:58]
	s_waitcnt vmcnt(0)
	v_fma_f64 v[1:2], v[1:2], v[59:60], -v[62:63]
	v_fma_f64 v[3:4], v[3:4], v[59:60], v[57:58]
.LBB88_12:
	v_mov_b32_e32 v57, 0
	ds_read_b128 v[57:60], v57 offset:368
	s_waitcnt lgkmcnt(0)
	v_mul_f64 v[62:63], v[3:4], v[59:60]
	v_mul_f64 v[59:60], v[1:2], v[59:60]
	v_fma_f64 v[1:2], v[1:2], v[57:58], -v[62:63]
	v_fma_f64 v[3:4], v[3:4], v[57:58], v[59:60]
	buffer_store_dword v2, off, s[0:3], 0 offset:372
	buffer_store_dword v1, off, s[0:3], 0 offset:368
	;; [unrolled: 1-line block ×4, first 2 shown]
.LBB88_13:
	s_or_b32 exec_lo, exec_lo, s5
	v_mov_b32_e32 v4, s9
	v_cmp_lt_u32_e64 s5, 22, v0
	s_clause 0x3
	buffer_load_dword v1, v4, s[0:3], 0 offen
	buffer_load_dword v2, v4, s[0:3], 0 offen offset:4
	buffer_load_dword v3, v4, s[0:3], 0 offen offset:8
	;; [unrolled: 1-line block ×3, first 2 shown]
	s_waitcnt vmcnt(0)
	ds_write_b128 v56, v[1:4]
	s_waitcnt lgkmcnt(0)
	s_waitcnt_vscnt null, 0x0
	s_barrier
	buffer_gl0_inv
	s_and_saveexec_b32 s8, s5
	s_cbranch_execz .LBB88_19
; %bb.14:
	ds_read_b128 v[1:4], v56
	s_andn2_b32 vcc_lo, exec_lo, s31
	s_cbranch_vccnz .LBB88_16
; %bb.15:
	s_clause 0x3
	buffer_load_dword v57, v55, s[0:3], 0 offen offset:8
	buffer_load_dword v58, v55, s[0:3], 0 offen offset:12
	buffer_load_dword v59, v55, s[0:3], 0 offen
	buffer_load_dword v60, v55, s[0:3], 0 offen offset:4
	s_waitcnt vmcnt(2) lgkmcnt(0)
	v_mul_f64 v[62:63], v[3:4], v[57:58]
	v_mul_f64 v[57:58], v[1:2], v[57:58]
	s_waitcnt vmcnt(0)
	v_fma_f64 v[1:2], v[1:2], v[59:60], -v[62:63]
	v_fma_f64 v[3:4], v[3:4], v[59:60], v[57:58]
.LBB88_16:
	s_and_saveexec_b32 s33, s4
	s_cbranch_execz .LBB88_18
; %bb.17:
	s_clause 0x3
	buffer_load_dword v62, off, s[0:3], 0 offset:376
	buffer_load_dword v63, off, s[0:3], 0 offset:380
	;; [unrolled: 1-line block ×4, first 2 shown]
	v_mov_b32_e32 v57, 0
	ds_read_b128 v[57:60], v57 offset:768
	s_waitcnt vmcnt(2) lgkmcnt(0)
	v_mul_f64 v[66:67], v[57:58], v[62:63]
	v_mul_f64 v[62:63], v[59:60], v[62:63]
	s_waitcnt vmcnt(0)
	v_fma_f64 v[59:60], v[59:60], v[64:65], v[66:67]
	v_fma_f64 v[57:58], v[57:58], v[64:65], -v[62:63]
	v_add_f64 v[3:4], v[3:4], v[59:60]
	v_add_f64 v[1:2], v[1:2], v[57:58]
.LBB88_18:
	s_or_b32 exec_lo, exec_lo, s33
	v_mov_b32_e32 v57, 0
	ds_read_b128 v[57:60], v57 offset:352
	s_waitcnt lgkmcnt(0)
	v_mul_f64 v[62:63], v[3:4], v[59:60]
	v_mul_f64 v[59:60], v[1:2], v[59:60]
	v_fma_f64 v[1:2], v[1:2], v[57:58], -v[62:63]
	v_fma_f64 v[3:4], v[3:4], v[57:58], v[59:60]
	buffer_store_dword v2, off, s[0:3], 0 offset:356
	buffer_store_dword v1, off, s[0:3], 0 offset:352
	;; [unrolled: 1-line block ×4, first 2 shown]
.LBB88_19:
	s_or_b32 exec_lo, exec_lo, s8
	v_mov_b32_e32 v4, s10
	v_cmp_lt_u32_e64 s4, 21, v0
	s_clause 0x3
	buffer_load_dword v1, v4, s[0:3], 0 offen
	buffer_load_dword v2, v4, s[0:3], 0 offen offset:4
	buffer_load_dword v3, v4, s[0:3], 0 offen offset:8
	;; [unrolled: 1-line block ×3, first 2 shown]
	s_waitcnt vmcnt(0)
	ds_write_b128 v56, v[1:4]
	s_waitcnt lgkmcnt(0)
	s_waitcnt_vscnt null, 0x0
	s_barrier
	buffer_gl0_inv
	s_and_saveexec_b32 s8, s4
	s_cbranch_execz .LBB88_27
; %bb.20:
	ds_read_b128 v[1:4], v56
	s_andn2_b32 vcc_lo, exec_lo, s31
	s_cbranch_vccnz .LBB88_22
; %bb.21:
	s_clause 0x3
	buffer_load_dword v57, v55, s[0:3], 0 offen offset:8
	buffer_load_dword v58, v55, s[0:3], 0 offen offset:12
	buffer_load_dword v59, v55, s[0:3], 0 offen
	buffer_load_dword v60, v55, s[0:3], 0 offen offset:4
	s_waitcnt vmcnt(2) lgkmcnt(0)
	v_mul_f64 v[62:63], v[3:4], v[57:58]
	v_mul_f64 v[57:58], v[1:2], v[57:58]
	s_waitcnt vmcnt(0)
	v_fma_f64 v[1:2], v[1:2], v[59:60], -v[62:63]
	v_fma_f64 v[3:4], v[3:4], v[59:60], v[57:58]
.LBB88_22:
	s_and_saveexec_b32 s33, s5
	s_cbranch_execz .LBB88_26
; %bb.23:
	v_subrev_nc_u32_e32 v57, 22, v0
	s_movk_i32 s34, 0x2f0
	s_mov_b32 s5, 0
	s_mov_b32 s35, s9
	.p2align	6
.LBB88_24:                              ; =>This Inner Loop Header: Depth=1
	v_mov_b32_e32 v60, s35
	v_add_nc_u32_e32 v57, -1, v57
	s_add_i32 s35, s35, 16
	s_clause 0x3
	buffer_load_dword v58, v60, s[0:3], 0 offen offset:8
	buffer_load_dword v59, v60, s[0:3], 0 offen offset:12
	buffer_load_dword v66, v60, s[0:3], 0 offen
	buffer_load_dword v67, v60, s[0:3], 0 offen offset:4
	v_mov_b32_e32 v60, s34
	v_cmp_eq_u32_e32 vcc_lo, 0, v57
	s_add_i32 s34, s34, 16
	ds_read_b128 v[62:65], v60
	s_or_b32 s5, vcc_lo, s5
	s_waitcnt vmcnt(2) lgkmcnt(0)
	v_mul_f64 v[68:69], v[64:65], v[58:59]
	v_mul_f64 v[58:59], v[62:63], v[58:59]
	s_waitcnt vmcnt(0)
	v_fma_f64 v[62:63], v[62:63], v[66:67], -v[68:69]
	v_fma_f64 v[58:59], v[64:65], v[66:67], v[58:59]
	v_add_f64 v[1:2], v[1:2], v[62:63]
	v_add_f64 v[3:4], v[3:4], v[58:59]
	s_andn2_b32 exec_lo, exec_lo, s5
	s_cbranch_execnz .LBB88_24
; %bb.25:
	s_or_b32 exec_lo, exec_lo, s5
.LBB88_26:
	s_or_b32 exec_lo, exec_lo, s33
	v_mov_b32_e32 v57, 0
	ds_read_b128 v[57:60], v57 offset:336
	s_waitcnt lgkmcnt(0)
	v_mul_f64 v[62:63], v[3:4], v[59:60]
	v_mul_f64 v[59:60], v[1:2], v[59:60]
	v_fma_f64 v[1:2], v[1:2], v[57:58], -v[62:63]
	v_fma_f64 v[3:4], v[3:4], v[57:58], v[59:60]
	buffer_store_dword v2, off, s[0:3], 0 offset:340
	buffer_store_dword v1, off, s[0:3], 0 offset:336
	;; [unrolled: 1-line block ×4, first 2 shown]
.LBB88_27:
	s_or_b32 exec_lo, exec_lo, s8
	v_mov_b32_e32 v4, s11
	v_cmp_lt_u32_e64 s5, 20, v0
	s_clause 0x3
	buffer_load_dword v1, v4, s[0:3], 0 offen
	buffer_load_dword v2, v4, s[0:3], 0 offen offset:4
	buffer_load_dword v3, v4, s[0:3], 0 offen offset:8
	;; [unrolled: 1-line block ×3, first 2 shown]
	s_waitcnt vmcnt(0)
	ds_write_b128 v56, v[1:4]
	s_waitcnt lgkmcnt(0)
	s_waitcnt_vscnt null, 0x0
	s_barrier
	buffer_gl0_inv
	s_and_saveexec_b32 s8, s5
	s_cbranch_execz .LBB88_35
; %bb.28:
	ds_read_b128 v[1:4], v56
	s_andn2_b32 vcc_lo, exec_lo, s31
	s_cbranch_vccnz .LBB88_30
; %bb.29:
	s_clause 0x3
	buffer_load_dword v57, v55, s[0:3], 0 offen offset:8
	buffer_load_dword v58, v55, s[0:3], 0 offen offset:12
	buffer_load_dword v59, v55, s[0:3], 0 offen
	buffer_load_dword v60, v55, s[0:3], 0 offen offset:4
	s_waitcnt vmcnt(2) lgkmcnt(0)
	v_mul_f64 v[62:63], v[3:4], v[57:58]
	v_mul_f64 v[57:58], v[1:2], v[57:58]
	s_waitcnt vmcnt(0)
	v_fma_f64 v[1:2], v[1:2], v[59:60], -v[62:63]
	v_fma_f64 v[3:4], v[3:4], v[59:60], v[57:58]
.LBB88_30:
	s_and_saveexec_b32 s33, s4
	s_cbranch_execz .LBB88_34
; %bb.31:
	v_subrev_nc_u32_e32 v57, 21, v0
	s_movk_i32 s34, 0x2e0
	s_mov_b32 s4, 0
	s_mov_b32 s35, s10
	.p2align	6
.LBB88_32:                              ; =>This Inner Loop Header: Depth=1
	v_mov_b32_e32 v60, s35
	v_add_nc_u32_e32 v57, -1, v57
	s_add_i32 s35, s35, 16
	s_clause 0x3
	buffer_load_dword v58, v60, s[0:3], 0 offen offset:8
	buffer_load_dword v59, v60, s[0:3], 0 offen offset:12
	buffer_load_dword v66, v60, s[0:3], 0 offen
	buffer_load_dword v67, v60, s[0:3], 0 offen offset:4
	v_mov_b32_e32 v60, s34
	v_cmp_eq_u32_e32 vcc_lo, 0, v57
	s_add_i32 s34, s34, 16
	ds_read_b128 v[62:65], v60
	s_or_b32 s4, vcc_lo, s4
	s_waitcnt vmcnt(2) lgkmcnt(0)
	v_mul_f64 v[68:69], v[64:65], v[58:59]
	v_mul_f64 v[58:59], v[62:63], v[58:59]
	s_waitcnt vmcnt(0)
	v_fma_f64 v[62:63], v[62:63], v[66:67], -v[68:69]
	v_fma_f64 v[58:59], v[64:65], v[66:67], v[58:59]
	v_add_f64 v[1:2], v[1:2], v[62:63]
	v_add_f64 v[3:4], v[3:4], v[58:59]
	s_andn2_b32 exec_lo, exec_lo, s4
	s_cbranch_execnz .LBB88_32
; %bb.33:
	s_or_b32 exec_lo, exec_lo, s4
.LBB88_34:
	s_or_b32 exec_lo, exec_lo, s33
	v_mov_b32_e32 v57, 0
	ds_read_b128 v[57:60], v57 offset:320
	s_waitcnt lgkmcnt(0)
	v_mul_f64 v[62:63], v[3:4], v[59:60]
	v_mul_f64 v[59:60], v[1:2], v[59:60]
	v_fma_f64 v[1:2], v[1:2], v[57:58], -v[62:63]
	v_fma_f64 v[3:4], v[3:4], v[57:58], v[59:60]
	buffer_store_dword v2, off, s[0:3], 0 offset:324
	buffer_store_dword v1, off, s[0:3], 0 offset:320
	;; [unrolled: 1-line block ×4, first 2 shown]
.LBB88_35:
	s_or_b32 exec_lo, exec_lo, s8
	v_mov_b32_e32 v4, s12
	v_cmp_lt_u32_e64 s4, 19, v0
	s_clause 0x3
	buffer_load_dword v1, v4, s[0:3], 0 offen
	buffer_load_dword v2, v4, s[0:3], 0 offen offset:4
	buffer_load_dword v3, v4, s[0:3], 0 offen offset:8
	;; [unrolled: 1-line block ×3, first 2 shown]
	s_waitcnt vmcnt(0)
	ds_write_b128 v56, v[1:4]
	s_waitcnt lgkmcnt(0)
	s_waitcnt_vscnt null, 0x0
	s_barrier
	buffer_gl0_inv
	s_and_saveexec_b32 s8, s4
	s_cbranch_execz .LBB88_43
; %bb.36:
	ds_read_b128 v[1:4], v56
	s_andn2_b32 vcc_lo, exec_lo, s31
	s_cbranch_vccnz .LBB88_38
; %bb.37:
	s_clause 0x3
	buffer_load_dword v57, v55, s[0:3], 0 offen offset:8
	buffer_load_dword v58, v55, s[0:3], 0 offen offset:12
	buffer_load_dword v59, v55, s[0:3], 0 offen
	buffer_load_dword v60, v55, s[0:3], 0 offen offset:4
	s_waitcnt vmcnt(2) lgkmcnt(0)
	v_mul_f64 v[62:63], v[3:4], v[57:58]
	v_mul_f64 v[57:58], v[1:2], v[57:58]
	s_waitcnt vmcnt(0)
	v_fma_f64 v[1:2], v[1:2], v[59:60], -v[62:63]
	v_fma_f64 v[3:4], v[3:4], v[59:60], v[57:58]
.LBB88_38:
	s_and_saveexec_b32 s33, s5
	s_cbranch_execz .LBB88_42
; %bb.39:
	v_subrev_nc_u32_e32 v57, 20, v0
	s_movk_i32 s34, 0x2d0
	s_mov_b32 s5, 0
	s_mov_b32 s35, s11
	.p2align	6
.LBB88_40:                              ; =>This Inner Loop Header: Depth=1
	v_mov_b32_e32 v60, s35
	v_add_nc_u32_e32 v57, -1, v57
	s_add_i32 s35, s35, 16
	s_clause 0x3
	buffer_load_dword v58, v60, s[0:3], 0 offen offset:8
	buffer_load_dword v59, v60, s[0:3], 0 offen offset:12
	buffer_load_dword v66, v60, s[0:3], 0 offen
	buffer_load_dword v67, v60, s[0:3], 0 offen offset:4
	v_mov_b32_e32 v60, s34
	v_cmp_eq_u32_e32 vcc_lo, 0, v57
	s_add_i32 s34, s34, 16
	ds_read_b128 v[62:65], v60
	s_or_b32 s5, vcc_lo, s5
	s_waitcnt vmcnt(2) lgkmcnt(0)
	v_mul_f64 v[68:69], v[64:65], v[58:59]
	v_mul_f64 v[58:59], v[62:63], v[58:59]
	s_waitcnt vmcnt(0)
	v_fma_f64 v[62:63], v[62:63], v[66:67], -v[68:69]
	v_fma_f64 v[58:59], v[64:65], v[66:67], v[58:59]
	v_add_f64 v[1:2], v[1:2], v[62:63]
	v_add_f64 v[3:4], v[3:4], v[58:59]
	s_andn2_b32 exec_lo, exec_lo, s5
	s_cbranch_execnz .LBB88_40
; %bb.41:
	s_or_b32 exec_lo, exec_lo, s5
.LBB88_42:
	s_or_b32 exec_lo, exec_lo, s33
	v_mov_b32_e32 v57, 0
	ds_read_b128 v[57:60], v57 offset:304
	s_waitcnt lgkmcnt(0)
	v_mul_f64 v[62:63], v[3:4], v[59:60]
	v_mul_f64 v[59:60], v[1:2], v[59:60]
	v_fma_f64 v[1:2], v[1:2], v[57:58], -v[62:63]
	v_fma_f64 v[3:4], v[3:4], v[57:58], v[59:60]
	buffer_store_dword v2, off, s[0:3], 0 offset:308
	buffer_store_dword v1, off, s[0:3], 0 offset:304
	;; [unrolled: 1-line block ×4, first 2 shown]
.LBB88_43:
	s_or_b32 exec_lo, exec_lo, s8
	v_mov_b32_e32 v4, s13
	v_cmp_lt_u32_e64 s5, 18, v0
	s_clause 0x3
	buffer_load_dword v1, v4, s[0:3], 0 offen
	buffer_load_dword v2, v4, s[0:3], 0 offen offset:4
	buffer_load_dword v3, v4, s[0:3], 0 offen offset:8
	;; [unrolled: 1-line block ×3, first 2 shown]
	s_waitcnt vmcnt(0)
	ds_write_b128 v56, v[1:4]
	s_waitcnt lgkmcnt(0)
	s_waitcnt_vscnt null, 0x0
	s_barrier
	buffer_gl0_inv
	s_and_saveexec_b32 s8, s5
	s_cbranch_execz .LBB88_51
; %bb.44:
	ds_read_b128 v[1:4], v56
	s_andn2_b32 vcc_lo, exec_lo, s31
	s_cbranch_vccnz .LBB88_46
; %bb.45:
	s_clause 0x3
	buffer_load_dword v57, v55, s[0:3], 0 offen offset:8
	buffer_load_dword v58, v55, s[0:3], 0 offen offset:12
	buffer_load_dword v59, v55, s[0:3], 0 offen
	buffer_load_dword v60, v55, s[0:3], 0 offen offset:4
	s_waitcnt vmcnt(2) lgkmcnt(0)
	v_mul_f64 v[62:63], v[3:4], v[57:58]
	v_mul_f64 v[57:58], v[1:2], v[57:58]
	s_waitcnt vmcnt(0)
	v_fma_f64 v[1:2], v[1:2], v[59:60], -v[62:63]
	v_fma_f64 v[3:4], v[3:4], v[59:60], v[57:58]
.LBB88_46:
	s_and_saveexec_b32 s33, s4
	s_cbranch_execz .LBB88_50
; %bb.47:
	v_subrev_nc_u32_e32 v57, 19, v0
	s_movk_i32 s34, 0x2c0
	s_mov_b32 s4, 0
	s_mov_b32 s35, s12
	.p2align	6
.LBB88_48:                              ; =>This Inner Loop Header: Depth=1
	v_mov_b32_e32 v60, s35
	v_add_nc_u32_e32 v57, -1, v57
	s_add_i32 s35, s35, 16
	s_clause 0x3
	buffer_load_dword v58, v60, s[0:3], 0 offen offset:8
	buffer_load_dword v59, v60, s[0:3], 0 offen offset:12
	buffer_load_dword v66, v60, s[0:3], 0 offen
	buffer_load_dword v67, v60, s[0:3], 0 offen offset:4
	v_mov_b32_e32 v60, s34
	v_cmp_eq_u32_e32 vcc_lo, 0, v57
	s_add_i32 s34, s34, 16
	ds_read_b128 v[62:65], v60
	s_or_b32 s4, vcc_lo, s4
	s_waitcnt vmcnt(2) lgkmcnt(0)
	v_mul_f64 v[68:69], v[64:65], v[58:59]
	v_mul_f64 v[58:59], v[62:63], v[58:59]
	s_waitcnt vmcnt(0)
	v_fma_f64 v[62:63], v[62:63], v[66:67], -v[68:69]
	v_fma_f64 v[58:59], v[64:65], v[66:67], v[58:59]
	v_add_f64 v[1:2], v[1:2], v[62:63]
	v_add_f64 v[3:4], v[3:4], v[58:59]
	s_andn2_b32 exec_lo, exec_lo, s4
	s_cbranch_execnz .LBB88_48
; %bb.49:
	s_or_b32 exec_lo, exec_lo, s4
.LBB88_50:
	s_or_b32 exec_lo, exec_lo, s33
	v_mov_b32_e32 v57, 0
	ds_read_b128 v[57:60], v57 offset:288
	s_waitcnt lgkmcnt(0)
	v_mul_f64 v[62:63], v[3:4], v[59:60]
	v_mul_f64 v[59:60], v[1:2], v[59:60]
	v_fma_f64 v[1:2], v[1:2], v[57:58], -v[62:63]
	v_fma_f64 v[3:4], v[3:4], v[57:58], v[59:60]
	buffer_store_dword v2, off, s[0:3], 0 offset:292
	buffer_store_dword v1, off, s[0:3], 0 offset:288
	;; [unrolled: 1-line block ×4, first 2 shown]
.LBB88_51:
	s_or_b32 exec_lo, exec_lo, s8
	v_mov_b32_e32 v4, s14
	v_cmp_lt_u32_e64 s4, 17, v0
	s_clause 0x3
	buffer_load_dword v1, v4, s[0:3], 0 offen
	buffer_load_dword v2, v4, s[0:3], 0 offen offset:4
	buffer_load_dword v3, v4, s[0:3], 0 offen offset:8
	;; [unrolled: 1-line block ×3, first 2 shown]
	s_waitcnt vmcnt(0)
	ds_write_b128 v56, v[1:4]
	s_waitcnt lgkmcnt(0)
	s_waitcnt_vscnt null, 0x0
	s_barrier
	buffer_gl0_inv
	s_and_saveexec_b32 s8, s4
	s_cbranch_execz .LBB88_59
; %bb.52:
	ds_read_b128 v[1:4], v56
	s_andn2_b32 vcc_lo, exec_lo, s31
	s_cbranch_vccnz .LBB88_54
; %bb.53:
	s_clause 0x3
	buffer_load_dword v57, v55, s[0:3], 0 offen offset:8
	buffer_load_dword v58, v55, s[0:3], 0 offen offset:12
	buffer_load_dword v59, v55, s[0:3], 0 offen
	buffer_load_dword v60, v55, s[0:3], 0 offen offset:4
	s_waitcnt vmcnt(2) lgkmcnt(0)
	v_mul_f64 v[62:63], v[3:4], v[57:58]
	v_mul_f64 v[57:58], v[1:2], v[57:58]
	s_waitcnt vmcnt(0)
	v_fma_f64 v[1:2], v[1:2], v[59:60], -v[62:63]
	v_fma_f64 v[3:4], v[3:4], v[59:60], v[57:58]
.LBB88_54:
	s_and_saveexec_b32 s33, s5
	s_cbranch_execz .LBB88_58
; %bb.55:
	v_subrev_nc_u32_e32 v57, 18, v0
	s_movk_i32 s34, 0x2b0
	s_mov_b32 s5, 0
	s_mov_b32 s35, s13
	.p2align	6
.LBB88_56:                              ; =>This Inner Loop Header: Depth=1
	v_mov_b32_e32 v60, s35
	v_add_nc_u32_e32 v57, -1, v57
	s_add_i32 s35, s35, 16
	s_clause 0x3
	buffer_load_dword v58, v60, s[0:3], 0 offen offset:8
	buffer_load_dword v59, v60, s[0:3], 0 offen offset:12
	buffer_load_dword v66, v60, s[0:3], 0 offen
	buffer_load_dword v67, v60, s[0:3], 0 offen offset:4
	v_mov_b32_e32 v60, s34
	v_cmp_eq_u32_e32 vcc_lo, 0, v57
	s_add_i32 s34, s34, 16
	ds_read_b128 v[62:65], v60
	s_or_b32 s5, vcc_lo, s5
	s_waitcnt vmcnt(2) lgkmcnt(0)
	v_mul_f64 v[68:69], v[64:65], v[58:59]
	v_mul_f64 v[58:59], v[62:63], v[58:59]
	s_waitcnt vmcnt(0)
	v_fma_f64 v[62:63], v[62:63], v[66:67], -v[68:69]
	v_fma_f64 v[58:59], v[64:65], v[66:67], v[58:59]
	v_add_f64 v[1:2], v[1:2], v[62:63]
	v_add_f64 v[3:4], v[3:4], v[58:59]
	s_andn2_b32 exec_lo, exec_lo, s5
	s_cbranch_execnz .LBB88_56
; %bb.57:
	s_or_b32 exec_lo, exec_lo, s5
.LBB88_58:
	s_or_b32 exec_lo, exec_lo, s33
	v_mov_b32_e32 v57, 0
	ds_read_b128 v[57:60], v57 offset:272
	s_waitcnt lgkmcnt(0)
	v_mul_f64 v[62:63], v[3:4], v[59:60]
	v_mul_f64 v[59:60], v[1:2], v[59:60]
	v_fma_f64 v[1:2], v[1:2], v[57:58], -v[62:63]
	v_fma_f64 v[3:4], v[3:4], v[57:58], v[59:60]
	buffer_store_dword v2, off, s[0:3], 0 offset:276
	buffer_store_dword v1, off, s[0:3], 0 offset:272
	buffer_store_dword v4, off, s[0:3], 0 offset:284
	buffer_store_dword v3, off, s[0:3], 0 offset:280
.LBB88_59:
	s_or_b32 exec_lo, exec_lo, s8
	v_mov_b32_e32 v4, s15
	v_cmp_lt_u32_e64 s5, 16, v0
	s_clause 0x3
	buffer_load_dword v1, v4, s[0:3], 0 offen
	buffer_load_dword v2, v4, s[0:3], 0 offen offset:4
	buffer_load_dword v3, v4, s[0:3], 0 offen offset:8
	;; [unrolled: 1-line block ×3, first 2 shown]
	s_waitcnt vmcnt(0)
	ds_write_b128 v56, v[1:4]
	s_waitcnt lgkmcnt(0)
	s_waitcnt_vscnt null, 0x0
	s_barrier
	buffer_gl0_inv
	s_and_saveexec_b32 s8, s5
	s_cbranch_execz .LBB88_67
; %bb.60:
	ds_read_b128 v[1:4], v56
	s_andn2_b32 vcc_lo, exec_lo, s31
	s_cbranch_vccnz .LBB88_62
; %bb.61:
	s_clause 0x3
	buffer_load_dword v57, v55, s[0:3], 0 offen offset:8
	buffer_load_dword v58, v55, s[0:3], 0 offen offset:12
	buffer_load_dword v59, v55, s[0:3], 0 offen
	buffer_load_dword v60, v55, s[0:3], 0 offen offset:4
	s_waitcnt vmcnt(2) lgkmcnt(0)
	v_mul_f64 v[62:63], v[3:4], v[57:58]
	v_mul_f64 v[57:58], v[1:2], v[57:58]
	s_waitcnt vmcnt(0)
	v_fma_f64 v[1:2], v[1:2], v[59:60], -v[62:63]
	v_fma_f64 v[3:4], v[3:4], v[59:60], v[57:58]
.LBB88_62:
	s_and_saveexec_b32 s33, s4
	s_cbranch_execz .LBB88_66
; %bb.63:
	v_subrev_nc_u32_e32 v57, 17, v0
	s_movk_i32 s34, 0x2a0
	s_mov_b32 s4, 0
	s_mov_b32 s35, s14
	.p2align	6
.LBB88_64:                              ; =>This Inner Loop Header: Depth=1
	v_mov_b32_e32 v60, s35
	v_add_nc_u32_e32 v57, -1, v57
	s_add_i32 s35, s35, 16
	s_clause 0x3
	buffer_load_dword v58, v60, s[0:3], 0 offen offset:8
	buffer_load_dword v59, v60, s[0:3], 0 offen offset:12
	buffer_load_dword v66, v60, s[0:3], 0 offen
	buffer_load_dword v67, v60, s[0:3], 0 offen offset:4
	v_mov_b32_e32 v60, s34
	v_cmp_eq_u32_e32 vcc_lo, 0, v57
	s_add_i32 s34, s34, 16
	ds_read_b128 v[62:65], v60
	s_or_b32 s4, vcc_lo, s4
	s_waitcnt vmcnt(2) lgkmcnt(0)
	v_mul_f64 v[68:69], v[64:65], v[58:59]
	v_mul_f64 v[58:59], v[62:63], v[58:59]
	s_waitcnt vmcnt(0)
	v_fma_f64 v[62:63], v[62:63], v[66:67], -v[68:69]
	v_fma_f64 v[58:59], v[64:65], v[66:67], v[58:59]
	v_add_f64 v[1:2], v[1:2], v[62:63]
	v_add_f64 v[3:4], v[3:4], v[58:59]
	s_andn2_b32 exec_lo, exec_lo, s4
	s_cbranch_execnz .LBB88_64
; %bb.65:
	s_or_b32 exec_lo, exec_lo, s4
.LBB88_66:
	s_or_b32 exec_lo, exec_lo, s33
	v_mov_b32_e32 v57, 0
	ds_read_b128 v[57:60], v57 offset:256
	s_waitcnt lgkmcnt(0)
	v_mul_f64 v[62:63], v[3:4], v[59:60]
	v_mul_f64 v[59:60], v[1:2], v[59:60]
	v_fma_f64 v[1:2], v[1:2], v[57:58], -v[62:63]
	v_fma_f64 v[3:4], v[3:4], v[57:58], v[59:60]
	buffer_store_dword v2, off, s[0:3], 0 offset:260
	buffer_store_dword v1, off, s[0:3], 0 offset:256
	;; [unrolled: 1-line block ×4, first 2 shown]
.LBB88_67:
	s_or_b32 exec_lo, exec_lo, s8
	v_mov_b32_e32 v4, s16
	v_cmp_lt_u32_e64 s4, 15, v0
	s_clause 0x3
	buffer_load_dword v1, v4, s[0:3], 0 offen
	buffer_load_dword v2, v4, s[0:3], 0 offen offset:4
	buffer_load_dword v3, v4, s[0:3], 0 offen offset:8
	;; [unrolled: 1-line block ×3, first 2 shown]
	s_waitcnt vmcnt(0)
	ds_write_b128 v56, v[1:4]
	s_waitcnt lgkmcnt(0)
	s_waitcnt_vscnt null, 0x0
	s_barrier
	buffer_gl0_inv
	s_and_saveexec_b32 s8, s4
	s_cbranch_execz .LBB88_75
; %bb.68:
	ds_read_b128 v[1:4], v56
	s_andn2_b32 vcc_lo, exec_lo, s31
	s_cbranch_vccnz .LBB88_70
; %bb.69:
	s_clause 0x3
	buffer_load_dword v57, v55, s[0:3], 0 offen offset:8
	buffer_load_dword v58, v55, s[0:3], 0 offen offset:12
	buffer_load_dword v59, v55, s[0:3], 0 offen
	buffer_load_dword v60, v55, s[0:3], 0 offen offset:4
	s_waitcnt vmcnt(2) lgkmcnt(0)
	v_mul_f64 v[62:63], v[3:4], v[57:58]
	v_mul_f64 v[57:58], v[1:2], v[57:58]
	s_waitcnt vmcnt(0)
	v_fma_f64 v[1:2], v[1:2], v[59:60], -v[62:63]
	v_fma_f64 v[3:4], v[3:4], v[59:60], v[57:58]
.LBB88_70:
	s_and_saveexec_b32 s33, s5
	s_cbranch_execz .LBB88_74
; %bb.71:
	v_add_nc_u32_e32 v57, -16, v0
	s_movk_i32 s34, 0x290
	s_mov_b32 s5, 0
	s_mov_b32 s35, s15
	.p2align	6
.LBB88_72:                              ; =>This Inner Loop Header: Depth=1
	v_mov_b32_e32 v60, s35
	v_add_nc_u32_e32 v57, -1, v57
	s_add_i32 s35, s35, 16
	s_clause 0x3
	buffer_load_dword v58, v60, s[0:3], 0 offen offset:8
	buffer_load_dword v59, v60, s[0:3], 0 offen offset:12
	buffer_load_dword v66, v60, s[0:3], 0 offen
	buffer_load_dword v67, v60, s[0:3], 0 offen offset:4
	v_mov_b32_e32 v60, s34
	v_cmp_eq_u32_e32 vcc_lo, 0, v57
	s_add_i32 s34, s34, 16
	ds_read_b128 v[62:65], v60
	s_or_b32 s5, vcc_lo, s5
	s_waitcnt vmcnt(2) lgkmcnt(0)
	v_mul_f64 v[68:69], v[64:65], v[58:59]
	v_mul_f64 v[58:59], v[62:63], v[58:59]
	s_waitcnt vmcnt(0)
	v_fma_f64 v[62:63], v[62:63], v[66:67], -v[68:69]
	v_fma_f64 v[58:59], v[64:65], v[66:67], v[58:59]
	v_add_f64 v[1:2], v[1:2], v[62:63]
	v_add_f64 v[3:4], v[3:4], v[58:59]
	s_andn2_b32 exec_lo, exec_lo, s5
	s_cbranch_execnz .LBB88_72
; %bb.73:
	s_or_b32 exec_lo, exec_lo, s5
.LBB88_74:
	s_or_b32 exec_lo, exec_lo, s33
	v_mov_b32_e32 v57, 0
	ds_read_b128 v[57:60], v57 offset:240
	s_waitcnt lgkmcnt(0)
	v_mul_f64 v[62:63], v[3:4], v[59:60]
	v_mul_f64 v[59:60], v[1:2], v[59:60]
	v_fma_f64 v[1:2], v[1:2], v[57:58], -v[62:63]
	v_fma_f64 v[3:4], v[3:4], v[57:58], v[59:60]
	buffer_store_dword v2, off, s[0:3], 0 offset:244
	buffer_store_dword v1, off, s[0:3], 0 offset:240
	;; [unrolled: 1-line block ×4, first 2 shown]
.LBB88_75:
	s_or_b32 exec_lo, exec_lo, s8
	v_mov_b32_e32 v4, s17
	v_cmp_lt_u32_e64 s5, 14, v0
	s_clause 0x3
	buffer_load_dword v1, v4, s[0:3], 0 offen
	buffer_load_dword v2, v4, s[0:3], 0 offen offset:4
	buffer_load_dword v3, v4, s[0:3], 0 offen offset:8
	;; [unrolled: 1-line block ×3, first 2 shown]
	s_waitcnt vmcnt(0)
	ds_write_b128 v56, v[1:4]
	s_waitcnt lgkmcnt(0)
	s_waitcnt_vscnt null, 0x0
	s_barrier
	buffer_gl0_inv
	s_and_saveexec_b32 s8, s5
	s_cbranch_execz .LBB88_83
; %bb.76:
	ds_read_b128 v[1:4], v56
	s_andn2_b32 vcc_lo, exec_lo, s31
	s_cbranch_vccnz .LBB88_78
; %bb.77:
	s_clause 0x3
	buffer_load_dword v57, v55, s[0:3], 0 offen offset:8
	buffer_load_dword v58, v55, s[0:3], 0 offen offset:12
	buffer_load_dword v59, v55, s[0:3], 0 offen
	buffer_load_dword v60, v55, s[0:3], 0 offen offset:4
	s_waitcnt vmcnt(2) lgkmcnt(0)
	v_mul_f64 v[62:63], v[3:4], v[57:58]
	v_mul_f64 v[57:58], v[1:2], v[57:58]
	s_waitcnt vmcnt(0)
	v_fma_f64 v[1:2], v[1:2], v[59:60], -v[62:63]
	v_fma_f64 v[3:4], v[3:4], v[59:60], v[57:58]
.LBB88_78:
	s_and_saveexec_b32 s33, s4
	s_cbranch_execz .LBB88_82
; %bb.79:
	v_add_nc_u32_e32 v57, -15, v0
	s_movk_i32 s34, 0x280
	s_mov_b32 s4, 0
	s_mov_b32 s35, s16
	.p2align	6
.LBB88_80:                              ; =>This Inner Loop Header: Depth=1
	v_mov_b32_e32 v60, s35
	v_add_nc_u32_e32 v57, -1, v57
	s_add_i32 s35, s35, 16
	s_clause 0x3
	buffer_load_dword v58, v60, s[0:3], 0 offen offset:8
	buffer_load_dword v59, v60, s[0:3], 0 offen offset:12
	buffer_load_dword v66, v60, s[0:3], 0 offen
	buffer_load_dword v67, v60, s[0:3], 0 offen offset:4
	v_mov_b32_e32 v60, s34
	v_cmp_eq_u32_e32 vcc_lo, 0, v57
	s_add_i32 s34, s34, 16
	ds_read_b128 v[62:65], v60
	s_or_b32 s4, vcc_lo, s4
	s_waitcnt vmcnt(2) lgkmcnt(0)
	v_mul_f64 v[68:69], v[64:65], v[58:59]
	v_mul_f64 v[58:59], v[62:63], v[58:59]
	s_waitcnt vmcnt(0)
	v_fma_f64 v[62:63], v[62:63], v[66:67], -v[68:69]
	v_fma_f64 v[58:59], v[64:65], v[66:67], v[58:59]
	v_add_f64 v[1:2], v[1:2], v[62:63]
	v_add_f64 v[3:4], v[3:4], v[58:59]
	s_andn2_b32 exec_lo, exec_lo, s4
	s_cbranch_execnz .LBB88_80
; %bb.81:
	s_or_b32 exec_lo, exec_lo, s4
.LBB88_82:
	s_or_b32 exec_lo, exec_lo, s33
	v_mov_b32_e32 v57, 0
	ds_read_b128 v[57:60], v57 offset:224
	s_waitcnt lgkmcnt(0)
	v_mul_f64 v[62:63], v[3:4], v[59:60]
	v_mul_f64 v[59:60], v[1:2], v[59:60]
	v_fma_f64 v[1:2], v[1:2], v[57:58], -v[62:63]
	v_fma_f64 v[3:4], v[3:4], v[57:58], v[59:60]
	buffer_store_dword v2, off, s[0:3], 0 offset:228
	buffer_store_dword v1, off, s[0:3], 0 offset:224
	;; [unrolled: 1-line block ×4, first 2 shown]
.LBB88_83:
	s_or_b32 exec_lo, exec_lo, s8
	v_mov_b32_e32 v4, s18
	v_cmp_lt_u32_e64 s4, 13, v0
	s_clause 0x3
	buffer_load_dword v1, v4, s[0:3], 0 offen
	buffer_load_dword v2, v4, s[0:3], 0 offen offset:4
	buffer_load_dword v3, v4, s[0:3], 0 offen offset:8
	;; [unrolled: 1-line block ×3, first 2 shown]
	s_waitcnt vmcnt(0)
	ds_write_b128 v56, v[1:4]
	s_waitcnt lgkmcnt(0)
	s_waitcnt_vscnt null, 0x0
	s_barrier
	buffer_gl0_inv
	s_and_saveexec_b32 s8, s4
	s_cbranch_execz .LBB88_91
; %bb.84:
	ds_read_b128 v[1:4], v56
	s_andn2_b32 vcc_lo, exec_lo, s31
	s_cbranch_vccnz .LBB88_86
; %bb.85:
	s_clause 0x3
	buffer_load_dword v57, v55, s[0:3], 0 offen offset:8
	buffer_load_dword v58, v55, s[0:3], 0 offen offset:12
	buffer_load_dword v59, v55, s[0:3], 0 offen
	buffer_load_dword v60, v55, s[0:3], 0 offen offset:4
	s_waitcnt vmcnt(2) lgkmcnt(0)
	v_mul_f64 v[62:63], v[3:4], v[57:58]
	v_mul_f64 v[57:58], v[1:2], v[57:58]
	s_waitcnt vmcnt(0)
	v_fma_f64 v[1:2], v[1:2], v[59:60], -v[62:63]
	v_fma_f64 v[3:4], v[3:4], v[59:60], v[57:58]
.LBB88_86:
	s_and_saveexec_b32 s33, s5
	s_cbranch_execz .LBB88_90
; %bb.87:
	v_add_nc_u32_e32 v57, -14, v0
	s_movk_i32 s34, 0x270
	s_mov_b32 s5, 0
	s_mov_b32 s35, s17
	.p2align	6
.LBB88_88:                              ; =>This Inner Loop Header: Depth=1
	v_mov_b32_e32 v60, s35
	v_add_nc_u32_e32 v57, -1, v57
	s_add_i32 s35, s35, 16
	s_clause 0x3
	buffer_load_dword v58, v60, s[0:3], 0 offen offset:8
	buffer_load_dword v59, v60, s[0:3], 0 offen offset:12
	buffer_load_dword v66, v60, s[0:3], 0 offen
	buffer_load_dword v67, v60, s[0:3], 0 offen offset:4
	v_mov_b32_e32 v60, s34
	v_cmp_eq_u32_e32 vcc_lo, 0, v57
	s_add_i32 s34, s34, 16
	ds_read_b128 v[62:65], v60
	s_or_b32 s5, vcc_lo, s5
	s_waitcnt vmcnt(2) lgkmcnt(0)
	v_mul_f64 v[68:69], v[64:65], v[58:59]
	v_mul_f64 v[58:59], v[62:63], v[58:59]
	s_waitcnt vmcnt(0)
	v_fma_f64 v[62:63], v[62:63], v[66:67], -v[68:69]
	v_fma_f64 v[58:59], v[64:65], v[66:67], v[58:59]
	v_add_f64 v[1:2], v[1:2], v[62:63]
	v_add_f64 v[3:4], v[3:4], v[58:59]
	s_andn2_b32 exec_lo, exec_lo, s5
	s_cbranch_execnz .LBB88_88
; %bb.89:
	s_or_b32 exec_lo, exec_lo, s5
.LBB88_90:
	s_or_b32 exec_lo, exec_lo, s33
	v_mov_b32_e32 v57, 0
	ds_read_b128 v[57:60], v57 offset:208
	s_waitcnt lgkmcnt(0)
	v_mul_f64 v[62:63], v[3:4], v[59:60]
	v_mul_f64 v[59:60], v[1:2], v[59:60]
	v_fma_f64 v[1:2], v[1:2], v[57:58], -v[62:63]
	v_fma_f64 v[3:4], v[3:4], v[57:58], v[59:60]
	buffer_store_dword v2, off, s[0:3], 0 offset:212
	buffer_store_dword v1, off, s[0:3], 0 offset:208
	;; [unrolled: 1-line block ×4, first 2 shown]
.LBB88_91:
	s_or_b32 exec_lo, exec_lo, s8
	v_mov_b32_e32 v4, s19
	v_cmp_lt_u32_e64 s5, 12, v0
	s_clause 0x3
	buffer_load_dword v1, v4, s[0:3], 0 offen
	buffer_load_dword v2, v4, s[0:3], 0 offen offset:4
	buffer_load_dword v3, v4, s[0:3], 0 offen offset:8
	;; [unrolled: 1-line block ×3, first 2 shown]
	s_waitcnt vmcnt(0)
	ds_write_b128 v56, v[1:4]
	s_waitcnt lgkmcnt(0)
	s_waitcnt_vscnt null, 0x0
	s_barrier
	buffer_gl0_inv
	s_and_saveexec_b32 s8, s5
	s_cbranch_execz .LBB88_99
; %bb.92:
	ds_read_b128 v[1:4], v56
	s_andn2_b32 vcc_lo, exec_lo, s31
	s_cbranch_vccnz .LBB88_94
; %bb.93:
	s_clause 0x3
	buffer_load_dword v57, v55, s[0:3], 0 offen offset:8
	buffer_load_dword v58, v55, s[0:3], 0 offen offset:12
	buffer_load_dword v59, v55, s[0:3], 0 offen
	buffer_load_dword v60, v55, s[0:3], 0 offen offset:4
	s_waitcnt vmcnt(2) lgkmcnt(0)
	v_mul_f64 v[62:63], v[3:4], v[57:58]
	v_mul_f64 v[57:58], v[1:2], v[57:58]
	s_waitcnt vmcnt(0)
	v_fma_f64 v[1:2], v[1:2], v[59:60], -v[62:63]
	v_fma_f64 v[3:4], v[3:4], v[59:60], v[57:58]
.LBB88_94:
	s_and_saveexec_b32 s33, s4
	s_cbranch_execz .LBB88_98
; %bb.95:
	v_add_nc_u32_e32 v57, -13, v0
	s_movk_i32 s34, 0x260
	s_mov_b32 s4, 0
	s_mov_b32 s35, s18
	.p2align	6
.LBB88_96:                              ; =>This Inner Loop Header: Depth=1
	v_mov_b32_e32 v60, s35
	v_add_nc_u32_e32 v57, -1, v57
	s_add_i32 s35, s35, 16
	s_clause 0x3
	buffer_load_dword v58, v60, s[0:3], 0 offen offset:8
	buffer_load_dword v59, v60, s[0:3], 0 offen offset:12
	buffer_load_dword v66, v60, s[0:3], 0 offen
	buffer_load_dword v67, v60, s[0:3], 0 offen offset:4
	v_mov_b32_e32 v60, s34
	v_cmp_eq_u32_e32 vcc_lo, 0, v57
	s_add_i32 s34, s34, 16
	ds_read_b128 v[62:65], v60
	s_or_b32 s4, vcc_lo, s4
	s_waitcnt vmcnt(2) lgkmcnt(0)
	v_mul_f64 v[68:69], v[64:65], v[58:59]
	v_mul_f64 v[58:59], v[62:63], v[58:59]
	s_waitcnt vmcnt(0)
	v_fma_f64 v[62:63], v[62:63], v[66:67], -v[68:69]
	v_fma_f64 v[58:59], v[64:65], v[66:67], v[58:59]
	v_add_f64 v[1:2], v[1:2], v[62:63]
	v_add_f64 v[3:4], v[3:4], v[58:59]
	s_andn2_b32 exec_lo, exec_lo, s4
	s_cbranch_execnz .LBB88_96
; %bb.97:
	s_or_b32 exec_lo, exec_lo, s4
.LBB88_98:
	s_or_b32 exec_lo, exec_lo, s33
	v_mov_b32_e32 v57, 0
	ds_read_b128 v[57:60], v57 offset:192
	s_waitcnt lgkmcnt(0)
	v_mul_f64 v[62:63], v[3:4], v[59:60]
	v_mul_f64 v[59:60], v[1:2], v[59:60]
	v_fma_f64 v[1:2], v[1:2], v[57:58], -v[62:63]
	v_fma_f64 v[3:4], v[3:4], v[57:58], v[59:60]
	buffer_store_dword v2, off, s[0:3], 0 offset:196
	buffer_store_dword v1, off, s[0:3], 0 offset:192
	buffer_store_dword v4, off, s[0:3], 0 offset:204
	buffer_store_dword v3, off, s[0:3], 0 offset:200
.LBB88_99:
	s_or_b32 exec_lo, exec_lo, s8
	v_mov_b32_e32 v4, s20
	v_cmp_lt_u32_e64 s4, 11, v0
	s_clause 0x3
	buffer_load_dword v1, v4, s[0:3], 0 offen
	buffer_load_dword v2, v4, s[0:3], 0 offen offset:4
	buffer_load_dword v3, v4, s[0:3], 0 offen offset:8
	;; [unrolled: 1-line block ×3, first 2 shown]
	s_waitcnt vmcnt(0)
	ds_write_b128 v56, v[1:4]
	s_waitcnt lgkmcnt(0)
	s_waitcnt_vscnt null, 0x0
	s_barrier
	buffer_gl0_inv
	s_and_saveexec_b32 s8, s4
	s_cbranch_execz .LBB88_107
; %bb.100:
	ds_read_b128 v[1:4], v56
	s_andn2_b32 vcc_lo, exec_lo, s31
	s_cbranch_vccnz .LBB88_102
; %bb.101:
	s_clause 0x3
	buffer_load_dword v57, v55, s[0:3], 0 offen offset:8
	buffer_load_dword v58, v55, s[0:3], 0 offen offset:12
	buffer_load_dword v59, v55, s[0:3], 0 offen
	buffer_load_dword v60, v55, s[0:3], 0 offen offset:4
	s_waitcnt vmcnt(2) lgkmcnt(0)
	v_mul_f64 v[62:63], v[3:4], v[57:58]
	v_mul_f64 v[57:58], v[1:2], v[57:58]
	s_waitcnt vmcnt(0)
	v_fma_f64 v[1:2], v[1:2], v[59:60], -v[62:63]
	v_fma_f64 v[3:4], v[3:4], v[59:60], v[57:58]
.LBB88_102:
	s_and_saveexec_b32 s33, s5
	s_cbranch_execz .LBB88_106
; %bb.103:
	v_add_nc_u32_e32 v57, -12, v0
	s_movk_i32 s34, 0x250
	s_mov_b32 s5, 0
	s_mov_b32 s35, s19
	.p2align	6
.LBB88_104:                             ; =>This Inner Loop Header: Depth=1
	v_mov_b32_e32 v60, s35
	v_add_nc_u32_e32 v57, -1, v57
	s_add_i32 s35, s35, 16
	s_clause 0x3
	buffer_load_dword v58, v60, s[0:3], 0 offen offset:8
	buffer_load_dword v59, v60, s[0:3], 0 offen offset:12
	buffer_load_dword v66, v60, s[0:3], 0 offen
	buffer_load_dword v67, v60, s[0:3], 0 offen offset:4
	v_mov_b32_e32 v60, s34
	v_cmp_eq_u32_e32 vcc_lo, 0, v57
	s_add_i32 s34, s34, 16
	ds_read_b128 v[62:65], v60
	s_or_b32 s5, vcc_lo, s5
	s_waitcnt vmcnt(2) lgkmcnt(0)
	v_mul_f64 v[68:69], v[64:65], v[58:59]
	v_mul_f64 v[58:59], v[62:63], v[58:59]
	s_waitcnt vmcnt(0)
	v_fma_f64 v[62:63], v[62:63], v[66:67], -v[68:69]
	v_fma_f64 v[58:59], v[64:65], v[66:67], v[58:59]
	v_add_f64 v[1:2], v[1:2], v[62:63]
	v_add_f64 v[3:4], v[3:4], v[58:59]
	s_andn2_b32 exec_lo, exec_lo, s5
	s_cbranch_execnz .LBB88_104
; %bb.105:
	s_or_b32 exec_lo, exec_lo, s5
.LBB88_106:
	s_or_b32 exec_lo, exec_lo, s33
	v_mov_b32_e32 v57, 0
	ds_read_b128 v[57:60], v57 offset:176
	s_waitcnt lgkmcnt(0)
	v_mul_f64 v[62:63], v[3:4], v[59:60]
	v_mul_f64 v[59:60], v[1:2], v[59:60]
	v_fma_f64 v[1:2], v[1:2], v[57:58], -v[62:63]
	v_fma_f64 v[3:4], v[3:4], v[57:58], v[59:60]
	buffer_store_dword v2, off, s[0:3], 0 offset:180
	buffer_store_dword v1, off, s[0:3], 0 offset:176
	;; [unrolled: 1-line block ×4, first 2 shown]
.LBB88_107:
	s_or_b32 exec_lo, exec_lo, s8
	v_mov_b32_e32 v4, s21
	v_cmp_lt_u32_e64 s5, 10, v0
	s_clause 0x3
	buffer_load_dword v1, v4, s[0:3], 0 offen
	buffer_load_dword v2, v4, s[0:3], 0 offen offset:4
	buffer_load_dword v3, v4, s[0:3], 0 offen offset:8
	;; [unrolled: 1-line block ×3, first 2 shown]
	s_waitcnt vmcnt(0)
	ds_write_b128 v56, v[1:4]
	s_waitcnt lgkmcnt(0)
	s_waitcnt_vscnt null, 0x0
	s_barrier
	buffer_gl0_inv
	s_and_saveexec_b32 s8, s5
	s_cbranch_execz .LBB88_115
; %bb.108:
	ds_read_b128 v[1:4], v56
	s_andn2_b32 vcc_lo, exec_lo, s31
	s_cbranch_vccnz .LBB88_110
; %bb.109:
	s_clause 0x3
	buffer_load_dword v57, v55, s[0:3], 0 offen offset:8
	buffer_load_dword v58, v55, s[0:3], 0 offen offset:12
	buffer_load_dword v59, v55, s[0:3], 0 offen
	buffer_load_dword v60, v55, s[0:3], 0 offen offset:4
	s_waitcnt vmcnt(2) lgkmcnt(0)
	v_mul_f64 v[62:63], v[3:4], v[57:58]
	v_mul_f64 v[57:58], v[1:2], v[57:58]
	s_waitcnt vmcnt(0)
	v_fma_f64 v[1:2], v[1:2], v[59:60], -v[62:63]
	v_fma_f64 v[3:4], v[3:4], v[59:60], v[57:58]
.LBB88_110:
	s_and_saveexec_b32 s33, s4
	s_cbranch_execz .LBB88_114
; %bb.111:
	v_add_nc_u32_e32 v57, -11, v0
	s_movk_i32 s34, 0x240
	s_mov_b32 s4, 0
	s_mov_b32 s35, s20
	.p2align	6
.LBB88_112:                             ; =>This Inner Loop Header: Depth=1
	v_mov_b32_e32 v60, s35
	v_add_nc_u32_e32 v57, -1, v57
	s_add_i32 s35, s35, 16
	s_clause 0x3
	buffer_load_dword v58, v60, s[0:3], 0 offen offset:8
	buffer_load_dword v59, v60, s[0:3], 0 offen offset:12
	buffer_load_dword v66, v60, s[0:3], 0 offen
	buffer_load_dword v67, v60, s[0:3], 0 offen offset:4
	v_mov_b32_e32 v60, s34
	v_cmp_eq_u32_e32 vcc_lo, 0, v57
	s_add_i32 s34, s34, 16
	ds_read_b128 v[62:65], v60
	s_or_b32 s4, vcc_lo, s4
	s_waitcnt vmcnt(2) lgkmcnt(0)
	v_mul_f64 v[68:69], v[64:65], v[58:59]
	v_mul_f64 v[58:59], v[62:63], v[58:59]
	s_waitcnt vmcnt(0)
	v_fma_f64 v[62:63], v[62:63], v[66:67], -v[68:69]
	v_fma_f64 v[58:59], v[64:65], v[66:67], v[58:59]
	v_add_f64 v[1:2], v[1:2], v[62:63]
	v_add_f64 v[3:4], v[3:4], v[58:59]
	s_andn2_b32 exec_lo, exec_lo, s4
	s_cbranch_execnz .LBB88_112
; %bb.113:
	s_or_b32 exec_lo, exec_lo, s4
.LBB88_114:
	s_or_b32 exec_lo, exec_lo, s33
	v_mov_b32_e32 v57, 0
	ds_read_b128 v[57:60], v57 offset:160
	s_waitcnt lgkmcnt(0)
	v_mul_f64 v[62:63], v[3:4], v[59:60]
	v_mul_f64 v[59:60], v[1:2], v[59:60]
	v_fma_f64 v[1:2], v[1:2], v[57:58], -v[62:63]
	v_fma_f64 v[3:4], v[3:4], v[57:58], v[59:60]
	buffer_store_dword v2, off, s[0:3], 0 offset:164
	buffer_store_dword v1, off, s[0:3], 0 offset:160
	;; [unrolled: 1-line block ×4, first 2 shown]
.LBB88_115:
	s_or_b32 exec_lo, exec_lo, s8
	v_mov_b32_e32 v4, s22
	v_cmp_lt_u32_e64 s4, 9, v0
	s_clause 0x3
	buffer_load_dword v1, v4, s[0:3], 0 offen
	buffer_load_dword v2, v4, s[0:3], 0 offen offset:4
	buffer_load_dword v3, v4, s[0:3], 0 offen offset:8
	;; [unrolled: 1-line block ×3, first 2 shown]
	s_waitcnt vmcnt(0)
	ds_write_b128 v56, v[1:4]
	s_waitcnt lgkmcnt(0)
	s_waitcnt_vscnt null, 0x0
	s_barrier
	buffer_gl0_inv
	s_and_saveexec_b32 s8, s4
	s_cbranch_execz .LBB88_123
; %bb.116:
	ds_read_b128 v[1:4], v56
	s_andn2_b32 vcc_lo, exec_lo, s31
	s_cbranch_vccnz .LBB88_118
; %bb.117:
	s_clause 0x3
	buffer_load_dword v57, v55, s[0:3], 0 offen offset:8
	buffer_load_dword v58, v55, s[0:3], 0 offen offset:12
	buffer_load_dword v59, v55, s[0:3], 0 offen
	buffer_load_dword v60, v55, s[0:3], 0 offen offset:4
	s_waitcnt vmcnt(2) lgkmcnt(0)
	v_mul_f64 v[62:63], v[3:4], v[57:58]
	v_mul_f64 v[57:58], v[1:2], v[57:58]
	s_waitcnt vmcnt(0)
	v_fma_f64 v[1:2], v[1:2], v[59:60], -v[62:63]
	v_fma_f64 v[3:4], v[3:4], v[59:60], v[57:58]
.LBB88_118:
	s_and_saveexec_b32 s33, s5
	s_cbranch_execz .LBB88_122
; %bb.119:
	v_add_nc_u32_e32 v57, -10, v0
	s_movk_i32 s34, 0x230
	s_mov_b32 s5, 0
	s_mov_b32 s35, s21
	.p2align	6
.LBB88_120:                             ; =>This Inner Loop Header: Depth=1
	v_mov_b32_e32 v60, s35
	v_add_nc_u32_e32 v57, -1, v57
	s_add_i32 s35, s35, 16
	s_clause 0x3
	buffer_load_dword v58, v60, s[0:3], 0 offen offset:8
	buffer_load_dword v59, v60, s[0:3], 0 offen offset:12
	buffer_load_dword v66, v60, s[0:3], 0 offen
	buffer_load_dword v67, v60, s[0:3], 0 offen offset:4
	v_mov_b32_e32 v60, s34
	v_cmp_eq_u32_e32 vcc_lo, 0, v57
	s_add_i32 s34, s34, 16
	ds_read_b128 v[62:65], v60
	s_or_b32 s5, vcc_lo, s5
	s_waitcnt vmcnt(2) lgkmcnt(0)
	v_mul_f64 v[68:69], v[64:65], v[58:59]
	v_mul_f64 v[58:59], v[62:63], v[58:59]
	s_waitcnt vmcnt(0)
	v_fma_f64 v[62:63], v[62:63], v[66:67], -v[68:69]
	v_fma_f64 v[58:59], v[64:65], v[66:67], v[58:59]
	v_add_f64 v[1:2], v[1:2], v[62:63]
	v_add_f64 v[3:4], v[3:4], v[58:59]
	s_andn2_b32 exec_lo, exec_lo, s5
	s_cbranch_execnz .LBB88_120
; %bb.121:
	s_or_b32 exec_lo, exec_lo, s5
.LBB88_122:
	s_or_b32 exec_lo, exec_lo, s33
	v_mov_b32_e32 v57, 0
	ds_read_b128 v[57:60], v57 offset:144
	s_waitcnt lgkmcnt(0)
	v_mul_f64 v[62:63], v[3:4], v[59:60]
	v_mul_f64 v[59:60], v[1:2], v[59:60]
	v_fma_f64 v[1:2], v[1:2], v[57:58], -v[62:63]
	v_fma_f64 v[3:4], v[3:4], v[57:58], v[59:60]
	buffer_store_dword v2, off, s[0:3], 0 offset:148
	buffer_store_dword v1, off, s[0:3], 0 offset:144
	;; [unrolled: 1-line block ×4, first 2 shown]
.LBB88_123:
	s_or_b32 exec_lo, exec_lo, s8
	v_mov_b32_e32 v4, s23
	v_cmp_lt_u32_e64 s5, 8, v0
	s_clause 0x3
	buffer_load_dword v1, v4, s[0:3], 0 offen
	buffer_load_dword v2, v4, s[0:3], 0 offen offset:4
	buffer_load_dword v3, v4, s[0:3], 0 offen offset:8
	;; [unrolled: 1-line block ×3, first 2 shown]
	s_waitcnt vmcnt(0)
	ds_write_b128 v56, v[1:4]
	s_waitcnt lgkmcnt(0)
	s_waitcnt_vscnt null, 0x0
	s_barrier
	buffer_gl0_inv
	s_and_saveexec_b32 s8, s5
	s_cbranch_execz .LBB88_131
; %bb.124:
	ds_read_b128 v[1:4], v56
	s_andn2_b32 vcc_lo, exec_lo, s31
	s_cbranch_vccnz .LBB88_126
; %bb.125:
	s_clause 0x3
	buffer_load_dword v57, v55, s[0:3], 0 offen offset:8
	buffer_load_dword v58, v55, s[0:3], 0 offen offset:12
	buffer_load_dword v59, v55, s[0:3], 0 offen
	buffer_load_dword v60, v55, s[0:3], 0 offen offset:4
	s_waitcnt vmcnt(2) lgkmcnt(0)
	v_mul_f64 v[62:63], v[3:4], v[57:58]
	v_mul_f64 v[57:58], v[1:2], v[57:58]
	s_waitcnt vmcnt(0)
	v_fma_f64 v[1:2], v[1:2], v[59:60], -v[62:63]
	v_fma_f64 v[3:4], v[3:4], v[59:60], v[57:58]
.LBB88_126:
	s_and_saveexec_b32 s33, s4
	s_cbranch_execz .LBB88_130
; %bb.127:
	v_add_nc_u32_e32 v57, -9, v0
	s_movk_i32 s34, 0x220
	s_mov_b32 s4, 0
	s_mov_b32 s35, s22
	.p2align	6
.LBB88_128:                             ; =>This Inner Loop Header: Depth=1
	v_mov_b32_e32 v60, s35
	v_add_nc_u32_e32 v57, -1, v57
	s_add_i32 s35, s35, 16
	s_clause 0x3
	buffer_load_dword v58, v60, s[0:3], 0 offen offset:8
	buffer_load_dword v59, v60, s[0:3], 0 offen offset:12
	buffer_load_dword v66, v60, s[0:3], 0 offen
	buffer_load_dword v67, v60, s[0:3], 0 offen offset:4
	v_mov_b32_e32 v60, s34
	v_cmp_eq_u32_e32 vcc_lo, 0, v57
	s_add_i32 s34, s34, 16
	ds_read_b128 v[62:65], v60
	s_or_b32 s4, vcc_lo, s4
	s_waitcnt vmcnt(2) lgkmcnt(0)
	v_mul_f64 v[68:69], v[64:65], v[58:59]
	v_mul_f64 v[58:59], v[62:63], v[58:59]
	s_waitcnt vmcnt(0)
	v_fma_f64 v[62:63], v[62:63], v[66:67], -v[68:69]
	v_fma_f64 v[58:59], v[64:65], v[66:67], v[58:59]
	v_add_f64 v[1:2], v[1:2], v[62:63]
	v_add_f64 v[3:4], v[3:4], v[58:59]
	s_andn2_b32 exec_lo, exec_lo, s4
	s_cbranch_execnz .LBB88_128
; %bb.129:
	s_or_b32 exec_lo, exec_lo, s4
.LBB88_130:
	s_or_b32 exec_lo, exec_lo, s33
	v_mov_b32_e32 v57, 0
	ds_read_b128 v[57:60], v57 offset:128
	s_waitcnt lgkmcnt(0)
	v_mul_f64 v[62:63], v[3:4], v[59:60]
	v_mul_f64 v[59:60], v[1:2], v[59:60]
	v_fma_f64 v[1:2], v[1:2], v[57:58], -v[62:63]
	v_fma_f64 v[3:4], v[3:4], v[57:58], v[59:60]
	buffer_store_dword v2, off, s[0:3], 0 offset:132
	buffer_store_dword v1, off, s[0:3], 0 offset:128
	;; [unrolled: 1-line block ×4, first 2 shown]
.LBB88_131:
	s_or_b32 exec_lo, exec_lo, s8
	v_mov_b32_e32 v4, s24
	v_cmp_lt_u32_e64 s4, 7, v0
	s_clause 0x3
	buffer_load_dword v1, v4, s[0:3], 0 offen
	buffer_load_dword v2, v4, s[0:3], 0 offen offset:4
	buffer_load_dword v3, v4, s[0:3], 0 offen offset:8
	;; [unrolled: 1-line block ×3, first 2 shown]
	s_waitcnt vmcnt(0)
	ds_write_b128 v56, v[1:4]
	s_waitcnt lgkmcnt(0)
	s_waitcnt_vscnt null, 0x0
	s_barrier
	buffer_gl0_inv
	s_and_saveexec_b32 s8, s4
	s_cbranch_execz .LBB88_139
; %bb.132:
	ds_read_b128 v[1:4], v56
	s_andn2_b32 vcc_lo, exec_lo, s31
	s_cbranch_vccnz .LBB88_134
; %bb.133:
	s_clause 0x3
	buffer_load_dword v57, v55, s[0:3], 0 offen offset:8
	buffer_load_dword v58, v55, s[0:3], 0 offen offset:12
	buffer_load_dword v59, v55, s[0:3], 0 offen
	buffer_load_dword v60, v55, s[0:3], 0 offen offset:4
	s_waitcnt vmcnt(2) lgkmcnt(0)
	v_mul_f64 v[62:63], v[3:4], v[57:58]
	v_mul_f64 v[57:58], v[1:2], v[57:58]
	s_waitcnt vmcnt(0)
	v_fma_f64 v[1:2], v[1:2], v[59:60], -v[62:63]
	v_fma_f64 v[3:4], v[3:4], v[59:60], v[57:58]
.LBB88_134:
	s_and_saveexec_b32 s33, s5
	s_cbranch_execz .LBB88_138
; %bb.135:
	v_add_nc_u32_e32 v57, -8, v0
	s_movk_i32 s34, 0x210
	s_mov_b32 s5, 0
	s_mov_b32 s35, s23
	.p2align	6
.LBB88_136:                             ; =>This Inner Loop Header: Depth=1
	v_mov_b32_e32 v60, s35
	v_add_nc_u32_e32 v57, -1, v57
	s_add_i32 s35, s35, 16
	s_clause 0x3
	buffer_load_dword v58, v60, s[0:3], 0 offen offset:8
	buffer_load_dword v59, v60, s[0:3], 0 offen offset:12
	buffer_load_dword v66, v60, s[0:3], 0 offen
	buffer_load_dword v67, v60, s[0:3], 0 offen offset:4
	v_mov_b32_e32 v60, s34
	v_cmp_eq_u32_e32 vcc_lo, 0, v57
	s_add_i32 s34, s34, 16
	ds_read_b128 v[62:65], v60
	s_or_b32 s5, vcc_lo, s5
	s_waitcnt vmcnt(2) lgkmcnt(0)
	v_mul_f64 v[68:69], v[64:65], v[58:59]
	v_mul_f64 v[58:59], v[62:63], v[58:59]
	s_waitcnt vmcnt(0)
	v_fma_f64 v[62:63], v[62:63], v[66:67], -v[68:69]
	v_fma_f64 v[58:59], v[64:65], v[66:67], v[58:59]
	v_add_f64 v[1:2], v[1:2], v[62:63]
	v_add_f64 v[3:4], v[3:4], v[58:59]
	s_andn2_b32 exec_lo, exec_lo, s5
	s_cbranch_execnz .LBB88_136
; %bb.137:
	s_or_b32 exec_lo, exec_lo, s5
.LBB88_138:
	s_or_b32 exec_lo, exec_lo, s33
	v_mov_b32_e32 v57, 0
	ds_read_b128 v[57:60], v57 offset:112
	s_waitcnt lgkmcnt(0)
	v_mul_f64 v[62:63], v[3:4], v[59:60]
	v_mul_f64 v[59:60], v[1:2], v[59:60]
	v_fma_f64 v[1:2], v[1:2], v[57:58], -v[62:63]
	v_fma_f64 v[3:4], v[3:4], v[57:58], v[59:60]
	buffer_store_dword v2, off, s[0:3], 0 offset:116
	buffer_store_dword v1, off, s[0:3], 0 offset:112
	;; [unrolled: 1-line block ×4, first 2 shown]
.LBB88_139:
	s_or_b32 exec_lo, exec_lo, s8
	v_mov_b32_e32 v4, s25
	v_cmp_lt_u32_e64 s5, 6, v0
	s_clause 0x3
	buffer_load_dword v1, v4, s[0:3], 0 offen
	buffer_load_dword v2, v4, s[0:3], 0 offen offset:4
	buffer_load_dword v3, v4, s[0:3], 0 offen offset:8
	;; [unrolled: 1-line block ×3, first 2 shown]
	s_waitcnt vmcnt(0)
	ds_write_b128 v56, v[1:4]
	s_waitcnt lgkmcnt(0)
	s_waitcnt_vscnt null, 0x0
	s_barrier
	buffer_gl0_inv
	s_and_saveexec_b32 s8, s5
	s_cbranch_execz .LBB88_147
; %bb.140:
	ds_read_b128 v[1:4], v56
	s_andn2_b32 vcc_lo, exec_lo, s31
	s_cbranch_vccnz .LBB88_142
; %bb.141:
	s_clause 0x3
	buffer_load_dword v57, v55, s[0:3], 0 offen offset:8
	buffer_load_dword v58, v55, s[0:3], 0 offen offset:12
	buffer_load_dword v59, v55, s[0:3], 0 offen
	buffer_load_dword v60, v55, s[0:3], 0 offen offset:4
	s_waitcnt vmcnt(2) lgkmcnt(0)
	v_mul_f64 v[62:63], v[3:4], v[57:58]
	v_mul_f64 v[57:58], v[1:2], v[57:58]
	s_waitcnt vmcnt(0)
	v_fma_f64 v[1:2], v[1:2], v[59:60], -v[62:63]
	v_fma_f64 v[3:4], v[3:4], v[59:60], v[57:58]
.LBB88_142:
	s_and_saveexec_b32 s33, s4
	s_cbranch_execz .LBB88_146
; %bb.143:
	v_add_nc_u32_e32 v57, -7, v0
	s_movk_i32 s34, 0x200
	s_mov_b32 s4, 0
	s_mov_b32 s35, s24
	.p2align	6
.LBB88_144:                             ; =>This Inner Loop Header: Depth=1
	v_mov_b32_e32 v60, s35
	v_add_nc_u32_e32 v57, -1, v57
	s_add_i32 s35, s35, 16
	s_clause 0x3
	buffer_load_dword v58, v60, s[0:3], 0 offen offset:8
	buffer_load_dword v59, v60, s[0:3], 0 offen offset:12
	buffer_load_dword v66, v60, s[0:3], 0 offen
	buffer_load_dword v67, v60, s[0:3], 0 offen offset:4
	v_mov_b32_e32 v60, s34
	v_cmp_eq_u32_e32 vcc_lo, 0, v57
	s_add_i32 s34, s34, 16
	ds_read_b128 v[62:65], v60
	s_or_b32 s4, vcc_lo, s4
	s_waitcnt vmcnt(2) lgkmcnt(0)
	v_mul_f64 v[68:69], v[64:65], v[58:59]
	v_mul_f64 v[58:59], v[62:63], v[58:59]
	s_waitcnt vmcnt(0)
	v_fma_f64 v[62:63], v[62:63], v[66:67], -v[68:69]
	v_fma_f64 v[58:59], v[64:65], v[66:67], v[58:59]
	v_add_f64 v[1:2], v[1:2], v[62:63]
	v_add_f64 v[3:4], v[3:4], v[58:59]
	s_andn2_b32 exec_lo, exec_lo, s4
	s_cbranch_execnz .LBB88_144
; %bb.145:
	s_or_b32 exec_lo, exec_lo, s4
.LBB88_146:
	s_or_b32 exec_lo, exec_lo, s33
	v_mov_b32_e32 v57, 0
	ds_read_b128 v[57:60], v57 offset:96
	s_waitcnt lgkmcnt(0)
	v_mul_f64 v[62:63], v[3:4], v[59:60]
	v_mul_f64 v[59:60], v[1:2], v[59:60]
	v_fma_f64 v[1:2], v[1:2], v[57:58], -v[62:63]
	v_fma_f64 v[3:4], v[3:4], v[57:58], v[59:60]
	buffer_store_dword v2, off, s[0:3], 0 offset:100
	buffer_store_dword v1, off, s[0:3], 0 offset:96
	;; [unrolled: 1-line block ×4, first 2 shown]
.LBB88_147:
	s_or_b32 exec_lo, exec_lo, s8
	v_mov_b32_e32 v4, s26
	v_cmp_lt_u32_e64 s4, 5, v0
	s_clause 0x3
	buffer_load_dword v1, v4, s[0:3], 0 offen
	buffer_load_dword v2, v4, s[0:3], 0 offen offset:4
	buffer_load_dword v3, v4, s[0:3], 0 offen offset:8
	;; [unrolled: 1-line block ×3, first 2 shown]
	s_waitcnt vmcnt(0)
	ds_write_b128 v56, v[1:4]
	s_waitcnt lgkmcnt(0)
	s_waitcnt_vscnt null, 0x0
	s_barrier
	buffer_gl0_inv
	s_and_saveexec_b32 s8, s4
	s_cbranch_execz .LBB88_155
; %bb.148:
	ds_read_b128 v[1:4], v56
	s_andn2_b32 vcc_lo, exec_lo, s31
	s_cbranch_vccnz .LBB88_150
; %bb.149:
	s_clause 0x3
	buffer_load_dword v57, v55, s[0:3], 0 offen offset:8
	buffer_load_dword v58, v55, s[0:3], 0 offen offset:12
	buffer_load_dword v59, v55, s[0:3], 0 offen
	buffer_load_dword v60, v55, s[0:3], 0 offen offset:4
	s_waitcnt vmcnt(2) lgkmcnt(0)
	v_mul_f64 v[62:63], v[3:4], v[57:58]
	v_mul_f64 v[57:58], v[1:2], v[57:58]
	s_waitcnt vmcnt(0)
	v_fma_f64 v[1:2], v[1:2], v[59:60], -v[62:63]
	v_fma_f64 v[3:4], v[3:4], v[59:60], v[57:58]
.LBB88_150:
	s_and_saveexec_b32 s33, s5
	s_cbranch_execz .LBB88_154
; %bb.151:
	v_add_nc_u32_e32 v57, -6, v0
	s_movk_i32 s34, 0x1f0
	s_mov_b32 s5, 0
	s_mov_b32 s35, s25
	.p2align	6
.LBB88_152:                             ; =>This Inner Loop Header: Depth=1
	v_mov_b32_e32 v60, s35
	v_add_nc_u32_e32 v57, -1, v57
	s_add_i32 s35, s35, 16
	s_clause 0x3
	buffer_load_dword v58, v60, s[0:3], 0 offen offset:8
	buffer_load_dword v59, v60, s[0:3], 0 offen offset:12
	buffer_load_dword v66, v60, s[0:3], 0 offen
	buffer_load_dword v67, v60, s[0:3], 0 offen offset:4
	v_mov_b32_e32 v60, s34
	v_cmp_eq_u32_e32 vcc_lo, 0, v57
	s_add_i32 s34, s34, 16
	ds_read_b128 v[62:65], v60
	s_or_b32 s5, vcc_lo, s5
	s_waitcnt vmcnt(2) lgkmcnt(0)
	v_mul_f64 v[68:69], v[64:65], v[58:59]
	v_mul_f64 v[58:59], v[62:63], v[58:59]
	s_waitcnt vmcnt(0)
	v_fma_f64 v[62:63], v[62:63], v[66:67], -v[68:69]
	v_fma_f64 v[58:59], v[64:65], v[66:67], v[58:59]
	v_add_f64 v[1:2], v[1:2], v[62:63]
	v_add_f64 v[3:4], v[3:4], v[58:59]
	s_andn2_b32 exec_lo, exec_lo, s5
	s_cbranch_execnz .LBB88_152
; %bb.153:
	s_or_b32 exec_lo, exec_lo, s5
.LBB88_154:
	s_or_b32 exec_lo, exec_lo, s33
	v_mov_b32_e32 v57, 0
	ds_read_b128 v[57:60], v57 offset:80
	s_waitcnt lgkmcnt(0)
	v_mul_f64 v[62:63], v[3:4], v[59:60]
	v_mul_f64 v[59:60], v[1:2], v[59:60]
	v_fma_f64 v[1:2], v[1:2], v[57:58], -v[62:63]
	v_fma_f64 v[3:4], v[3:4], v[57:58], v[59:60]
	buffer_store_dword v2, off, s[0:3], 0 offset:84
	buffer_store_dword v1, off, s[0:3], 0 offset:80
	;; [unrolled: 1-line block ×4, first 2 shown]
.LBB88_155:
	s_or_b32 exec_lo, exec_lo, s8
	v_mov_b32_e32 v4, s27
	v_cmp_lt_u32_e64 s5, 4, v0
	s_clause 0x3
	buffer_load_dword v1, v4, s[0:3], 0 offen
	buffer_load_dword v2, v4, s[0:3], 0 offen offset:4
	buffer_load_dword v3, v4, s[0:3], 0 offen offset:8
	buffer_load_dword v4, v4, s[0:3], 0 offen offset:12
	s_waitcnt vmcnt(0)
	ds_write_b128 v56, v[1:4]
	s_waitcnt lgkmcnt(0)
	s_waitcnt_vscnt null, 0x0
	s_barrier
	buffer_gl0_inv
	s_and_saveexec_b32 s8, s5
	s_cbranch_execz .LBB88_163
; %bb.156:
	ds_read_b128 v[1:4], v56
	s_andn2_b32 vcc_lo, exec_lo, s31
	s_cbranch_vccnz .LBB88_158
; %bb.157:
	s_clause 0x3
	buffer_load_dword v57, v55, s[0:3], 0 offen offset:8
	buffer_load_dword v58, v55, s[0:3], 0 offen offset:12
	buffer_load_dword v59, v55, s[0:3], 0 offen
	buffer_load_dword v60, v55, s[0:3], 0 offen offset:4
	s_waitcnt vmcnt(2) lgkmcnt(0)
	v_mul_f64 v[62:63], v[3:4], v[57:58]
	v_mul_f64 v[57:58], v[1:2], v[57:58]
	s_waitcnt vmcnt(0)
	v_fma_f64 v[1:2], v[1:2], v[59:60], -v[62:63]
	v_fma_f64 v[3:4], v[3:4], v[59:60], v[57:58]
.LBB88_158:
	s_and_saveexec_b32 s33, s4
	s_cbranch_execz .LBB88_162
; %bb.159:
	v_add_nc_u32_e32 v57, -5, v0
	s_movk_i32 s34, 0x1e0
	s_mov_b32 s4, 0
	s_mov_b32 s35, s26
	.p2align	6
.LBB88_160:                             ; =>This Inner Loop Header: Depth=1
	v_mov_b32_e32 v60, s35
	v_add_nc_u32_e32 v57, -1, v57
	s_add_i32 s35, s35, 16
	s_clause 0x3
	buffer_load_dword v58, v60, s[0:3], 0 offen offset:8
	buffer_load_dword v59, v60, s[0:3], 0 offen offset:12
	buffer_load_dword v66, v60, s[0:3], 0 offen
	buffer_load_dword v67, v60, s[0:3], 0 offen offset:4
	v_mov_b32_e32 v60, s34
	v_cmp_eq_u32_e32 vcc_lo, 0, v57
	s_add_i32 s34, s34, 16
	ds_read_b128 v[62:65], v60
	s_or_b32 s4, vcc_lo, s4
	s_waitcnt vmcnt(2) lgkmcnt(0)
	v_mul_f64 v[68:69], v[64:65], v[58:59]
	v_mul_f64 v[58:59], v[62:63], v[58:59]
	s_waitcnt vmcnt(0)
	v_fma_f64 v[62:63], v[62:63], v[66:67], -v[68:69]
	v_fma_f64 v[58:59], v[64:65], v[66:67], v[58:59]
	v_add_f64 v[1:2], v[1:2], v[62:63]
	v_add_f64 v[3:4], v[3:4], v[58:59]
	s_andn2_b32 exec_lo, exec_lo, s4
	s_cbranch_execnz .LBB88_160
; %bb.161:
	s_or_b32 exec_lo, exec_lo, s4
.LBB88_162:
	s_or_b32 exec_lo, exec_lo, s33
	v_mov_b32_e32 v57, 0
	ds_read_b128 v[57:60], v57 offset:64
	s_waitcnt lgkmcnt(0)
	v_mul_f64 v[62:63], v[3:4], v[59:60]
	v_mul_f64 v[59:60], v[1:2], v[59:60]
	v_fma_f64 v[1:2], v[1:2], v[57:58], -v[62:63]
	v_fma_f64 v[3:4], v[3:4], v[57:58], v[59:60]
	buffer_store_dword v2, off, s[0:3], 0 offset:68
	buffer_store_dword v1, off, s[0:3], 0 offset:64
	;; [unrolled: 1-line block ×4, first 2 shown]
.LBB88_163:
	s_or_b32 exec_lo, exec_lo, s8
	v_mov_b32_e32 v4, s28
	v_cmp_lt_u32_e64 s4, 3, v0
	s_clause 0x3
	buffer_load_dword v1, v4, s[0:3], 0 offen
	buffer_load_dword v2, v4, s[0:3], 0 offen offset:4
	buffer_load_dword v3, v4, s[0:3], 0 offen offset:8
	;; [unrolled: 1-line block ×3, first 2 shown]
	s_waitcnt vmcnt(0)
	ds_write_b128 v56, v[1:4]
	s_waitcnt lgkmcnt(0)
	s_waitcnt_vscnt null, 0x0
	s_barrier
	buffer_gl0_inv
	s_and_saveexec_b32 s8, s4
	s_cbranch_execz .LBB88_171
; %bb.164:
	ds_read_b128 v[1:4], v56
	s_andn2_b32 vcc_lo, exec_lo, s31
	s_cbranch_vccnz .LBB88_166
; %bb.165:
	s_clause 0x3
	buffer_load_dword v57, v55, s[0:3], 0 offen offset:8
	buffer_load_dword v58, v55, s[0:3], 0 offen offset:12
	buffer_load_dword v59, v55, s[0:3], 0 offen
	buffer_load_dword v60, v55, s[0:3], 0 offen offset:4
	s_waitcnt vmcnt(2) lgkmcnt(0)
	v_mul_f64 v[62:63], v[3:4], v[57:58]
	v_mul_f64 v[57:58], v[1:2], v[57:58]
	s_waitcnt vmcnt(0)
	v_fma_f64 v[1:2], v[1:2], v[59:60], -v[62:63]
	v_fma_f64 v[3:4], v[3:4], v[59:60], v[57:58]
.LBB88_166:
	s_and_saveexec_b32 s33, s5
	s_cbranch_execz .LBB88_170
; %bb.167:
	v_add_nc_u32_e32 v57, -4, v0
	s_movk_i32 s34, 0x1d0
	s_mov_b32 s5, 0
	s_mov_b32 s35, s27
	.p2align	6
.LBB88_168:                             ; =>This Inner Loop Header: Depth=1
	v_mov_b32_e32 v60, s35
	v_add_nc_u32_e32 v57, -1, v57
	s_add_i32 s35, s35, 16
	s_clause 0x3
	buffer_load_dword v58, v60, s[0:3], 0 offen offset:8
	buffer_load_dword v59, v60, s[0:3], 0 offen offset:12
	buffer_load_dword v66, v60, s[0:3], 0 offen
	buffer_load_dword v67, v60, s[0:3], 0 offen offset:4
	v_mov_b32_e32 v60, s34
	v_cmp_eq_u32_e32 vcc_lo, 0, v57
	s_add_i32 s34, s34, 16
	ds_read_b128 v[62:65], v60
	s_or_b32 s5, vcc_lo, s5
	s_waitcnt vmcnt(2) lgkmcnt(0)
	v_mul_f64 v[68:69], v[64:65], v[58:59]
	v_mul_f64 v[58:59], v[62:63], v[58:59]
	s_waitcnt vmcnt(0)
	v_fma_f64 v[62:63], v[62:63], v[66:67], -v[68:69]
	v_fma_f64 v[58:59], v[64:65], v[66:67], v[58:59]
	v_add_f64 v[1:2], v[1:2], v[62:63]
	v_add_f64 v[3:4], v[3:4], v[58:59]
	s_andn2_b32 exec_lo, exec_lo, s5
	s_cbranch_execnz .LBB88_168
; %bb.169:
	s_or_b32 exec_lo, exec_lo, s5
.LBB88_170:
	s_or_b32 exec_lo, exec_lo, s33
	v_mov_b32_e32 v57, 0
	ds_read_b128 v[57:60], v57 offset:48
	s_waitcnt lgkmcnt(0)
	v_mul_f64 v[62:63], v[3:4], v[59:60]
	v_mul_f64 v[59:60], v[1:2], v[59:60]
	v_fma_f64 v[1:2], v[1:2], v[57:58], -v[62:63]
	v_fma_f64 v[3:4], v[3:4], v[57:58], v[59:60]
	buffer_store_dword v2, off, s[0:3], 0 offset:52
	buffer_store_dword v1, off, s[0:3], 0 offset:48
	;; [unrolled: 1-line block ×4, first 2 shown]
.LBB88_171:
	s_or_b32 exec_lo, exec_lo, s8
	v_mov_b32_e32 v4, s29
	v_cmp_lt_u32_e64 s5, 2, v0
	s_clause 0x3
	buffer_load_dword v1, v4, s[0:3], 0 offen
	buffer_load_dword v2, v4, s[0:3], 0 offen offset:4
	buffer_load_dword v3, v4, s[0:3], 0 offen offset:8
	;; [unrolled: 1-line block ×3, first 2 shown]
	s_waitcnt vmcnt(0)
	ds_write_b128 v56, v[1:4]
	s_waitcnt lgkmcnt(0)
	s_waitcnt_vscnt null, 0x0
	s_barrier
	buffer_gl0_inv
	s_and_saveexec_b32 s8, s5
	s_cbranch_execz .LBB88_179
; %bb.172:
	ds_read_b128 v[1:4], v56
	s_andn2_b32 vcc_lo, exec_lo, s31
	s_cbranch_vccnz .LBB88_174
; %bb.173:
	s_clause 0x3
	buffer_load_dword v57, v55, s[0:3], 0 offen offset:8
	buffer_load_dword v58, v55, s[0:3], 0 offen offset:12
	buffer_load_dword v59, v55, s[0:3], 0 offen
	buffer_load_dword v60, v55, s[0:3], 0 offen offset:4
	s_waitcnt vmcnt(2) lgkmcnt(0)
	v_mul_f64 v[62:63], v[3:4], v[57:58]
	v_mul_f64 v[57:58], v[1:2], v[57:58]
	s_waitcnt vmcnt(0)
	v_fma_f64 v[1:2], v[1:2], v[59:60], -v[62:63]
	v_fma_f64 v[3:4], v[3:4], v[59:60], v[57:58]
.LBB88_174:
	s_and_saveexec_b32 s33, s4
	s_cbranch_execz .LBB88_178
; %bb.175:
	v_add_nc_u32_e32 v57, -3, v0
	s_movk_i32 s34, 0x1c0
	s_mov_b32 s4, 0
	s_mov_b32 s35, s28
	.p2align	6
.LBB88_176:                             ; =>This Inner Loop Header: Depth=1
	v_mov_b32_e32 v60, s35
	v_add_nc_u32_e32 v57, -1, v57
	s_add_i32 s35, s35, 16
	s_clause 0x3
	buffer_load_dword v58, v60, s[0:3], 0 offen offset:8
	buffer_load_dword v59, v60, s[0:3], 0 offen offset:12
	buffer_load_dword v66, v60, s[0:3], 0 offen
	buffer_load_dword v67, v60, s[0:3], 0 offen offset:4
	v_mov_b32_e32 v60, s34
	v_cmp_eq_u32_e32 vcc_lo, 0, v57
	s_add_i32 s34, s34, 16
	ds_read_b128 v[62:65], v60
	s_or_b32 s4, vcc_lo, s4
	s_waitcnt vmcnt(2) lgkmcnt(0)
	v_mul_f64 v[68:69], v[64:65], v[58:59]
	v_mul_f64 v[58:59], v[62:63], v[58:59]
	s_waitcnt vmcnt(0)
	v_fma_f64 v[62:63], v[62:63], v[66:67], -v[68:69]
	v_fma_f64 v[58:59], v[64:65], v[66:67], v[58:59]
	v_add_f64 v[1:2], v[1:2], v[62:63]
	v_add_f64 v[3:4], v[3:4], v[58:59]
	s_andn2_b32 exec_lo, exec_lo, s4
	s_cbranch_execnz .LBB88_176
; %bb.177:
	s_or_b32 exec_lo, exec_lo, s4
.LBB88_178:
	s_or_b32 exec_lo, exec_lo, s33
	v_mov_b32_e32 v57, 0
	ds_read_b128 v[57:60], v57 offset:32
	s_waitcnt lgkmcnt(0)
	v_mul_f64 v[62:63], v[3:4], v[59:60]
	v_mul_f64 v[59:60], v[1:2], v[59:60]
	v_fma_f64 v[1:2], v[1:2], v[57:58], -v[62:63]
	v_fma_f64 v[3:4], v[3:4], v[57:58], v[59:60]
	buffer_store_dword v2, off, s[0:3], 0 offset:36
	buffer_store_dword v1, off, s[0:3], 0 offset:32
	buffer_store_dword v4, off, s[0:3], 0 offset:44
	buffer_store_dword v3, off, s[0:3], 0 offset:40
.LBB88_179:
	s_or_b32 exec_lo, exec_lo, s8
	v_mov_b32_e32 v4, s30
	v_cmp_lt_u32_e64 s4, 1, v0
	s_clause 0x3
	buffer_load_dword v1, v4, s[0:3], 0 offen
	buffer_load_dword v2, v4, s[0:3], 0 offen offset:4
	buffer_load_dword v3, v4, s[0:3], 0 offen offset:8
	;; [unrolled: 1-line block ×3, first 2 shown]
	s_waitcnt vmcnt(0)
	ds_write_b128 v56, v[1:4]
	s_waitcnt lgkmcnt(0)
	s_waitcnt_vscnt null, 0x0
	s_barrier
	buffer_gl0_inv
	s_and_saveexec_b32 s8, s4
	s_cbranch_execz .LBB88_187
; %bb.180:
	ds_read_b128 v[1:4], v56
	s_andn2_b32 vcc_lo, exec_lo, s31
	s_cbranch_vccnz .LBB88_182
; %bb.181:
	s_clause 0x3
	buffer_load_dword v57, v55, s[0:3], 0 offen offset:8
	buffer_load_dword v58, v55, s[0:3], 0 offen offset:12
	buffer_load_dword v59, v55, s[0:3], 0 offen
	buffer_load_dword v60, v55, s[0:3], 0 offen offset:4
	s_waitcnt vmcnt(2) lgkmcnt(0)
	v_mul_f64 v[62:63], v[3:4], v[57:58]
	v_mul_f64 v[57:58], v[1:2], v[57:58]
	s_waitcnt vmcnt(0)
	v_fma_f64 v[1:2], v[1:2], v[59:60], -v[62:63]
	v_fma_f64 v[3:4], v[3:4], v[59:60], v[57:58]
.LBB88_182:
	s_and_saveexec_b32 s33, s5
	s_cbranch_execz .LBB88_186
; %bb.183:
	v_add_nc_u32_e32 v57, -2, v0
	s_movk_i32 s34, 0x1b0
	s_mov_b32 s5, 0
	s_mov_b32 s35, s29
	.p2align	6
.LBB88_184:                             ; =>This Inner Loop Header: Depth=1
	v_mov_b32_e32 v60, s35
	v_add_nc_u32_e32 v57, -1, v57
	s_add_i32 s35, s35, 16
	s_clause 0x3
	buffer_load_dword v58, v60, s[0:3], 0 offen offset:8
	buffer_load_dword v59, v60, s[0:3], 0 offen offset:12
	buffer_load_dword v66, v60, s[0:3], 0 offen
	buffer_load_dword v67, v60, s[0:3], 0 offen offset:4
	v_mov_b32_e32 v60, s34
	v_cmp_eq_u32_e32 vcc_lo, 0, v57
	s_add_i32 s34, s34, 16
	ds_read_b128 v[62:65], v60
	s_or_b32 s5, vcc_lo, s5
	s_waitcnt vmcnt(2) lgkmcnt(0)
	v_mul_f64 v[68:69], v[64:65], v[58:59]
	v_mul_f64 v[58:59], v[62:63], v[58:59]
	s_waitcnt vmcnt(0)
	v_fma_f64 v[62:63], v[62:63], v[66:67], -v[68:69]
	v_fma_f64 v[58:59], v[64:65], v[66:67], v[58:59]
	v_add_f64 v[1:2], v[1:2], v[62:63]
	v_add_f64 v[3:4], v[3:4], v[58:59]
	s_andn2_b32 exec_lo, exec_lo, s5
	s_cbranch_execnz .LBB88_184
; %bb.185:
	s_or_b32 exec_lo, exec_lo, s5
.LBB88_186:
	s_or_b32 exec_lo, exec_lo, s33
	v_mov_b32_e32 v57, 0
	ds_read_b128 v[57:60], v57 offset:16
	s_waitcnt lgkmcnt(0)
	v_mul_f64 v[62:63], v[3:4], v[59:60]
	v_mul_f64 v[59:60], v[1:2], v[59:60]
	v_fma_f64 v[1:2], v[1:2], v[57:58], -v[62:63]
	v_fma_f64 v[3:4], v[3:4], v[57:58], v[59:60]
	buffer_store_dword v2, off, s[0:3], 0 offset:20
	buffer_store_dword v1, off, s[0:3], 0 offset:16
	;; [unrolled: 1-line block ×4, first 2 shown]
.LBB88_187:
	s_or_b32 exec_lo, exec_lo, s8
	s_clause 0x3
	buffer_load_dword v1, off, s[0:3], 0
	buffer_load_dword v2, off, s[0:3], 0 offset:4
	buffer_load_dword v3, off, s[0:3], 0 offset:8
	;; [unrolled: 1-line block ×3, first 2 shown]
	s_mov_b32 s8, 0
	s_mov_b32 s5, 0
	s_mov_b32 s33, exec_lo
                                        ; implicit-def: $sgpr34
	s_waitcnt vmcnt(0)
	ds_write_b128 v56, v[1:4]
	s_waitcnt lgkmcnt(0)
	s_waitcnt_vscnt null, 0x0
	s_barrier
	buffer_gl0_inv
                                        ; implicit-def: $vgpr1_vgpr2
	v_cmpx_ne_u32_e32 0, v0
	s_cbranch_execz .LBB88_195
; %bb.188:
	ds_read_b128 v[1:4], v56
	s_andn2_b32 vcc_lo, exec_lo, s31
	s_cbranch_vccnz .LBB88_190
; %bb.189:
	s_clause 0x3
	buffer_load_dword v57, v55, s[0:3], 0 offen offset:8
	buffer_load_dword v58, v55, s[0:3], 0 offen offset:12
	buffer_load_dword v59, v55, s[0:3], 0 offen
	buffer_load_dword v60, v55, s[0:3], 0 offen offset:4
	s_waitcnt vmcnt(2) lgkmcnt(0)
	v_mul_f64 v[62:63], v[3:4], v[57:58]
	v_mul_f64 v[57:58], v[1:2], v[57:58]
	s_waitcnt vmcnt(0)
	v_fma_f64 v[1:2], v[1:2], v[59:60], -v[62:63]
	v_fma_f64 v[3:4], v[3:4], v[59:60], v[57:58]
.LBB88_190:
	s_and_saveexec_b32 s5, s4
	s_cbranch_execz .LBB88_194
; %bb.191:
	v_add_nc_u32_e32 v57, -1, v0
	s_movk_i32 s34, 0x1a0
	s_mov_b32 s4, 0
	s_mov_b32 s35, s30
	.p2align	6
.LBB88_192:                             ; =>This Inner Loop Header: Depth=1
	v_mov_b32_e32 v60, s35
	v_add_nc_u32_e32 v57, -1, v57
	s_add_i32 s35, s35, 16
	s_clause 0x3
	buffer_load_dword v58, v60, s[0:3], 0 offen offset:8
	buffer_load_dword v59, v60, s[0:3], 0 offen offset:12
	buffer_load_dword v66, v60, s[0:3], 0 offen
	buffer_load_dword v67, v60, s[0:3], 0 offen offset:4
	v_mov_b32_e32 v60, s34
	v_cmp_eq_u32_e32 vcc_lo, 0, v57
	s_add_i32 s34, s34, 16
	ds_read_b128 v[62:65], v60
	s_or_b32 s4, vcc_lo, s4
	s_waitcnt vmcnt(2) lgkmcnt(0)
	v_mul_f64 v[68:69], v[64:65], v[58:59]
	v_mul_f64 v[58:59], v[62:63], v[58:59]
	s_waitcnt vmcnt(0)
	v_fma_f64 v[62:63], v[62:63], v[66:67], -v[68:69]
	v_fma_f64 v[58:59], v[64:65], v[66:67], v[58:59]
	v_add_f64 v[1:2], v[1:2], v[62:63]
	v_add_f64 v[3:4], v[3:4], v[58:59]
	s_andn2_b32 exec_lo, exec_lo, s4
	s_cbranch_execnz .LBB88_192
; %bb.193:
	s_or_b32 exec_lo, exec_lo, s4
.LBB88_194:
	s_or_b32 exec_lo, exec_lo, s5
	v_mov_b32_e32 v57, 0
	s_mov_b32 s5, exec_lo
	s_or_b32 s34, 0, 8
	ds_read_b128 v[57:60], v57
	s_waitcnt lgkmcnt(0)
	v_mul_f64 v[62:63], v[3:4], v[59:60]
	v_mul_f64 v[59:60], v[1:2], v[59:60]
	v_fma_f64 v[62:63], v[1:2], v[57:58], -v[62:63]
	v_fma_f64 v[1:2], v[3:4], v[57:58], v[59:60]
	buffer_store_dword v63, off, s[0:3], 0 offset:4
	buffer_store_dword v62, off, s[0:3], 0
.LBB88_195:
	s_or_b32 exec_lo, exec_lo, s33
	s_and_b32 vcc_lo, exec_lo, s8
	s_cbranch_vccnz .LBB88_197
	s_branch .LBB88_384
.LBB88_196:
	s_mov_b32 s5, 0
                                        ; implicit-def: $vgpr1_vgpr2
                                        ; implicit-def: $sgpr34
	s_cbranch_execz .LBB88_384
.LBB88_197:
	v_mov_b32_e32 v4, s30
	v_cmp_eq_u32_e64 s4, 0, v0
	v_cndmask_b32_e64 v57, 0, 1, s31
	s_clause 0x3
	buffer_load_dword v1, v4, s[0:3], 0 offen
	buffer_load_dword v2, v4, s[0:3], 0 offen offset:4
	buffer_load_dword v3, v4, s[0:3], 0 offen offset:8
	;; [unrolled: 1-line block ×3, first 2 shown]
	s_waitcnt vmcnt(0)
	ds_write_b128 v56, v[1:4]
	s_waitcnt lgkmcnt(0)
	s_waitcnt_vscnt null, 0x0
	s_barrier
	buffer_gl0_inv
	s_and_saveexec_b32 s8, s4
	s_cbranch_execz .LBB88_201
; %bb.198:
	ds_read_b128 v[1:4], v56
	s_andn2_b32 vcc_lo, exec_lo, s31
	s_cbranch_vccnz .LBB88_200
; %bb.199:
	s_clause 0x3
	buffer_load_dword v58, v55, s[0:3], 0 offen offset:8
	buffer_load_dword v59, v55, s[0:3], 0 offen offset:12
	buffer_load_dword v62, v55, s[0:3], 0 offen
	buffer_load_dword v63, v55, s[0:3], 0 offen offset:4
	s_waitcnt vmcnt(2) lgkmcnt(0)
	v_mul_f64 v[64:65], v[3:4], v[58:59]
	v_mul_f64 v[58:59], v[1:2], v[58:59]
	s_waitcnt vmcnt(0)
	v_fma_f64 v[1:2], v[1:2], v[62:63], -v[64:65]
	v_fma_f64 v[3:4], v[3:4], v[62:63], v[58:59]
.LBB88_200:
	v_mov_b32_e32 v58, 0
	ds_read_b128 v[62:65], v58 offset:16
	s_waitcnt lgkmcnt(0)
	v_mul_f64 v[58:59], v[3:4], v[64:65]
	v_mul_f64 v[64:65], v[1:2], v[64:65]
	v_fma_f64 v[1:2], v[1:2], v[62:63], -v[58:59]
	v_fma_f64 v[3:4], v[3:4], v[62:63], v[64:65]
	buffer_store_dword v2, off, s[0:3], 0 offset:20
	buffer_store_dword v1, off, s[0:3], 0 offset:16
	buffer_store_dword v4, off, s[0:3], 0 offset:28
	buffer_store_dword v3, off, s[0:3], 0 offset:24
.LBB88_201:
	s_or_b32 exec_lo, exec_lo, s8
	v_mov_b32_e32 v4, s29
	s_mov_b32 s8, exec_lo
	s_clause 0x3
	buffer_load_dword v1, v4, s[0:3], 0 offen
	buffer_load_dword v2, v4, s[0:3], 0 offen offset:4
	buffer_load_dword v3, v4, s[0:3], 0 offen offset:8
	;; [unrolled: 1-line block ×3, first 2 shown]
	s_waitcnt vmcnt(0)
	ds_write_b128 v56, v[1:4]
	s_waitcnt lgkmcnt(0)
	s_waitcnt_vscnt null, 0x0
	s_barrier
	buffer_gl0_inv
	v_cmpx_gt_u32_e32 2, v0
	s_cbranch_execz .LBB88_207
; %bb.202:
	ds_read_b128 v[1:4], v56
	v_cmp_ne_u32_e32 vcc_lo, 1, v57
	s_cbranch_vccnz .LBB88_204
; %bb.203:
	s_clause 0x3
	buffer_load_dword v58, v55, s[0:3], 0 offen offset:8
	buffer_load_dword v59, v55, s[0:3], 0 offen offset:12
	buffer_load_dword v62, v55, s[0:3], 0 offen
	buffer_load_dword v63, v55, s[0:3], 0 offen offset:4
	s_waitcnt vmcnt(2) lgkmcnt(0)
	v_mul_f64 v[64:65], v[3:4], v[58:59]
	v_mul_f64 v[58:59], v[1:2], v[58:59]
	s_waitcnt vmcnt(0)
	v_fma_f64 v[1:2], v[1:2], v[62:63], -v[64:65]
	v_fma_f64 v[3:4], v[3:4], v[62:63], v[58:59]
.LBB88_204:
	s_and_saveexec_b32 s31, s4
	s_cbranch_execz .LBB88_206
; %bb.205:
	s_clause 0x3
	buffer_load_dword v58, off, s[0:3], 0 offset:24
	buffer_load_dword v59, off, s[0:3], 0 offset:28
	;; [unrolled: 1-line block ×4, first 2 shown]
	v_mov_b32_e32 v60, 0
	ds_read_b128 v[62:65], v60 offset:416
	s_waitcnt vmcnt(2) lgkmcnt(0)
	v_mul_f64 v[68:69], v[64:65], v[58:59]
	v_mul_f64 v[58:59], v[62:63], v[58:59]
	s_waitcnt vmcnt(0)
	v_fma_f64 v[62:63], v[62:63], v[66:67], -v[68:69]
	v_fma_f64 v[58:59], v[64:65], v[66:67], v[58:59]
	v_add_f64 v[1:2], v[1:2], v[62:63]
	v_add_f64 v[3:4], v[3:4], v[58:59]
.LBB88_206:
	s_or_b32 exec_lo, exec_lo, s31
	v_mov_b32_e32 v58, 0
	ds_read_b128 v[62:65], v58 offset:32
	s_waitcnt lgkmcnt(0)
	v_mul_f64 v[58:59], v[3:4], v[64:65]
	v_mul_f64 v[64:65], v[1:2], v[64:65]
	v_fma_f64 v[1:2], v[1:2], v[62:63], -v[58:59]
	v_fma_f64 v[3:4], v[3:4], v[62:63], v[64:65]
	buffer_store_dword v2, off, s[0:3], 0 offset:36
	buffer_store_dword v1, off, s[0:3], 0 offset:32
	;; [unrolled: 1-line block ×4, first 2 shown]
.LBB88_207:
	s_or_b32 exec_lo, exec_lo, s8
	v_mov_b32_e32 v4, s28
	s_mov_b32 s8, exec_lo
	s_clause 0x3
	buffer_load_dword v1, v4, s[0:3], 0 offen
	buffer_load_dword v2, v4, s[0:3], 0 offen offset:4
	buffer_load_dword v3, v4, s[0:3], 0 offen offset:8
	buffer_load_dword v4, v4, s[0:3], 0 offen offset:12
	s_waitcnt vmcnt(0)
	ds_write_b128 v56, v[1:4]
	s_waitcnt lgkmcnt(0)
	s_waitcnt_vscnt null, 0x0
	s_barrier
	buffer_gl0_inv
	v_cmpx_gt_u32_e32 3, v0
	s_cbranch_execz .LBB88_215
; %bb.208:
	ds_read_b128 v[1:4], v56
	v_cmp_ne_u32_e32 vcc_lo, 1, v57
	s_cbranch_vccnz .LBB88_210
; %bb.209:
	s_clause 0x3
	buffer_load_dword v58, v55, s[0:3], 0 offen offset:8
	buffer_load_dword v59, v55, s[0:3], 0 offen offset:12
	buffer_load_dword v62, v55, s[0:3], 0 offen
	buffer_load_dword v63, v55, s[0:3], 0 offen offset:4
	s_waitcnt vmcnt(2) lgkmcnt(0)
	v_mul_f64 v[64:65], v[3:4], v[58:59]
	v_mul_f64 v[58:59], v[1:2], v[58:59]
	s_waitcnt vmcnt(0)
	v_fma_f64 v[1:2], v[1:2], v[62:63], -v[64:65]
	v_fma_f64 v[3:4], v[3:4], v[62:63], v[58:59]
.LBB88_210:
	s_mov_b32 s31, exec_lo
	v_cmpx_ne_u32_e32 2, v0
	s_cbranch_execz .LBB88_214
; %bb.211:
	s_clause 0x3
	buffer_load_dword v58, v55, s[0:3], 0 offen offset:24
	buffer_load_dword v59, v55, s[0:3], 0 offen offset:28
	;; [unrolled: 1-line block ×4, first 2 shown]
	ds_read_b128 v[62:65], v56 offset:16
	s_waitcnt vmcnt(2) lgkmcnt(0)
	v_mul_f64 v[68:69], v[64:65], v[58:59]
	v_mul_f64 v[58:59], v[62:63], v[58:59]
	s_waitcnt vmcnt(0)
	v_fma_f64 v[62:63], v[62:63], v[66:67], -v[68:69]
	v_fma_f64 v[58:59], v[64:65], v[66:67], v[58:59]
	v_add_f64 v[1:2], v[1:2], v[62:63]
	v_add_f64 v[3:4], v[3:4], v[58:59]
	s_and_saveexec_b32 s33, s4
	s_cbranch_execz .LBB88_213
; %bb.212:
	s_clause 0x3
	buffer_load_dword v58, off, s[0:3], 0 offset:40
	buffer_load_dword v59, off, s[0:3], 0 offset:44
	;; [unrolled: 1-line block ×4, first 2 shown]
	v_mov_b32_e32 v60, 0
	ds_read_b128 v[62:65], v60 offset:432
	s_waitcnt vmcnt(2) lgkmcnt(0)
	v_mul_f64 v[68:69], v[62:63], v[58:59]
	v_mul_f64 v[58:59], v[64:65], v[58:59]
	s_waitcnt vmcnt(0)
	v_fma_f64 v[64:65], v[64:65], v[66:67], v[68:69]
	v_fma_f64 v[58:59], v[62:63], v[66:67], -v[58:59]
	v_add_f64 v[3:4], v[3:4], v[64:65]
	v_add_f64 v[1:2], v[1:2], v[58:59]
.LBB88_213:
	s_or_b32 exec_lo, exec_lo, s33
.LBB88_214:
	s_or_b32 exec_lo, exec_lo, s31
	v_mov_b32_e32 v58, 0
	ds_read_b128 v[62:65], v58 offset:48
	s_waitcnt lgkmcnt(0)
	v_mul_f64 v[58:59], v[3:4], v[64:65]
	v_mul_f64 v[64:65], v[1:2], v[64:65]
	v_fma_f64 v[1:2], v[1:2], v[62:63], -v[58:59]
	v_fma_f64 v[3:4], v[3:4], v[62:63], v[64:65]
	buffer_store_dword v2, off, s[0:3], 0 offset:52
	buffer_store_dword v1, off, s[0:3], 0 offset:48
	;; [unrolled: 1-line block ×4, first 2 shown]
.LBB88_215:
	s_or_b32 exec_lo, exec_lo, s8
	v_mov_b32_e32 v4, s27
	s_mov_b32 s4, exec_lo
	s_clause 0x3
	buffer_load_dword v1, v4, s[0:3], 0 offen
	buffer_load_dword v2, v4, s[0:3], 0 offen offset:4
	buffer_load_dword v3, v4, s[0:3], 0 offen offset:8
	;; [unrolled: 1-line block ×3, first 2 shown]
	s_waitcnt vmcnt(0)
	ds_write_b128 v56, v[1:4]
	s_waitcnt lgkmcnt(0)
	s_waitcnt_vscnt null, 0x0
	s_barrier
	buffer_gl0_inv
	v_cmpx_gt_u32_e32 4, v0
	s_cbranch_execz .LBB88_223
; %bb.216:
	ds_read_b128 v[1:4], v56
	v_cmp_ne_u32_e32 vcc_lo, 1, v57
	s_cbranch_vccnz .LBB88_218
; %bb.217:
	s_clause 0x3
	buffer_load_dword v58, v55, s[0:3], 0 offen offset:8
	buffer_load_dword v59, v55, s[0:3], 0 offen offset:12
	buffer_load_dword v62, v55, s[0:3], 0 offen
	buffer_load_dword v63, v55, s[0:3], 0 offen offset:4
	s_waitcnt vmcnt(2) lgkmcnt(0)
	v_mul_f64 v[64:65], v[3:4], v[58:59]
	v_mul_f64 v[58:59], v[1:2], v[58:59]
	s_waitcnt vmcnt(0)
	v_fma_f64 v[1:2], v[1:2], v[62:63], -v[64:65]
	v_fma_f64 v[3:4], v[3:4], v[62:63], v[58:59]
.LBB88_218:
	s_mov_b32 s8, exec_lo
	v_cmpx_ne_u32_e32 3, v0
	s_cbranch_execz .LBB88_222
; %bb.219:
	v_add_nc_u32_e32 v58, 0x1a0, v61
	v_add3_u32 v59, 0, v61, 16
	v_mov_b32_e32 v60, v0
	s_mov_b32 s31, 0
	.p2align	6
.LBB88_220:                             ; =>This Inner Loop Header: Depth=1
	s_clause 0x3
	buffer_load_dword v66, v59, s[0:3], 0 offen offset:8
	buffer_load_dword v67, v59, s[0:3], 0 offen offset:12
	buffer_load_dword v68, v59, s[0:3], 0 offen
	buffer_load_dword v69, v59, s[0:3], 0 offen offset:4
	ds_read_b128 v[62:65], v58
	v_add_nc_u32_e32 v60, 1, v60
	v_add_nc_u32_e32 v58, 16, v58
	;; [unrolled: 1-line block ×3, first 2 shown]
	v_cmp_lt_u32_e32 vcc_lo, 2, v60
	s_or_b32 s31, vcc_lo, s31
	s_waitcnt vmcnt(2) lgkmcnt(0)
	v_mul_f64 v[70:71], v[64:65], v[66:67]
	v_mul_f64 v[66:67], v[62:63], v[66:67]
	s_waitcnt vmcnt(0)
	v_fma_f64 v[62:63], v[62:63], v[68:69], -v[70:71]
	v_fma_f64 v[64:65], v[64:65], v[68:69], v[66:67]
	v_add_f64 v[1:2], v[1:2], v[62:63]
	v_add_f64 v[3:4], v[3:4], v[64:65]
	s_andn2_b32 exec_lo, exec_lo, s31
	s_cbranch_execnz .LBB88_220
; %bb.221:
	s_or_b32 exec_lo, exec_lo, s31
.LBB88_222:
	s_or_b32 exec_lo, exec_lo, s8
	v_mov_b32_e32 v58, 0
	ds_read_b128 v[62:65], v58 offset:64
	s_waitcnt lgkmcnt(0)
	v_mul_f64 v[58:59], v[3:4], v[64:65]
	v_mul_f64 v[64:65], v[1:2], v[64:65]
	v_fma_f64 v[1:2], v[1:2], v[62:63], -v[58:59]
	v_fma_f64 v[3:4], v[3:4], v[62:63], v[64:65]
	buffer_store_dword v2, off, s[0:3], 0 offset:68
	buffer_store_dword v1, off, s[0:3], 0 offset:64
	;; [unrolled: 1-line block ×4, first 2 shown]
.LBB88_223:
	s_or_b32 exec_lo, exec_lo, s4
	v_mov_b32_e32 v4, s26
	s_mov_b32 s4, exec_lo
	s_clause 0x3
	buffer_load_dword v1, v4, s[0:3], 0 offen
	buffer_load_dword v2, v4, s[0:3], 0 offen offset:4
	buffer_load_dword v3, v4, s[0:3], 0 offen offset:8
	;; [unrolled: 1-line block ×3, first 2 shown]
	s_waitcnt vmcnt(0)
	ds_write_b128 v56, v[1:4]
	s_waitcnt lgkmcnt(0)
	s_waitcnt_vscnt null, 0x0
	s_barrier
	buffer_gl0_inv
	v_cmpx_gt_u32_e32 5, v0
	s_cbranch_execz .LBB88_231
; %bb.224:
	ds_read_b128 v[1:4], v56
	v_cmp_ne_u32_e32 vcc_lo, 1, v57
	s_cbranch_vccnz .LBB88_226
; %bb.225:
	s_clause 0x3
	buffer_load_dword v58, v55, s[0:3], 0 offen offset:8
	buffer_load_dword v59, v55, s[0:3], 0 offen offset:12
	buffer_load_dword v62, v55, s[0:3], 0 offen
	buffer_load_dword v63, v55, s[0:3], 0 offen offset:4
	s_waitcnt vmcnt(2) lgkmcnt(0)
	v_mul_f64 v[64:65], v[3:4], v[58:59]
	v_mul_f64 v[58:59], v[1:2], v[58:59]
	s_waitcnt vmcnt(0)
	v_fma_f64 v[1:2], v[1:2], v[62:63], -v[64:65]
	v_fma_f64 v[3:4], v[3:4], v[62:63], v[58:59]
.LBB88_226:
	s_mov_b32 s8, exec_lo
	v_cmpx_ne_u32_e32 4, v0
	s_cbranch_execz .LBB88_230
; %bb.227:
	v_add_nc_u32_e32 v58, 0x1a0, v61
	v_add3_u32 v59, 0, v61, 16
	v_mov_b32_e32 v60, v0
	s_mov_b32 s31, 0
	.p2align	6
.LBB88_228:                             ; =>This Inner Loop Header: Depth=1
	s_clause 0x3
	buffer_load_dword v66, v59, s[0:3], 0 offen offset:8
	buffer_load_dword v67, v59, s[0:3], 0 offen offset:12
	buffer_load_dword v68, v59, s[0:3], 0 offen
	buffer_load_dword v69, v59, s[0:3], 0 offen offset:4
	ds_read_b128 v[62:65], v58
	v_add_nc_u32_e32 v60, 1, v60
	v_add_nc_u32_e32 v58, 16, v58
	;; [unrolled: 1-line block ×3, first 2 shown]
	v_cmp_lt_u32_e32 vcc_lo, 3, v60
	s_or_b32 s31, vcc_lo, s31
	s_waitcnt vmcnt(2) lgkmcnt(0)
	v_mul_f64 v[70:71], v[64:65], v[66:67]
	v_mul_f64 v[66:67], v[62:63], v[66:67]
	s_waitcnt vmcnt(0)
	v_fma_f64 v[62:63], v[62:63], v[68:69], -v[70:71]
	v_fma_f64 v[64:65], v[64:65], v[68:69], v[66:67]
	v_add_f64 v[1:2], v[1:2], v[62:63]
	v_add_f64 v[3:4], v[3:4], v[64:65]
	s_andn2_b32 exec_lo, exec_lo, s31
	s_cbranch_execnz .LBB88_228
; %bb.229:
	s_or_b32 exec_lo, exec_lo, s31
.LBB88_230:
	s_or_b32 exec_lo, exec_lo, s8
	v_mov_b32_e32 v58, 0
	ds_read_b128 v[62:65], v58 offset:80
	s_waitcnt lgkmcnt(0)
	v_mul_f64 v[58:59], v[3:4], v[64:65]
	v_mul_f64 v[64:65], v[1:2], v[64:65]
	v_fma_f64 v[1:2], v[1:2], v[62:63], -v[58:59]
	v_fma_f64 v[3:4], v[3:4], v[62:63], v[64:65]
	buffer_store_dword v2, off, s[0:3], 0 offset:84
	buffer_store_dword v1, off, s[0:3], 0 offset:80
	;; [unrolled: 1-line block ×4, first 2 shown]
.LBB88_231:
	s_or_b32 exec_lo, exec_lo, s4
	v_mov_b32_e32 v4, s25
	s_mov_b32 s4, exec_lo
	s_clause 0x3
	buffer_load_dword v1, v4, s[0:3], 0 offen
	buffer_load_dword v2, v4, s[0:3], 0 offen offset:4
	buffer_load_dword v3, v4, s[0:3], 0 offen offset:8
	;; [unrolled: 1-line block ×3, first 2 shown]
	s_waitcnt vmcnt(0)
	ds_write_b128 v56, v[1:4]
	s_waitcnt lgkmcnt(0)
	s_waitcnt_vscnt null, 0x0
	s_barrier
	buffer_gl0_inv
	v_cmpx_gt_u32_e32 6, v0
	s_cbranch_execz .LBB88_239
; %bb.232:
	ds_read_b128 v[1:4], v56
	v_cmp_ne_u32_e32 vcc_lo, 1, v57
	s_cbranch_vccnz .LBB88_234
; %bb.233:
	s_clause 0x3
	buffer_load_dword v58, v55, s[0:3], 0 offen offset:8
	buffer_load_dword v59, v55, s[0:3], 0 offen offset:12
	buffer_load_dword v62, v55, s[0:3], 0 offen
	buffer_load_dword v63, v55, s[0:3], 0 offen offset:4
	s_waitcnt vmcnt(2) lgkmcnt(0)
	v_mul_f64 v[64:65], v[3:4], v[58:59]
	v_mul_f64 v[58:59], v[1:2], v[58:59]
	s_waitcnt vmcnt(0)
	v_fma_f64 v[1:2], v[1:2], v[62:63], -v[64:65]
	v_fma_f64 v[3:4], v[3:4], v[62:63], v[58:59]
.LBB88_234:
	s_mov_b32 s8, exec_lo
	v_cmpx_ne_u32_e32 5, v0
	s_cbranch_execz .LBB88_238
; %bb.235:
	v_add_nc_u32_e32 v58, 0x1a0, v61
	v_add3_u32 v59, 0, v61, 16
	v_mov_b32_e32 v60, v0
	s_mov_b32 s31, 0
	.p2align	6
.LBB88_236:                             ; =>This Inner Loop Header: Depth=1
	s_clause 0x3
	buffer_load_dword v66, v59, s[0:3], 0 offen offset:8
	buffer_load_dword v67, v59, s[0:3], 0 offen offset:12
	buffer_load_dword v68, v59, s[0:3], 0 offen
	buffer_load_dword v69, v59, s[0:3], 0 offen offset:4
	ds_read_b128 v[62:65], v58
	v_add_nc_u32_e32 v60, 1, v60
	v_add_nc_u32_e32 v58, 16, v58
	;; [unrolled: 1-line block ×3, first 2 shown]
	v_cmp_lt_u32_e32 vcc_lo, 4, v60
	s_or_b32 s31, vcc_lo, s31
	s_waitcnt vmcnt(2) lgkmcnt(0)
	v_mul_f64 v[70:71], v[64:65], v[66:67]
	v_mul_f64 v[66:67], v[62:63], v[66:67]
	s_waitcnt vmcnt(0)
	v_fma_f64 v[62:63], v[62:63], v[68:69], -v[70:71]
	v_fma_f64 v[64:65], v[64:65], v[68:69], v[66:67]
	v_add_f64 v[1:2], v[1:2], v[62:63]
	v_add_f64 v[3:4], v[3:4], v[64:65]
	s_andn2_b32 exec_lo, exec_lo, s31
	s_cbranch_execnz .LBB88_236
; %bb.237:
	s_or_b32 exec_lo, exec_lo, s31
.LBB88_238:
	s_or_b32 exec_lo, exec_lo, s8
	v_mov_b32_e32 v58, 0
	ds_read_b128 v[62:65], v58 offset:96
	s_waitcnt lgkmcnt(0)
	v_mul_f64 v[58:59], v[3:4], v[64:65]
	v_mul_f64 v[64:65], v[1:2], v[64:65]
	v_fma_f64 v[1:2], v[1:2], v[62:63], -v[58:59]
	v_fma_f64 v[3:4], v[3:4], v[62:63], v[64:65]
	buffer_store_dword v2, off, s[0:3], 0 offset:100
	buffer_store_dword v1, off, s[0:3], 0 offset:96
	;; [unrolled: 1-line block ×4, first 2 shown]
.LBB88_239:
	s_or_b32 exec_lo, exec_lo, s4
	v_mov_b32_e32 v4, s24
	s_mov_b32 s4, exec_lo
	s_clause 0x3
	buffer_load_dword v1, v4, s[0:3], 0 offen
	buffer_load_dword v2, v4, s[0:3], 0 offen offset:4
	buffer_load_dword v3, v4, s[0:3], 0 offen offset:8
	;; [unrolled: 1-line block ×3, first 2 shown]
	s_waitcnt vmcnt(0)
	ds_write_b128 v56, v[1:4]
	s_waitcnt lgkmcnt(0)
	s_waitcnt_vscnt null, 0x0
	s_barrier
	buffer_gl0_inv
	v_cmpx_gt_u32_e32 7, v0
	s_cbranch_execz .LBB88_247
; %bb.240:
	ds_read_b128 v[1:4], v56
	v_cmp_ne_u32_e32 vcc_lo, 1, v57
	s_cbranch_vccnz .LBB88_242
; %bb.241:
	s_clause 0x3
	buffer_load_dword v58, v55, s[0:3], 0 offen offset:8
	buffer_load_dword v59, v55, s[0:3], 0 offen offset:12
	buffer_load_dword v62, v55, s[0:3], 0 offen
	buffer_load_dword v63, v55, s[0:3], 0 offen offset:4
	s_waitcnt vmcnt(2) lgkmcnt(0)
	v_mul_f64 v[64:65], v[3:4], v[58:59]
	v_mul_f64 v[58:59], v[1:2], v[58:59]
	s_waitcnt vmcnt(0)
	v_fma_f64 v[1:2], v[1:2], v[62:63], -v[64:65]
	v_fma_f64 v[3:4], v[3:4], v[62:63], v[58:59]
.LBB88_242:
	s_mov_b32 s8, exec_lo
	v_cmpx_ne_u32_e32 6, v0
	s_cbranch_execz .LBB88_246
; %bb.243:
	v_add_nc_u32_e32 v58, 0x1a0, v61
	v_add3_u32 v59, 0, v61, 16
	v_mov_b32_e32 v60, v0
	s_mov_b32 s31, 0
	.p2align	6
.LBB88_244:                             ; =>This Inner Loop Header: Depth=1
	s_clause 0x3
	buffer_load_dword v66, v59, s[0:3], 0 offen offset:8
	buffer_load_dword v67, v59, s[0:3], 0 offen offset:12
	buffer_load_dword v68, v59, s[0:3], 0 offen
	buffer_load_dword v69, v59, s[0:3], 0 offen offset:4
	ds_read_b128 v[62:65], v58
	v_add_nc_u32_e32 v60, 1, v60
	v_add_nc_u32_e32 v58, 16, v58
	;; [unrolled: 1-line block ×3, first 2 shown]
	v_cmp_lt_u32_e32 vcc_lo, 5, v60
	s_or_b32 s31, vcc_lo, s31
	s_waitcnt vmcnt(2) lgkmcnt(0)
	v_mul_f64 v[70:71], v[64:65], v[66:67]
	v_mul_f64 v[66:67], v[62:63], v[66:67]
	s_waitcnt vmcnt(0)
	v_fma_f64 v[62:63], v[62:63], v[68:69], -v[70:71]
	v_fma_f64 v[64:65], v[64:65], v[68:69], v[66:67]
	v_add_f64 v[1:2], v[1:2], v[62:63]
	v_add_f64 v[3:4], v[3:4], v[64:65]
	s_andn2_b32 exec_lo, exec_lo, s31
	s_cbranch_execnz .LBB88_244
; %bb.245:
	s_or_b32 exec_lo, exec_lo, s31
.LBB88_246:
	s_or_b32 exec_lo, exec_lo, s8
	v_mov_b32_e32 v58, 0
	ds_read_b128 v[62:65], v58 offset:112
	s_waitcnt lgkmcnt(0)
	v_mul_f64 v[58:59], v[3:4], v[64:65]
	v_mul_f64 v[64:65], v[1:2], v[64:65]
	v_fma_f64 v[1:2], v[1:2], v[62:63], -v[58:59]
	v_fma_f64 v[3:4], v[3:4], v[62:63], v[64:65]
	buffer_store_dword v2, off, s[0:3], 0 offset:116
	buffer_store_dword v1, off, s[0:3], 0 offset:112
	;; [unrolled: 1-line block ×4, first 2 shown]
.LBB88_247:
	s_or_b32 exec_lo, exec_lo, s4
	v_mov_b32_e32 v4, s23
	s_mov_b32 s4, exec_lo
	s_clause 0x3
	buffer_load_dword v1, v4, s[0:3], 0 offen
	buffer_load_dword v2, v4, s[0:3], 0 offen offset:4
	buffer_load_dword v3, v4, s[0:3], 0 offen offset:8
	;; [unrolled: 1-line block ×3, first 2 shown]
	s_waitcnt vmcnt(0)
	ds_write_b128 v56, v[1:4]
	s_waitcnt lgkmcnt(0)
	s_waitcnt_vscnt null, 0x0
	s_barrier
	buffer_gl0_inv
	v_cmpx_gt_u32_e32 8, v0
	s_cbranch_execz .LBB88_255
; %bb.248:
	ds_read_b128 v[1:4], v56
	v_cmp_ne_u32_e32 vcc_lo, 1, v57
	s_cbranch_vccnz .LBB88_250
; %bb.249:
	s_clause 0x3
	buffer_load_dword v58, v55, s[0:3], 0 offen offset:8
	buffer_load_dword v59, v55, s[0:3], 0 offen offset:12
	buffer_load_dword v62, v55, s[0:3], 0 offen
	buffer_load_dword v63, v55, s[0:3], 0 offen offset:4
	s_waitcnt vmcnt(2) lgkmcnt(0)
	v_mul_f64 v[64:65], v[3:4], v[58:59]
	v_mul_f64 v[58:59], v[1:2], v[58:59]
	s_waitcnt vmcnt(0)
	v_fma_f64 v[1:2], v[1:2], v[62:63], -v[64:65]
	v_fma_f64 v[3:4], v[3:4], v[62:63], v[58:59]
.LBB88_250:
	s_mov_b32 s8, exec_lo
	v_cmpx_ne_u32_e32 7, v0
	s_cbranch_execz .LBB88_254
; %bb.251:
	v_add_nc_u32_e32 v58, 0x1a0, v61
	v_add3_u32 v59, 0, v61, 16
	v_mov_b32_e32 v60, v0
	s_mov_b32 s31, 0
	.p2align	6
.LBB88_252:                             ; =>This Inner Loop Header: Depth=1
	s_clause 0x3
	buffer_load_dword v66, v59, s[0:3], 0 offen offset:8
	buffer_load_dword v67, v59, s[0:3], 0 offen offset:12
	buffer_load_dword v68, v59, s[0:3], 0 offen
	buffer_load_dword v69, v59, s[0:3], 0 offen offset:4
	ds_read_b128 v[62:65], v58
	v_add_nc_u32_e32 v60, 1, v60
	v_add_nc_u32_e32 v58, 16, v58
	;; [unrolled: 1-line block ×3, first 2 shown]
	v_cmp_lt_u32_e32 vcc_lo, 6, v60
	s_or_b32 s31, vcc_lo, s31
	s_waitcnt vmcnt(2) lgkmcnt(0)
	v_mul_f64 v[70:71], v[64:65], v[66:67]
	v_mul_f64 v[66:67], v[62:63], v[66:67]
	s_waitcnt vmcnt(0)
	v_fma_f64 v[62:63], v[62:63], v[68:69], -v[70:71]
	v_fma_f64 v[64:65], v[64:65], v[68:69], v[66:67]
	v_add_f64 v[1:2], v[1:2], v[62:63]
	v_add_f64 v[3:4], v[3:4], v[64:65]
	s_andn2_b32 exec_lo, exec_lo, s31
	s_cbranch_execnz .LBB88_252
; %bb.253:
	s_or_b32 exec_lo, exec_lo, s31
.LBB88_254:
	s_or_b32 exec_lo, exec_lo, s8
	v_mov_b32_e32 v58, 0
	ds_read_b128 v[62:65], v58 offset:128
	s_waitcnt lgkmcnt(0)
	v_mul_f64 v[58:59], v[3:4], v[64:65]
	v_mul_f64 v[64:65], v[1:2], v[64:65]
	v_fma_f64 v[1:2], v[1:2], v[62:63], -v[58:59]
	v_fma_f64 v[3:4], v[3:4], v[62:63], v[64:65]
	buffer_store_dword v2, off, s[0:3], 0 offset:132
	buffer_store_dword v1, off, s[0:3], 0 offset:128
	;; [unrolled: 1-line block ×4, first 2 shown]
.LBB88_255:
	s_or_b32 exec_lo, exec_lo, s4
	v_mov_b32_e32 v4, s22
	s_mov_b32 s4, exec_lo
	s_clause 0x3
	buffer_load_dword v1, v4, s[0:3], 0 offen
	buffer_load_dword v2, v4, s[0:3], 0 offen offset:4
	buffer_load_dword v3, v4, s[0:3], 0 offen offset:8
	;; [unrolled: 1-line block ×3, first 2 shown]
	s_waitcnt vmcnt(0)
	ds_write_b128 v56, v[1:4]
	s_waitcnt lgkmcnt(0)
	s_waitcnt_vscnt null, 0x0
	s_barrier
	buffer_gl0_inv
	v_cmpx_gt_u32_e32 9, v0
	s_cbranch_execz .LBB88_263
; %bb.256:
	ds_read_b128 v[1:4], v56
	v_cmp_ne_u32_e32 vcc_lo, 1, v57
	s_cbranch_vccnz .LBB88_258
; %bb.257:
	s_clause 0x3
	buffer_load_dword v58, v55, s[0:3], 0 offen offset:8
	buffer_load_dword v59, v55, s[0:3], 0 offen offset:12
	buffer_load_dword v62, v55, s[0:3], 0 offen
	buffer_load_dword v63, v55, s[0:3], 0 offen offset:4
	s_waitcnt vmcnt(2) lgkmcnt(0)
	v_mul_f64 v[64:65], v[3:4], v[58:59]
	v_mul_f64 v[58:59], v[1:2], v[58:59]
	s_waitcnt vmcnt(0)
	v_fma_f64 v[1:2], v[1:2], v[62:63], -v[64:65]
	v_fma_f64 v[3:4], v[3:4], v[62:63], v[58:59]
.LBB88_258:
	s_mov_b32 s8, exec_lo
	v_cmpx_ne_u32_e32 8, v0
	s_cbranch_execz .LBB88_262
; %bb.259:
	v_add_nc_u32_e32 v58, 0x1a0, v61
	v_add3_u32 v59, 0, v61, 16
	v_mov_b32_e32 v60, v0
	s_mov_b32 s31, 0
	.p2align	6
.LBB88_260:                             ; =>This Inner Loop Header: Depth=1
	s_clause 0x3
	buffer_load_dword v66, v59, s[0:3], 0 offen offset:8
	buffer_load_dword v67, v59, s[0:3], 0 offen offset:12
	buffer_load_dword v68, v59, s[0:3], 0 offen
	buffer_load_dword v69, v59, s[0:3], 0 offen offset:4
	ds_read_b128 v[62:65], v58
	v_add_nc_u32_e32 v60, 1, v60
	v_add_nc_u32_e32 v58, 16, v58
	;; [unrolled: 1-line block ×3, first 2 shown]
	v_cmp_lt_u32_e32 vcc_lo, 7, v60
	s_or_b32 s31, vcc_lo, s31
	s_waitcnt vmcnt(2) lgkmcnt(0)
	v_mul_f64 v[70:71], v[64:65], v[66:67]
	v_mul_f64 v[66:67], v[62:63], v[66:67]
	s_waitcnt vmcnt(0)
	v_fma_f64 v[62:63], v[62:63], v[68:69], -v[70:71]
	v_fma_f64 v[64:65], v[64:65], v[68:69], v[66:67]
	v_add_f64 v[1:2], v[1:2], v[62:63]
	v_add_f64 v[3:4], v[3:4], v[64:65]
	s_andn2_b32 exec_lo, exec_lo, s31
	s_cbranch_execnz .LBB88_260
; %bb.261:
	s_or_b32 exec_lo, exec_lo, s31
.LBB88_262:
	s_or_b32 exec_lo, exec_lo, s8
	v_mov_b32_e32 v58, 0
	ds_read_b128 v[62:65], v58 offset:144
	s_waitcnt lgkmcnt(0)
	v_mul_f64 v[58:59], v[3:4], v[64:65]
	v_mul_f64 v[64:65], v[1:2], v[64:65]
	v_fma_f64 v[1:2], v[1:2], v[62:63], -v[58:59]
	v_fma_f64 v[3:4], v[3:4], v[62:63], v[64:65]
	buffer_store_dword v2, off, s[0:3], 0 offset:148
	buffer_store_dword v1, off, s[0:3], 0 offset:144
	;; [unrolled: 1-line block ×4, first 2 shown]
.LBB88_263:
	s_or_b32 exec_lo, exec_lo, s4
	v_mov_b32_e32 v4, s21
	s_mov_b32 s4, exec_lo
	s_clause 0x3
	buffer_load_dword v1, v4, s[0:3], 0 offen
	buffer_load_dword v2, v4, s[0:3], 0 offen offset:4
	buffer_load_dword v3, v4, s[0:3], 0 offen offset:8
	;; [unrolled: 1-line block ×3, first 2 shown]
	s_waitcnt vmcnt(0)
	ds_write_b128 v56, v[1:4]
	s_waitcnt lgkmcnt(0)
	s_waitcnt_vscnt null, 0x0
	s_barrier
	buffer_gl0_inv
	v_cmpx_gt_u32_e32 10, v0
	s_cbranch_execz .LBB88_271
; %bb.264:
	ds_read_b128 v[1:4], v56
	v_cmp_ne_u32_e32 vcc_lo, 1, v57
	s_cbranch_vccnz .LBB88_266
; %bb.265:
	s_clause 0x3
	buffer_load_dword v58, v55, s[0:3], 0 offen offset:8
	buffer_load_dword v59, v55, s[0:3], 0 offen offset:12
	buffer_load_dword v62, v55, s[0:3], 0 offen
	buffer_load_dword v63, v55, s[0:3], 0 offen offset:4
	s_waitcnt vmcnt(2) lgkmcnt(0)
	v_mul_f64 v[64:65], v[3:4], v[58:59]
	v_mul_f64 v[58:59], v[1:2], v[58:59]
	s_waitcnt vmcnt(0)
	v_fma_f64 v[1:2], v[1:2], v[62:63], -v[64:65]
	v_fma_f64 v[3:4], v[3:4], v[62:63], v[58:59]
.LBB88_266:
	s_mov_b32 s8, exec_lo
	v_cmpx_ne_u32_e32 9, v0
	s_cbranch_execz .LBB88_270
; %bb.267:
	v_add_nc_u32_e32 v58, 0x1a0, v61
	v_add3_u32 v59, 0, v61, 16
	v_mov_b32_e32 v60, v0
	s_mov_b32 s31, 0
	.p2align	6
.LBB88_268:                             ; =>This Inner Loop Header: Depth=1
	s_clause 0x3
	buffer_load_dword v66, v59, s[0:3], 0 offen offset:8
	buffer_load_dword v67, v59, s[0:3], 0 offen offset:12
	buffer_load_dword v68, v59, s[0:3], 0 offen
	buffer_load_dword v69, v59, s[0:3], 0 offen offset:4
	ds_read_b128 v[62:65], v58
	v_add_nc_u32_e32 v60, 1, v60
	v_add_nc_u32_e32 v58, 16, v58
	;; [unrolled: 1-line block ×3, first 2 shown]
	v_cmp_lt_u32_e32 vcc_lo, 8, v60
	s_or_b32 s31, vcc_lo, s31
	s_waitcnt vmcnt(2) lgkmcnt(0)
	v_mul_f64 v[70:71], v[64:65], v[66:67]
	v_mul_f64 v[66:67], v[62:63], v[66:67]
	s_waitcnt vmcnt(0)
	v_fma_f64 v[62:63], v[62:63], v[68:69], -v[70:71]
	v_fma_f64 v[64:65], v[64:65], v[68:69], v[66:67]
	v_add_f64 v[1:2], v[1:2], v[62:63]
	v_add_f64 v[3:4], v[3:4], v[64:65]
	s_andn2_b32 exec_lo, exec_lo, s31
	s_cbranch_execnz .LBB88_268
; %bb.269:
	s_or_b32 exec_lo, exec_lo, s31
.LBB88_270:
	s_or_b32 exec_lo, exec_lo, s8
	v_mov_b32_e32 v58, 0
	ds_read_b128 v[62:65], v58 offset:160
	s_waitcnt lgkmcnt(0)
	v_mul_f64 v[58:59], v[3:4], v[64:65]
	v_mul_f64 v[64:65], v[1:2], v[64:65]
	v_fma_f64 v[1:2], v[1:2], v[62:63], -v[58:59]
	v_fma_f64 v[3:4], v[3:4], v[62:63], v[64:65]
	buffer_store_dword v2, off, s[0:3], 0 offset:164
	buffer_store_dword v1, off, s[0:3], 0 offset:160
	;; [unrolled: 1-line block ×4, first 2 shown]
.LBB88_271:
	s_or_b32 exec_lo, exec_lo, s4
	v_mov_b32_e32 v4, s20
	s_mov_b32 s4, exec_lo
	s_clause 0x3
	buffer_load_dword v1, v4, s[0:3], 0 offen
	buffer_load_dword v2, v4, s[0:3], 0 offen offset:4
	buffer_load_dword v3, v4, s[0:3], 0 offen offset:8
	;; [unrolled: 1-line block ×3, first 2 shown]
	s_waitcnt vmcnt(0)
	ds_write_b128 v56, v[1:4]
	s_waitcnt lgkmcnt(0)
	s_waitcnt_vscnt null, 0x0
	s_barrier
	buffer_gl0_inv
	v_cmpx_gt_u32_e32 11, v0
	s_cbranch_execz .LBB88_279
; %bb.272:
	ds_read_b128 v[1:4], v56
	v_cmp_ne_u32_e32 vcc_lo, 1, v57
	s_cbranch_vccnz .LBB88_274
; %bb.273:
	s_clause 0x3
	buffer_load_dword v58, v55, s[0:3], 0 offen offset:8
	buffer_load_dword v59, v55, s[0:3], 0 offen offset:12
	buffer_load_dword v62, v55, s[0:3], 0 offen
	buffer_load_dword v63, v55, s[0:3], 0 offen offset:4
	s_waitcnt vmcnt(2) lgkmcnt(0)
	v_mul_f64 v[64:65], v[3:4], v[58:59]
	v_mul_f64 v[58:59], v[1:2], v[58:59]
	s_waitcnt vmcnt(0)
	v_fma_f64 v[1:2], v[1:2], v[62:63], -v[64:65]
	v_fma_f64 v[3:4], v[3:4], v[62:63], v[58:59]
.LBB88_274:
	s_mov_b32 s8, exec_lo
	v_cmpx_ne_u32_e32 10, v0
	s_cbranch_execz .LBB88_278
; %bb.275:
	v_add_nc_u32_e32 v58, 0x1a0, v61
	v_add3_u32 v59, 0, v61, 16
	v_mov_b32_e32 v60, v0
	s_mov_b32 s31, 0
	.p2align	6
.LBB88_276:                             ; =>This Inner Loop Header: Depth=1
	s_clause 0x3
	buffer_load_dword v66, v59, s[0:3], 0 offen offset:8
	buffer_load_dword v67, v59, s[0:3], 0 offen offset:12
	buffer_load_dword v68, v59, s[0:3], 0 offen
	buffer_load_dword v69, v59, s[0:3], 0 offen offset:4
	ds_read_b128 v[62:65], v58
	v_add_nc_u32_e32 v60, 1, v60
	v_add_nc_u32_e32 v58, 16, v58
	;; [unrolled: 1-line block ×3, first 2 shown]
	v_cmp_lt_u32_e32 vcc_lo, 9, v60
	s_or_b32 s31, vcc_lo, s31
	s_waitcnt vmcnt(2) lgkmcnt(0)
	v_mul_f64 v[70:71], v[64:65], v[66:67]
	v_mul_f64 v[66:67], v[62:63], v[66:67]
	s_waitcnt vmcnt(0)
	v_fma_f64 v[62:63], v[62:63], v[68:69], -v[70:71]
	v_fma_f64 v[64:65], v[64:65], v[68:69], v[66:67]
	v_add_f64 v[1:2], v[1:2], v[62:63]
	v_add_f64 v[3:4], v[3:4], v[64:65]
	s_andn2_b32 exec_lo, exec_lo, s31
	s_cbranch_execnz .LBB88_276
; %bb.277:
	s_or_b32 exec_lo, exec_lo, s31
.LBB88_278:
	s_or_b32 exec_lo, exec_lo, s8
	v_mov_b32_e32 v58, 0
	ds_read_b128 v[62:65], v58 offset:176
	s_waitcnt lgkmcnt(0)
	v_mul_f64 v[58:59], v[3:4], v[64:65]
	v_mul_f64 v[64:65], v[1:2], v[64:65]
	v_fma_f64 v[1:2], v[1:2], v[62:63], -v[58:59]
	v_fma_f64 v[3:4], v[3:4], v[62:63], v[64:65]
	buffer_store_dword v2, off, s[0:3], 0 offset:180
	buffer_store_dword v1, off, s[0:3], 0 offset:176
	;; [unrolled: 1-line block ×4, first 2 shown]
.LBB88_279:
	s_or_b32 exec_lo, exec_lo, s4
	v_mov_b32_e32 v4, s19
	s_mov_b32 s4, exec_lo
	s_clause 0x3
	buffer_load_dword v1, v4, s[0:3], 0 offen
	buffer_load_dword v2, v4, s[0:3], 0 offen offset:4
	buffer_load_dword v3, v4, s[0:3], 0 offen offset:8
	;; [unrolled: 1-line block ×3, first 2 shown]
	s_waitcnt vmcnt(0)
	ds_write_b128 v56, v[1:4]
	s_waitcnt lgkmcnt(0)
	s_waitcnt_vscnt null, 0x0
	s_barrier
	buffer_gl0_inv
	v_cmpx_gt_u32_e32 12, v0
	s_cbranch_execz .LBB88_287
; %bb.280:
	ds_read_b128 v[1:4], v56
	v_cmp_ne_u32_e32 vcc_lo, 1, v57
	s_cbranch_vccnz .LBB88_282
; %bb.281:
	s_clause 0x3
	buffer_load_dword v58, v55, s[0:3], 0 offen offset:8
	buffer_load_dword v59, v55, s[0:3], 0 offen offset:12
	buffer_load_dword v62, v55, s[0:3], 0 offen
	buffer_load_dword v63, v55, s[0:3], 0 offen offset:4
	s_waitcnt vmcnt(2) lgkmcnt(0)
	v_mul_f64 v[64:65], v[3:4], v[58:59]
	v_mul_f64 v[58:59], v[1:2], v[58:59]
	s_waitcnt vmcnt(0)
	v_fma_f64 v[1:2], v[1:2], v[62:63], -v[64:65]
	v_fma_f64 v[3:4], v[3:4], v[62:63], v[58:59]
.LBB88_282:
	s_mov_b32 s8, exec_lo
	v_cmpx_ne_u32_e32 11, v0
	s_cbranch_execz .LBB88_286
; %bb.283:
	v_add_nc_u32_e32 v58, 0x1a0, v61
	v_add3_u32 v59, 0, v61, 16
	v_mov_b32_e32 v60, v0
	s_mov_b32 s31, 0
	.p2align	6
.LBB88_284:                             ; =>This Inner Loop Header: Depth=1
	s_clause 0x3
	buffer_load_dword v66, v59, s[0:3], 0 offen offset:8
	buffer_load_dword v67, v59, s[0:3], 0 offen offset:12
	buffer_load_dword v68, v59, s[0:3], 0 offen
	buffer_load_dword v69, v59, s[0:3], 0 offen offset:4
	ds_read_b128 v[62:65], v58
	v_add_nc_u32_e32 v60, 1, v60
	v_add_nc_u32_e32 v58, 16, v58
	;; [unrolled: 1-line block ×3, first 2 shown]
	v_cmp_lt_u32_e32 vcc_lo, 10, v60
	s_or_b32 s31, vcc_lo, s31
	s_waitcnt vmcnt(2) lgkmcnt(0)
	v_mul_f64 v[70:71], v[64:65], v[66:67]
	v_mul_f64 v[66:67], v[62:63], v[66:67]
	s_waitcnt vmcnt(0)
	v_fma_f64 v[62:63], v[62:63], v[68:69], -v[70:71]
	v_fma_f64 v[64:65], v[64:65], v[68:69], v[66:67]
	v_add_f64 v[1:2], v[1:2], v[62:63]
	v_add_f64 v[3:4], v[3:4], v[64:65]
	s_andn2_b32 exec_lo, exec_lo, s31
	s_cbranch_execnz .LBB88_284
; %bb.285:
	s_or_b32 exec_lo, exec_lo, s31
.LBB88_286:
	s_or_b32 exec_lo, exec_lo, s8
	v_mov_b32_e32 v58, 0
	ds_read_b128 v[62:65], v58 offset:192
	s_waitcnt lgkmcnt(0)
	v_mul_f64 v[58:59], v[3:4], v[64:65]
	v_mul_f64 v[64:65], v[1:2], v[64:65]
	v_fma_f64 v[1:2], v[1:2], v[62:63], -v[58:59]
	v_fma_f64 v[3:4], v[3:4], v[62:63], v[64:65]
	buffer_store_dword v2, off, s[0:3], 0 offset:196
	buffer_store_dword v1, off, s[0:3], 0 offset:192
	;; [unrolled: 1-line block ×4, first 2 shown]
.LBB88_287:
	s_or_b32 exec_lo, exec_lo, s4
	v_mov_b32_e32 v4, s18
	s_mov_b32 s4, exec_lo
	s_clause 0x3
	buffer_load_dword v1, v4, s[0:3], 0 offen
	buffer_load_dword v2, v4, s[0:3], 0 offen offset:4
	buffer_load_dword v3, v4, s[0:3], 0 offen offset:8
	;; [unrolled: 1-line block ×3, first 2 shown]
	s_waitcnt vmcnt(0)
	ds_write_b128 v56, v[1:4]
	s_waitcnt lgkmcnt(0)
	s_waitcnt_vscnt null, 0x0
	s_barrier
	buffer_gl0_inv
	v_cmpx_gt_u32_e32 13, v0
	s_cbranch_execz .LBB88_295
; %bb.288:
	ds_read_b128 v[1:4], v56
	v_cmp_ne_u32_e32 vcc_lo, 1, v57
	s_cbranch_vccnz .LBB88_290
; %bb.289:
	s_clause 0x3
	buffer_load_dword v58, v55, s[0:3], 0 offen offset:8
	buffer_load_dword v59, v55, s[0:3], 0 offen offset:12
	buffer_load_dword v62, v55, s[0:3], 0 offen
	buffer_load_dword v63, v55, s[0:3], 0 offen offset:4
	s_waitcnt vmcnt(2) lgkmcnt(0)
	v_mul_f64 v[64:65], v[3:4], v[58:59]
	v_mul_f64 v[58:59], v[1:2], v[58:59]
	s_waitcnt vmcnt(0)
	v_fma_f64 v[1:2], v[1:2], v[62:63], -v[64:65]
	v_fma_f64 v[3:4], v[3:4], v[62:63], v[58:59]
.LBB88_290:
	s_mov_b32 s8, exec_lo
	v_cmpx_ne_u32_e32 12, v0
	s_cbranch_execz .LBB88_294
; %bb.291:
	v_add_nc_u32_e32 v58, 0x1a0, v61
	v_add3_u32 v59, 0, v61, 16
	v_mov_b32_e32 v60, v0
	s_mov_b32 s31, 0
	.p2align	6
.LBB88_292:                             ; =>This Inner Loop Header: Depth=1
	s_clause 0x3
	buffer_load_dword v66, v59, s[0:3], 0 offen offset:8
	buffer_load_dword v67, v59, s[0:3], 0 offen offset:12
	buffer_load_dword v68, v59, s[0:3], 0 offen
	buffer_load_dword v69, v59, s[0:3], 0 offen offset:4
	ds_read_b128 v[62:65], v58
	v_add_nc_u32_e32 v60, 1, v60
	v_add_nc_u32_e32 v58, 16, v58
	;; [unrolled: 1-line block ×3, first 2 shown]
	v_cmp_lt_u32_e32 vcc_lo, 11, v60
	s_or_b32 s31, vcc_lo, s31
	s_waitcnt vmcnt(2) lgkmcnt(0)
	v_mul_f64 v[70:71], v[64:65], v[66:67]
	v_mul_f64 v[66:67], v[62:63], v[66:67]
	s_waitcnt vmcnt(0)
	v_fma_f64 v[62:63], v[62:63], v[68:69], -v[70:71]
	v_fma_f64 v[64:65], v[64:65], v[68:69], v[66:67]
	v_add_f64 v[1:2], v[1:2], v[62:63]
	v_add_f64 v[3:4], v[3:4], v[64:65]
	s_andn2_b32 exec_lo, exec_lo, s31
	s_cbranch_execnz .LBB88_292
; %bb.293:
	s_or_b32 exec_lo, exec_lo, s31
.LBB88_294:
	s_or_b32 exec_lo, exec_lo, s8
	v_mov_b32_e32 v58, 0
	ds_read_b128 v[62:65], v58 offset:208
	s_waitcnt lgkmcnt(0)
	v_mul_f64 v[58:59], v[3:4], v[64:65]
	v_mul_f64 v[64:65], v[1:2], v[64:65]
	v_fma_f64 v[1:2], v[1:2], v[62:63], -v[58:59]
	v_fma_f64 v[3:4], v[3:4], v[62:63], v[64:65]
	buffer_store_dword v2, off, s[0:3], 0 offset:212
	buffer_store_dword v1, off, s[0:3], 0 offset:208
	;; [unrolled: 1-line block ×4, first 2 shown]
.LBB88_295:
	s_or_b32 exec_lo, exec_lo, s4
	v_mov_b32_e32 v4, s17
	s_mov_b32 s4, exec_lo
	s_clause 0x3
	buffer_load_dword v1, v4, s[0:3], 0 offen
	buffer_load_dword v2, v4, s[0:3], 0 offen offset:4
	buffer_load_dword v3, v4, s[0:3], 0 offen offset:8
	;; [unrolled: 1-line block ×3, first 2 shown]
	s_waitcnt vmcnt(0)
	ds_write_b128 v56, v[1:4]
	s_waitcnt lgkmcnt(0)
	s_waitcnt_vscnt null, 0x0
	s_barrier
	buffer_gl0_inv
	v_cmpx_gt_u32_e32 14, v0
	s_cbranch_execz .LBB88_303
; %bb.296:
	ds_read_b128 v[1:4], v56
	v_cmp_ne_u32_e32 vcc_lo, 1, v57
	s_cbranch_vccnz .LBB88_298
; %bb.297:
	s_clause 0x3
	buffer_load_dword v58, v55, s[0:3], 0 offen offset:8
	buffer_load_dword v59, v55, s[0:3], 0 offen offset:12
	buffer_load_dword v62, v55, s[0:3], 0 offen
	buffer_load_dword v63, v55, s[0:3], 0 offen offset:4
	s_waitcnt vmcnt(2) lgkmcnt(0)
	v_mul_f64 v[64:65], v[3:4], v[58:59]
	v_mul_f64 v[58:59], v[1:2], v[58:59]
	s_waitcnt vmcnt(0)
	v_fma_f64 v[1:2], v[1:2], v[62:63], -v[64:65]
	v_fma_f64 v[3:4], v[3:4], v[62:63], v[58:59]
.LBB88_298:
	s_mov_b32 s8, exec_lo
	v_cmpx_ne_u32_e32 13, v0
	s_cbranch_execz .LBB88_302
; %bb.299:
	v_add_nc_u32_e32 v58, 0x1a0, v61
	v_add3_u32 v59, 0, v61, 16
	v_mov_b32_e32 v60, v0
	s_mov_b32 s31, 0
	.p2align	6
.LBB88_300:                             ; =>This Inner Loop Header: Depth=1
	s_clause 0x3
	buffer_load_dword v66, v59, s[0:3], 0 offen offset:8
	buffer_load_dword v67, v59, s[0:3], 0 offen offset:12
	buffer_load_dword v68, v59, s[0:3], 0 offen
	buffer_load_dword v69, v59, s[0:3], 0 offen offset:4
	ds_read_b128 v[62:65], v58
	v_add_nc_u32_e32 v60, 1, v60
	v_add_nc_u32_e32 v58, 16, v58
	;; [unrolled: 1-line block ×3, first 2 shown]
	v_cmp_lt_u32_e32 vcc_lo, 12, v60
	s_or_b32 s31, vcc_lo, s31
	s_waitcnt vmcnt(2) lgkmcnt(0)
	v_mul_f64 v[70:71], v[64:65], v[66:67]
	v_mul_f64 v[66:67], v[62:63], v[66:67]
	s_waitcnt vmcnt(0)
	v_fma_f64 v[62:63], v[62:63], v[68:69], -v[70:71]
	v_fma_f64 v[64:65], v[64:65], v[68:69], v[66:67]
	v_add_f64 v[1:2], v[1:2], v[62:63]
	v_add_f64 v[3:4], v[3:4], v[64:65]
	s_andn2_b32 exec_lo, exec_lo, s31
	s_cbranch_execnz .LBB88_300
; %bb.301:
	s_or_b32 exec_lo, exec_lo, s31
.LBB88_302:
	s_or_b32 exec_lo, exec_lo, s8
	v_mov_b32_e32 v58, 0
	ds_read_b128 v[62:65], v58 offset:224
	s_waitcnt lgkmcnt(0)
	v_mul_f64 v[58:59], v[3:4], v[64:65]
	v_mul_f64 v[64:65], v[1:2], v[64:65]
	v_fma_f64 v[1:2], v[1:2], v[62:63], -v[58:59]
	v_fma_f64 v[3:4], v[3:4], v[62:63], v[64:65]
	buffer_store_dword v2, off, s[0:3], 0 offset:228
	buffer_store_dword v1, off, s[0:3], 0 offset:224
	;; [unrolled: 1-line block ×4, first 2 shown]
.LBB88_303:
	s_or_b32 exec_lo, exec_lo, s4
	v_mov_b32_e32 v4, s16
	s_mov_b32 s4, exec_lo
	s_clause 0x3
	buffer_load_dword v1, v4, s[0:3], 0 offen
	buffer_load_dword v2, v4, s[0:3], 0 offen offset:4
	buffer_load_dword v3, v4, s[0:3], 0 offen offset:8
	buffer_load_dword v4, v4, s[0:3], 0 offen offset:12
	s_waitcnt vmcnt(0)
	ds_write_b128 v56, v[1:4]
	s_waitcnt lgkmcnt(0)
	s_waitcnt_vscnt null, 0x0
	s_barrier
	buffer_gl0_inv
	v_cmpx_gt_u32_e32 15, v0
	s_cbranch_execz .LBB88_311
; %bb.304:
	ds_read_b128 v[1:4], v56
	v_cmp_ne_u32_e32 vcc_lo, 1, v57
	s_cbranch_vccnz .LBB88_306
; %bb.305:
	s_clause 0x3
	buffer_load_dword v58, v55, s[0:3], 0 offen offset:8
	buffer_load_dword v59, v55, s[0:3], 0 offen offset:12
	buffer_load_dword v62, v55, s[0:3], 0 offen
	buffer_load_dword v63, v55, s[0:3], 0 offen offset:4
	s_waitcnt vmcnt(2) lgkmcnt(0)
	v_mul_f64 v[64:65], v[3:4], v[58:59]
	v_mul_f64 v[58:59], v[1:2], v[58:59]
	s_waitcnt vmcnt(0)
	v_fma_f64 v[1:2], v[1:2], v[62:63], -v[64:65]
	v_fma_f64 v[3:4], v[3:4], v[62:63], v[58:59]
.LBB88_306:
	s_mov_b32 s8, exec_lo
	v_cmpx_ne_u32_e32 14, v0
	s_cbranch_execz .LBB88_310
; %bb.307:
	v_add_nc_u32_e32 v58, 0x1a0, v61
	v_add3_u32 v59, 0, v61, 16
	v_mov_b32_e32 v60, v0
	s_mov_b32 s31, 0
	.p2align	6
.LBB88_308:                             ; =>This Inner Loop Header: Depth=1
	s_clause 0x3
	buffer_load_dword v66, v59, s[0:3], 0 offen offset:8
	buffer_load_dword v67, v59, s[0:3], 0 offen offset:12
	buffer_load_dword v68, v59, s[0:3], 0 offen
	buffer_load_dword v69, v59, s[0:3], 0 offen offset:4
	ds_read_b128 v[62:65], v58
	v_add_nc_u32_e32 v60, 1, v60
	v_add_nc_u32_e32 v58, 16, v58
	;; [unrolled: 1-line block ×3, first 2 shown]
	v_cmp_lt_u32_e32 vcc_lo, 13, v60
	s_or_b32 s31, vcc_lo, s31
	s_waitcnt vmcnt(2) lgkmcnt(0)
	v_mul_f64 v[70:71], v[64:65], v[66:67]
	v_mul_f64 v[66:67], v[62:63], v[66:67]
	s_waitcnt vmcnt(0)
	v_fma_f64 v[62:63], v[62:63], v[68:69], -v[70:71]
	v_fma_f64 v[64:65], v[64:65], v[68:69], v[66:67]
	v_add_f64 v[1:2], v[1:2], v[62:63]
	v_add_f64 v[3:4], v[3:4], v[64:65]
	s_andn2_b32 exec_lo, exec_lo, s31
	s_cbranch_execnz .LBB88_308
; %bb.309:
	s_or_b32 exec_lo, exec_lo, s31
.LBB88_310:
	s_or_b32 exec_lo, exec_lo, s8
	v_mov_b32_e32 v58, 0
	ds_read_b128 v[62:65], v58 offset:240
	s_waitcnt lgkmcnt(0)
	v_mul_f64 v[58:59], v[3:4], v[64:65]
	v_mul_f64 v[64:65], v[1:2], v[64:65]
	v_fma_f64 v[1:2], v[1:2], v[62:63], -v[58:59]
	v_fma_f64 v[3:4], v[3:4], v[62:63], v[64:65]
	buffer_store_dword v2, off, s[0:3], 0 offset:244
	buffer_store_dword v1, off, s[0:3], 0 offset:240
	;; [unrolled: 1-line block ×4, first 2 shown]
.LBB88_311:
	s_or_b32 exec_lo, exec_lo, s4
	v_mov_b32_e32 v4, s15
	s_mov_b32 s4, exec_lo
	s_clause 0x3
	buffer_load_dword v1, v4, s[0:3], 0 offen
	buffer_load_dword v2, v4, s[0:3], 0 offen offset:4
	buffer_load_dword v3, v4, s[0:3], 0 offen offset:8
	;; [unrolled: 1-line block ×3, first 2 shown]
	s_waitcnt vmcnt(0)
	ds_write_b128 v56, v[1:4]
	s_waitcnt lgkmcnt(0)
	s_waitcnt_vscnt null, 0x0
	s_barrier
	buffer_gl0_inv
	v_cmpx_gt_u32_e32 16, v0
	s_cbranch_execz .LBB88_319
; %bb.312:
	ds_read_b128 v[1:4], v56
	v_cmp_ne_u32_e32 vcc_lo, 1, v57
	s_cbranch_vccnz .LBB88_314
; %bb.313:
	s_clause 0x3
	buffer_load_dword v58, v55, s[0:3], 0 offen offset:8
	buffer_load_dword v59, v55, s[0:3], 0 offen offset:12
	buffer_load_dword v62, v55, s[0:3], 0 offen
	buffer_load_dword v63, v55, s[0:3], 0 offen offset:4
	s_waitcnt vmcnt(2) lgkmcnt(0)
	v_mul_f64 v[64:65], v[3:4], v[58:59]
	v_mul_f64 v[58:59], v[1:2], v[58:59]
	s_waitcnt vmcnt(0)
	v_fma_f64 v[1:2], v[1:2], v[62:63], -v[64:65]
	v_fma_f64 v[3:4], v[3:4], v[62:63], v[58:59]
.LBB88_314:
	s_mov_b32 s8, exec_lo
	v_cmpx_ne_u32_e32 15, v0
	s_cbranch_execz .LBB88_318
; %bb.315:
	v_add_nc_u32_e32 v58, 0x1a0, v61
	v_add3_u32 v59, 0, v61, 16
	v_mov_b32_e32 v60, v0
	s_mov_b32 s31, 0
	.p2align	6
.LBB88_316:                             ; =>This Inner Loop Header: Depth=1
	s_clause 0x3
	buffer_load_dword v66, v59, s[0:3], 0 offen offset:8
	buffer_load_dword v67, v59, s[0:3], 0 offen offset:12
	buffer_load_dword v68, v59, s[0:3], 0 offen
	buffer_load_dword v69, v59, s[0:3], 0 offen offset:4
	ds_read_b128 v[62:65], v58
	v_add_nc_u32_e32 v60, 1, v60
	v_add_nc_u32_e32 v58, 16, v58
	;; [unrolled: 1-line block ×3, first 2 shown]
	v_cmp_lt_u32_e32 vcc_lo, 14, v60
	s_or_b32 s31, vcc_lo, s31
	s_waitcnt vmcnt(2) lgkmcnt(0)
	v_mul_f64 v[70:71], v[64:65], v[66:67]
	v_mul_f64 v[66:67], v[62:63], v[66:67]
	s_waitcnt vmcnt(0)
	v_fma_f64 v[62:63], v[62:63], v[68:69], -v[70:71]
	v_fma_f64 v[64:65], v[64:65], v[68:69], v[66:67]
	v_add_f64 v[1:2], v[1:2], v[62:63]
	v_add_f64 v[3:4], v[3:4], v[64:65]
	s_andn2_b32 exec_lo, exec_lo, s31
	s_cbranch_execnz .LBB88_316
; %bb.317:
	s_or_b32 exec_lo, exec_lo, s31
.LBB88_318:
	s_or_b32 exec_lo, exec_lo, s8
	v_mov_b32_e32 v58, 0
	ds_read_b128 v[62:65], v58 offset:256
	s_waitcnt lgkmcnt(0)
	v_mul_f64 v[58:59], v[3:4], v[64:65]
	v_mul_f64 v[64:65], v[1:2], v[64:65]
	v_fma_f64 v[1:2], v[1:2], v[62:63], -v[58:59]
	v_fma_f64 v[3:4], v[3:4], v[62:63], v[64:65]
	buffer_store_dword v2, off, s[0:3], 0 offset:260
	buffer_store_dword v1, off, s[0:3], 0 offset:256
	buffer_store_dword v4, off, s[0:3], 0 offset:268
	buffer_store_dword v3, off, s[0:3], 0 offset:264
.LBB88_319:
	s_or_b32 exec_lo, exec_lo, s4
	v_mov_b32_e32 v4, s14
	s_mov_b32 s4, exec_lo
	s_clause 0x3
	buffer_load_dword v1, v4, s[0:3], 0 offen
	buffer_load_dword v2, v4, s[0:3], 0 offen offset:4
	buffer_load_dword v3, v4, s[0:3], 0 offen offset:8
	;; [unrolled: 1-line block ×3, first 2 shown]
	s_waitcnt vmcnt(0)
	ds_write_b128 v56, v[1:4]
	s_waitcnt lgkmcnt(0)
	s_waitcnt_vscnt null, 0x0
	s_barrier
	buffer_gl0_inv
	v_cmpx_gt_u32_e32 17, v0
	s_cbranch_execz .LBB88_327
; %bb.320:
	ds_read_b128 v[1:4], v56
	v_cmp_ne_u32_e32 vcc_lo, 1, v57
	s_cbranch_vccnz .LBB88_322
; %bb.321:
	s_clause 0x3
	buffer_load_dword v58, v55, s[0:3], 0 offen offset:8
	buffer_load_dword v59, v55, s[0:3], 0 offen offset:12
	buffer_load_dword v62, v55, s[0:3], 0 offen
	buffer_load_dword v63, v55, s[0:3], 0 offen offset:4
	s_waitcnt vmcnt(2) lgkmcnt(0)
	v_mul_f64 v[64:65], v[3:4], v[58:59]
	v_mul_f64 v[58:59], v[1:2], v[58:59]
	s_waitcnt vmcnt(0)
	v_fma_f64 v[1:2], v[1:2], v[62:63], -v[64:65]
	v_fma_f64 v[3:4], v[3:4], v[62:63], v[58:59]
.LBB88_322:
	s_mov_b32 s8, exec_lo
	v_cmpx_ne_u32_e32 16, v0
	s_cbranch_execz .LBB88_326
; %bb.323:
	v_add_nc_u32_e32 v58, 0x1a0, v61
	v_add3_u32 v59, 0, v61, 16
	v_mov_b32_e32 v60, v0
	s_mov_b32 s31, 0
	.p2align	6
.LBB88_324:                             ; =>This Inner Loop Header: Depth=1
	s_clause 0x3
	buffer_load_dword v66, v59, s[0:3], 0 offen offset:8
	buffer_load_dword v67, v59, s[0:3], 0 offen offset:12
	buffer_load_dword v68, v59, s[0:3], 0 offen
	buffer_load_dword v69, v59, s[0:3], 0 offen offset:4
	ds_read_b128 v[62:65], v58
	v_add_nc_u32_e32 v60, 1, v60
	v_add_nc_u32_e32 v58, 16, v58
	;; [unrolled: 1-line block ×3, first 2 shown]
	v_cmp_lt_u32_e32 vcc_lo, 15, v60
	s_or_b32 s31, vcc_lo, s31
	s_waitcnt vmcnt(2) lgkmcnt(0)
	v_mul_f64 v[70:71], v[64:65], v[66:67]
	v_mul_f64 v[66:67], v[62:63], v[66:67]
	s_waitcnt vmcnt(0)
	v_fma_f64 v[62:63], v[62:63], v[68:69], -v[70:71]
	v_fma_f64 v[64:65], v[64:65], v[68:69], v[66:67]
	v_add_f64 v[1:2], v[1:2], v[62:63]
	v_add_f64 v[3:4], v[3:4], v[64:65]
	s_andn2_b32 exec_lo, exec_lo, s31
	s_cbranch_execnz .LBB88_324
; %bb.325:
	s_or_b32 exec_lo, exec_lo, s31
.LBB88_326:
	s_or_b32 exec_lo, exec_lo, s8
	v_mov_b32_e32 v58, 0
	ds_read_b128 v[62:65], v58 offset:272
	s_waitcnt lgkmcnt(0)
	v_mul_f64 v[58:59], v[3:4], v[64:65]
	v_mul_f64 v[64:65], v[1:2], v[64:65]
	v_fma_f64 v[1:2], v[1:2], v[62:63], -v[58:59]
	v_fma_f64 v[3:4], v[3:4], v[62:63], v[64:65]
	buffer_store_dword v2, off, s[0:3], 0 offset:276
	buffer_store_dword v1, off, s[0:3], 0 offset:272
	;; [unrolled: 1-line block ×4, first 2 shown]
.LBB88_327:
	s_or_b32 exec_lo, exec_lo, s4
	v_mov_b32_e32 v4, s13
	s_mov_b32 s4, exec_lo
	s_clause 0x3
	buffer_load_dword v1, v4, s[0:3], 0 offen
	buffer_load_dword v2, v4, s[0:3], 0 offen offset:4
	buffer_load_dword v3, v4, s[0:3], 0 offen offset:8
	;; [unrolled: 1-line block ×3, first 2 shown]
	s_waitcnt vmcnt(0)
	ds_write_b128 v56, v[1:4]
	s_waitcnt lgkmcnt(0)
	s_waitcnt_vscnt null, 0x0
	s_barrier
	buffer_gl0_inv
	v_cmpx_gt_u32_e32 18, v0
	s_cbranch_execz .LBB88_335
; %bb.328:
	ds_read_b128 v[1:4], v56
	v_cmp_ne_u32_e32 vcc_lo, 1, v57
	s_cbranch_vccnz .LBB88_330
; %bb.329:
	s_clause 0x3
	buffer_load_dword v58, v55, s[0:3], 0 offen offset:8
	buffer_load_dword v59, v55, s[0:3], 0 offen offset:12
	buffer_load_dword v62, v55, s[0:3], 0 offen
	buffer_load_dword v63, v55, s[0:3], 0 offen offset:4
	s_waitcnt vmcnt(2) lgkmcnt(0)
	v_mul_f64 v[64:65], v[3:4], v[58:59]
	v_mul_f64 v[58:59], v[1:2], v[58:59]
	s_waitcnt vmcnt(0)
	v_fma_f64 v[1:2], v[1:2], v[62:63], -v[64:65]
	v_fma_f64 v[3:4], v[3:4], v[62:63], v[58:59]
.LBB88_330:
	s_mov_b32 s8, exec_lo
	v_cmpx_ne_u32_e32 17, v0
	s_cbranch_execz .LBB88_334
; %bb.331:
	v_add_nc_u32_e32 v58, 0x1a0, v61
	v_add3_u32 v59, 0, v61, 16
	v_mov_b32_e32 v60, v0
	s_mov_b32 s31, 0
	.p2align	6
.LBB88_332:                             ; =>This Inner Loop Header: Depth=1
	s_clause 0x3
	buffer_load_dword v66, v59, s[0:3], 0 offen offset:8
	buffer_load_dword v67, v59, s[0:3], 0 offen offset:12
	buffer_load_dword v68, v59, s[0:3], 0 offen
	buffer_load_dword v69, v59, s[0:3], 0 offen offset:4
	ds_read_b128 v[62:65], v58
	v_add_nc_u32_e32 v60, 1, v60
	v_add_nc_u32_e32 v58, 16, v58
	;; [unrolled: 1-line block ×3, first 2 shown]
	v_cmp_lt_u32_e32 vcc_lo, 16, v60
	s_or_b32 s31, vcc_lo, s31
	s_waitcnt vmcnt(2) lgkmcnt(0)
	v_mul_f64 v[70:71], v[64:65], v[66:67]
	v_mul_f64 v[66:67], v[62:63], v[66:67]
	s_waitcnt vmcnt(0)
	v_fma_f64 v[62:63], v[62:63], v[68:69], -v[70:71]
	v_fma_f64 v[64:65], v[64:65], v[68:69], v[66:67]
	v_add_f64 v[1:2], v[1:2], v[62:63]
	v_add_f64 v[3:4], v[3:4], v[64:65]
	s_andn2_b32 exec_lo, exec_lo, s31
	s_cbranch_execnz .LBB88_332
; %bb.333:
	s_or_b32 exec_lo, exec_lo, s31
.LBB88_334:
	s_or_b32 exec_lo, exec_lo, s8
	v_mov_b32_e32 v58, 0
	ds_read_b128 v[62:65], v58 offset:288
	s_waitcnt lgkmcnt(0)
	v_mul_f64 v[58:59], v[3:4], v[64:65]
	v_mul_f64 v[64:65], v[1:2], v[64:65]
	v_fma_f64 v[1:2], v[1:2], v[62:63], -v[58:59]
	v_fma_f64 v[3:4], v[3:4], v[62:63], v[64:65]
	buffer_store_dword v2, off, s[0:3], 0 offset:292
	buffer_store_dword v1, off, s[0:3], 0 offset:288
	;; [unrolled: 1-line block ×4, first 2 shown]
.LBB88_335:
	s_or_b32 exec_lo, exec_lo, s4
	v_mov_b32_e32 v4, s12
	s_mov_b32 s4, exec_lo
	s_clause 0x3
	buffer_load_dword v1, v4, s[0:3], 0 offen
	buffer_load_dword v2, v4, s[0:3], 0 offen offset:4
	buffer_load_dword v3, v4, s[0:3], 0 offen offset:8
	;; [unrolled: 1-line block ×3, first 2 shown]
	s_waitcnt vmcnt(0)
	ds_write_b128 v56, v[1:4]
	s_waitcnt lgkmcnt(0)
	s_waitcnt_vscnt null, 0x0
	s_barrier
	buffer_gl0_inv
	v_cmpx_gt_u32_e32 19, v0
	s_cbranch_execz .LBB88_343
; %bb.336:
	ds_read_b128 v[1:4], v56
	v_cmp_ne_u32_e32 vcc_lo, 1, v57
	s_cbranch_vccnz .LBB88_338
; %bb.337:
	s_clause 0x3
	buffer_load_dword v58, v55, s[0:3], 0 offen offset:8
	buffer_load_dword v59, v55, s[0:3], 0 offen offset:12
	buffer_load_dword v62, v55, s[0:3], 0 offen
	buffer_load_dword v63, v55, s[0:3], 0 offen offset:4
	s_waitcnt vmcnt(2) lgkmcnt(0)
	v_mul_f64 v[64:65], v[3:4], v[58:59]
	v_mul_f64 v[58:59], v[1:2], v[58:59]
	s_waitcnt vmcnt(0)
	v_fma_f64 v[1:2], v[1:2], v[62:63], -v[64:65]
	v_fma_f64 v[3:4], v[3:4], v[62:63], v[58:59]
.LBB88_338:
	s_mov_b32 s8, exec_lo
	v_cmpx_ne_u32_e32 18, v0
	s_cbranch_execz .LBB88_342
; %bb.339:
	v_add_nc_u32_e32 v58, 0x1a0, v61
	v_add3_u32 v59, 0, v61, 16
	v_mov_b32_e32 v60, v0
	s_mov_b32 s31, 0
	.p2align	6
.LBB88_340:                             ; =>This Inner Loop Header: Depth=1
	s_clause 0x3
	buffer_load_dword v66, v59, s[0:3], 0 offen offset:8
	buffer_load_dword v67, v59, s[0:3], 0 offen offset:12
	buffer_load_dword v68, v59, s[0:3], 0 offen
	buffer_load_dword v69, v59, s[0:3], 0 offen offset:4
	ds_read_b128 v[62:65], v58
	v_add_nc_u32_e32 v60, 1, v60
	v_add_nc_u32_e32 v58, 16, v58
	;; [unrolled: 1-line block ×3, first 2 shown]
	v_cmp_lt_u32_e32 vcc_lo, 17, v60
	s_or_b32 s31, vcc_lo, s31
	s_waitcnt vmcnt(2) lgkmcnt(0)
	v_mul_f64 v[70:71], v[64:65], v[66:67]
	v_mul_f64 v[66:67], v[62:63], v[66:67]
	s_waitcnt vmcnt(0)
	v_fma_f64 v[62:63], v[62:63], v[68:69], -v[70:71]
	v_fma_f64 v[64:65], v[64:65], v[68:69], v[66:67]
	v_add_f64 v[1:2], v[1:2], v[62:63]
	v_add_f64 v[3:4], v[3:4], v[64:65]
	s_andn2_b32 exec_lo, exec_lo, s31
	s_cbranch_execnz .LBB88_340
; %bb.341:
	s_or_b32 exec_lo, exec_lo, s31
.LBB88_342:
	s_or_b32 exec_lo, exec_lo, s8
	v_mov_b32_e32 v58, 0
	ds_read_b128 v[62:65], v58 offset:304
	s_waitcnt lgkmcnt(0)
	v_mul_f64 v[58:59], v[3:4], v[64:65]
	v_mul_f64 v[64:65], v[1:2], v[64:65]
	v_fma_f64 v[1:2], v[1:2], v[62:63], -v[58:59]
	v_fma_f64 v[3:4], v[3:4], v[62:63], v[64:65]
	buffer_store_dword v2, off, s[0:3], 0 offset:308
	buffer_store_dword v1, off, s[0:3], 0 offset:304
	;; [unrolled: 1-line block ×4, first 2 shown]
.LBB88_343:
	s_or_b32 exec_lo, exec_lo, s4
	v_mov_b32_e32 v4, s11
	s_mov_b32 s4, exec_lo
	s_clause 0x3
	buffer_load_dword v1, v4, s[0:3], 0 offen
	buffer_load_dword v2, v4, s[0:3], 0 offen offset:4
	buffer_load_dword v3, v4, s[0:3], 0 offen offset:8
	;; [unrolled: 1-line block ×3, first 2 shown]
	s_waitcnt vmcnt(0)
	ds_write_b128 v56, v[1:4]
	s_waitcnt lgkmcnt(0)
	s_waitcnt_vscnt null, 0x0
	s_barrier
	buffer_gl0_inv
	v_cmpx_gt_u32_e32 20, v0
	s_cbranch_execz .LBB88_351
; %bb.344:
	ds_read_b128 v[1:4], v56
	v_cmp_ne_u32_e32 vcc_lo, 1, v57
	s_cbranch_vccnz .LBB88_346
; %bb.345:
	s_clause 0x3
	buffer_load_dword v58, v55, s[0:3], 0 offen offset:8
	buffer_load_dword v59, v55, s[0:3], 0 offen offset:12
	buffer_load_dword v62, v55, s[0:3], 0 offen
	buffer_load_dword v63, v55, s[0:3], 0 offen offset:4
	s_waitcnt vmcnt(2) lgkmcnt(0)
	v_mul_f64 v[64:65], v[3:4], v[58:59]
	v_mul_f64 v[58:59], v[1:2], v[58:59]
	s_waitcnt vmcnt(0)
	v_fma_f64 v[1:2], v[1:2], v[62:63], -v[64:65]
	v_fma_f64 v[3:4], v[3:4], v[62:63], v[58:59]
.LBB88_346:
	s_mov_b32 s8, exec_lo
	v_cmpx_ne_u32_e32 19, v0
	s_cbranch_execz .LBB88_350
; %bb.347:
	v_add_nc_u32_e32 v58, 0x1a0, v61
	v_add3_u32 v59, 0, v61, 16
	v_mov_b32_e32 v60, v0
	s_mov_b32 s31, 0
	.p2align	6
.LBB88_348:                             ; =>This Inner Loop Header: Depth=1
	s_clause 0x3
	buffer_load_dword v66, v59, s[0:3], 0 offen offset:8
	buffer_load_dword v67, v59, s[0:3], 0 offen offset:12
	buffer_load_dword v68, v59, s[0:3], 0 offen
	buffer_load_dword v69, v59, s[0:3], 0 offen offset:4
	ds_read_b128 v[62:65], v58
	v_add_nc_u32_e32 v60, 1, v60
	v_add_nc_u32_e32 v58, 16, v58
	;; [unrolled: 1-line block ×3, first 2 shown]
	v_cmp_lt_u32_e32 vcc_lo, 18, v60
	s_or_b32 s31, vcc_lo, s31
	s_waitcnt vmcnt(2) lgkmcnt(0)
	v_mul_f64 v[70:71], v[64:65], v[66:67]
	v_mul_f64 v[66:67], v[62:63], v[66:67]
	s_waitcnt vmcnt(0)
	v_fma_f64 v[62:63], v[62:63], v[68:69], -v[70:71]
	v_fma_f64 v[64:65], v[64:65], v[68:69], v[66:67]
	v_add_f64 v[1:2], v[1:2], v[62:63]
	v_add_f64 v[3:4], v[3:4], v[64:65]
	s_andn2_b32 exec_lo, exec_lo, s31
	s_cbranch_execnz .LBB88_348
; %bb.349:
	s_or_b32 exec_lo, exec_lo, s31
.LBB88_350:
	s_or_b32 exec_lo, exec_lo, s8
	v_mov_b32_e32 v58, 0
	ds_read_b128 v[62:65], v58 offset:320
	s_waitcnt lgkmcnt(0)
	v_mul_f64 v[58:59], v[3:4], v[64:65]
	v_mul_f64 v[64:65], v[1:2], v[64:65]
	v_fma_f64 v[1:2], v[1:2], v[62:63], -v[58:59]
	v_fma_f64 v[3:4], v[3:4], v[62:63], v[64:65]
	buffer_store_dword v2, off, s[0:3], 0 offset:324
	buffer_store_dword v1, off, s[0:3], 0 offset:320
	;; [unrolled: 1-line block ×4, first 2 shown]
.LBB88_351:
	s_or_b32 exec_lo, exec_lo, s4
	v_mov_b32_e32 v4, s10
	s_mov_b32 s4, exec_lo
	s_clause 0x3
	buffer_load_dword v1, v4, s[0:3], 0 offen
	buffer_load_dword v2, v4, s[0:3], 0 offen offset:4
	buffer_load_dword v3, v4, s[0:3], 0 offen offset:8
	;; [unrolled: 1-line block ×3, first 2 shown]
	s_waitcnt vmcnt(0)
	ds_write_b128 v56, v[1:4]
	s_waitcnt lgkmcnt(0)
	s_waitcnt_vscnt null, 0x0
	s_barrier
	buffer_gl0_inv
	v_cmpx_gt_u32_e32 21, v0
	s_cbranch_execz .LBB88_359
; %bb.352:
	ds_read_b128 v[1:4], v56
	v_cmp_ne_u32_e32 vcc_lo, 1, v57
	s_cbranch_vccnz .LBB88_354
; %bb.353:
	s_clause 0x3
	buffer_load_dword v58, v55, s[0:3], 0 offen offset:8
	buffer_load_dword v59, v55, s[0:3], 0 offen offset:12
	buffer_load_dword v62, v55, s[0:3], 0 offen
	buffer_load_dword v63, v55, s[0:3], 0 offen offset:4
	s_waitcnt vmcnt(2) lgkmcnt(0)
	v_mul_f64 v[64:65], v[3:4], v[58:59]
	v_mul_f64 v[58:59], v[1:2], v[58:59]
	s_waitcnt vmcnt(0)
	v_fma_f64 v[1:2], v[1:2], v[62:63], -v[64:65]
	v_fma_f64 v[3:4], v[3:4], v[62:63], v[58:59]
.LBB88_354:
	s_mov_b32 s8, exec_lo
	v_cmpx_ne_u32_e32 20, v0
	s_cbranch_execz .LBB88_358
; %bb.355:
	v_add_nc_u32_e32 v58, 0x1a0, v61
	v_add3_u32 v59, 0, v61, 16
	v_mov_b32_e32 v60, v0
	s_mov_b32 s31, 0
	.p2align	6
.LBB88_356:                             ; =>This Inner Loop Header: Depth=1
	s_clause 0x3
	buffer_load_dword v66, v59, s[0:3], 0 offen offset:8
	buffer_load_dword v67, v59, s[0:3], 0 offen offset:12
	buffer_load_dword v68, v59, s[0:3], 0 offen
	buffer_load_dword v69, v59, s[0:3], 0 offen offset:4
	ds_read_b128 v[62:65], v58
	v_add_nc_u32_e32 v60, 1, v60
	v_add_nc_u32_e32 v58, 16, v58
	;; [unrolled: 1-line block ×3, first 2 shown]
	v_cmp_lt_u32_e32 vcc_lo, 19, v60
	s_or_b32 s31, vcc_lo, s31
	s_waitcnt vmcnt(2) lgkmcnt(0)
	v_mul_f64 v[70:71], v[64:65], v[66:67]
	v_mul_f64 v[66:67], v[62:63], v[66:67]
	s_waitcnt vmcnt(0)
	v_fma_f64 v[62:63], v[62:63], v[68:69], -v[70:71]
	v_fma_f64 v[64:65], v[64:65], v[68:69], v[66:67]
	v_add_f64 v[1:2], v[1:2], v[62:63]
	v_add_f64 v[3:4], v[3:4], v[64:65]
	s_andn2_b32 exec_lo, exec_lo, s31
	s_cbranch_execnz .LBB88_356
; %bb.357:
	s_or_b32 exec_lo, exec_lo, s31
.LBB88_358:
	s_or_b32 exec_lo, exec_lo, s8
	v_mov_b32_e32 v58, 0
	ds_read_b128 v[62:65], v58 offset:336
	s_waitcnt lgkmcnt(0)
	v_mul_f64 v[58:59], v[3:4], v[64:65]
	v_mul_f64 v[64:65], v[1:2], v[64:65]
	v_fma_f64 v[1:2], v[1:2], v[62:63], -v[58:59]
	v_fma_f64 v[3:4], v[3:4], v[62:63], v[64:65]
	buffer_store_dword v2, off, s[0:3], 0 offset:340
	buffer_store_dword v1, off, s[0:3], 0 offset:336
	;; [unrolled: 1-line block ×4, first 2 shown]
.LBB88_359:
	s_or_b32 exec_lo, exec_lo, s4
	v_mov_b32_e32 v4, s9
	s_mov_b32 s4, exec_lo
	s_clause 0x3
	buffer_load_dword v1, v4, s[0:3], 0 offen
	buffer_load_dword v2, v4, s[0:3], 0 offen offset:4
	buffer_load_dword v3, v4, s[0:3], 0 offen offset:8
	;; [unrolled: 1-line block ×3, first 2 shown]
	s_waitcnt vmcnt(0)
	ds_write_b128 v56, v[1:4]
	s_waitcnt lgkmcnt(0)
	s_waitcnt_vscnt null, 0x0
	s_barrier
	buffer_gl0_inv
	v_cmpx_gt_u32_e32 22, v0
	s_cbranch_execz .LBB88_367
; %bb.360:
	ds_read_b128 v[1:4], v56
	v_cmp_ne_u32_e32 vcc_lo, 1, v57
	s_cbranch_vccnz .LBB88_362
; %bb.361:
	s_clause 0x3
	buffer_load_dword v58, v55, s[0:3], 0 offen offset:8
	buffer_load_dword v59, v55, s[0:3], 0 offen offset:12
	buffer_load_dword v62, v55, s[0:3], 0 offen
	buffer_load_dword v63, v55, s[0:3], 0 offen offset:4
	s_waitcnt vmcnt(2) lgkmcnt(0)
	v_mul_f64 v[64:65], v[3:4], v[58:59]
	v_mul_f64 v[58:59], v[1:2], v[58:59]
	s_waitcnt vmcnt(0)
	v_fma_f64 v[1:2], v[1:2], v[62:63], -v[64:65]
	v_fma_f64 v[3:4], v[3:4], v[62:63], v[58:59]
.LBB88_362:
	s_mov_b32 s8, exec_lo
	v_cmpx_ne_u32_e32 21, v0
	s_cbranch_execz .LBB88_366
; %bb.363:
	v_add_nc_u32_e32 v58, 0x1a0, v61
	v_add3_u32 v59, 0, v61, 16
	v_mov_b32_e32 v60, v0
	s_mov_b32 s31, 0
	.p2align	6
.LBB88_364:                             ; =>This Inner Loop Header: Depth=1
	s_clause 0x3
	buffer_load_dword v66, v59, s[0:3], 0 offen offset:8
	buffer_load_dword v67, v59, s[0:3], 0 offen offset:12
	buffer_load_dword v68, v59, s[0:3], 0 offen
	buffer_load_dword v69, v59, s[0:3], 0 offen offset:4
	ds_read_b128 v[62:65], v58
	v_add_nc_u32_e32 v60, 1, v60
	v_add_nc_u32_e32 v58, 16, v58
	;; [unrolled: 1-line block ×3, first 2 shown]
	v_cmp_lt_u32_e32 vcc_lo, 20, v60
	s_or_b32 s31, vcc_lo, s31
	s_waitcnt vmcnt(2) lgkmcnt(0)
	v_mul_f64 v[70:71], v[64:65], v[66:67]
	v_mul_f64 v[66:67], v[62:63], v[66:67]
	s_waitcnt vmcnt(0)
	v_fma_f64 v[62:63], v[62:63], v[68:69], -v[70:71]
	v_fma_f64 v[64:65], v[64:65], v[68:69], v[66:67]
	v_add_f64 v[1:2], v[1:2], v[62:63]
	v_add_f64 v[3:4], v[3:4], v[64:65]
	s_andn2_b32 exec_lo, exec_lo, s31
	s_cbranch_execnz .LBB88_364
; %bb.365:
	s_or_b32 exec_lo, exec_lo, s31
.LBB88_366:
	s_or_b32 exec_lo, exec_lo, s8
	v_mov_b32_e32 v58, 0
	ds_read_b128 v[62:65], v58 offset:352
	s_waitcnt lgkmcnt(0)
	v_mul_f64 v[58:59], v[3:4], v[64:65]
	v_mul_f64 v[64:65], v[1:2], v[64:65]
	v_fma_f64 v[1:2], v[1:2], v[62:63], -v[58:59]
	v_fma_f64 v[3:4], v[3:4], v[62:63], v[64:65]
	buffer_store_dword v2, off, s[0:3], 0 offset:356
	buffer_store_dword v1, off, s[0:3], 0 offset:352
	;; [unrolled: 1-line block ×4, first 2 shown]
.LBB88_367:
	s_or_b32 exec_lo, exec_lo, s4
	v_mov_b32_e32 v4, s7
	v_cmp_gt_u32_e64 s4, 23, v0
	s_clause 0x3
	buffer_load_dword v1, v4, s[0:3], 0 offen
	buffer_load_dword v2, v4, s[0:3], 0 offen offset:4
	buffer_load_dword v3, v4, s[0:3], 0 offen offset:8
	;; [unrolled: 1-line block ×3, first 2 shown]
	s_waitcnt vmcnt(0)
	ds_write_b128 v56, v[1:4]
	s_waitcnt lgkmcnt(0)
	s_waitcnt_vscnt null, 0x0
	s_barrier
	buffer_gl0_inv
	s_and_saveexec_b32 s8, s4
	s_cbranch_execz .LBB88_375
; %bb.368:
	ds_read_b128 v[1:4], v56
	v_cmp_ne_u32_e32 vcc_lo, 1, v57
	s_cbranch_vccnz .LBB88_370
; %bb.369:
	s_clause 0x3
	buffer_load_dword v58, v55, s[0:3], 0 offen offset:8
	buffer_load_dword v59, v55, s[0:3], 0 offen offset:12
	buffer_load_dword v62, v55, s[0:3], 0 offen
	buffer_load_dword v63, v55, s[0:3], 0 offen offset:4
	s_waitcnt vmcnt(2) lgkmcnt(0)
	v_mul_f64 v[64:65], v[3:4], v[58:59]
	v_mul_f64 v[58:59], v[1:2], v[58:59]
	s_waitcnt vmcnt(0)
	v_fma_f64 v[1:2], v[1:2], v[62:63], -v[64:65]
	v_fma_f64 v[3:4], v[3:4], v[62:63], v[58:59]
.LBB88_370:
	s_mov_b32 s31, exec_lo
	v_cmpx_ne_u32_e32 22, v0
	s_cbranch_execz .LBB88_374
; %bb.371:
	v_add_nc_u32_e32 v58, 0x1a0, v61
	v_add3_u32 v59, 0, v61, 16
	v_mov_b32_e32 v60, v0
	s_mov_b32 s33, 0
	.p2align	6
.LBB88_372:                             ; =>This Inner Loop Header: Depth=1
	s_clause 0x3
	buffer_load_dword v66, v59, s[0:3], 0 offen offset:8
	buffer_load_dword v67, v59, s[0:3], 0 offen offset:12
	buffer_load_dword v68, v59, s[0:3], 0 offen
	buffer_load_dword v69, v59, s[0:3], 0 offen offset:4
	ds_read_b128 v[62:65], v58
	v_add_nc_u32_e32 v60, 1, v60
	v_add_nc_u32_e32 v58, 16, v58
	;; [unrolled: 1-line block ×3, first 2 shown]
	v_cmp_lt_u32_e32 vcc_lo, 21, v60
	s_or_b32 s33, vcc_lo, s33
	s_waitcnt vmcnt(2) lgkmcnt(0)
	v_mul_f64 v[70:71], v[64:65], v[66:67]
	v_mul_f64 v[66:67], v[62:63], v[66:67]
	s_waitcnt vmcnt(0)
	v_fma_f64 v[62:63], v[62:63], v[68:69], -v[70:71]
	v_fma_f64 v[64:65], v[64:65], v[68:69], v[66:67]
	v_add_f64 v[1:2], v[1:2], v[62:63]
	v_add_f64 v[3:4], v[3:4], v[64:65]
	s_andn2_b32 exec_lo, exec_lo, s33
	s_cbranch_execnz .LBB88_372
; %bb.373:
	s_or_b32 exec_lo, exec_lo, s33
.LBB88_374:
	s_or_b32 exec_lo, exec_lo, s31
	v_mov_b32_e32 v58, 0
	ds_read_b128 v[62:65], v58 offset:368
	s_waitcnt lgkmcnt(0)
	v_mul_f64 v[58:59], v[3:4], v[64:65]
	v_mul_f64 v[64:65], v[1:2], v[64:65]
	v_fma_f64 v[1:2], v[1:2], v[62:63], -v[58:59]
	v_fma_f64 v[3:4], v[3:4], v[62:63], v[64:65]
	buffer_store_dword v2, off, s[0:3], 0 offset:372
	buffer_store_dword v1, off, s[0:3], 0 offset:368
	;; [unrolled: 1-line block ×4, first 2 shown]
.LBB88_375:
	s_or_b32 exec_lo, exec_lo, s8
	v_mov_b32_e32 v4, s6
	s_mov_b32 s8, exec_lo
                                        ; implicit-def: $sgpr34
	s_clause 0x3
	buffer_load_dword v1, v4, s[0:3], 0 offen
	buffer_load_dword v2, v4, s[0:3], 0 offen offset:4
	buffer_load_dword v3, v4, s[0:3], 0 offen offset:8
	;; [unrolled: 1-line block ×3, first 2 shown]
	s_waitcnt vmcnt(0)
	ds_write_b128 v56, v[1:4]
	s_waitcnt lgkmcnt(0)
	s_waitcnt_vscnt null, 0x0
	s_barrier
	buffer_gl0_inv
                                        ; implicit-def: $vgpr1_vgpr2
	v_cmpx_ne_u32_e32 24, v0
	s_cbranch_execz .LBB88_383
; %bb.376:
	ds_read_b128 v[1:4], v56
	v_cmp_ne_u32_e32 vcc_lo, 1, v57
	s_cbranch_vccnz .LBB88_378
; %bb.377:
	s_clause 0x3
	buffer_load_dword v56, v55, s[0:3], 0 offen offset:8
	buffer_load_dword v57, v55, s[0:3], 0 offen offset:12
	buffer_load_dword v58, v55, s[0:3], 0 offen
	buffer_load_dword v59, v55, s[0:3], 0 offen offset:4
	s_waitcnt vmcnt(2) lgkmcnt(0)
	v_mul_f64 v[62:63], v[3:4], v[56:57]
	v_mul_f64 v[55:56], v[1:2], v[56:57]
	s_waitcnt vmcnt(0)
	v_fma_f64 v[1:2], v[1:2], v[58:59], -v[62:63]
	v_fma_f64 v[3:4], v[3:4], v[58:59], v[55:56]
.LBB88_378:
	s_and_saveexec_b32 s31, s4
	s_cbranch_execz .LBB88_382
; %bb.379:
	v_add_nc_u32_e32 v55, 0x1a0, v61
	v_add3_u32 v56, 0, v61, 16
	s_mov_b32 s4, 0
	.p2align	6
.LBB88_380:                             ; =>This Inner Loop Header: Depth=1
	s_clause 0x3
	buffer_load_dword v61, v56, s[0:3], 0 offen offset:8
	buffer_load_dword v62, v56, s[0:3], 0 offen offset:12
	buffer_load_dword v63, v56, s[0:3], 0 offen
	buffer_load_dword v64, v56, s[0:3], 0 offen offset:4
	ds_read_b128 v[57:60], v55
	v_add_nc_u32_e32 v0, 1, v0
	v_add_nc_u32_e32 v55, 16, v55
	;; [unrolled: 1-line block ×3, first 2 shown]
	v_cmp_lt_u32_e32 vcc_lo, 22, v0
	s_or_b32 s4, vcc_lo, s4
	s_waitcnt vmcnt(2) lgkmcnt(0)
	v_mul_f64 v[65:66], v[59:60], v[61:62]
	v_mul_f64 v[61:62], v[57:58], v[61:62]
	s_waitcnt vmcnt(0)
	v_fma_f64 v[57:58], v[57:58], v[63:64], -v[65:66]
	v_fma_f64 v[59:60], v[59:60], v[63:64], v[61:62]
	v_add_f64 v[1:2], v[1:2], v[57:58]
	v_add_f64 v[3:4], v[3:4], v[59:60]
	s_andn2_b32 exec_lo, exec_lo, s4
	s_cbranch_execnz .LBB88_380
; %bb.381:
	s_or_b32 exec_lo, exec_lo, s4
.LBB88_382:
	s_or_b32 exec_lo, exec_lo, s31
	v_mov_b32_e32 v0, 0
	s_movk_i32 s34, 0x188
	s_or_b32 s5, s5, exec_lo
	ds_read_b128 v[55:58], v0 offset:384
	s_waitcnt lgkmcnt(0)
	v_mul_f64 v[59:60], v[3:4], v[57:58]
	v_mul_f64 v[57:58], v[1:2], v[57:58]
	v_fma_f64 v[59:60], v[1:2], v[55:56], -v[59:60]
	v_fma_f64 v[1:2], v[3:4], v[55:56], v[57:58]
	buffer_store_dword v60, off, s[0:3], 0 offset:388
	buffer_store_dword v59, off, s[0:3], 0 offset:384
.LBB88_383:
	s_or_b32 exec_lo, exec_lo, s8
.LBB88_384:
	s_and_saveexec_b32 s4, s5
	s_cbranch_execz .LBB88_386
; %bb.385:
	v_mov_b32_e32 v0, s34
	buffer_store_dword v2, v0, s[0:3], 0 offen offset:4
	buffer_store_dword v1, v0, s[0:3], 0 offen
.LBB88_386:
	s_or_b32 exec_lo, exec_lo, s4
	s_clause 0x3
	buffer_load_dword v0, off, s[0:3], 0
	buffer_load_dword v1, off, s[0:3], 0 offset:4
	buffer_load_dword v2, off, s[0:3], 0 offset:8
	;; [unrolled: 1-line block ×3, first 2 shown]
	v_mov_b32_e32 v4, s30
	s_waitcnt vmcnt(0)
	flat_store_dwordx4 v[5:6], v[0:3]
	s_clause 0x3
	buffer_load_dword v0, v4, s[0:3], 0 offen
	buffer_load_dword v1, v4, s[0:3], 0 offen offset:4
	buffer_load_dword v2, v4, s[0:3], 0 offen offset:8
	buffer_load_dword v3, v4, s[0:3], 0 offen offset:12
	v_mov_b32_e32 v4, s29
	s_waitcnt vmcnt(0)
	flat_store_dwordx4 v[7:8], v[0:3]
	s_clause 0x3
	buffer_load_dword v0, v4, s[0:3], 0 offen
	buffer_load_dword v1, v4, s[0:3], 0 offen offset:4
	buffer_load_dword v2, v4, s[0:3], 0 offen offset:8
	buffer_load_dword v3, v4, s[0:3], 0 offen offset:12
	;; [unrolled: 8-line block ×24, first 2 shown]
	s_waitcnt vmcnt(0)
	flat_store_dwordx4 v[53:54], v[0:3]
.LBB88_387:
	s_endpgm
	.section	.rodata,"a",@progbits
	.p2align	6, 0x0
	.amdhsa_kernel _ZN9rocsolver6v33100L18trti2_kernel_smallILi25E19rocblas_complex_numIdEPKPS3_EEv13rocblas_fill_17rocblas_diagonal_T1_iil
		.amdhsa_group_segment_fixed_size 800
		.amdhsa_private_segment_fixed_size 416
		.amdhsa_kernarg_size 32
		.amdhsa_user_sgpr_count 6
		.amdhsa_user_sgpr_private_segment_buffer 1
		.amdhsa_user_sgpr_dispatch_ptr 0
		.amdhsa_user_sgpr_queue_ptr 0
		.amdhsa_user_sgpr_kernarg_segment_ptr 1
		.amdhsa_user_sgpr_dispatch_id 0
		.amdhsa_user_sgpr_flat_scratch_init 0
		.amdhsa_user_sgpr_private_segment_size 0
		.amdhsa_wavefront_size32 1
		.amdhsa_uses_dynamic_stack 0
		.amdhsa_system_sgpr_private_segment_wavefront_offset 1
		.amdhsa_system_sgpr_workgroup_id_x 1
		.amdhsa_system_sgpr_workgroup_id_y 0
		.amdhsa_system_sgpr_workgroup_id_z 0
		.amdhsa_system_sgpr_workgroup_info 0
		.amdhsa_system_vgpr_workitem_id 0
		.amdhsa_next_free_vgpr 72
		.amdhsa_next_free_sgpr 42
		.amdhsa_reserve_vcc 1
		.amdhsa_reserve_flat_scratch 0
		.amdhsa_float_round_mode_32 0
		.amdhsa_float_round_mode_16_64 0
		.amdhsa_float_denorm_mode_32 3
		.amdhsa_float_denorm_mode_16_64 3
		.amdhsa_dx10_clamp 1
		.amdhsa_ieee_mode 1
		.amdhsa_fp16_overflow 0
		.amdhsa_workgroup_processor_mode 1
		.amdhsa_memory_ordered 1
		.amdhsa_forward_progress 1
		.amdhsa_shared_vgpr_count 0
		.amdhsa_exception_fp_ieee_invalid_op 0
		.amdhsa_exception_fp_denorm_src 0
		.amdhsa_exception_fp_ieee_div_zero 0
		.amdhsa_exception_fp_ieee_overflow 0
		.amdhsa_exception_fp_ieee_underflow 0
		.amdhsa_exception_fp_ieee_inexact 0
		.amdhsa_exception_int_div_zero 0
	.end_amdhsa_kernel
	.section	.text._ZN9rocsolver6v33100L18trti2_kernel_smallILi25E19rocblas_complex_numIdEPKPS3_EEv13rocblas_fill_17rocblas_diagonal_T1_iil,"axG",@progbits,_ZN9rocsolver6v33100L18trti2_kernel_smallILi25E19rocblas_complex_numIdEPKPS3_EEv13rocblas_fill_17rocblas_diagonal_T1_iil,comdat
.Lfunc_end88:
	.size	_ZN9rocsolver6v33100L18trti2_kernel_smallILi25E19rocblas_complex_numIdEPKPS3_EEv13rocblas_fill_17rocblas_diagonal_T1_iil, .Lfunc_end88-_ZN9rocsolver6v33100L18trti2_kernel_smallILi25E19rocblas_complex_numIdEPKPS3_EEv13rocblas_fill_17rocblas_diagonal_T1_iil
                                        ; -- End function
	.set _ZN9rocsolver6v33100L18trti2_kernel_smallILi25E19rocblas_complex_numIdEPKPS3_EEv13rocblas_fill_17rocblas_diagonal_T1_iil.num_vgpr, 72
	.set _ZN9rocsolver6v33100L18trti2_kernel_smallILi25E19rocblas_complex_numIdEPKPS3_EEv13rocblas_fill_17rocblas_diagonal_T1_iil.num_agpr, 0
	.set _ZN9rocsolver6v33100L18trti2_kernel_smallILi25E19rocblas_complex_numIdEPKPS3_EEv13rocblas_fill_17rocblas_diagonal_T1_iil.numbered_sgpr, 42
	.set _ZN9rocsolver6v33100L18trti2_kernel_smallILi25E19rocblas_complex_numIdEPKPS3_EEv13rocblas_fill_17rocblas_diagonal_T1_iil.num_named_barrier, 0
	.set _ZN9rocsolver6v33100L18trti2_kernel_smallILi25E19rocblas_complex_numIdEPKPS3_EEv13rocblas_fill_17rocblas_diagonal_T1_iil.private_seg_size, 416
	.set _ZN9rocsolver6v33100L18trti2_kernel_smallILi25E19rocblas_complex_numIdEPKPS3_EEv13rocblas_fill_17rocblas_diagonal_T1_iil.uses_vcc, 1
	.set _ZN9rocsolver6v33100L18trti2_kernel_smallILi25E19rocblas_complex_numIdEPKPS3_EEv13rocblas_fill_17rocblas_diagonal_T1_iil.uses_flat_scratch, 0
	.set _ZN9rocsolver6v33100L18trti2_kernel_smallILi25E19rocblas_complex_numIdEPKPS3_EEv13rocblas_fill_17rocblas_diagonal_T1_iil.has_dyn_sized_stack, 0
	.set _ZN9rocsolver6v33100L18trti2_kernel_smallILi25E19rocblas_complex_numIdEPKPS3_EEv13rocblas_fill_17rocblas_diagonal_T1_iil.has_recursion, 0
	.set _ZN9rocsolver6v33100L18trti2_kernel_smallILi25E19rocblas_complex_numIdEPKPS3_EEv13rocblas_fill_17rocblas_diagonal_T1_iil.has_indirect_call, 0
	.section	.AMDGPU.csdata,"",@progbits
; Kernel info:
; codeLenInByte = 25160
; TotalNumSgprs: 44
; NumVgprs: 72
; ScratchSize: 416
; MemoryBound: 0
; FloatMode: 240
; IeeeMode: 1
; LDSByteSize: 800 bytes/workgroup (compile time only)
; SGPRBlocks: 0
; VGPRBlocks: 8
; NumSGPRsForWavesPerEU: 44
; NumVGPRsForWavesPerEU: 72
; Occupancy: 12
; WaveLimiterHint : 1
; COMPUTE_PGM_RSRC2:SCRATCH_EN: 1
; COMPUTE_PGM_RSRC2:USER_SGPR: 6
; COMPUTE_PGM_RSRC2:TRAP_HANDLER: 0
; COMPUTE_PGM_RSRC2:TGID_X_EN: 1
; COMPUTE_PGM_RSRC2:TGID_Y_EN: 0
; COMPUTE_PGM_RSRC2:TGID_Z_EN: 0
; COMPUTE_PGM_RSRC2:TIDIG_COMP_CNT: 0
	.section	.text._ZN9rocsolver6v33100L18trti2_kernel_smallILi26E19rocblas_complex_numIdEPKPS3_EEv13rocblas_fill_17rocblas_diagonal_T1_iil,"axG",@progbits,_ZN9rocsolver6v33100L18trti2_kernel_smallILi26E19rocblas_complex_numIdEPKPS3_EEv13rocblas_fill_17rocblas_diagonal_T1_iil,comdat
	.globl	_ZN9rocsolver6v33100L18trti2_kernel_smallILi26E19rocblas_complex_numIdEPKPS3_EEv13rocblas_fill_17rocblas_diagonal_T1_iil ; -- Begin function _ZN9rocsolver6v33100L18trti2_kernel_smallILi26E19rocblas_complex_numIdEPKPS3_EEv13rocblas_fill_17rocblas_diagonal_T1_iil
	.p2align	8
	.type	_ZN9rocsolver6v33100L18trti2_kernel_smallILi26E19rocblas_complex_numIdEPKPS3_EEv13rocblas_fill_17rocblas_diagonal_T1_iil,@function
_ZN9rocsolver6v33100L18trti2_kernel_smallILi26E19rocblas_complex_numIdEPKPS3_EEv13rocblas_fill_17rocblas_diagonal_T1_iil: ; @_ZN9rocsolver6v33100L18trti2_kernel_smallILi26E19rocblas_complex_numIdEPKPS3_EEv13rocblas_fill_17rocblas_diagonal_T1_iil
; %bb.0:
	s_add_u32 s0, s0, s7
	s_addc_u32 s1, s1, 0
	s_mov_b32 s7, exec_lo
	v_cmpx_gt_u32_e32 26, v0
	s_cbranch_execz .LBB89_403
; %bb.1:
	s_clause 0x1
	s_load_dwordx2 s[12:13], s[4:5], 0x10
	s_load_dwordx4 s[8:11], s[4:5], 0x0
	s_ashr_i32 s7, s6, 31
	v_lshlrev_b32_e32 v63, 4, v0
	s_lshl_b64 s[4:5], s[6:7], 3
	s_movk_i32 s14, 0xd0
	s_movk_i32 s15, 0xe0
	;; [unrolled: 1-line block ×13, first 2 shown]
	s_waitcnt lgkmcnt(0)
	s_ashr_i32 s7, s12, 31
	s_add_u32 s4, s10, s4
	s_addc_u32 s5, s11, s5
	s_mov_b32 s6, s12
	s_load_dwordx2 s[4:5], s[4:5], 0x0
	s_lshl_b64 s[6:7], s[6:7], 4
	v_add3_u32 v11, s13, s13, v0
	s_movk_i32 s10, 0x90
	s_movk_i32 s11, 0xa0
	;; [unrolled: 1-line block ×3, first 2 shown]
	v_ashrrev_i32_e32 v12, 31, v11
	v_add_nc_u32_e32 v13, s13, v11
	v_lshlrev_b64 v[9:10], 4, v[11:12]
	v_ashrrev_i32_e32 v14, 31, v13
	v_add_nc_u32_e32 v15, s13, v13
	v_lshlrev_b64 v[11:12], 4, v[13:14]
	v_ashrrev_i32_e32 v16, 31, v15
	s_waitcnt lgkmcnt(0)
	s_add_u32 s4, s4, s6
	s_addc_u32 s5, s5, s7
	v_add_co_u32 v5, s6, s4, v63
	v_add_co_ci_u32_e64 v6, null, s5, 0, s6
	s_mov_b32 s6, s13
	s_ashr_i32 s7, s13, 31
	v_lshlrev_b64 v[13:14], 4, v[15:16]
	flat_load_dwordx4 v[1:4], v[5:6]
	s_lshl_b64 s[6:7], s[6:7], 4
	v_add_nc_u32_e32 v17, s13, v15
	v_add_co_u32 v7, vcc_lo, v5, s6
	v_add_co_ci_u32_e64 v8, null, s7, v6, vcc_lo
	v_add_co_u32 v9, vcc_lo, s4, v9
	v_add_co_ci_u32_e64 v10, null, s5, v10, vcc_lo
	;; [unrolled: 2-line block ×4, first 2 shown]
	v_ashrrev_i32_e32 v18, 31, v17
	v_add_nc_u32_e32 v19, s13, v17
	s_cmpk_lg_i32 s9, 0x84
	s_movk_i32 s6, 0x70
	s_movk_i32 s7, 0x80
	v_lshlrev_b64 v[15:16], 4, v[17:18]
	v_ashrrev_i32_e32 v20, 31, v19
	v_add_nc_u32_e32 v21, s13, v19
	s_cselect_b32 s34, -1, 0
	s_cmpk_eq_i32 s9, 0x84
	s_waitcnt vmcnt(0) lgkmcnt(0)
	buffer_store_dword v4, off, s[0:3], 0 offset:12
	buffer_store_dword v3, off, s[0:3], 0 offset:8
	buffer_store_dword v2, off, s[0:3], 0 offset:4
	buffer_store_dword v1, off, s[0:3], 0
	flat_load_dwordx4 v[1:4], v[7:8]
	v_add_co_u32 v15, vcc_lo, s4, v15
	v_add_co_ci_u32_e64 v16, null, s5, v16, vcc_lo
	v_lshlrev_b64 v[17:18], 4, v[19:20]
	v_ashrrev_i32_e32 v22, 31, v21
	v_add_nc_u32_e32 v23, s13, v21
	s_waitcnt vmcnt(0) lgkmcnt(0)
	buffer_store_dword v4, off, s[0:3], 0 offset:28
	buffer_store_dword v3, off, s[0:3], 0 offset:24
	buffer_store_dword v2, off, s[0:3], 0 offset:20
	buffer_store_dword v1, off, s[0:3], 0 offset:16
	flat_load_dwordx4 v[1:4], v[9:10]
	v_add_co_u32 v17, vcc_lo, s4, v17
	v_add_co_ci_u32_e64 v18, null, s5, v18, vcc_lo
	v_lshlrev_b64 v[19:20], 4, v[21:22]
	v_ashrrev_i32_e32 v24, 31, v23
	v_add_nc_u32_e32 v25, s13, v23
	s_waitcnt vmcnt(0) lgkmcnt(0)
	buffer_store_dword v4, off, s[0:3], 0 offset:44
	buffer_store_dword v3, off, s[0:3], 0 offset:40
	buffer_store_dword v2, off, s[0:3], 0 offset:36
	buffer_store_dword v1, off, s[0:3], 0 offset:32
	;; [unrolled: 11-line block ×17, first 2 shown]
	flat_load_dwordx4 v[1:4], v[41:42]
	v_add_co_u32 v49, vcc_lo, s4, v49
	v_add_co_ci_u32_e64 v50, null, s5, v50, vcc_lo
	v_lshlrev_b64 v[51:52], 4, v[53:54]
	v_ashrrev_i32_e32 v56, 31, v55
	s_waitcnt vmcnt(0) lgkmcnt(0)
	buffer_store_dword v4, off, s[0:3], 0 offset:300
	buffer_store_dword v3, off, s[0:3], 0 offset:296
	;; [unrolled: 1-line block ×4, first 2 shown]
	flat_load_dwordx4 v[1:4], v[43:44]
	v_add_co_u32 v51, vcc_lo, s4, v51
	v_add_co_ci_u32_e64 v52, null, s5, v52, vcc_lo
	v_lshlrev_b64 v[53:54], 4, v[55:56]
	v_add_nc_u32_e32 v55, s13, v55
	s_movk_i32 s13, 0xc0
	s_waitcnt vmcnt(0) lgkmcnt(0)
	buffer_store_dword v4, off, s[0:3], 0 offset:316
	buffer_store_dword v3, off, s[0:3], 0 offset:312
	;; [unrolled: 1-line block ×4, first 2 shown]
	flat_load_dwordx4 v[1:4], v[45:46]
	v_add_co_u32 v53, vcc_lo, s4, v53
	v_add_co_ci_u32_e64 v54, null, s5, v54, vcc_lo
	v_ashrrev_i32_e32 v56, 31, v55
	s_waitcnt vmcnt(0) lgkmcnt(0)
	buffer_store_dword v4, off, s[0:3], 0 offset:332
	buffer_store_dword v3, off, s[0:3], 0 offset:328
	;; [unrolled: 1-line block ×4, first 2 shown]
	flat_load_dwordx4 v[1:4], v[47:48]
	v_lshlrev_b64 v[55:56], 4, v[55:56]
	s_waitcnt vmcnt(0) lgkmcnt(0)
	buffer_store_dword v4, off, s[0:3], 0 offset:348
	buffer_store_dword v3, off, s[0:3], 0 offset:344
	buffer_store_dword v2, off, s[0:3], 0 offset:340
	buffer_store_dword v1, off, s[0:3], 0 offset:336
	flat_load_dwordx4 v[1:4], v[49:50]
	v_add_co_u32 v55, vcc_lo, s4, v55
	v_add_co_ci_u32_e64 v56, null, s5, v56, vcc_lo
	s_movk_i32 s4, 0x50
	s_movk_i32 s5, 0x60
	s_waitcnt vmcnt(0) lgkmcnt(0)
	buffer_store_dword v4, off, s[0:3], 0 offset:364
	buffer_store_dword v3, off, s[0:3], 0 offset:360
	buffer_store_dword v2, off, s[0:3], 0 offset:356
	buffer_store_dword v1, off, s[0:3], 0 offset:352
	flat_load_dwordx4 v[1:4], v[51:52]
	s_waitcnt vmcnt(0) lgkmcnt(0)
	buffer_store_dword v4, off, s[0:3], 0 offset:380
	buffer_store_dword v3, off, s[0:3], 0 offset:376
	buffer_store_dword v2, off, s[0:3], 0 offset:372
	buffer_store_dword v1, off, s[0:3], 0 offset:368
	flat_load_dwordx4 v[1:4], v[53:54]
	;; [unrolled: 6-line block ×3, first 2 shown]
	s_waitcnt vmcnt(0) lgkmcnt(0)
	buffer_store_dword v4, off, s[0:3], 0 offset:412
	buffer_store_dword v3, off, s[0:3], 0 offset:408
	;; [unrolled: 1-line block ×4, first 2 shown]
	s_cbranch_scc1 .LBB89_7
; %bb.2:
	v_lshl_add_u32 v64, v0, 4, 0
                                        ; implicit-def: $vgpr59_vgpr60
                                        ; implicit-def: $vgpr3_vgpr4
	s_clause 0x3
	buffer_load_dword v57, v64, s[0:3], 0 offen
	buffer_load_dword v58, v64, s[0:3], 0 offen offset:4
	buffer_load_dword v61, v64, s[0:3], 0 offen offset:8
	;; [unrolled: 1-line block ×3, first 2 shown]
	s_waitcnt vmcnt(0)
	v_cmp_ngt_f64_e64 s9, |v[57:58]|, |v[61:62]|
	s_and_saveexec_b32 s18, s9
	s_xor_b32 s9, exec_lo, s18
	s_cbranch_execz .LBB89_4
; %bb.3:
	v_div_scale_f64 v[1:2], null, v[61:62], v[61:62], v[57:58]
	v_div_scale_f64 v[65:66], vcc_lo, v[57:58], v[61:62], v[57:58]
	v_rcp_f64_e32 v[3:4], v[1:2]
	v_fma_f64 v[59:60], -v[1:2], v[3:4], 1.0
	v_fma_f64 v[3:4], v[3:4], v[59:60], v[3:4]
	v_fma_f64 v[59:60], -v[1:2], v[3:4], 1.0
	v_fma_f64 v[3:4], v[3:4], v[59:60], v[3:4]
	v_mul_f64 v[59:60], v[65:66], v[3:4]
	v_fma_f64 v[1:2], -v[1:2], v[59:60], v[65:66]
	v_div_fmas_f64 v[1:2], v[1:2], v[3:4], v[59:60]
	v_div_fixup_f64 v[1:2], v[1:2], v[61:62], v[57:58]
	v_fma_f64 v[3:4], v[57:58], v[1:2], v[61:62]
	v_div_scale_f64 v[57:58], null, v[3:4], v[3:4], 1.0
	v_div_scale_f64 v[65:66], vcc_lo, 1.0, v[3:4], 1.0
	v_rcp_f64_e32 v[59:60], v[57:58]
	v_fma_f64 v[61:62], -v[57:58], v[59:60], 1.0
	v_fma_f64 v[59:60], v[59:60], v[61:62], v[59:60]
	v_fma_f64 v[61:62], -v[57:58], v[59:60], 1.0
	v_fma_f64 v[59:60], v[59:60], v[61:62], v[59:60]
	v_mul_f64 v[61:62], v[65:66], v[59:60]
	v_fma_f64 v[57:58], -v[57:58], v[61:62], v[65:66]
	v_div_fmas_f64 v[57:58], v[57:58], v[59:60], v[61:62]
                                        ; implicit-def: $vgpr61_vgpr62
	v_div_fixup_f64 v[3:4], v[57:58], v[3:4], 1.0
                                        ; implicit-def: $vgpr57_vgpr58
	v_mul_f64 v[59:60], v[1:2], v[3:4]
	v_xor_b32_e32 v4, 0x80000000, v4
	v_xor_b32_e32 v2, 0x80000000, v60
	v_mov_b32_e32 v1, v59
.LBB89_4:
	s_andn2_saveexec_b32 s9, s9
	s_cbranch_execz .LBB89_6
; %bb.5:
	v_div_scale_f64 v[1:2], null, v[57:58], v[57:58], v[61:62]
	v_div_scale_f64 v[65:66], vcc_lo, v[61:62], v[57:58], v[61:62]
	v_rcp_f64_e32 v[3:4], v[1:2]
	v_fma_f64 v[59:60], -v[1:2], v[3:4], 1.0
	v_fma_f64 v[3:4], v[3:4], v[59:60], v[3:4]
	v_fma_f64 v[59:60], -v[1:2], v[3:4], 1.0
	v_fma_f64 v[3:4], v[3:4], v[59:60], v[3:4]
	v_mul_f64 v[59:60], v[65:66], v[3:4]
	v_fma_f64 v[1:2], -v[1:2], v[59:60], v[65:66]
	v_div_fmas_f64 v[1:2], v[1:2], v[3:4], v[59:60]
	v_div_fixup_f64 v[1:2], v[1:2], v[57:58], v[61:62]
	v_fma_f64 v[3:4], v[61:62], v[1:2], v[57:58]
	v_div_scale_f64 v[57:58], null, v[3:4], v[3:4], 1.0
	v_rcp_f64_e32 v[59:60], v[57:58]
	v_fma_f64 v[61:62], -v[57:58], v[59:60], 1.0
	v_fma_f64 v[59:60], v[59:60], v[61:62], v[59:60]
	v_fma_f64 v[61:62], -v[57:58], v[59:60], 1.0
	v_fma_f64 v[59:60], v[59:60], v[61:62], v[59:60]
	v_div_scale_f64 v[61:62], vcc_lo, 1.0, v[3:4], 1.0
	v_mul_f64 v[65:66], v[61:62], v[59:60]
	v_fma_f64 v[57:58], -v[57:58], v[65:66], v[61:62]
	v_div_fmas_f64 v[57:58], v[57:58], v[59:60], v[65:66]
	v_div_fixup_f64 v[59:60], v[57:58], v[3:4], 1.0
	v_mul_f64 v[3:4], v[1:2], -v[59:60]
	v_xor_b32_e32 v2, 0x80000000, v60
	v_mov_b32_e32 v1, v59
.LBB89_6:
	s_or_b32 exec_lo, exec_lo, s9
	buffer_store_dword v4, v64, s[0:3], 0 offen offset:12
	v_xor_b32_e32 v4, 0x80000000, v4
	buffer_store_dword v60, v64, s[0:3], 0 offen offset:4
	buffer_store_dword v59, v64, s[0:3], 0 offen
	buffer_store_dword v3, v64, s[0:3], 0 offen offset:8
	s_branch .LBB89_8
.LBB89_7:
	v_mov_b32_e32 v1, 0
	v_mov_b32_e32 v3, 0
	;; [unrolled: 1-line block ×4, first 2 shown]
.LBB89_8:
	v_add_nc_u32_e32 v58, 0x1a0, v63
	v_mov_b32_e32 v57, v63
	s_mov_b32 s33, 16
	s_mov_b32 s31, 32
	;; [unrolled: 1-line block ×24, first 2 shown]
	s_cmpk_eq_i32 s8, 0x79
	ds_write_b128 v63, v[1:4]
	s_cbranch_scc1 .LBB89_204
; %bb.9:
	v_mov_b32_e32 v4, s9
	v_cmp_eq_u32_e64 s4, 25, v0
	s_clause 0x3
	buffer_load_dword v1, v4, s[0:3], 0 offen
	buffer_load_dword v2, v4, s[0:3], 0 offen offset:4
	buffer_load_dword v3, v4, s[0:3], 0 offen offset:8
	;; [unrolled: 1-line block ×3, first 2 shown]
	s_waitcnt vmcnt(0)
	ds_write_b128 v58, v[1:4]
	s_waitcnt lgkmcnt(0)
	s_waitcnt_vscnt null, 0x0
	s_barrier
	buffer_gl0_inv
	s_and_saveexec_b32 s5, s4
	s_cbranch_execz .LBB89_13
; %bb.10:
	ds_read_b128 v[1:4], v58
	s_andn2_b32 vcc_lo, exec_lo, s34
	s_cbranch_vccnz .LBB89_12
; %bb.11:
	s_clause 0x3
	buffer_load_dword v59, v57, s[0:3], 0 offen offset:8
	buffer_load_dword v60, v57, s[0:3], 0 offen offset:12
	buffer_load_dword v61, v57, s[0:3], 0 offen
	buffer_load_dword v62, v57, s[0:3], 0 offen offset:4
	s_waitcnt vmcnt(2) lgkmcnt(0)
	v_mul_f64 v[64:65], v[3:4], v[59:60]
	v_mul_f64 v[59:60], v[1:2], v[59:60]
	s_waitcnt vmcnt(0)
	v_fma_f64 v[1:2], v[1:2], v[61:62], -v[64:65]
	v_fma_f64 v[3:4], v[3:4], v[61:62], v[59:60]
.LBB89_12:
	v_mov_b32_e32 v59, 0
	ds_read_b128 v[59:62], v59 offset:384
	s_waitcnt lgkmcnt(0)
	v_mul_f64 v[64:65], v[3:4], v[61:62]
	v_mul_f64 v[61:62], v[1:2], v[61:62]
	v_fma_f64 v[1:2], v[1:2], v[59:60], -v[64:65]
	v_fma_f64 v[3:4], v[3:4], v[59:60], v[61:62]
	buffer_store_dword v2, off, s[0:3], 0 offset:388
	buffer_store_dword v1, off, s[0:3], 0 offset:384
	;; [unrolled: 1-line block ×4, first 2 shown]
.LBB89_13:
	s_or_b32 exec_lo, exec_lo, s5
	v_mov_b32_e32 v4, s10
	v_cmp_lt_u32_e64 s5, 23, v0
	s_clause 0x3
	buffer_load_dword v1, v4, s[0:3], 0 offen
	buffer_load_dword v2, v4, s[0:3], 0 offen offset:4
	buffer_load_dword v3, v4, s[0:3], 0 offen offset:8
	;; [unrolled: 1-line block ×3, first 2 shown]
	s_waitcnt vmcnt(0)
	ds_write_b128 v58, v[1:4]
	s_waitcnt lgkmcnt(0)
	s_waitcnt_vscnt null, 0x0
	s_barrier
	buffer_gl0_inv
	s_and_saveexec_b32 s6, s5
	s_cbranch_execz .LBB89_19
; %bb.14:
	ds_read_b128 v[1:4], v58
	s_andn2_b32 vcc_lo, exec_lo, s34
	s_cbranch_vccnz .LBB89_16
; %bb.15:
	s_clause 0x3
	buffer_load_dword v59, v57, s[0:3], 0 offen offset:8
	buffer_load_dword v60, v57, s[0:3], 0 offen offset:12
	buffer_load_dword v61, v57, s[0:3], 0 offen
	buffer_load_dword v62, v57, s[0:3], 0 offen offset:4
	s_waitcnt vmcnt(2) lgkmcnt(0)
	v_mul_f64 v[64:65], v[3:4], v[59:60]
	v_mul_f64 v[59:60], v[1:2], v[59:60]
	s_waitcnt vmcnt(0)
	v_fma_f64 v[1:2], v[1:2], v[61:62], -v[64:65]
	v_fma_f64 v[3:4], v[3:4], v[61:62], v[59:60]
.LBB89_16:
	s_and_saveexec_b32 s8, s4
	s_cbranch_execz .LBB89_18
; %bb.17:
	s_clause 0x3
	buffer_load_dword v64, off, s[0:3], 0 offset:392
	buffer_load_dword v65, off, s[0:3], 0 offset:396
	;; [unrolled: 1-line block ×4, first 2 shown]
	v_mov_b32_e32 v59, 0
	ds_read_b128 v[59:62], v59 offset:800
	s_waitcnt vmcnt(2) lgkmcnt(0)
	v_mul_f64 v[68:69], v[59:60], v[64:65]
	v_mul_f64 v[64:65], v[61:62], v[64:65]
	s_waitcnt vmcnt(0)
	v_fma_f64 v[61:62], v[61:62], v[66:67], v[68:69]
	v_fma_f64 v[59:60], v[59:60], v[66:67], -v[64:65]
	v_add_f64 v[3:4], v[3:4], v[61:62]
	v_add_f64 v[1:2], v[1:2], v[59:60]
.LBB89_18:
	s_or_b32 exec_lo, exec_lo, s8
	v_mov_b32_e32 v59, 0
	ds_read_b128 v[59:62], v59 offset:368
	s_waitcnt lgkmcnt(0)
	v_mul_f64 v[64:65], v[3:4], v[61:62]
	v_mul_f64 v[61:62], v[1:2], v[61:62]
	v_fma_f64 v[1:2], v[1:2], v[59:60], -v[64:65]
	v_fma_f64 v[3:4], v[3:4], v[59:60], v[61:62]
	buffer_store_dword v2, off, s[0:3], 0 offset:372
	buffer_store_dword v1, off, s[0:3], 0 offset:368
	;; [unrolled: 1-line block ×4, first 2 shown]
.LBB89_19:
	s_or_b32 exec_lo, exec_lo, s6
	v_mov_b32_e32 v4, s11
	v_cmp_lt_u32_e64 s4, 22, v0
	s_clause 0x3
	buffer_load_dword v1, v4, s[0:3], 0 offen
	buffer_load_dword v2, v4, s[0:3], 0 offen offset:4
	buffer_load_dword v3, v4, s[0:3], 0 offen offset:8
	;; [unrolled: 1-line block ×3, first 2 shown]
	s_waitcnt vmcnt(0)
	ds_write_b128 v58, v[1:4]
	s_waitcnt lgkmcnt(0)
	s_waitcnt_vscnt null, 0x0
	s_barrier
	buffer_gl0_inv
	s_and_saveexec_b32 s6, s4
	s_cbranch_execz .LBB89_27
; %bb.20:
	ds_read_b128 v[1:4], v58
	s_andn2_b32 vcc_lo, exec_lo, s34
	s_cbranch_vccnz .LBB89_22
; %bb.21:
	s_clause 0x3
	buffer_load_dword v59, v57, s[0:3], 0 offen offset:8
	buffer_load_dword v60, v57, s[0:3], 0 offen offset:12
	buffer_load_dword v61, v57, s[0:3], 0 offen
	buffer_load_dword v62, v57, s[0:3], 0 offen offset:4
	s_waitcnt vmcnt(2) lgkmcnt(0)
	v_mul_f64 v[64:65], v[3:4], v[59:60]
	v_mul_f64 v[59:60], v[1:2], v[59:60]
	s_waitcnt vmcnt(0)
	v_fma_f64 v[1:2], v[1:2], v[61:62], -v[64:65]
	v_fma_f64 v[3:4], v[3:4], v[61:62], v[59:60]
.LBB89_22:
	s_and_saveexec_b32 s8, s5
	s_cbranch_execz .LBB89_26
; %bb.23:
	v_subrev_nc_u32_e32 v59, 23, v0
	s_movk_i32 s35, 0x310
	s_mov_b32 s5, 0
	s_mov_b32 s36, s10
	.p2align	6
.LBB89_24:                              ; =>This Inner Loop Header: Depth=1
	v_mov_b32_e32 v62, s36
	v_add_nc_u32_e32 v59, -1, v59
	s_add_i32 s36, s36, 16
	s_clause 0x3
	buffer_load_dword v60, v62, s[0:3], 0 offen offset:8
	buffer_load_dword v61, v62, s[0:3], 0 offen offset:12
	buffer_load_dword v68, v62, s[0:3], 0 offen
	buffer_load_dword v69, v62, s[0:3], 0 offen offset:4
	v_mov_b32_e32 v62, s35
	v_cmp_eq_u32_e32 vcc_lo, 0, v59
	s_add_i32 s35, s35, 16
	ds_read_b128 v[64:67], v62
	s_or_b32 s5, vcc_lo, s5
	s_waitcnt vmcnt(2) lgkmcnt(0)
	v_mul_f64 v[70:71], v[66:67], v[60:61]
	v_mul_f64 v[60:61], v[64:65], v[60:61]
	s_waitcnt vmcnt(0)
	v_fma_f64 v[64:65], v[64:65], v[68:69], -v[70:71]
	v_fma_f64 v[60:61], v[66:67], v[68:69], v[60:61]
	v_add_f64 v[1:2], v[1:2], v[64:65]
	v_add_f64 v[3:4], v[3:4], v[60:61]
	s_andn2_b32 exec_lo, exec_lo, s5
	s_cbranch_execnz .LBB89_24
; %bb.25:
	s_or_b32 exec_lo, exec_lo, s5
.LBB89_26:
	s_or_b32 exec_lo, exec_lo, s8
	v_mov_b32_e32 v59, 0
	ds_read_b128 v[59:62], v59 offset:352
	s_waitcnt lgkmcnt(0)
	v_mul_f64 v[64:65], v[3:4], v[61:62]
	v_mul_f64 v[61:62], v[1:2], v[61:62]
	v_fma_f64 v[1:2], v[1:2], v[59:60], -v[64:65]
	v_fma_f64 v[3:4], v[3:4], v[59:60], v[61:62]
	buffer_store_dword v2, off, s[0:3], 0 offset:356
	buffer_store_dword v1, off, s[0:3], 0 offset:352
	;; [unrolled: 1-line block ×4, first 2 shown]
.LBB89_27:
	s_or_b32 exec_lo, exec_lo, s6
	v_mov_b32_e32 v4, s12
	v_cmp_lt_u32_e64 s5, 21, v0
	s_clause 0x3
	buffer_load_dword v1, v4, s[0:3], 0 offen
	buffer_load_dword v2, v4, s[0:3], 0 offen offset:4
	buffer_load_dword v3, v4, s[0:3], 0 offen offset:8
	buffer_load_dword v4, v4, s[0:3], 0 offen offset:12
	s_waitcnt vmcnt(0)
	ds_write_b128 v58, v[1:4]
	s_waitcnt lgkmcnt(0)
	s_waitcnt_vscnt null, 0x0
	s_barrier
	buffer_gl0_inv
	s_and_saveexec_b32 s6, s5
	s_cbranch_execz .LBB89_35
; %bb.28:
	ds_read_b128 v[1:4], v58
	s_andn2_b32 vcc_lo, exec_lo, s34
	s_cbranch_vccnz .LBB89_30
; %bb.29:
	s_clause 0x3
	buffer_load_dword v59, v57, s[0:3], 0 offen offset:8
	buffer_load_dword v60, v57, s[0:3], 0 offen offset:12
	buffer_load_dword v61, v57, s[0:3], 0 offen
	buffer_load_dword v62, v57, s[0:3], 0 offen offset:4
	s_waitcnt vmcnt(2) lgkmcnt(0)
	v_mul_f64 v[64:65], v[3:4], v[59:60]
	v_mul_f64 v[59:60], v[1:2], v[59:60]
	s_waitcnt vmcnt(0)
	v_fma_f64 v[1:2], v[1:2], v[61:62], -v[64:65]
	v_fma_f64 v[3:4], v[3:4], v[61:62], v[59:60]
.LBB89_30:
	s_and_saveexec_b32 s8, s4
	s_cbranch_execz .LBB89_34
; %bb.31:
	v_subrev_nc_u32_e32 v59, 22, v0
	s_movk_i32 s35, 0x300
	s_mov_b32 s4, 0
	s_mov_b32 s36, s11
	.p2align	6
.LBB89_32:                              ; =>This Inner Loop Header: Depth=1
	v_mov_b32_e32 v62, s36
	v_add_nc_u32_e32 v59, -1, v59
	s_add_i32 s36, s36, 16
	s_clause 0x3
	buffer_load_dword v60, v62, s[0:3], 0 offen offset:8
	buffer_load_dword v61, v62, s[0:3], 0 offen offset:12
	buffer_load_dword v68, v62, s[0:3], 0 offen
	buffer_load_dword v69, v62, s[0:3], 0 offen offset:4
	v_mov_b32_e32 v62, s35
	v_cmp_eq_u32_e32 vcc_lo, 0, v59
	s_add_i32 s35, s35, 16
	ds_read_b128 v[64:67], v62
	s_or_b32 s4, vcc_lo, s4
	s_waitcnt vmcnt(2) lgkmcnt(0)
	v_mul_f64 v[70:71], v[66:67], v[60:61]
	v_mul_f64 v[60:61], v[64:65], v[60:61]
	s_waitcnt vmcnt(0)
	v_fma_f64 v[64:65], v[64:65], v[68:69], -v[70:71]
	v_fma_f64 v[60:61], v[66:67], v[68:69], v[60:61]
	v_add_f64 v[1:2], v[1:2], v[64:65]
	v_add_f64 v[3:4], v[3:4], v[60:61]
	s_andn2_b32 exec_lo, exec_lo, s4
	s_cbranch_execnz .LBB89_32
; %bb.33:
	s_or_b32 exec_lo, exec_lo, s4
.LBB89_34:
	s_or_b32 exec_lo, exec_lo, s8
	v_mov_b32_e32 v59, 0
	ds_read_b128 v[59:62], v59 offset:336
	s_waitcnt lgkmcnt(0)
	v_mul_f64 v[64:65], v[3:4], v[61:62]
	v_mul_f64 v[61:62], v[1:2], v[61:62]
	v_fma_f64 v[1:2], v[1:2], v[59:60], -v[64:65]
	v_fma_f64 v[3:4], v[3:4], v[59:60], v[61:62]
	buffer_store_dword v2, off, s[0:3], 0 offset:340
	buffer_store_dword v1, off, s[0:3], 0 offset:336
	;; [unrolled: 1-line block ×4, first 2 shown]
.LBB89_35:
	s_or_b32 exec_lo, exec_lo, s6
	v_mov_b32_e32 v4, s13
	v_cmp_lt_u32_e64 s4, 20, v0
	s_clause 0x3
	buffer_load_dword v1, v4, s[0:3], 0 offen
	buffer_load_dword v2, v4, s[0:3], 0 offen offset:4
	buffer_load_dword v3, v4, s[0:3], 0 offen offset:8
	;; [unrolled: 1-line block ×3, first 2 shown]
	s_waitcnt vmcnt(0)
	ds_write_b128 v58, v[1:4]
	s_waitcnt lgkmcnt(0)
	s_waitcnt_vscnt null, 0x0
	s_barrier
	buffer_gl0_inv
	s_and_saveexec_b32 s6, s4
	s_cbranch_execz .LBB89_43
; %bb.36:
	ds_read_b128 v[1:4], v58
	s_andn2_b32 vcc_lo, exec_lo, s34
	s_cbranch_vccnz .LBB89_38
; %bb.37:
	s_clause 0x3
	buffer_load_dword v59, v57, s[0:3], 0 offen offset:8
	buffer_load_dword v60, v57, s[0:3], 0 offen offset:12
	buffer_load_dword v61, v57, s[0:3], 0 offen
	buffer_load_dword v62, v57, s[0:3], 0 offen offset:4
	s_waitcnt vmcnt(2) lgkmcnt(0)
	v_mul_f64 v[64:65], v[3:4], v[59:60]
	v_mul_f64 v[59:60], v[1:2], v[59:60]
	s_waitcnt vmcnt(0)
	v_fma_f64 v[1:2], v[1:2], v[61:62], -v[64:65]
	v_fma_f64 v[3:4], v[3:4], v[61:62], v[59:60]
.LBB89_38:
	s_and_saveexec_b32 s8, s5
	s_cbranch_execz .LBB89_42
; %bb.39:
	v_subrev_nc_u32_e32 v59, 21, v0
	s_movk_i32 s35, 0x2f0
	s_mov_b32 s5, 0
	s_mov_b32 s36, s12
	.p2align	6
.LBB89_40:                              ; =>This Inner Loop Header: Depth=1
	v_mov_b32_e32 v62, s36
	v_add_nc_u32_e32 v59, -1, v59
	s_add_i32 s36, s36, 16
	s_clause 0x3
	buffer_load_dword v60, v62, s[0:3], 0 offen offset:8
	buffer_load_dword v61, v62, s[0:3], 0 offen offset:12
	buffer_load_dword v68, v62, s[0:3], 0 offen
	buffer_load_dword v69, v62, s[0:3], 0 offen offset:4
	v_mov_b32_e32 v62, s35
	v_cmp_eq_u32_e32 vcc_lo, 0, v59
	s_add_i32 s35, s35, 16
	ds_read_b128 v[64:67], v62
	s_or_b32 s5, vcc_lo, s5
	s_waitcnt vmcnt(2) lgkmcnt(0)
	v_mul_f64 v[70:71], v[66:67], v[60:61]
	v_mul_f64 v[60:61], v[64:65], v[60:61]
	s_waitcnt vmcnt(0)
	v_fma_f64 v[64:65], v[64:65], v[68:69], -v[70:71]
	v_fma_f64 v[60:61], v[66:67], v[68:69], v[60:61]
	v_add_f64 v[1:2], v[1:2], v[64:65]
	v_add_f64 v[3:4], v[3:4], v[60:61]
	s_andn2_b32 exec_lo, exec_lo, s5
	s_cbranch_execnz .LBB89_40
; %bb.41:
	s_or_b32 exec_lo, exec_lo, s5
.LBB89_42:
	s_or_b32 exec_lo, exec_lo, s8
	v_mov_b32_e32 v59, 0
	ds_read_b128 v[59:62], v59 offset:320
	s_waitcnt lgkmcnt(0)
	v_mul_f64 v[64:65], v[3:4], v[61:62]
	v_mul_f64 v[61:62], v[1:2], v[61:62]
	v_fma_f64 v[1:2], v[1:2], v[59:60], -v[64:65]
	v_fma_f64 v[3:4], v[3:4], v[59:60], v[61:62]
	buffer_store_dword v2, off, s[0:3], 0 offset:324
	buffer_store_dword v1, off, s[0:3], 0 offset:320
	;; [unrolled: 1-line block ×4, first 2 shown]
.LBB89_43:
	s_or_b32 exec_lo, exec_lo, s6
	v_mov_b32_e32 v4, s14
	v_cmp_lt_u32_e64 s5, 19, v0
	s_clause 0x3
	buffer_load_dword v1, v4, s[0:3], 0 offen
	buffer_load_dword v2, v4, s[0:3], 0 offen offset:4
	buffer_load_dword v3, v4, s[0:3], 0 offen offset:8
	;; [unrolled: 1-line block ×3, first 2 shown]
	s_waitcnt vmcnt(0)
	ds_write_b128 v58, v[1:4]
	s_waitcnt lgkmcnt(0)
	s_waitcnt_vscnt null, 0x0
	s_barrier
	buffer_gl0_inv
	s_and_saveexec_b32 s6, s5
	s_cbranch_execz .LBB89_51
; %bb.44:
	ds_read_b128 v[1:4], v58
	s_andn2_b32 vcc_lo, exec_lo, s34
	s_cbranch_vccnz .LBB89_46
; %bb.45:
	s_clause 0x3
	buffer_load_dword v59, v57, s[0:3], 0 offen offset:8
	buffer_load_dword v60, v57, s[0:3], 0 offen offset:12
	buffer_load_dword v61, v57, s[0:3], 0 offen
	buffer_load_dword v62, v57, s[0:3], 0 offen offset:4
	s_waitcnt vmcnt(2) lgkmcnt(0)
	v_mul_f64 v[64:65], v[3:4], v[59:60]
	v_mul_f64 v[59:60], v[1:2], v[59:60]
	s_waitcnt vmcnt(0)
	v_fma_f64 v[1:2], v[1:2], v[61:62], -v[64:65]
	v_fma_f64 v[3:4], v[3:4], v[61:62], v[59:60]
.LBB89_46:
	s_and_saveexec_b32 s8, s4
	s_cbranch_execz .LBB89_50
; %bb.47:
	v_subrev_nc_u32_e32 v59, 20, v0
	s_movk_i32 s35, 0x2e0
	s_mov_b32 s4, 0
	s_mov_b32 s36, s13
	.p2align	6
.LBB89_48:                              ; =>This Inner Loop Header: Depth=1
	v_mov_b32_e32 v62, s36
	v_add_nc_u32_e32 v59, -1, v59
	s_add_i32 s36, s36, 16
	s_clause 0x3
	buffer_load_dword v60, v62, s[0:3], 0 offen offset:8
	buffer_load_dword v61, v62, s[0:3], 0 offen offset:12
	buffer_load_dword v68, v62, s[0:3], 0 offen
	buffer_load_dword v69, v62, s[0:3], 0 offen offset:4
	v_mov_b32_e32 v62, s35
	v_cmp_eq_u32_e32 vcc_lo, 0, v59
	s_add_i32 s35, s35, 16
	ds_read_b128 v[64:67], v62
	s_or_b32 s4, vcc_lo, s4
	s_waitcnt vmcnt(2) lgkmcnt(0)
	v_mul_f64 v[70:71], v[66:67], v[60:61]
	v_mul_f64 v[60:61], v[64:65], v[60:61]
	s_waitcnt vmcnt(0)
	v_fma_f64 v[64:65], v[64:65], v[68:69], -v[70:71]
	v_fma_f64 v[60:61], v[66:67], v[68:69], v[60:61]
	v_add_f64 v[1:2], v[1:2], v[64:65]
	v_add_f64 v[3:4], v[3:4], v[60:61]
	s_andn2_b32 exec_lo, exec_lo, s4
	s_cbranch_execnz .LBB89_48
; %bb.49:
	s_or_b32 exec_lo, exec_lo, s4
.LBB89_50:
	s_or_b32 exec_lo, exec_lo, s8
	v_mov_b32_e32 v59, 0
	ds_read_b128 v[59:62], v59 offset:304
	s_waitcnt lgkmcnt(0)
	v_mul_f64 v[64:65], v[3:4], v[61:62]
	v_mul_f64 v[61:62], v[1:2], v[61:62]
	v_fma_f64 v[1:2], v[1:2], v[59:60], -v[64:65]
	v_fma_f64 v[3:4], v[3:4], v[59:60], v[61:62]
	buffer_store_dword v2, off, s[0:3], 0 offset:308
	buffer_store_dword v1, off, s[0:3], 0 offset:304
	;; [unrolled: 1-line block ×4, first 2 shown]
.LBB89_51:
	s_or_b32 exec_lo, exec_lo, s6
	v_mov_b32_e32 v4, s15
	v_cmp_lt_u32_e64 s4, 18, v0
	s_clause 0x3
	buffer_load_dword v1, v4, s[0:3], 0 offen
	buffer_load_dword v2, v4, s[0:3], 0 offen offset:4
	buffer_load_dword v3, v4, s[0:3], 0 offen offset:8
	;; [unrolled: 1-line block ×3, first 2 shown]
	s_waitcnt vmcnt(0)
	ds_write_b128 v58, v[1:4]
	s_waitcnt lgkmcnt(0)
	s_waitcnt_vscnt null, 0x0
	s_barrier
	buffer_gl0_inv
	s_and_saveexec_b32 s6, s4
	s_cbranch_execz .LBB89_59
; %bb.52:
	ds_read_b128 v[1:4], v58
	s_andn2_b32 vcc_lo, exec_lo, s34
	s_cbranch_vccnz .LBB89_54
; %bb.53:
	s_clause 0x3
	buffer_load_dword v59, v57, s[0:3], 0 offen offset:8
	buffer_load_dword v60, v57, s[0:3], 0 offen offset:12
	buffer_load_dword v61, v57, s[0:3], 0 offen
	buffer_load_dword v62, v57, s[0:3], 0 offen offset:4
	s_waitcnt vmcnt(2) lgkmcnt(0)
	v_mul_f64 v[64:65], v[3:4], v[59:60]
	v_mul_f64 v[59:60], v[1:2], v[59:60]
	s_waitcnt vmcnt(0)
	v_fma_f64 v[1:2], v[1:2], v[61:62], -v[64:65]
	v_fma_f64 v[3:4], v[3:4], v[61:62], v[59:60]
.LBB89_54:
	s_and_saveexec_b32 s8, s5
	s_cbranch_execz .LBB89_58
; %bb.55:
	v_subrev_nc_u32_e32 v59, 19, v0
	s_movk_i32 s35, 0x2d0
	s_mov_b32 s5, 0
	s_mov_b32 s36, s14
	.p2align	6
.LBB89_56:                              ; =>This Inner Loop Header: Depth=1
	v_mov_b32_e32 v62, s36
	v_add_nc_u32_e32 v59, -1, v59
	s_add_i32 s36, s36, 16
	s_clause 0x3
	buffer_load_dword v60, v62, s[0:3], 0 offen offset:8
	buffer_load_dword v61, v62, s[0:3], 0 offen offset:12
	buffer_load_dword v68, v62, s[0:3], 0 offen
	buffer_load_dword v69, v62, s[0:3], 0 offen offset:4
	v_mov_b32_e32 v62, s35
	v_cmp_eq_u32_e32 vcc_lo, 0, v59
	s_add_i32 s35, s35, 16
	ds_read_b128 v[64:67], v62
	s_or_b32 s5, vcc_lo, s5
	s_waitcnt vmcnt(2) lgkmcnt(0)
	v_mul_f64 v[70:71], v[66:67], v[60:61]
	v_mul_f64 v[60:61], v[64:65], v[60:61]
	s_waitcnt vmcnt(0)
	v_fma_f64 v[64:65], v[64:65], v[68:69], -v[70:71]
	v_fma_f64 v[60:61], v[66:67], v[68:69], v[60:61]
	v_add_f64 v[1:2], v[1:2], v[64:65]
	v_add_f64 v[3:4], v[3:4], v[60:61]
	s_andn2_b32 exec_lo, exec_lo, s5
	s_cbranch_execnz .LBB89_56
; %bb.57:
	s_or_b32 exec_lo, exec_lo, s5
.LBB89_58:
	s_or_b32 exec_lo, exec_lo, s8
	v_mov_b32_e32 v59, 0
	ds_read_b128 v[59:62], v59 offset:288
	s_waitcnt lgkmcnt(0)
	v_mul_f64 v[64:65], v[3:4], v[61:62]
	v_mul_f64 v[61:62], v[1:2], v[61:62]
	v_fma_f64 v[1:2], v[1:2], v[59:60], -v[64:65]
	v_fma_f64 v[3:4], v[3:4], v[59:60], v[61:62]
	buffer_store_dword v2, off, s[0:3], 0 offset:292
	buffer_store_dword v1, off, s[0:3], 0 offset:288
	;; [unrolled: 1-line block ×4, first 2 shown]
.LBB89_59:
	s_or_b32 exec_lo, exec_lo, s6
	v_mov_b32_e32 v4, s16
	v_cmp_lt_u32_e64 s5, 17, v0
	s_clause 0x3
	buffer_load_dword v1, v4, s[0:3], 0 offen
	buffer_load_dword v2, v4, s[0:3], 0 offen offset:4
	buffer_load_dword v3, v4, s[0:3], 0 offen offset:8
	;; [unrolled: 1-line block ×3, first 2 shown]
	s_waitcnt vmcnt(0)
	ds_write_b128 v58, v[1:4]
	s_waitcnt lgkmcnt(0)
	s_waitcnt_vscnt null, 0x0
	s_barrier
	buffer_gl0_inv
	s_and_saveexec_b32 s6, s5
	s_cbranch_execz .LBB89_67
; %bb.60:
	ds_read_b128 v[1:4], v58
	s_andn2_b32 vcc_lo, exec_lo, s34
	s_cbranch_vccnz .LBB89_62
; %bb.61:
	s_clause 0x3
	buffer_load_dword v59, v57, s[0:3], 0 offen offset:8
	buffer_load_dword v60, v57, s[0:3], 0 offen offset:12
	buffer_load_dword v61, v57, s[0:3], 0 offen
	buffer_load_dword v62, v57, s[0:3], 0 offen offset:4
	s_waitcnt vmcnt(2) lgkmcnt(0)
	v_mul_f64 v[64:65], v[3:4], v[59:60]
	v_mul_f64 v[59:60], v[1:2], v[59:60]
	s_waitcnt vmcnt(0)
	v_fma_f64 v[1:2], v[1:2], v[61:62], -v[64:65]
	v_fma_f64 v[3:4], v[3:4], v[61:62], v[59:60]
.LBB89_62:
	s_and_saveexec_b32 s8, s4
	s_cbranch_execz .LBB89_66
; %bb.63:
	v_subrev_nc_u32_e32 v59, 18, v0
	s_movk_i32 s35, 0x2c0
	s_mov_b32 s4, 0
	s_mov_b32 s36, s15
	.p2align	6
.LBB89_64:                              ; =>This Inner Loop Header: Depth=1
	v_mov_b32_e32 v62, s36
	v_add_nc_u32_e32 v59, -1, v59
	s_add_i32 s36, s36, 16
	s_clause 0x3
	buffer_load_dword v60, v62, s[0:3], 0 offen offset:8
	buffer_load_dword v61, v62, s[0:3], 0 offen offset:12
	buffer_load_dword v68, v62, s[0:3], 0 offen
	buffer_load_dword v69, v62, s[0:3], 0 offen offset:4
	v_mov_b32_e32 v62, s35
	v_cmp_eq_u32_e32 vcc_lo, 0, v59
	s_add_i32 s35, s35, 16
	ds_read_b128 v[64:67], v62
	s_or_b32 s4, vcc_lo, s4
	s_waitcnt vmcnt(2) lgkmcnt(0)
	v_mul_f64 v[70:71], v[66:67], v[60:61]
	v_mul_f64 v[60:61], v[64:65], v[60:61]
	s_waitcnt vmcnt(0)
	v_fma_f64 v[64:65], v[64:65], v[68:69], -v[70:71]
	v_fma_f64 v[60:61], v[66:67], v[68:69], v[60:61]
	v_add_f64 v[1:2], v[1:2], v[64:65]
	v_add_f64 v[3:4], v[3:4], v[60:61]
	s_andn2_b32 exec_lo, exec_lo, s4
	s_cbranch_execnz .LBB89_64
; %bb.65:
	s_or_b32 exec_lo, exec_lo, s4
.LBB89_66:
	s_or_b32 exec_lo, exec_lo, s8
	v_mov_b32_e32 v59, 0
	ds_read_b128 v[59:62], v59 offset:272
	s_waitcnt lgkmcnt(0)
	v_mul_f64 v[64:65], v[3:4], v[61:62]
	v_mul_f64 v[61:62], v[1:2], v[61:62]
	v_fma_f64 v[1:2], v[1:2], v[59:60], -v[64:65]
	v_fma_f64 v[3:4], v[3:4], v[59:60], v[61:62]
	buffer_store_dword v2, off, s[0:3], 0 offset:276
	buffer_store_dword v1, off, s[0:3], 0 offset:272
	;; [unrolled: 1-line block ×4, first 2 shown]
.LBB89_67:
	s_or_b32 exec_lo, exec_lo, s6
	v_mov_b32_e32 v4, s17
	v_cmp_lt_u32_e64 s4, 16, v0
	s_clause 0x3
	buffer_load_dword v1, v4, s[0:3], 0 offen
	buffer_load_dword v2, v4, s[0:3], 0 offen offset:4
	buffer_load_dword v3, v4, s[0:3], 0 offen offset:8
	;; [unrolled: 1-line block ×3, first 2 shown]
	s_waitcnt vmcnt(0)
	ds_write_b128 v58, v[1:4]
	s_waitcnt lgkmcnt(0)
	s_waitcnt_vscnt null, 0x0
	s_barrier
	buffer_gl0_inv
	s_and_saveexec_b32 s6, s4
	s_cbranch_execz .LBB89_75
; %bb.68:
	ds_read_b128 v[1:4], v58
	s_andn2_b32 vcc_lo, exec_lo, s34
	s_cbranch_vccnz .LBB89_70
; %bb.69:
	s_clause 0x3
	buffer_load_dword v59, v57, s[0:3], 0 offen offset:8
	buffer_load_dword v60, v57, s[0:3], 0 offen offset:12
	buffer_load_dword v61, v57, s[0:3], 0 offen
	buffer_load_dword v62, v57, s[0:3], 0 offen offset:4
	s_waitcnt vmcnt(2) lgkmcnt(0)
	v_mul_f64 v[64:65], v[3:4], v[59:60]
	v_mul_f64 v[59:60], v[1:2], v[59:60]
	s_waitcnt vmcnt(0)
	v_fma_f64 v[1:2], v[1:2], v[61:62], -v[64:65]
	v_fma_f64 v[3:4], v[3:4], v[61:62], v[59:60]
.LBB89_70:
	s_and_saveexec_b32 s8, s5
	s_cbranch_execz .LBB89_74
; %bb.71:
	v_subrev_nc_u32_e32 v59, 17, v0
	s_movk_i32 s35, 0x2b0
	s_mov_b32 s5, 0
	s_mov_b32 s36, s16
	.p2align	6
.LBB89_72:                              ; =>This Inner Loop Header: Depth=1
	v_mov_b32_e32 v62, s36
	v_add_nc_u32_e32 v59, -1, v59
	s_add_i32 s36, s36, 16
	s_clause 0x3
	buffer_load_dword v60, v62, s[0:3], 0 offen offset:8
	buffer_load_dword v61, v62, s[0:3], 0 offen offset:12
	buffer_load_dword v68, v62, s[0:3], 0 offen
	buffer_load_dword v69, v62, s[0:3], 0 offen offset:4
	v_mov_b32_e32 v62, s35
	v_cmp_eq_u32_e32 vcc_lo, 0, v59
	s_add_i32 s35, s35, 16
	ds_read_b128 v[64:67], v62
	s_or_b32 s5, vcc_lo, s5
	s_waitcnt vmcnt(2) lgkmcnt(0)
	v_mul_f64 v[70:71], v[66:67], v[60:61]
	v_mul_f64 v[60:61], v[64:65], v[60:61]
	s_waitcnt vmcnt(0)
	v_fma_f64 v[64:65], v[64:65], v[68:69], -v[70:71]
	v_fma_f64 v[60:61], v[66:67], v[68:69], v[60:61]
	v_add_f64 v[1:2], v[1:2], v[64:65]
	v_add_f64 v[3:4], v[3:4], v[60:61]
	s_andn2_b32 exec_lo, exec_lo, s5
	s_cbranch_execnz .LBB89_72
; %bb.73:
	s_or_b32 exec_lo, exec_lo, s5
.LBB89_74:
	s_or_b32 exec_lo, exec_lo, s8
	v_mov_b32_e32 v59, 0
	ds_read_b128 v[59:62], v59 offset:256
	s_waitcnt lgkmcnt(0)
	v_mul_f64 v[64:65], v[3:4], v[61:62]
	v_mul_f64 v[61:62], v[1:2], v[61:62]
	v_fma_f64 v[1:2], v[1:2], v[59:60], -v[64:65]
	v_fma_f64 v[3:4], v[3:4], v[59:60], v[61:62]
	buffer_store_dword v2, off, s[0:3], 0 offset:260
	buffer_store_dword v1, off, s[0:3], 0 offset:256
	;; [unrolled: 1-line block ×4, first 2 shown]
.LBB89_75:
	s_or_b32 exec_lo, exec_lo, s6
	v_mov_b32_e32 v4, s18
	v_cmp_lt_u32_e64 s5, 15, v0
	s_clause 0x3
	buffer_load_dword v1, v4, s[0:3], 0 offen
	buffer_load_dword v2, v4, s[0:3], 0 offen offset:4
	buffer_load_dword v3, v4, s[0:3], 0 offen offset:8
	;; [unrolled: 1-line block ×3, first 2 shown]
	s_waitcnt vmcnt(0)
	ds_write_b128 v58, v[1:4]
	s_waitcnt lgkmcnt(0)
	s_waitcnt_vscnt null, 0x0
	s_barrier
	buffer_gl0_inv
	s_and_saveexec_b32 s6, s5
	s_cbranch_execz .LBB89_83
; %bb.76:
	ds_read_b128 v[1:4], v58
	s_andn2_b32 vcc_lo, exec_lo, s34
	s_cbranch_vccnz .LBB89_78
; %bb.77:
	s_clause 0x3
	buffer_load_dword v59, v57, s[0:3], 0 offen offset:8
	buffer_load_dword v60, v57, s[0:3], 0 offen offset:12
	buffer_load_dword v61, v57, s[0:3], 0 offen
	buffer_load_dword v62, v57, s[0:3], 0 offen offset:4
	s_waitcnt vmcnt(2) lgkmcnt(0)
	v_mul_f64 v[64:65], v[3:4], v[59:60]
	v_mul_f64 v[59:60], v[1:2], v[59:60]
	s_waitcnt vmcnt(0)
	v_fma_f64 v[1:2], v[1:2], v[61:62], -v[64:65]
	v_fma_f64 v[3:4], v[3:4], v[61:62], v[59:60]
.LBB89_78:
	s_and_saveexec_b32 s8, s4
	s_cbranch_execz .LBB89_82
; %bb.79:
	v_add_nc_u32_e32 v59, -16, v0
	s_movk_i32 s35, 0x2a0
	s_mov_b32 s4, 0
	s_mov_b32 s36, s17
	.p2align	6
.LBB89_80:                              ; =>This Inner Loop Header: Depth=1
	v_mov_b32_e32 v62, s36
	v_add_nc_u32_e32 v59, -1, v59
	s_add_i32 s36, s36, 16
	s_clause 0x3
	buffer_load_dword v60, v62, s[0:3], 0 offen offset:8
	buffer_load_dword v61, v62, s[0:3], 0 offen offset:12
	buffer_load_dword v68, v62, s[0:3], 0 offen
	buffer_load_dword v69, v62, s[0:3], 0 offen offset:4
	v_mov_b32_e32 v62, s35
	v_cmp_eq_u32_e32 vcc_lo, 0, v59
	s_add_i32 s35, s35, 16
	ds_read_b128 v[64:67], v62
	s_or_b32 s4, vcc_lo, s4
	s_waitcnt vmcnt(2) lgkmcnt(0)
	v_mul_f64 v[70:71], v[66:67], v[60:61]
	v_mul_f64 v[60:61], v[64:65], v[60:61]
	s_waitcnt vmcnt(0)
	v_fma_f64 v[64:65], v[64:65], v[68:69], -v[70:71]
	v_fma_f64 v[60:61], v[66:67], v[68:69], v[60:61]
	v_add_f64 v[1:2], v[1:2], v[64:65]
	v_add_f64 v[3:4], v[3:4], v[60:61]
	s_andn2_b32 exec_lo, exec_lo, s4
	s_cbranch_execnz .LBB89_80
; %bb.81:
	s_or_b32 exec_lo, exec_lo, s4
.LBB89_82:
	s_or_b32 exec_lo, exec_lo, s8
	v_mov_b32_e32 v59, 0
	ds_read_b128 v[59:62], v59 offset:240
	s_waitcnt lgkmcnt(0)
	v_mul_f64 v[64:65], v[3:4], v[61:62]
	v_mul_f64 v[61:62], v[1:2], v[61:62]
	v_fma_f64 v[1:2], v[1:2], v[59:60], -v[64:65]
	v_fma_f64 v[3:4], v[3:4], v[59:60], v[61:62]
	buffer_store_dword v2, off, s[0:3], 0 offset:244
	buffer_store_dword v1, off, s[0:3], 0 offset:240
	buffer_store_dword v4, off, s[0:3], 0 offset:252
	buffer_store_dword v3, off, s[0:3], 0 offset:248
.LBB89_83:
	s_or_b32 exec_lo, exec_lo, s6
	v_mov_b32_e32 v4, s19
	v_cmp_lt_u32_e64 s4, 14, v0
	s_clause 0x3
	buffer_load_dword v1, v4, s[0:3], 0 offen
	buffer_load_dword v2, v4, s[0:3], 0 offen offset:4
	buffer_load_dword v3, v4, s[0:3], 0 offen offset:8
	;; [unrolled: 1-line block ×3, first 2 shown]
	s_waitcnt vmcnt(0)
	ds_write_b128 v58, v[1:4]
	s_waitcnt lgkmcnt(0)
	s_waitcnt_vscnt null, 0x0
	s_barrier
	buffer_gl0_inv
	s_and_saveexec_b32 s6, s4
	s_cbranch_execz .LBB89_91
; %bb.84:
	ds_read_b128 v[1:4], v58
	s_andn2_b32 vcc_lo, exec_lo, s34
	s_cbranch_vccnz .LBB89_86
; %bb.85:
	s_clause 0x3
	buffer_load_dword v59, v57, s[0:3], 0 offen offset:8
	buffer_load_dword v60, v57, s[0:3], 0 offen offset:12
	buffer_load_dword v61, v57, s[0:3], 0 offen
	buffer_load_dword v62, v57, s[0:3], 0 offen offset:4
	s_waitcnt vmcnt(2) lgkmcnt(0)
	v_mul_f64 v[64:65], v[3:4], v[59:60]
	v_mul_f64 v[59:60], v[1:2], v[59:60]
	s_waitcnt vmcnt(0)
	v_fma_f64 v[1:2], v[1:2], v[61:62], -v[64:65]
	v_fma_f64 v[3:4], v[3:4], v[61:62], v[59:60]
.LBB89_86:
	s_and_saveexec_b32 s8, s5
	s_cbranch_execz .LBB89_90
; %bb.87:
	v_add_nc_u32_e32 v59, -15, v0
	s_movk_i32 s35, 0x290
	s_mov_b32 s5, 0
	s_mov_b32 s36, s18
	.p2align	6
.LBB89_88:                              ; =>This Inner Loop Header: Depth=1
	v_mov_b32_e32 v62, s36
	v_add_nc_u32_e32 v59, -1, v59
	s_add_i32 s36, s36, 16
	s_clause 0x3
	buffer_load_dword v60, v62, s[0:3], 0 offen offset:8
	buffer_load_dword v61, v62, s[0:3], 0 offen offset:12
	buffer_load_dword v68, v62, s[0:3], 0 offen
	buffer_load_dword v69, v62, s[0:3], 0 offen offset:4
	v_mov_b32_e32 v62, s35
	v_cmp_eq_u32_e32 vcc_lo, 0, v59
	s_add_i32 s35, s35, 16
	ds_read_b128 v[64:67], v62
	s_or_b32 s5, vcc_lo, s5
	s_waitcnt vmcnt(2) lgkmcnt(0)
	v_mul_f64 v[70:71], v[66:67], v[60:61]
	v_mul_f64 v[60:61], v[64:65], v[60:61]
	s_waitcnt vmcnt(0)
	v_fma_f64 v[64:65], v[64:65], v[68:69], -v[70:71]
	v_fma_f64 v[60:61], v[66:67], v[68:69], v[60:61]
	v_add_f64 v[1:2], v[1:2], v[64:65]
	v_add_f64 v[3:4], v[3:4], v[60:61]
	s_andn2_b32 exec_lo, exec_lo, s5
	s_cbranch_execnz .LBB89_88
; %bb.89:
	s_or_b32 exec_lo, exec_lo, s5
.LBB89_90:
	s_or_b32 exec_lo, exec_lo, s8
	v_mov_b32_e32 v59, 0
	ds_read_b128 v[59:62], v59 offset:224
	s_waitcnt lgkmcnt(0)
	v_mul_f64 v[64:65], v[3:4], v[61:62]
	v_mul_f64 v[61:62], v[1:2], v[61:62]
	v_fma_f64 v[1:2], v[1:2], v[59:60], -v[64:65]
	v_fma_f64 v[3:4], v[3:4], v[59:60], v[61:62]
	buffer_store_dword v2, off, s[0:3], 0 offset:228
	buffer_store_dword v1, off, s[0:3], 0 offset:224
	;; [unrolled: 1-line block ×4, first 2 shown]
.LBB89_91:
	s_or_b32 exec_lo, exec_lo, s6
	v_mov_b32_e32 v4, s20
	v_cmp_lt_u32_e64 s5, 13, v0
	s_clause 0x3
	buffer_load_dword v1, v4, s[0:3], 0 offen
	buffer_load_dword v2, v4, s[0:3], 0 offen offset:4
	buffer_load_dword v3, v4, s[0:3], 0 offen offset:8
	;; [unrolled: 1-line block ×3, first 2 shown]
	s_waitcnt vmcnt(0)
	ds_write_b128 v58, v[1:4]
	s_waitcnt lgkmcnt(0)
	s_waitcnt_vscnt null, 0x0
	s_barrier
	buffer_gl0_inv
	s_and_saveexec_b32 s6, s5
	s_cbranch_execz .LBB89_99
; %bb.92:
	ds_read_b128 v[1:4], v58
	s_andn2_b32 vcc_lo, exec_lo, s34
	s_cbranch_vccnz .LBB89_94
; %bb.93:
	s_clause 0x3
	buffer_load_dword v59, v57, s[0:3], 0 offen offset:8
	buffer_load_dword v60, v57, s[0:3], 0 offen offset:12
	buffer_load_dword v61, v57, s[0:3], 0 offen
	buffer_load_dword v62, v57, s[0:3], 0 offen offset:4
	s_waitcnt vmcnt(2) lgkmcnt(0)
	v_mul_f64 v[64:65], v[3:4], v[59:60]
	v_mul_f64 v[59:60], v[1:2], v[59:60]
	s_waitcnt vmcnt(0)
	v_fma_f64 v[1:2], v[1:2], v[61:62], -v[64:65]
	v_fma_f64 v[3:4], v[3:4], v[61:62], v[59:60]
.LBB89_94:
	s_and_saveexec_b32 s8, s4
	s_cbranch_execz .LBB89_98
; %bb.95:
	v_add_nc_u32_e32 v59, -14, v0
	s_movk_i32 s35, 0x280
	s_mov_b32 s4, 0
	s_mov_b32 s36, s19
	.p2align	6
.LBB89_96:                              ; =>This Inner Loop Header: Depth=1
	v_mov_b32_e32 v62, s36
	v_add_nc_u32_e32 v59, -1, v59
	s_add_i32 s36, s36, 16
	s_clause 0x3
	buffer_load_dword v60, v62, s[0:3], 0 offen offset:8
	buffer_load_dword v61, v62, s[0:3], 0 offen offset:12
	buffer_load_dword v68, v62, s[0:3], 0 offen
	buffer_load_dword v69, v62, s[0:3], 0 offen offset:4
	v_mov_b32_e32 v62, s35
	v_cmp_eq_u32_e32 vcc_lo, 0, v59
	s_add_i32 s35, s35, 16
	ds_read_b128 v[64:67], v62
	s_or_b32 s4, vcc_lo, s4
	s_waitcnt vmcnt(2) lgkmcnt(0)
	v_mul_f64 v[70:71], v[66:67], v[60:61]
	v_mul_f64 v[60:61], v[64:65], v[60:61]
	s_waitcnt vmcnt(0)
	v_fma_f64 v[64:65], v[64:65], v[68:69], -v[70:71]
	v_fma_f64 v[60:61], v[66:67], v[68:69], v[60:61]
	v_add_f64 v[1:2], v[1:2], v[64:65]
	v_add_f64 v[3:4], v[3:4], v[60:61]
	s_andn2_b32 exec_lo, exec_lo, s4
	s_cbranch_execnz .LBB89_96
; %bb.97:
	s_or_b32 exec_lo, exec_lo, s4
.LBB89_98:
	s_or_b32 exec_lo, exec_lo, s8
	v_mov_b32_e32 v59, 0
	ds_read_b128 v[59:62], v59 offset:208
	s_waitcnt lgkmcnt(0)
	v_mul_f64 v[64:65], v[3:4], v[61:62]
	v_mul_f64 v[61:62], v[1:2], v[61:62]
	v_fma_f64 v[1:2], v[1:2], v[59:60], -v[64:65]
	v_fma_f64 v[3:4], v[3:4], v[59:60], v[61:62]
	buffer_store_dword v2, off, s[0:3], 0 offset:212
	buffer_store_dword v1, off, s[0:3], 0 offset:208
	;; [unrolled: 1-line block ×4, first 2 shown]
.LBB89_99:
	s_or_b32 exec_lo, exec_lo, s6
	v_mov_b32_e32 v4, s21
	v_cmp_lt_u32_e64 s4, 12, v0
	s_clause 0x3
	buffer_load_dword v1, v4, s[0:3], 0 offen
	buffer_load_dword v2, v4, s[0:3], 0 offen offset:4
	buffer_load_dword v3, v4, s[0:3], 0 offen offset:8
	;; [unrolled: 1-line block ×3, first 2 shown]
	s_waitcnt vmcnt(0)
	ds_write_b128 v58, v[1:4]
	s_waitcnt lgkmcnt(0)
	s_waitcnt_vscnt null, 0x0
	s_barrier
	buffer_gl0_inv
	s_and_saveexec_b32 s6, s4
	s_cbranch_execz .LBB89_107
; %bb.100:
	ds_read_b128 v[1:4], v58
	s_andn2_b32 vcc_lo, exec_lo, s34
	s_cbranch_vccnz .LBB89_102
; %bb.101:
	s_clause 0x3
	buffer_load_dword v59, v57, s[0:3], 0 offen offset:8
	buffer_load_dword v60, v57, s[0:3], 0 offen offset:12
	buffer_load_dword v61, v57, s[0:3], 0 offen
	buffer_load_dword v62, v57, s[0:3], 0 offen offset:4
	s_waitcnt vmcnt(2) lgkmcnt(0)
	v_mul_f64 v[64:65], v[3:4], v[59:60]
	v_mul_f64 v[59:60], v[1:2], v[59:60]
	s_waitcnt vmcnt(0)
	v_fma_f64 v[1:2], v[1:2], v[61:62], -v[64:65]
	v_fma_f64 v[3:4], v[3:4], v[61:62], v[59:60]
.LBB89_102:
	s_and_saveexec_b32 s8, s5
	s_cbranch_execz .LBB89_106
; %bb.103:
	v_add_nc_u32_e32 v59, -13, v0
	s_movk_i32 s35, 0x270
	s_mov_b32 s5, 0
	s_mov_b32 s36, s20
	.p2align	6
.LBB89_104:                             ; =>This Inner Loop Header: Depth=1
	v_mov_b32_e32 v62, s36
	v_add_nc_u32_e32 v59, -1, v59
	s_add_i32 s36, s36, 16
	s_clause 0x3
	buffer_load_dword v60, v62, s[0:3], 0 offen offset:8
	buffer_load_dword v61, v62, s[0:3], 0 offen offset:12
	buffer_load_dword v68, v62, s[0:3], 0 offen
	buffer_load_dword v69, v62, s[0:3], 0 offen offset:4
	v_mov_b32_e32 v62, s35
	v_cmp_eq_u32_e32 vcc_lo, 0, v59
	s_add_i32 s35, s35, 16
	ds_read_b128 v[64:67], v62
	s_or_b32 s5, vcc_lo, s5
	s_waitcnt vmcnt(2) lgkmcnt(0)
	v_mul_f64 v[70:71], v[66:67], v[60:61]
	v_mul_f64 v[60:61], v[64:65], v[60:61]
	s_waitcnt vmcnt(0)
	v_fma_f64 v[64:65], v[64:65], v[68:69], -v[70:71]
	v_fma_f64 v[60:61], v[66:67], v[68:69], v[60:61]
	v_add_f64 v[1:2], v[1:2], v[64:65]
	v_add_f64 v[3:4], v[3:4], v[60:61]
	s_andn2_b32 exec_lo, exec_lo, s5
	s_cbranch_execnz .LBB89_104
; %bb.105:
	s_or_b32 exec_lo, exec_lo, s5
.LBB89_106:
	s_or_b32 exec_lo, exec_lo, s8
	v_mov_b32_e32 v59, 0
	ds_read_b128 v[59:62], v59 offset:192
	s_waitcnt lgkmcnt(0)
	v_mul_f64 v[64:65], v[3:4], v[61:62]
	v_mul_f64 v[61:62], v[1:2], v[61:62]
	v_fma_f64 v[1:2], v[1:2], v[59:60], -v[64:65]
	v_fma_f64 v[3:4], v[3:4], v[59:60], v[61:62]
	buffer_store_dword v2, off, s[0:3], 0 offset:196
	buffer_store_dword v1, off, s[0:3], 0 offset:192
	;; [unrolled: 1-line block ×4, first 2 shown]
.LBB89_107:
	s_or_b32 exec_lo, exec_lo, s6
	v_mov_b32_e32 v4, s22
	v_cmp_lt_u32_e64 s5, 11, v0
	s_clause 0x3
	buffer_load_dword v1, v4, s[0:3], 0 offen
	buffer_load_dword v2, v4, s[0:3], 0 offen offset:4
	buffer_load_dword v3, v4, s[0:3], 0 offen offset:8
	;; [unrolled: 1-line block ×3, first 2 shown]
	s_waitcnt vmcnt(0)
	ds_write_b128 v58, v[1:4]
	s_waitcnt lgkmcnt(0)
	s_waitcnt_vscnt null, 0x0
	s_barrier
	buffer_gl0_inv
	s_and_saveexec_b32 s6, s5
	s_cbranch_execz .LBB89_115
; %bb.108:
	ds_read_b128 v[1:4], v58
	s_andn2_b32 vcc_lo, exec_lo, s34
	s_cbranch_vccnz .LBB89_110
; %bb.109:
	s_clause 0x3
	buffer_load_dword v59, v57, s[0:3], 0 offen offset:8
	buffer_load_dword v60, v57, s[0:3], 0 offen offset:12
	buffer_load_dword v61, v57, s[0:3], 0 offen
	buffer_load_dword v62, v57, s[0:3], 0 offen offset:4
	s_waitcnt vmcnt(2) lgkmcnt(0)
	v_mul_f64 v[64:65], v[3:4], v[59:60]
	v_mul_f64 v[59:60], v[1:2], v[59:60]
	s_waitcnt vmcnt(0)
	v_fma_f64 v[1:2], v[1:2], v[61:62], -v[64:65]
	v_fma_f64 v[3:4], v[3:4], v[61:62], v[59:60]
.LBB89_110:
	s_and_saveexec_b32 s8, s4
	s_cbranch_execz .LBB89_114
; %bb.111:
	v_add_nc_u32_e32 v59, -12, v0
	s_movk_i32 s35, 0x260
	s_mov_b32 s4, 0
	s_mov_b32 s36, s21
	.p2align	6
.LBB89_112:                             ; =>This Inner Loop Header: Depth=1
	v_mov_b32_e32 v62, s36
	v_add_nc_u32_e32 v59, -1, v59
	s_add_i32 s36, s36, 16
	s_clause 0x3
	buffer_load_dword v60, v62, s[0:3], 0 offen offset:8
	buffer_load_dword v61, v62, s[0:3], 0 offen offset:12
	buffer_load_dword v68, v62, s[0:3], 0 offen
	buffer_load_dword v69, v62, s[0:3], 0 offen offset:4
	v_mov_b32_e32 v62, s35
	v_cmp_eq_u32_e32 vcc_lo, 0, v59
	s_add_i32 s35, s35, 16
	ds_read_b128 v[64:67], v62
	s_or_b32 s4, vcc_lo, s4
	s_waitcnt vmcnt(2) lgkmcnt(0)
	v_mul_f64 v[70:71], v[66:67], v[60:61]
	v_mul_f64 v[60:61], v[64:65], v[60:61]
	s_waitcnt vmcnt(0)
	v_fma_f64 v[64:65], v[64:65], v[68:69], -v[70:71]
	v_fma_f64 v[60:61], v[66:67], v[68:69], v[60:61]
	v_add_f64 v[1:2], v[1:2], v[64:65]
	v_add_f64 v[3:4], v[3:4], v[60:61]
	s_andn2_b32 exec_lo, exec_lo, s4
	s_cbranch_execnz .LBB89_112
; %bb.113:
	s_or_b32 exec_lo, exec_lo, s4
.LBB89_114:
	s_or_b32 exec_lo, exec_lo, s8
	v_mov_b32_e32 v59, 0
	ds_read_b128 v[59:62], v59 offset:176
	s_waitcnt lgkmcnt(0)
	v_mul_f64 v[64:65], v[3:4], v[61:62]
	v_mul_f64 v[61:62], v[1:2], v[61:62]
	v_fma_f64 v[1:2], v[1:2], v[59:60], -v[64:65]
	v_fma_f64 v[3:4], v[3:4], v[59:60], v[61:62]
	buffer_store_dword v2, off, s[0:3], 0 offset:180
	buffer_store_dword v1, off, s[0:3], 0 offset:176
	;; [unrolled: 1-line block ×4, first 2 shown]
.LBB89_115:
	s_or_b32 exec_lo, exec_lo, s6
	v_mov_b32_e32 v4, s23
	v_cmp_lt_u32_e64 s4, 10, v0
	s_clause 0x3
	buffer_load_dword v1, v4, s[0:3], 0 offen
	buffer_load_dword v2, v4, s[0:3], 0 offen offset:4
	buffer_load_dword v3, v4, s[0:3], 0 offen offset:8
	;; [unrolled: 1-line block ×3, first 2 shown]
	s_waitcnt vmcnt(0)
	ds_write_b128 v58, v[1:4]
	s_waitcnt lgkmcnt(0)
	s_waitcnt_vscnt null, 0x0
	s_barrier
	buffer_gl0_inv
	s_and_saveexec_b32 s6, s4
	s_cbranch_execz .LBB89_123
; %bb.116:
	ds_read_b128 v[1:4], v58
	s_andn2_b32 vcc_lo, exec_lo, s34
	s_cbranch_vccnz .LBB89_118
; %bb.117:
	s_clause 0x3
	buffer_load_dword v59, v57, s[0:3], 0 offen offset:8
	buffer_load_dword v60, v57, s[0:3], 0 offen offset:12
	buffer_load_dword v61, v57, s[0:3], 0 offen
	buffer_load_dword v62, v57, s[0:3], 0 offen offset:4
	s_waitcnt vmcnt(2) lgkmcnt(0)
	v_mul_f64 v[64:65], v[3:4], v[59:60]
	v_mul_f64 v[59:60], v[1:2], v[59:60]
	s_waitcnt vmcnt(0)
	v_fma_f64 v[1:2], v[1:2], v[61:62], -v[64:65]
	v_fma_f64 v[3:4], v[3:4], v[61:62], v[59:60]
.LBB89_118:
	s_and_saveexec_b32 s8, s5
	s_cbranch_execz .LBB89_122
; %bb.119:
	v_add_nc_u32_e32 v59, -11, v0
	s_movk_i32 s35, 0x250
	s_mov_b32 s5, 0
	s_mov_b32 s36, s22
	.p2align	6
.LBB89_120:                             ; =>This Inner Loop Header: Depth=1
	v_mov_b32_e32 v62, s36
	v_add_nc_u32_e32 v59, -1, v59
	s_add_i32 s36, s36, 16
	s_clause 0x3
	buffer_load_dword v60, v62, s[0:3], 0 offen offset:8
	buffer_load_dword v61, v62, s[0:3], 0 offen offset:12
	buffer_load_dword v68, v62, s[0:3], 0 offen
	buffer_load_dword v69, v62, s[0:3], 0 offen offset:4
	v_mov_b32_e32 v62, s35
	v_cmp_eq_u32_e32 vcc_lo, 0, v59
	s_add_i32 s35, s35, 16
	ds_read_b128 v[64:67], v62
	s_or_b32 s5, vcc_lo, s5
	s_waitcnt vmcnt(2) lgkmcnt(0)
	v_mul_f64 v[70:71], v[66:67], v[60:61]
	v_mul_f64 v[60:61], v[64:65], v[60:61]
	s_waitcnt vmcnt(0)
	v_fma_f64 v[64:65], v[64:65], v[68:69], -v[70:71]
	v_fma_f64 v[60:61], v[66:67], v[68:69], v[60:61]
	v_add_f64 v[1:2], v[1:2], v[64:65]
	v_add_f64 v[3:4], v[3:4], v[60:61]
	s_andn2_b32 exec_lo, exec_lo, s5
	s_cbranch_execnz .LBB89_120
; %bb.121:
	s_or_b32 exec_lo, exec_lo, s5
.LBB89_122:
	s_or_b32 exec_lo, exec_lo, s8
	v_mov_b32_e32 v59, 0
	ds_read_b128 v[59:62], v59 offset:160
	s_waitcnt lgkmcnt(0)
	v_mul_f64 v[64:65], v[3:4], v[61:62]
	v_mul_f64 v[61:62], v[1:2], v[61:62]
	v_fma_f64 v[1:2], v[1:2], v[59:60], -v[64:65]
	v_fma_f64 v[3:4], v[3:4], v[59:60], v[61:62]
	buffer_store_dword v2, off, s[0:3], 0 offset:164
	buffer_store_dword v1, off, s[0:3], 0 offset:160
	;; [unrolled: 1-line block ×4, first 2 shown]
.LBB89_123:
	s_or_b32 exec_lo, exec_lo, s6
	v_mov_b32_e32 v4, s24
	v_cmp_lt_u32_e64 s5, 9, v0
	s_clause 0x3
	buffer_load_dword v1, v4, s[0:3], 0 offen
	buffer_load_dword v2, v4, s[0:3], 0 offen offset:4
	buffer_load_dword v3, v4, s[0:3], 0 offen offset:8
	;; [unrolled: 1-line block ×3, first 2 shown]
	s_waitcnt vmcnt(0)
	ds_write_b128 v58, v[1:4]
	s_waitcnt lgkmcnt(0)
	s_waitcnt_vscnt null, 0x0
	s_barrier
	buffer_gl0_inv
	s_and_saveexec_b32 s6, s5
	s_cbranch_execz .LBB89_131
; %bb.124:
	ds_read_b128 v[1:4], v58
	s_andn2_b32 vcc_lo, exec_lo, s34
	s_cbranch_vccnz .LBB89_126
; %bb.125:
	s_clause 0x3
	buffer_load_dword v59, v57, s[0:3], 0 offen offset:8
	buffer_load_dword v60, v57, s[0:3], 0 offen offset:12
	buffer_load_dword v61, v57, s[0:3], 0 offen
	buffer_load_dword v62, v57, s[0:3], 0 offen offset:4
	s_waitcnt vmcnt(2) lgkmcnt(0)
	v_mul_f64 v[64:65], v[3:4], v[59:60]
	v_mul_f64 v[59:60], v[1:2], v[59:60]
	s_waitcnt vmcnt(0)
	v_fma_f64 v[1:2], v[1:2], v[61:62], -v[64:65]
	v_fma_f64 v[3:4], v[3:4], v[61:62], v[59:60]
.LBB89_126:
	s_and_saveexec_b32 s8, s4
	s_cbranch_execz .LBB89_130
; %bb.127:
	v_add_nc_u32_e32 v59, -10, v0
	s_movk_i32 s35, 0x240
	s_mov_b32 s4, 0
	s_mov_b32 s36, s23
	.p2align	6
.LBB89_128:                             ; =>This Inner Loop Header: Depth=1
	v_mov_b32_e32 v62, s36
	v_add_nc_u32_e32 v59, -1, v59
	s_add_i32 s36, s36, 16
	s_clause 0x3
	buffer_load_dword v60, v62, s[0:3], 0 offen offset:8
	buffer_load_dword v61, v62, s[0:3], 0 offen offset:12
	buffer_load_dword v68, v62, s[0:3], 0 offen
	buffer_load_dword v69, v62, s[0:3], 0 offen offset:4
	v_mov_b32_e32 v62, s35
	v_cmp_eq_u32_e32 vcc_lo, 0, v59
	s_add_i32 s35, s35, 16
	ds_read_b128 v[64:67], v62
	s_or_b32 s4, vcc_lo, s4
	s_waitcnt vmcnt(2) lgkmcnt(0)
	v_mul_f64 v[70:71], v[66:67], v[60:61]
	v_mul_f64 v[60:61], v[64:65], v[60:61]
	s_waitcnt vmcnt(0)
	v_fma_f64 v[64:65], v[64:65], v[68:69], -v[70:71]
	v_fma_f64 v[60:61], v[66:67], v[68:69], v[60:61]
	v_add_f64 v[1:2], v[1:2], v[64:65]
	v_add_f64 v[3:4], v[3:4], v[60:61]
	s_andn2_b32 exec_lo, exec_lo, s4
	s_cbranch_execnz .LBB89_128
; %bb.129:
	s_or_b32 exec_lo, exec_lo, s4
.LBB89_130:
	s_or_b32 exec_lo, exec_lo, s8
	v_mov_b32_e32 v59, 0
	ds_read_b128 v[59:62], v59 offset:144
	s_waitcnt lgkmcnt(0)
	v_mul_f64 v[64:65], v[3:4], v[61:62]
	v_mul_f64 v[61:62], v[1:2], v[61:62]
	v_fma_f64 v[1:2], v[1:2], v[59:60], -v[64:65]
	v_fma_f64 v[3:4], v[3:4], v[59:60], v[61:62]
	buffer_store_dword v2, off, s[0:3], 0 offset:148
	buffer_store_dword v1, off, s[0:3], 0 offset:144
	;; [unrolled: 1-line block ×4, first 2 shown]
.LBB89_131:
	s_or_b32 exec_lo, exec_lo, s6
	v_mov_b32_e32 v4, s25
	v_cmp_lt_u32_e64 s4, 8, v0
	s_clause 0x3
	buffer_load_dword v1, v4, s[0:3], 0 offen
	buffer_load_dword v2, v4, s[0:3], 0 offen offset:4
	buffer_load_dword v3, v4, s[0:3], 0 offen offset:8
	;; [unrolled: 1-line block ×3, first 2 shown]
	s_waitcnt vmcnt(0)
	ds_write_b128 v58, v[1:4]
	s_waitcnt lgkmcnt(0)
	s_waitcnt_vscnt null, 0x0
	s_barrier
	buffer_gl0_inv
	s_and_saveexec_b32 s6, s4
	s_cbranch_execz .LBB89_139
; %bb.132:
	ds_read_b128 v[1:4], v58
	s_andn2_b32 vcc_lo, exec_lo, s34
	s_cbranch_vccnz .LBB89_134
; %bb.133:
	s_clause 0x3
	buffer_load_dword v59, v57, s[0:3], 0 offen offset:8
	buffer_load_dword v60, v57, s[0:3], 0 offen offset:12
	buffer_load_dword v61, v57, s[0:3], 0 offen
	buffer_load_dword v62, v57, s[0:3], 0 offen offset:4
	s_waitcnt vmcnt(2) lgkmcnt(0)
	v_mul_f64 v[64:65], v[3:4], v[59:60]
	v_mul_f64 v[59:60], v[1:2], v[59:60]
	s_waitcnt vmcnt(0)
	v_fma_f64 v[1:2], v[1:2], v[61:62], -v[64:65]
	v_fma_f64 v[3:4], v[3:4], v[61:62], v[59:60]
.LBB89_134:
	s_and_saveexec_b32 s8, s5
	s_cbranch_execz .LBB89_138
; %bb.135:
	v_add_nc_u32_e32 v59, -9, v0
	s_movk_i32 s35, 0x230
	s_mov_b32 s5, 0
	s_mov_b32 s36, s24
	.p2align	6
.LBB89_136:                             ; =>This Inner Loop Header: Depth=1
	v_mov_b32_e32 v62, s36
	v_add_nc_u32_e32 v59, -1, v59
	s_add_i32 s36, s36, 16
	s_clause 0x3
	buffer_load_dword v60, v62, s[0:3], 0 offen offset:8
	buffer_load_dword v61, v62, s[0:3], 0 offen offset:12
	buffer_load_dword v68, v62, s[0:3], 0 offen
	buffer_load_dword v69, v62, s[0:3], 0 offen offset:4
	v_mov_b32_e32 v62, s35
	v_cmp_eq_u32_e32 vcc_lo, 0, v59
	s_add_i32 s35, s35, 16
	ds_read_b128 v[64:67], v62
	s_or_b32 s5, vcc_lo, s5
	s_waitcnt vmcnt(2) lgkmcnt(0)
	v_mul_f64 v[70:71], v[66:67], v[60:61]
	v_mul_f64 v[60:61], v[64:65], v[60:61]
	s_waitcnt vmcnt(0)
	v_fma_f64 v[64:65], v[64:65], v[68:69], -v[70:71]
	v_fma_f64 v[60:61], v[66:67], v[68:69], v[60:61]
	v_add_f64 v[1:2], v[1:2], v[64:65]
	v_add_f64 v[3:4], v[3:4], v[60:61]
	s_andn2_b32 exec_lo, exec_lo, s5
	s_cbranch_execnz .LBB89_136
; %bb.137:
	s_or_b32 exec_lo, exec_lo, s5
.LBB89_138:
	s_or_b32 exec_lo, exec_lo, s8
	v_mov_b32_e32 v59, 0
	ds_read_b128 v[59:62], v59 offset:128
	s_waitcnt lgkmcnt(0)
	v_mul_f64 v[64:65], v[3:4], v[61:62]
	v_mul_f64 v[61:62], v[1:2], v[61:62]
	v_fma_f64 v[1:2], v[1:2], v[59:60], -v[64:65]
	v_fma_f64 v[3:4], v[3:4], v[59:60], v[61:62]
	buffer_store_dword v2, off, s[0:3], 0 offset:132
	buffer_store_dword v1, off, s[0:3], 0 offset:128
	;; [unrolled: 1-line block ×4, first 2 shown]
.LBB89_139:
	s_or_b32 exec_lo, exec_lo, s6
	v_mov_b32_e32 v4, s26
	v_cmp_lt_u32_e64 s5, 7, v0
	s_clause 0x3
	buffer_load_dword v1, v4, s[0:3], 0 offen
	buffer_load_dword v2, v4, s[0:3], 0 offen offset:4
	buffer_load_dword v3, v4, s[0:3], 0 offen offset:8
	;; [unrolled: 1-line block ×3, first 2 shown]
	s_waitcnt vmcnt(0)
	ds_write_b128 v58, v[1:4]
	s_waitcnt lgkmcnt(0)
	s_waitcnt_vscnt null, 0x0
	s_barrier
	buffer_gl0_inv
	s_and_saveexec_b32 s6, s5
	s_cbranch_execz .LBB89_147
; %bb.140:
	ds_read_b128 v[1:4], v58
	s_andn2_b32 vcc_lo, exec_lo, s34
	s_cbranch_vccnz .LBB89_142
; %bb.141:
	s_clause 0x3
	buffer_load_dword v59, v57, s[0:3], 0 offen offset:8
	buffer_load_dword v60, v57, s[0:3], 0 offen offset:12
	buffer_load_dword v61, v57, s[0:3], 0 offen
	buffer_load_dword v62, v57, s[0:3], 0 offen offset:4
	s_waitcnt vmcnt(2) lgkmcnt(0)
	v_mul_f64 v[64:65], v[3:4], v[59:60]
	v_mul_f64 v[59:60], v[1:2], v[59:60]
	s_waitcnt vmcnt(0)
	v_fma_f64 v[1:2], v[1:2], v[61:62], -v[64:65]
	v_fma_f64 v[3:4], v[3:4], v[61:62], v[59:60]
.LBB89_142:
	s_and_saveexec_b32 s8, s4
	s_cbranch_execz .LBB89_146
; %bb.143:
	v_add_nc_u32_e32 v59, -8, v0
	s_movk_i32 s35, 0x220
	s_mov_b32 s4, 0
	s_mov_b32 s36, s25
	.p2align	6
.LBB89_144:                             ; =>This Inner Loop Header: Depth=1
	v_mov_b32_e32 v62, s36
	v_add_nc_u32_e32 v59, -1, v59
	s_add_i32 s36, s36, 16
	s_clause 0x3
	buffer_load_dword v60, v62, s[0:3], 0 offen offset:8
	buffer_load_dword v61, v62, s[0:3], 0 offen offset:12
	buffer_load_dword v68, v62, s[0:3], 0 offen
	buffer_load_dword v69, v62, s[0:3], 0 offen offset:4
	v_mov_b32_e32 v62, s35
	v_cmp_eq_u32_e32 vcc_lo, 0, v59
	s_add_i32 s35, s35, 16
	ds_read_b128 v[64:67], v62
	s_or_b32 s4, vcc_lo, s4
	s_waitcnt vmcnt(2) lgkmcnt(0)
	v_mul_f64 v[70:71], v[66:67], v[60:61]
	v_mul_f64 v[60:61], v[64:65], v[60:61]
	s_waitcnt vmcnt(0)
	v_fma_f64 v[64:65], v[64:65], v[68:69], -v[70:71]
	v_fma_f64 v[60:61], v[66:67], v[68:69], v[60:61]
	v_add_f64 v[1:2], v[1:2], v[64:65]
	v_add_f64 v[3:4], v[3:4], v[60:61]
	s_andn2_b32 exec_lo, exec_lo, s4
	s_cbranch_execnz .LBB89_144
; %bb.145:
	s_or_b32 exec_lo, exec_lo, s4
.LBB89_146:
	s_or_b32 exec_lo, exec_lo, s8
	v_mov_b32_e32 v59, 0
	ds_read_b128 v[59:62], v59 offset:112
	s_waitcnt lgkmcnt(0)
	v_mul_f64 v[64:65], v[3:4], v[61:62]
	v_mul_f64 v[61:62], v[1:2], v[61:62]
	v_fma_f64 v[1:2], v[1:2], v[59:60], -v[64:65]
	v_fma_f64 v[3:4], v[3:4], v[59:60], v[61:62]
	buffer_store_dword v2, off, s[0:3], 0 offset:116
	buffer_store_dword v1, off, s[0:3], 0 offset:112
	;; [unrolled: 1-line block ×4, first 2 shown]
.LBB89_147:
	s_or_b32 exec_lo, exec_lo, s6
	v_mov_b32_e32 v4, s27
	v_cmp_lt_u32_e64 s4, 6, v0
	s_clause 0x3
	buffer_load_dword v1, v4, s[0:3], 0 offen
	buffer_load_dword v2, v4, s[0:3], 0 offen offset:4
	buffer_load_dword v3, v4, s[0:3], 0 offen offset:8
	;; [unrolled: 1-line block ×3, first 2 shown]
	s_waitcnt vmcnt(0)
	ds_write_b128 v58, v[1:4]
	s_waitcnt lgkmcnt(0)
	s_waitcnt_vscnt null, 0x0
	s_barrier
	buffer_gl0_inv
	s_and_saveexec_b32 s6, s4
	s_cbranch_execz .LBB89_155
; %bb.148:
	ds_read_b128 v[1:4], v58
	s_andn2_b32 vcc_lo, exec_lo, s34
	s_cbranch_vccnz .LBB89_150
; %bb.149:
	s_clause 0x3
	buffer_load_dword v59, v57, s[0:3], 0 offen offset:8
	buffer_load_dword v60, v57, s[0:3], 0 offen offset:12
	buffer_load_dword v61, v57, s[0:3], 0 offen
	buffer_load_dword v62, v57, s[0:3], 0 offen offset:4
	s_waitcnt vmcnt(2) lgkmcnt(0)
	v_mul_f64 v[64:65], v[3:4], v[59:60]
	v_mul_f64 v[59:60], v[1:2], v[59:60]
	s_waitcnt vmcnt(0)
	v_fma_f64 v[1:2], v[1:2], v[61:62], -v[64:65]
	v_fma_f64 v[3:4], v[3:4], v[61:62], v[59:60]
.LBB89_150:
	s_and_saveexec_b32 s8, s5
	s_cbranch_execz .LBB89_154
; %bb.151:
	v_add_nc_u32_e32 v59, -7, v0
	s_movk_i32 s35, 0x210
	s_mov_b32 s5, 0
	s_mov_b32 s36, s26
	.p2align	6
.LBB89_152:                             ; =>This Inner Loop Header: Depth=1
	v_mov_b32_e32 v62, s36
	v_add_nc_u32_e32 v59, -1, v59
	s_add_i32 s36, s36, 16
	s_clause 0x3
	buffer_load_dword v60, v62, s[0:3], 0 offen offset:8
	buffer_load_dword v61, v62, s[0:3], 0 offen offset:12
	buffer_load_dword v68, v62, s[0:3], 0 offen
	buffer_load_dword v69, v62, s[0:3], 0 offen offset:4
	v_mov_b32_e32 v62, s35
	v_cmp_eq_u32_e32 vcc_lo, 0, v59
	s_add_i32 s35, s35, 16
	ds_read_b128 v[64:67], v62
	s_or_b32 s5, vcc_lo, s5
	s_waitcnt vmcnt(2) lgkmcnt(0)
	v_mul_f64 v[70:71], v[66:67], v[60:61]
	v_mul_f64 v[60:61], v[64:65], v[60:61]
	s_waitcnt vmcnt(0)
	v_fma_f64 v[64:65], v[64:65], v[68:69], -v[70:71]
	v_fma_f64 v[60:61], v[66:67], v[68:69], v[60:61]
	v_add_f64 v[1:2], v[1:2], v[64:65]
	v_add_f64 v[3:4], v[3:4], v[60:61]
	s_andn2_b32 exec_lo, exec_lo, s5
	s_cbranch_execnz .LBB89_152
; %bb.153:
	s_or_b32 exec_lo, exec_lo, s5
.LBB89_154:
	s_or_b32 exec_lo, exec_lo, s8
	v_mov_b32_e32 v59, 0
	ds_read_b128 v[59:62], v59 offset:96
	s_waitcnt lgkmcnt(0)
	v_mul_f64 v[64:65], v[3:4], v[61:62]
	v_mul_f64 v[61:62], v[1:2], v[61:62]
	v_fma_f64 v[1:2], v[1:2], v[59:60], -v[64:65]
	v_fma_f64 v[3:4], v[3:4], v[59:60], v[61:62]
	buffer_store_dword v2, off, s[0:3], 0 offset:100
	buffer_store_dword v1, off, s[0:3], 0 offset:96
	;; [unrolled: 1-line block ×4, first 2 shown]
.LBB89_155:
	s_or_b32 exec_lo, exec_lo, s6
	v_mov_b32_e32 v4, s28
	v_cmp_lt_u32_e64 s5, 5, v0
	s_clause 0x3
	buffer_load_dword v1, v4, s[0:3], 0 offen
	buffer_load_dword v2, v4, s[0:3], 0 offen offset:4
	buffer_load_dword v3, v4, s[0:3], 0 offen offset:8
	;; [unrolled: 1-line block ×3, first 2 shown]
	s_waitcnt vmcnt(0)
	ds_write_b128 v58, v[1:4]
	s_waitcnt lgkmcnt(0)
	s_waitcnt_vscnt null, 0x0
	s_barrier
	buffer_gl0_inv
	s_and_saveexec_b32 s6, s5
	s_cbranch_execz .LBB89_163
; %bb.156:
	ds_read_b128 v[1:4], v58
	s_andn2_b32 vcc_lo, exec_lo, s34
	s_cbranch_vccnz .LBB89_158
; %bb.157:
	s_clause 0x3
	buffer_load_dword v59, v57, s[0:3], 0 offen offset:8
	buffer_load_dword v60, v57, s[0:3], 0 offen offset:12
	buffer_load_dword v61, v57, s[0:3], 0 offen
	buffer_load_dword v62, v57, s[0:3], 0 offen offset:4
	s_waitcnt vmcnt(2) lgkmcnt(0)
	v_mul_f64 v[64:65], v[3:4], v[59:60]
	v_mul_f64 v[59:60], v[1:2], v[59:60]
	s_waitcnt vmcnt(0)
	v_fma_f64 v[1:2], v[1:2], v[61:62], -v[64:65]
	v_fma_f64 v[3:4], v[3:4], v[61:62], v[59:60]
.LBB89_158:
	s_and_saveexec_b32 s8, s4
	s_cbranch_execz .LBB89_162
; %bb.159:
	v_add_nc_u32_e32 v59, -6, v0
	s_movk_i32 s35, 0x200
	s_mov_b32 s4, 0
	s_mov_b32 s36, s27
	.p2align	6
.LBB89_160:                             ; =>This Inner Loop Header: Depth=1
	v_mov_b32_e32 v62, s36
	v_add_nc_u32_e32 v59, -1, v59
	s_add_i32 s36, s36, 16
	s_clause 0x3
	buffer_load_dword v60, v62, s[0:3], 0 offen offset:8
	buffer_load_dword v61, v62, s[0:3], 0 offen offset:12
	buffer_load_dword v68, v62, s[0:3], 0 offen
	buffer_load_dword v69, v62, s[0:3], 0 offen offset:4
	v_mov_b32_e32 v62, s35
	v_cmp_eq_u32_e32 vcc_lo, 0, v59
	s_add_i32 s35, s35, 16
	ds_read_b128 v[64:67], v62
	s_or_b32 s4, vcc_lo, s4
	s_waitcnt vmcnt(2) lgkmcnt(0)
	v_mul_f64 v[70:71], v[66:67], v[60:61]
	v_mul_f64 v[60:61], v[64:65], v[60:61]
	s_waitcnt vmcnt(0)
	v_fma_f64 v[64:65], v[64:65], v[68:69], -v[70:71]
	v_fma_f64 v[60:61], v[66:67], v[68:69], v[60:61]
	v_add_f64 v[1:2], v[1:2], v[64:65]
	v_add_f64 v[3:4], v[3:4], v[60:61]
	s_andn2_b32 exec_lo, exec_lo, s4
	s_cbranch_execnz .LBB89_160
; %bb.161:
	s_or_b32 exec_lo, exec_lo, s4
.LBB89_162:
	s_or_b32 exec_lo, exec_lo, s8
	v_mov_b32_e32 v59, 0
	ds_read_b128 v[59:62], v59 offset:80
	s_waitcnt lgkmcnt(0)
	v_mul_f64 v[64:65], v[3:4], v[61:62]
	v_mul_f64 v[61:62], v[1:2], v[61:62]
	v_fma_f64 v[1:2], v[1:2], v[59:60], -v[64:65]
	v_fma_f64 v[3:4], v[3:4], v[59:60], v[61:62]
	buffer_store_dword v2, off, s[0:3], 0 offset:84
	buffer_store_dword v1, off, s[0:3], 0 offset:80
	;; [unrolled: 1-line block ×4, first 2 shown]
.LBB89_163:
	s_or_b32 exec_lo, exec_lo, s6
	v_mov_b32_e32 v4, s29
	v_cmp_lt_u32_e64 s4, 4, v0
	s_clause 0x3
	buffer_load_dword v1, v4, s[0:3], 0 offen
	buffer_load_dword v2, v4, s[0:3], 0 offen offset:4
	buffer_load_dword v3, v4, s[0:3], 0 offen offset:8
	;; [unrolled: 1-line block ×3, first 2 shown]
	s_waitcnt vmcnt(0)
	ds_write_b128 v58, v[1:4]
	s_waitcnt lgkmcnt(0)
	s_waitcnt_vscnt null, 0x0
	s_barrier
	buffer_gl0_inv
	s_and_saveexec_b32 s6, s4
	s_cbranch_execz .LBB89_171
; %bb.164:
	ds_read_b128 v[1:4], v58
	s_andn2_b32 vcc_lo, exec_lo, s34
	s_cbranch_vccnz .LBB89_166
; %bb.165:
	s_clause 0x3
	buffer_load_dword v59, v57, s[0:3], 0 offen offset:8
	buffer_load_dword v60, v57, s[0:3], 0 offen offset:12
	buffer_load_dword v61, v57, s[0:3], 0 offen
	buffer_load_dword v62, v57, s[0:3], 0 offen offset:4
	s_waitcnt vmcnt(2) lgkmcnt(0)
	v_mul_f64 v[64:65], v[3:4], v[59:60]
	v_mul_f64 v[59:60], v[1:2], v[59:60]
	s_waitcnt vmcnt(0)
	v_fma_f64 v[1:2], v[1:2], v[61:62], -v[64:65]
	v_fma_f64 v[3:4], v[3:4], v[61:62], v[59:60]
.LBB89_166:
	s_and_saveexec_b32 s8, s5
	s_cbranch_execz .LBB89_170
; %bb.167:
	v_add_nc_u32_e32 v59, -5, v0
	s_movk_i32 s35, 0x1f0
	s_mov_b32 s5, 0
	s_mov_b32 s36, s28
	.p2align	6
.LBB89_168:                             ; =>This Inner Loop Header: Depth=1
	v_mov_b32_e32 v62, s36
	v_add_nc_u32_e32 v59, -1, v59
	s_add_i32 s36, s36, 16
	s_clause 0x3
	buffer_load_dword v60, v62, s[0:3], 0 offen offset:8
	buffer_load_dword v61, v62, s[0:3], 0 offen offset:12
	buffer_load_dword v68, v62, s[0:3], 0 offen
	buffer_load_dword v69, v62, s[0:3], 0 offen offset:4
	v_mov_b32_e32 v62, s35
	v_cmp_eq_u32_e32 vcc_lo, 0, v59
	s_add_i32 s35, s35, 16
	ds_read_b128 v[64:67], v62
	s_or_b32 s5, vcc_lo, s5
	s_waitcnt vmcnt(2) lgkmcnt(0)
	v_mul_f64 v[70:71], v[66:67], v[60:61]
	v_mul_f64 v[60:61], v[64:65], v[60:61]
	s_waitcnt vmcnt(0)
	v_fma_f64 v[64:65], v[64:65], v[68:69], -v[70:71]
	v_fma_f64 v[60:61], v[66:67], v[68:69], v[60:61]
	v_add_f64 v[1:2], v[1:2], v[64:65]
	v_add_f64 v[3:4], v[3:4], v[60:61]
	s_andn2_b32 exec_lo, exec_lo, s5
	s_cbranch_execnz .LBB89_168
; %bb.169:
	s_or_b32 exec_lo, exec_lo, s5
.LBB89_170:
	s_or_b32 exec_lo, exec_lo, s8
	v_mov_b32_e32 v59, 0
	ds_read_b128 v[59:62], v59 offset:64
	s_waitcnt lgkmcnt(0)
	v_mul_f64 v[64:65], v[3:4], v[61:62]
	v_mul_f64 v[61:62], v[1:2], v[61:62]
	v_fma_f64 v[1:2], v[1:2], v[59:60], -v[64:65]
	v_fma_f64 v[3:4], v[3:4], v[59:60], v[61:62]
	buffer_store_dword v2, off, s[0:3], 0 offset:68
	buffer_store_dword v1, off, s[0:3], 0 offset:64
	;; [unrolled: 1-line block ×4, first 2 shown]
.LBB89_171:
	s_or_b32 exec_lo, exec_lo, s6
	v_mov_b32_e32 v4, s30
	v_cmp_lt_u32_e64 s5, 3, v0
	s_clause 0x3
	buffer_load_dword v1, v4, s[0:3], 0 offen
	buffer_load_dword v2, v4, s[0:3], 0 offen offset:4
	buffer_load_dword v3, v4, s[0:3], 0 offen offset:8
	;; [unrolled: 1-line block ×3, first 2 shown]
	s_waitcnt vmcnt(0)
	ds_write_b128 v58, v[1:4]
	s_waitcnt lgkmcnt(0)
	s_waitcnt_vscnt null, 0x0
	s_barrier
	buffer_gl0_inv
	s_and_saveexec_b32 s6, s5
	s_cbranch_execz .LBB89_179
; %bb.172:
	ds_read_b128 v[1:4], v58
	s_andn2_b32 vcc_lo, exec_lo, s34
	s_cbranch_vccnz .LBB89_174
; %bb.173:
	s_clause 0x3
	buffer_load_dword v59, v57, s[0:3], 0 offen offset:8
	buffer_load_dword v60, v57, s[0:3], 0 offen offset:12
	buffer_load_dword v61, v57, s[0:3], 0 offen
	buffer_load_dword v62, v57, s[0:3], 0 offen offset:4
	s_waitcnt vmcnt(2) lgkmcnt(0)
	v_mul_f64 v[64:65], v[3:4], v[59:60]
	v_mul_f64 v[59:60], v[1:2], v[59:60]
	s_waitcnt vmcnt(0)
	v_fma_f64 v[1:2], v[1:2], v[61:62], -v[64:65]
	v_fma_f64 v[3:4], v[3:4], v[61:62], v[59:60]
.LBB89_174:
	s_and_saveexec_b32 s8, s4
	s_cbranch_execz .LBB89_178
; %bb.175:
	v_add_nc_u32_e32 v59, -4, v0
	s_movk_i32 s35, 0x1e0
	s_mov_b32 s4, 0
	s_mov_b32 s36, s29
	.p2align	6
.LBB89_176:                             ; =>This Inner Loop Header: Depth=1
	v_mov_b32_e32 v62, s36
	v_add_nc_u32_e32 v59, -1, v59
	s_add_i32 s36, s36, 16
	s_clause 0x3
	buffer_load_dword v60, v62, s[0:3], 0 offen offset:8
	buffer_load_dword v61, v62, s[0:3], 0 offen offset:12
	buffer_load_dword v68, v62, s[0:3], 0 offen
	buffer_load_dword v69, v62, s[0:3], 0 offen offset:4
	v_mov_b32_e32 v62, s35
	v_cmp_eq_u32_e32 vcc_lo, 0, v59
	s_add_i32 s35, s35, 16
	ds_read_b128 v[64:67], v62
	s_or_b32 s4, vcc_lo, s4
	s_waitcnt vmcnt(2) lgkmcnt(0)
	v_mul_f64 v[70:71], v[66:67], v[60:61]
	v_mul_f64 v[60:61], v[64:65], v[60:61]
	s_waitcnt vmcnt(0)
	v_fma_f64 v[64:65], v[64:65], v[68:69], -v[70:71]
	v_fma_f64 v[60:61], v[66:67], v[68:69], v[60:61]
	v_add_f64 v[1:2], v[1:2], v[64:65]
	v_add_f64 v[3:4], v[3:4], v[60:61]
	s_andn2_b32 exec_lo, exec_lo, s4
	s_cbranch_execnz .LBB89_176
; %bb.177:
	s_or_b32 exec_lo, exec_lo, s4
.LBB89_178:
	s_or_b32 exec_lo, exec_lo, s8
	v_mov_b32_e32 v59, 0
	ds_read_b128 v[59:62], v59 offset:48
	s_waitcnt lgkmcnt(0)
	v_mul_f64 v[64:65], v[3:4], v[61:62]
	v_mul_f64 v[61:62], v[1:2], v[61:62]
	v_fma_f64 v[1:2], v[1:2], v[59:60], -v[64:65]
	v_fma_f64 v[3:4], v[3:4], v[59:60], v[61:62]
	buffer_store_dword v2, off, s[0:3], 0 offset:52
	buffer_store_dword v1, off, s[0:3], 0 offset:48
	buffer_store_dword v4, off, s[0:3], 0 offset:60
	buffer_store_dword v3, off, s[0:3], 0 offset:56
.LBB89_179:
	s_or_b32 exec_lo, exec_lo, s6
	v_mov_b32_e32 v4, s31
	v_cmp_lt_u32_e64 s6, 2, v0
	s_clause 0x3
	buffer_load_dword v1, v4, s[0:3], 0 offen
	buffer_load_dword v2, v4, s[0:3], 0 offen offset:4
	buffer_load_dword v3, v4, s[0:3], 0 offen offset:8
	;; [unrolled: 1-line block ×3, first 2 shown]
	s_waitcnt vmcnt(0)
	ds_write_b128 v58, v[1:4]
	s_waitcnt lgkmcnt(0)
	s_waitcnt_vscnt null, 0x0
	s_barrier
	buffer_gl0_inv
	s_and_saveexec_b32 s4, s6
	s_cbranch_execz .LBB89_187
; %bb.180:
	ds_read_b128 v[1:4], v58
	s_andn2_b32 vcc_lo, exec_lo, s34
	s_cbranch_vccnz .LBB89_182
; %bb.181:
	s_clause 0x3
	buffer_load_dword v59, v57, s[0:3], 0 offen offset:8
	buffer_load_dword v60, v57, s[0:3], 0 offen offset:12
	buffer_load_dword v61, v57, s[0:3], 0 offen
	buffer_load_dword v62, v57, s[0:3], 0 offen offset:4
	s_waitcnt vmcnt(2) lgkmcnt(0)
	v_mul_f64 v[64:65], v[3:4], v[59:60]
	v_mul_f64 v[59:60], v[1:2], v[59:60]
	s_waitcnt vmcnt(0)
	v_fma_f64 v[1:2], v[1:2], v[61:62], -v[64:65]
	v_fma_f64 v[3:4], v[3:4], v[61:62], v[59:60]
.LBB89_182:
	s_and_saveexec_b32 s8, s5
	s_cbranch_execz .LBB89_186
; %bb.183:
	v_add_nc_u32_e32 v59, -3, v0
	s_movk_i32 s35, 0x1d0
	s_mov_b32 s5, 0
	s_mov_b32 s36, s30
	.p2align	6
.LBB89_184:                             ; =>This Inner Loop Header: Depth=1
	v_mov_b32_e32 v62, s36
	v_add_nc_u32_e32 v59, -1, v59
	s_add_i32 s36, s36, 16
	s_clause 0x3
	buffer_load_dword v60, v62, s[0:3], 0 offen offset:8
	buffer_load_dword v61, v62, s[0:3], 0 offen offset:12
	buffer_load_dword v68, v62, s[0:3], 0 offen
	buffer_load_dword v69, v62, s[0:3], 0 offen offset:4
	v_mov_b32_e32 v62, s35
	v_cmp_eq_u32_e32 vcc_lo, 0, v59
	s_add_i32 s35, s35, 16
	ds_read_b128 v[64:67], v62
	s_or_b32 s5, vcc_lo, s5
	s_waitcnt vmcnt(2) lgkmcnt(0)
	v_mul_f64 v[70:71], v[66:67], v[60:61]
	v_mul_f64 v[60:61], v[64:65], v[60:61]
	s_waitcnt vmcnt(0)
	v_fma_f64 v[64:65], v[64:65], v[68:69], -v[70:71]
	v_fma_f64 v[60:61], v[66:67], v[68:69], v[60:61]
	v_add_f64 v[1:2], v[1:2], v[64:65]
	v_add_f64 v[3:4], v[3:4], v[60:61]
	s_andn2_b32 exec_lo, exec_lo, s5
	s_cbranch_execnz .LBB89_184
; %bb.185:
	s_or_b32 exec_lo, exec_lo, s5
.LBB89_186:
	s_or_b32 exec_lo, exec_lo, s8
	v_mov_b32_e32 v59, 0
	ds_read_b128 v[59:62], v59 offset:32
	s_waitcnt lgkmcnt(0)
	v_mul_f64 v[64:65], v[3:4], v[61:62]
	v_mul_f64 v[61:62], v[1:2], v[61:62]
	v_fma_f64 v[1:2], v[1:2], v[59:60], -v[64:65]
	v_fma_f64 v[3:4], v[3:4], v[59:60], v[61:62]
	buffer_store_dword v2, off, s[0:3], 0 offset:36
	buffer_store_dword v1, off, s[0:3], 0 offset:32
	;; [unrolled: 1-line block ×4, first 2 shown]
.LBB89_187:
	s_or_b32 exec_lo, exec_lo, s4
	v_mov_b32_e32 v4, s33
	v_cmp_lt_u32_e64 s4, 1, v0
	s_clause 0x3
	buffer_load_dword v1, v4, s[0:3], 0 offen
	buffer_load_dword v2, v4, s[0:3], 0 offen offset:4
	buffer_load_dword v3, v4, s[0:3], 0 offen offset:8
	;; [unrolled: 1-line block ×3, first 2 shown]
	s_waitcnt vmcnt(0)
	ds_write_b128 v58, v[1:4]
	s_waitcnt lgkmcnt(0)
	s_waitcnt_vscnt null, 0x0
	s_barrier
	buffer_gl0_inv
	s_and_saveexec_b32 s5, s4
	s_cbranch_execz .LBB89_195
; %bb.188:
	ds_read_b128 v[1:4], v58
	s_andn2_b32 vcc_lo, exec_lo, s34
	s_cbranch_vccnz .LBB89_190
; %bb.189:
	s_clause 0x3
	buffer_load_dword v59, v57, s[0:3], 0 offen offset:8
	buffer_load_dword v60, v57, s[0:3], 0 offen offset:12
	buffer_load_dword v61, v57, s[0:3], 0 offen
	buffer_load_dword v62, v57, s[0:3], 0 offen offset:4
	s_waitcnt vmcnt(2) lgkmcnt(0)
	v_mul_f64 v[64:65], v[3:4], v[59:60]
	v_mul_f64 v[59:60], v[1:2], v[59:60]
	s_waitcnt vmcnt(0)
	v_fma_f64 v[1:2], v[1:2], v[61:62], -v[64:65]
	v_fma_f64 v[3:4], v[3:4], v[61:62], v[59:60]
.LBB89_190:
	s_and_saveexec_b32 s8, s6
	s_cbranch_execz .LBB89_194
; %bb.191:
	v_add_nc_u32_e32 v59, -2, v0
	s_movk_i32 s35, 0x1c0
	s_mov_b32 s6, 0
	s_mov_b32 s36, s31
	.p2align	6
.LBB89_192:                             ; =>This Inner Loop Header: Depth=1
	v_mov_b32_e32 v62, s36
	v_add_nc_u32_e32 v59, -1, v59
	s_add_i32 s36, s36, 16
	s_clause 0x3
	buffer_load_dword v60, v62, s[0:3], 0 offen offset:8
	buffer_load_dword v61, v62, s[0:3], 0 offen offset:12
	buffer_load_dword v68, v62, s[0:3], 0 offen
	buffer_load_dword v69, v62, s[0:3], 0 offen offset:4
	v_mov_b32_e32 v62, s35
	v_cmp_eq_u32_e32 vcc_lo, 0, v59
	s_add_i32 s35, s35, 16
	ds_read_b128 v[64:67], v62
	s_or_b32 s6, vcc_lo, s6
	s_waitcnt vmcnt(2) lgkmcnt(0)
	v_mul_f64 v[70:71], v[66:67], v[60:61]
	v_mul_f64 v[60:61], v[64:65], v[60:61]
	s_waitcnt vmcnt(0)
	v_fma_f64 v[64:65], v[64:65], v[68:69], -v[70:71]
	v_fma_f64 v[60:61], v[66:67], v[68:69], v[60:61]
	v_add_f64 v[1:2], v[1:2], v[64:65]
	v_add_f64 v[3:4], v[3:4], v[60:61]
	s_andn2_b32 exec_lo, exec_lo, s6
	s_cbranch_execnz .LBB89_192
; %bb.193:
	s_or_b32 exec_lo, exec_lo, s6
.LBB89_194:
	s_or_b32 exec_lo, exec_lo, s8
	v_mov_b32_e32 v59, 0
	ds_read_b128 v[59:62], v59 offset:16
	s_waitcnt lgkmcnt(0)
	v_mul_f64 v[64:65], v[3:4], v[61:62]
	v_mul_f64 v[61:62], v[1:2], v[61:62]
	v_fma_f64 v[1:2], v[1:2], v[59:60], -v[64:65]
	v_fma_f64 v[3:4], v[3:4], v[59:60], v[61:62]
	buffer_store_dword v2, off, s[0:3], 0 offset:20
	buffer_store_dword v1, off, s[0:3], 0 offset:16
	;; [unrolled: 1-line block ×4, first 2 shown]
.LBB89_195:
	s_or_b32 exec_lo, exec_lo, s5
	s_clause 0x3
	buffer_load_dword v1, off, s[0:3], 0
	buffer_load_dword v2, off, s[0:3], 0 offset:4
	buffer_load_dword v3, off, s[0:3], 0 offset:8
	;; [unrolled: 1-line block ×3, first 2 shown]
	s_mov_b32 s6, 0
	s_mov_b32 s5, 0
	s_mov_b32 s8, exec_lo
                                        ; implicit-def: $sgpr35
	s_waitcnt vmcnt(0)
	ds_write_b128 v58, v[1:4]
	s_waitcnt lgkmcnt(0)
	s_waitcnt_vscnt null, 0x0
	s_barrier
	buffer_gl0_inv
                                        ; implicit-def: $vgpr1_vgpr2
	v_cmpx_ne_u32_e32 0, v0
	s_cbranch_execz .LBB89_203
; %bb.196:
	ds_read_b128 v[1:4], v58
	s_andn2_b32 vcc_lo, exec_lo, s34
	s_cbranch_vccnz .LBB89_198
; %bb.197:
	s_clause 0x3
	buffer_load_dword v59, v57, s[0:3], 0 offen offset:8
	buffer_load_dword v60, v57, s[0:3], 0 offen offset:12
	buffer_load_dword v61, v57, s[0:3], 0 offen
	buffer_load_dword v62, v57, s[0:3], 0 offen offset:4
	s_waitcnt vmcnt(2) lgkmcnt(0)
	v_mul_f64 v[64:65], v[3:4], v[59:60]
	v_mul_f64 v[59:60], v[1:2], v[59:60]
	s_waitcnt vmcnt(0)
	v_fma_f64 v[1:2], v[1:2], v[61:62], -v[64:65]
	v_fma_f64 v[3:4], v[3:4], v[61:62], v[59:60]
.LBB89_198:
	s_and_saveexec_b32 s5, s4
	s_cbranch_execz .LBB89_202
; %bb.199:
	v_add_nc_u32_e32 v59, -1, v0
	s_movk_i32 s35, 0x1b0
	s_mov_b32 s4, 0
	s_mov_b32 s36, s33
	.p2align	6
.LBB89_200:                             ; =>This Inner Loop Header: Depth=1
	v_mov_b32_e32 v62, s36
	v_add_nc_u32_e32 v59, -1, v59
	s_add_i32 s36, s36, 16
	s_clause 0x3
	buffer_load_dword v60, v62, s[0:3], 0 offen offset:8
	buffer_load_dword v61, v62, s[0:3], 0 offen offset:12
	buffer_load_dword v68, v62, s[0:3], 0 offen
	buffer_load_dword v69, v62, s[0:3], 0 offen offset:4
	v_mov_b32_e32 v62, s35
	v_cmp_eq_u32_e32 vcc_lo, 0, v59
	s_add_i32 s35, s35, 16
	ds_read_b128 v[64:67], v62
	s_or_b32 s4, vcc_lo, s4
	s_waitcnt vmcnt(2) lgkmcnt(0)
	v_mul_f64 v[70:71], v[66:67], v[60:61]
	v_mul_f64 v[60:61], v[64:65], v[60:61]
	s_waitcnt vmcnt(0)
	v_fma_f64 v[64:65], v[64:65], v[68:69], -v[70:71]
	v_fma_f64 v[60:61], v[66:67], v[68:69], v[60:61]
	v_add_f64 v[1:2], v[1:2], v[64:65]
	v_add_f64 v[3:4], v[3:4], v[60:61]
	s_andn2_b32 exec_lo, exec_lo, s4
	s_cbranch_execnz .LBB89_200
; %bb.201:
	s_or_b32 exec_lo, exec_lo, s4
.LBB89_202:
	s_or_b32 exec_lo, exec_lo, s5
	v_mov_b32_e32 v59, 0
	s_mov_b32 s5, exec_lo
	s_or_b32 s35, 0, 8
	ds_read_b128 v[59:62], v59
	s_waitcnt lgkmcnt(0)
	v_mul_f64 v[64:65], v[3:4], v[61:62]
	v_mul_f64 v[61:62], v[1:2], v[61:62]
	v_fma_f64 v[64:65], v[1:2], v[59:60], -v[64:65]
	v_fma_f64 v[1:2], v[3:4], v[59:60], v[61:62]
	buffer_store_dword v65, off, s[0:3], 0 offset:4
	buffer_store_dword v64, off, s[0:3], 0
.LBB89_203:
	s_or_b32 exec_lo, exec_lo, s8
	s_and_b32 vcc_lo, exec_lo, s6
	s_cbranch_vccnz .LBB89_205
	s_branch .LBB89_400
.LBB89_204:
	s_mov_b32 s5, 0
                                        ; implicit-def: $vgpr1_vgpr2
                                        ; implicit-def: $sgpr35
	s_cbranch_execz .LBB89_400
.LBB89_205:
	v_mov_b32_e32 v4, s33
	v_cmp_eq_u32_e64 s4, 0, v0
	v_cndmask_b32_e64 v59, 0, 1, s34
	s_clause 0x3
	buffer_load_dword v1, v4, s[0:3], 0 offen
	buffer_load_dword v2, v4, s[0:3], 0 offen offset:4
	buffer_load_dword v3, v4, s[0:3], 0 offen offset:8
	;; [unrolled: 1-line block ×3, first 2 shown]
	s_waitcnt vmcnt(0)
	ds_write_b128 v58, v[1:4]
	s_waitcnt lgkmcnt(0)
	s_waitcnt_vscnt null, 0x0
	s_barrier
	buffer_gl0_inv
	s_and_saveexec_b32 s6, s4
	s_cbranch_execz .LBB89_209
; %bb.206:
	ds_read_b128 v[1:4], v58
	s_andn2_b32 vcc_lo, exec_lo, s34
	s_cbranch_vccnz .LBB89_208
; %bb.207:
	s_clause 0x3
	buffer_load_dword v60, v57, s[0:3], 0 offen offset:8
	buffer_load_dword v61, v57, s[0:3], 0 offen offset:12
	buffer_load_dword v64, v57, s[0:3], 0 offen
	buffer_load_dword v65, v57, s[0:3], 0 offen offset:4
	s_waitcnt vmcnt(2) lgkmcnt(0)
	v_mul_f64 v[66:67], v[3:4], v[60:61]
	v_mul_f64 v[60:61], v[1:2], v[60:61]
	s_waitcnt vmcnt(0)
	v_fma_f64 v[1:2], v[1:2], v[64:65], -v[66:67]
	v_fma_f64 v[3:4], v[3:4], v[64:65], v[60:61]
.LBB89_208:
	v_mov_b32_e32 v60, 0
	ds_read_b128 v[64:67], v60 offset:16
	s_waitcnt lgkmcnt(0)
	v_mul_f64 v[60:61], v[3:4], v[66:67]
	v_mul_f64 v[66:67], v[1:2], v[66:67]
	v_fma_f64 v[1:2], v[1:2], v[64:65], -v[60:61]
	v_fma_f64 v[3:4], v[3:4], v[64:65], v[66:67]
	buffer_store_dword v2, off, s[0:3], 0 offset:20
	buffer_store_dword v1, off, s[0:3], 0 offset:16
	buffer_store_dword v4, off, s[0:3], 0 offset:28
	buffer_store_dword v3, off, s[0:3], 0 offset:24
.LBB89_209:
	s_or_b32 exec_lo, exec_lo, s6
	v_mov_b32_e32 v4, s31
	s_mov_b32 s6, exec_lo
	s_clause 0x3
	buffer_load_dword v1, v4, s[0:3], 0 offen
	buffer_load_dword v2, v4, s[0:3], 0 offen offset:4
	buffer_load_dword v3, v4, s[0:3], 0 offen offset:8
	;; [unrolled: 1-line block ×3, first 2 shown]
	s_waitcnt vmcnt(0)
	ds_write_b128 v58, v[1:4]
	s_waitcnt lgkmcnt(0)
	s_waitcnt_vscnt null, 0x0
	s_barrier
	buffer_gl0_inv
	v_cmpx_gt_u32_e32 2, v0
	s_cbranch_execz .LBB89_215
; %bb.210:
	ds_read_b128 v[1:4], v58
	v_cmp_ne_u32_e32 vcc_lo, 1, v59
	s_cbranch_vccnz .LBB89_212
; %bb.211:
	s_clause 0x3
	buffer_load_dword v60, v57, s[0:3], 0 offen offset:8
	buffer_load_dword v61, v57, s[0:3], 0 offen offset:12
	buffer_load_dword v64, v57, s[0:3], 0 offen
	buffer_load_dword v65, v57, s[0:3], 0 offen offset:4
	s_waitcnt vmcnt(2) lgkmcnt(0)
	v_mul_f64 v[66:67], v[3:4], v[60:61]
	v_mul_f64 v[60:61], v[1:2], v[60:61]
	s_waitcnt vmcnt(0)
	v_fma_f64 v[1:2], v[1:2], v[64:65], -v[66:67]
	v_fma_f64 v[3:4], v[3:4], v[64:65], v[60:61]
.LBB89_212:
	s_and_saveexec_b32 s8, s4
	s_cbranch_execz .LBB89_214
; %bb.213:
	s_clause 0x3
	buffer_load_dword v60, off, s[0:3], 0 offset:24
	buffer_load_dword v61, off, s[0:3], 0 offset:28
	;; [unrolled: 1-line block ×4, first 2 shown]
	v_mov_b32_e32 v62, 0
	ds_read_b128 v[64:67], v62 offset:432
	s_waitcnt vmcnt(2) lgkmcnt(0)
	v_mul_f64 v[70:71], v[66:67], v[60:61]
	v_mul_f64 v[60:61], v[64:65], v[60:61]
	s_waitcnt vmcnt(0)
	v_fma_f64 v[64:65], v[64:65], v[68:69], -v[70:71]
	v_fma_f64 v[60:61], v[66:67], v[68:69], v[60:61]
	v_add_f64 v[1:2], v[1:2], v[64:65]
	v_add_f64 v[3:4], v[3:4], v[60:61]
.LBB89_214:
	s_or_b32 exec_lo, exec_lo, s8
	v_mov_b32_e32 v60, 0
	ds_read_b128 v[64:67], v60 offset:32
	s_waitcnt lgkmcnt(0)
	v_mul_f64 v[60:61], v[3:4], v[66:67]
	v_mul_f64 v[66:67], v[1:2], v[66:67]
	v_fma_f64 v[1:2], v[1:2], v[64:65], -v[60:61]
	v_fma_f64 v[3:4], v[3:4], v[64:65], v[66:67]
	buffer_store_dword v2, off, s[0:3], 0 offset:36
	buffer_store_dword v1, off, s[0:3], 0 offset:32
	;; [unrolled: 1-line block ×4, first 2 shown]
.LBB89_215:
	s_or_b32 exec_lo, exec_lo, s6
	v_mov_b32_e32 v4, s30
	s_mov_b32 s6, exec_lo
	s_clause 0x3
	buffer_load_dword v1, v4, s[0:3], 0 offen
	buffer_load_dword v2, v4, s[0:3], 0 offen offset:4
	buffer_load_dword v3, v4, s[0:3], 0 offen offset:8
	;; [unrolled: 1-line block ×3, first 2 shown]
	s_waitcnt vmcnt(0)
	ds_write_b128 v58, v[1:4]
	s_waitcnt lgkmcnt(0)
	s_waitcnt_vscnt null, 0x0
	s_barrier
	buffer_gl0_inv
	v_cmpx_gt_u32_e32 3, v0
	s_cbranch_execz .LBB89_223
; %bb.216:
	ds_read_b128 v[1:4], v58
	v_cmp_ne_u32_e32 vcc_lo, 1, v59
	s_cbranch_vccnz .LBB89_218
; %bb.217:
	s_clause 0x3
	buffer_load_dword v60, v57, s[0:3], 0 offen offset:8
	buffer_load_dword v61, v57, s[0:3], 0 offen offset:12
	buffer_load_dword v64, v57, s[0:3], 0 offen
	buffer_load_dword v65, v57, s[0:3], 0 offen offset:4
	s_waitcnt vmcnt(2) lgkmcnt(0)
	v_mul_f64 v[66:67], v[3:4], v[60:61]
	v_mul_f64 v[60:61], v[1:2], v[60:61]
	s_waitcnt vmcnt(0)
	v_fma_f64 v[1:2], v[1:2], v[64:65], -v[66:67]
	v_fma_f64 v[3:4], v[3:4], v[64:65], v[60:61]
.LBB89_218:
	s_mov_b32 s8, exec_lo
	v_cmpx_ne_u32_e32 2, v0
	s_cbranch_execz .LBB89_222
; %bb.219:
	s_clause 0x3
	buffer_load_dword v60, v57, s[0:3], 0 offen offset:24
	buffer_load_dword v61, v57, s[0:3], 0 offen offset:28
	;; [unrolled: 1-line block ×4, first 2 shown]
	ds_read_b128 v[64:67], v58 offset:16
	s_waitcnt vmcnt(2) lgkmcnt(0)
	v_mul_f64 v[70:71], v[66:67], v[60:61]
	v_mul_f64 v[60:61], v[64:65], v[60:61]
	s_waitcnt vmcnt(0)
	v_fma_f64 v[64:65], v[64:65], v[68:69], -v[70:71]
	v_fma_f64 v[60:61], v[66:67], v[68:69], v[60:61]
	v_add_f64 v[1:2], v[1:2], v[64:65]
	v_add_f64 v[3:4], v[3:4], v[60:61]
	s_and_saveexec_b32 s34, s4
	s_cbranch_execz .LBB89_221
; %bb.220:
	s_clause 0x3
	buffer_load_dword v60, off, s[0:3], 0 offset:40
	buffer_load_dword v61, off, s[0:3], 0 offset:44
	;; [unrolled: 1-line block ×4, first 2 shown]
	v_mov_b32_e32 v62, 0
	ds_read_b128 v[64:67], v62 offset:448
	s_waitcnt vmcnt(2) lgkmcnt(0)
	v_mul_f64 v[70:71], v[64:65], v[60:61]
	v_mul_f64 v[60:61], v[66:67], v[60:61]
	s_waitcnt vmcnt(0)
	v_fma_f64 v[66:67], v[66:67], v[68:69], v[70:71]
	v_fma_f64 v[60:61], v[64:65], v[68:69], -v[60:61]
	v_add_f64 v[3:4], v[3:4], v[66:67]
	v_add_f64 v[1:2], v[1:2], v[60:61]
.LBB89_221:
	s_or_b32 exec_lo, exec_lo, s34
.LBB89_222:
	s_or_b32 exec_lo, exec_lo, s8
	v_mov_b32_e32 v60, 0
	ds_read_b128 v[64:67], v60 offset:48
	s_waitcnt lgkmcnt(0)
	v_mul_f64 v[60:61], v[3:4], v[66:67]
	v_mul_f64 v[66:67], v[1:2], v[66:67]
	v_fma_f64 v[1:2], v[1:2], v[64:65], -v[60:61]
	v_fma_f64 v[3:4], v[3:4], v[64:65], v[66:67]
	buffer_store_dword v2, off, s[0:3], 0 offset:52
	buffer_store_dword v1, off, s[0:3], 0 offset:48
	buffer_store_dword v4, off, s[0:3], 0 offset:60
	buffer_store_dword v3, off, s[0:3], 0 offset:56
.LBB89_223:
	s_or_b32 exec_lo, exec_lo, s6
	v_mov_b32_e32 v4, s29
	s_mov_b32 s4, exec_lo
	s_clause 0x3
	buffer_load_dword v1, v4, s[0:3], 0 offen
	buffer_load_dword v2, v4, s[0:3], 0 offen offset:4
	buffer_load_dword v3, v4, s[0:3], 0 offen offset:8
	;; [unrolled: 1-line block ×3, first 2 shown]
	s_waitcnt vmcnt(0)
	ds_write_b128 v58, v[1:4]
	s_waitcnt lgkmcnt(0)
	s_waitcnt_vscnt null, 0x0
	s_barrier
	buffer_gl0_inv
	v_cmpx_gt_u32_e32 4, v0
	s_cbranch_execz .LBB89_231
; %bb.224:
	ds_read_b128 v[1:4], v58
	v_cmp_ne_u32_e32 vcc_lo, 1, v59
	s_cbranch_vccnz .LBB89_226
; %bb.225:
	s_clause 0x3
	buffer_load_dword v60, v57, s[0:3], 0 offen offset:8
	buffer_load_dword v61, v57, s[0:3], 0 offen offset:12
	buffer_load_dword v64, v57, s[0:3], 0 offen
	buffer_load_dword v65, v57, s[0:3], 0 offen offset:4
	s_waitcnt vmcnt(2) lgkmcnt(0)
	v_mul_f64 v[66:67], v[3:4], v[60:61]
	v_mul_f64 v[60:61], v[1:2], v[60:61]
	s_waitcnt vmcnt(0)
	v_fma_f64 v[1:2], v[1:2], v[64:65], -v[66:67]
	v_fma_f64 v[3:4], v[3:4], v[64:65], v[60:61]
.LBB89_226:
	s_mov_b32 s6, exec_lo
	v_cmpx_ne_u32_e32 3, v0
	s_cbranch_execz .LBB89_230
; %bb.227:
	v_add_nc_u32_e32 v60, 0x1b0, v63
	v_add3_u32 v61, 0, v63, 16
	v_mov_b32_e32 v62, v0
	s_mov_b32 s8, 0
	.p2align	6
.LBB89_228:                             ; =>This Inner Loop Header: Depth=1
	s_clause 0x3
	buffer_load_dword v68, v61, s[0:3], 0 offen offset:8
	buffer_load_dword v69, v61, s[0:3], 0 offen offset:12
	buffer_load_dword v70, v61, s[0:3], 0 offen
	buffer_load_dword v71, v61, s[0:3], 0 offen offset:4
	ds_read_b128 v[64:67], v60
	v_add_nc_u32_e32 v62, 1, v62
	v_add_nc_u32_e32 v60, 16, v60
	;; [unrolled: 1-line block ×3, first 2 shown]
	v_cmp_lt_u32_e32 vcc_lo, 2, v62
	s_or_b32 s8, vcc_lo, s8
	s_waitcnt vmcnt(2) lgkmcnt(0)
	v_mul_f64 v[72:73], v[66:67], v[68:69]
	v_mul_f64 v[68:69], v[64:65], v[68:69]
	s_waitcnt vmcnt(0)
	v_fma_f64 v[64:65], v[64:65], v[70:71], -v[72:73]
	v_fma_f64 v[66:67], v[66:67], v[70:71], v[68:69]
	v_add_f64 v[1:2], v[1:2], v[64:65]
	v_add_f64 v[3:4], v[3:4], v[66:67]
	s_andn2_b32 exec_lo, exec_lo, s8
	s_cbranch_execnz .LBB89_228
; %bb.229:
	s_or_b32 exec_lo, exec_lo, s8
.LBB89_230:
	s_or_b32 exec_lo, exec_lo, s6
	v_mov_b32_e32 v60, 0
	ds_read_b128 v[64:67], v60 offset:64
	s_waitcnt lgkmcnt(0)
	v_mul_f64 v[60:61], v[3:4], v[66:67]
	v_mul_f64 v[66:67], v[1:2], v[66:67]
	v_fma_f64 v[1:2], v[1:2], v[64:65], -v[60:61]
	v_fma_f64 v[3:4], v[3:4], v[64:65], v[66:67]
	buffer_store_dword v2, off, s[0:3], 0 offset:68
	buffer_store_dword v1, off, s[0:3], 0 offset:64
	;; [unrolled: 1-line block ×4, first 2 shown]
.LBB89_231:
	s_or_b32 exec_lo, exec_lo, s4
	v_mov_b32_e32 v4, s28
	s_mov_b32 s4, exec_lo
	s_clause 0x3
	buffer_load_dword v1, v4, s[0:3], 0 offen
	buffer_load_dword v2, v4, s[0:3], 0 offen offset:4
	buffer_load_dword v3, v4, s[0:3], 0 offen offset:8
	;; [unrolled: 1-line block ×3, first 2 shown]
	s_waitcnt vmcnt(0)
	ds_write_b128 v58, v[1:4]
	s_waitcnt lgkmcnt(0)
	s_waitcnt_vscnt null, 0x0
	s_barrier
	buffer_gl0_inv
	v_cmpx_gt_u32_e32 5, v0
	s_cbranch_execz .LBB89_239
; %bb.232:
	ds_read_b128 v[1:4], v58
	v_cmp_ne_u32_e32 vcc_lo, 1, v59
	s_cbranch_vccnz .LBB89_234
; %bb.233:
	s_clause 0x3
	buffer_load_dword v60, v57, s[0:3], 0 offen offset:8
	buffer_load_dword v61, v57, s[0:3], 0 offen offset:12
	buffer_load_dword v64, v57, s[0:3], 0 offen
	buffer_load_dword v65, v57, s[0:3], 0 offen offset:4
	s_waitcnt vmcnt(2) lgkmcnt(0)
	v_mul_f64 v[66:67], v[3:4], v[60:61]
	v_mul_f64 v[60:61], v[1:2], v[60:61]
	s_waitcnt vmcnt(0)
	v_fma_f64 v[1:2], v[1:2], v[64:65], -v[66:67]
	v_fma_f64 v[3:4], v[3:4], v[64:65], v[60:61]
.LBB89_234:
	s_mov_b32 s6, exec_lo
	v_cmpx_ne_u32_e32 4, v0
	s_cbranch_execz .LBB89_238
; %bb.235:
	v_add_nc_u32_e32 v60, 0x1b0, v63
	v_add3_u32 v61, 0, v63, 16
	v_mov_b32_e32 v62, v0
	s_mov_b32 s8, 0
	.p2align	6
.LBB89_236:                             ; =>This Inner Loop Header: Depth=1
	s_clause 0x3
	buffer_load_dword v68, v61, s[0:3], 0 offen offset:8
	buffer_load_dword v69, v61, s[0:3], 0 offen offset:12
	buffer_load_dword v70, v61, s[0:3], 0 offen
	buffer_load_dword v71, v61, s[0:3], 0 offen offset:4
	ds_read_b128 v[64:67], v60
	v_add_nc_u32_e32 v62, 1, v62
	v_add_nc_u32_e32 v60, 16, v60
	;; [unrolled: 1-line block ×3, first 2 shown]
	v_cmp_lt_u32_e32 vcc_lo, 3, v62
	s_or_b32 s8, vcc_lo, s8
	s_waitcnt vmcnt(2) lgkmcnt(0)
	v_mul_f64 v[72:73], v[66:67], v[68:69]
	v_mul_f64 v[68:69], v[64:65], v[68:69]
	s_waitcnt vmcnt(0)
	v_fma_f64 v[64:65], v[64:65], v[70:71], -v[72:73]
	v_fma_f64 v[66:67], v[66:67], v[70:71], v[68:69]
	v_add_f64 v[1:2], v[1:2], v[64:65]
	v_add_f64 v[3:4], v[3:4], v[66:67]
	s_andn2_b32 exec_lo, exec_lo, s8
	s_cbranch_execnz .LBB89_236
; %bb.237:
	s_or_b32 exec_lo, exec_lo, s8
.LBB89_238:
	s_or_b32 exec_lo, exec_lo, s6
	v_mov_b32_e32 v60, 0
	ds_read_b128 v[64:67], v60 offset:80
	s_waitcnt lgkmcnt(0)
	v_mul_f64 v[60:61], v[3:4], v[66:67]
	v_mul_f64 v[66:67], v[1:2], v[66:67]
	v_fma_f64 v[1:2], v[1:2], v[64:65], -v[60:61]
	v_fma_f64 v[3:4], v[3:4], v[64:65], v[66:67]
	buffer_store_dword v2, off, s[0:3], 0 offset:84
	buffer_store_dword v1, off, s[0:3], 0 offset:80
	;; [unrolled: 1-line block ×4, first 2 shown]
.LBB89_239:
	s_or_b32 exec_lo, exec_lo, s4
	v_mov_b32_e32 v4, s27
	s_mov_b32 s4, exec_lo
	s_clause 0x3
	buffer_load_dword v1, v4, s[0:3], 0 offen
	buffer_load_dword v2, v4, s[0:3], 0 offen offset:4
	buffer_load_dword v3, v4, s[0:3], 0 offen offset:8
	;; [unrolled: 1-line block ×3, first 2 shown]
	s_waitcnt vmcnt(0)
	ds_write_b128 v58, v[1:4]
	s_waitcnt lgkmcnt(0)
	s_waitcnt_vscnt null, 0x0
	s_barrier
	buffer_gl0_inv
	v_cmpx_gt_u32_e32 6, v0
	s_cbranch_execz .LBB89_247
; %bb.240:
	ds_read_b128 v[1:4], v58
	v_cmp_ne_u32_e32 vcc_lo, 1, v59
	s_cbranch_vccnz .LBB89_242
; %bb.241:
	s_clause 0x3
	buffer_load_dword v60, v57, s[0:3], 0 offen offset:8
	buffer_load_dword v61, v57, s[0:3], 0 offen offset:12
	buffer_load_dword v64, v57, s[0:3], 0 offen
	buffer_load_dword v65, v57, s[0:3], 0 offen offset:4
	s_waitcnt vmcnt(2) lgkmcnt(0)
	v_mul_f64 v[66:67], v[3:4], v[60:61]
	v_mul_f64 v[60:61], v[1:2], v[60:61]
	s_waitcnt vmcnt(0)
	v_fma_f64 v[1:2], v[1:2], v[64:65], -v[66:67]
	v_fma_f64 v[3:4], v[3:4], v[64:65], v[60:61]
.LBB89_242:
	s_mov_b32 s6, exec_lo
	v_cmpx_ne_u32_e32 5, v0
	s_cbranch_execz .LBB89_246
; %bb.243:
	v_add_nc_u32_e32 v60, 0x1b0, v63
	v_add3_u32 v61, 0, v63, 16
	v_mov_b32_e32 v62, v0
	s_mov_b32 s8, 0
	.p2align	6
.LBB89_244:                             ; =>This Inner Loop Header: Depth=1
	s_clause 0x3
	buffer_load_dword v68, v61, s[0:3], 0 offen offset:8
	buffer_load_dword v69, v61, s[0:3], 0 offen offset:12
	buffer_load_dword v70, v61, s[0:3], 0 offen
	buffer_load_dword v71, v61, s[0:3], 0 offen offset:4
	ds_read_b128 v[64:67], v60
	v_add_nc_u32_e32 v62, 1, v62
	v_add_nc_u32_e32 v60, 16, v60
	;; [unrolled: 1-line block ×3, first 2 shown]
	v_cmp_lt_u32_e32 vcc_lo, 4, v62
	s_or_b32 s8, vcc_lo, s8
	s_waitcnt vmcnt(2) lgkmcnt(0)
	v_mul_f64 v[72:73], v[66:67], v[68:69]
	v_mul_f64 v[68:69], v[64:65], v[68:69]
	s_waitcnt vmcnt(0)
	v_fma_f64 v[64:65], v[64:65], v[70:71], -v[72:73]
	v_fma_f64 v[66:67], v[66:67], v[70:71], v[68:69]
	v_add_f64 v[1:2], v[1:2], v[64:65]
	v_add_f64 v[3:4], v[3:4], v[66:67]
	s_andn2_b32 exec_lo, exec_lo, s8
	s_cbranch_execnz .LBB89_244
; %bb.245:
	s_or_b32 exec_lo, exec_lo, s8
.LBB89_246:
	s_or_b32 exec_lo, exec_lo, s6
	v_mov_b32_e32 v60, 0
	ds_read_b128 v[64:67], v60 offset:96
	s_waitcnt lgkmcnt(0)
	v_mul_f64 v[60:61], v[3:4], v[66:67]
	v_mul_f64 v[66:67], v[1:2], v[66:67]
	v_fma_f64 v[1:2], v[1:2], v[64:65], -v[60:61]
	v_fma_f64 v[3:4], v[3:4], v[64:65], v[66:67]
	buffer_store_dword v2, off, s[0:3], 0 offset:100
	buffer_store_dword v1, off, s[0:3], 0 offset:96
	;; [unrolled: 1-line block ×4, first 2 shown]
.LBB89_247:
	s_or_b32 exec_lo, exec_lo, s4
	v_mov_b32_e32 v4, s26
	s_mov_b32 s4, exec_lo
	s_clause 0x3
	buffer_load_dword v1, v4, s[0:3], 0 offen
	buffer_load_dword v2, v4, s[0:3], 0 offen offset:4
	buffer_load_dword v3, v4, s[0:3], 0 offen offset:8
	;; [unrolled: 1-line block ×3, first 2 shown]
	s_waitcnt vmcnt(0)
	ds_write_b128 v58, v[1:4]
	s_waitcnt lgkmcnt(0)
	s_waitcnt_vscnt null, 0x0
	s_barrier
	buffer_gl0_inv
	v_cmpx_gt_u32_e32 7, v0
	s_cbranch_execz .LBB89_255
; %bb.248:
	ds_read_b128 v[1:4], v58
	v_cmp_ne_u32_e32 vcc_lo, 1, v59
	s_cbranch_vccnz .LBB89_250
; %bb.249:
	s_clause 0x3
	buffer_load_dword v60, v57, s[0:3], 0 offen offset:8
	buffer_load_dword v61, v57, s[0:3], 0 offen offset:12
	buffer_load_dword v64, v57, s[0:3], 0 offen
	buffer_load_dword v65, v57, s[0:3], 0 offen offset:4
	s_waitcnt vmcnt(2) lgkmcnt(0)
	v_mul_f64 v[66:67], v[3:4], v[60:61]
	v_mul_f64 v[60:61], v[1:2], v[60:61]
	s_waitcnt vmcnt(0)
	v_fma_f64 v[1:2], v[1:2], v[64:65], -v[66:67]
	v_fma_f64 v[3:4], v[3:4], v[64:65], v[60:61]
.LBB89_250:
	s_mov_b32 s6, exec_lo
	v_cmpx_ne_u32_e32 6, v0
	s_cbranch_execz .LBB89_254
; %bb.251:
	v_add_nc_u32_e32 v60, 0x1b0, v63
	v_add3_u32 v61, 0, v63, 16
	v_mov_b32_e32 v62, v0
	s_mov_b32 s8, 0
	.p2align	6
.LBB89_252:                             ; =>This Inner Loop Header: Depth=1
	s_clause 0x3
	buffer_load_dword v68, v61, s[0:3], 0 offen offset:8
	buffer_load_dword v69, v61, s[0:3], 0 offen offset:12
	buffer_load_dword v70, v61, s[0:3], 0 offen
	buffer_load_dword v71, v61, s[0:3], 0 offen offset:4
	ds_read_b128 v[64:67], v60
	v_add_nc_u32_e32 v62, 1, v62
	v_add_nc_u32_e32 v60, 16, v60
	;; [unrolled: 1-line block ×3, first 2 shown]
	v_cmp_lt_u32_e32 vcc_lo, 5, v62
	s_or_b32 s8, vcc_lo, s8
	s_waitcnt vmcnt(2) lgkmcnt(0)
	v_mul_f64 v[72:73], v[66:67], v[68:69]
	v_mul_f64 v[68:69], v[64:65], v[68:69]
	s_waitcnt vmcnt(0)
	v_fma_f64 v[64:65], v[64:65], v[70:71], -v[72:73]
	v_fma_f64 v[66:67], v[66:67], v[70:71], v[68:69]
	v_add_f64 v[1:2], v[1:2], v[64:65]
	v_add_f64 v[3:4], v[3:4], v[66:67]
	s_andn2_b32 exec_lo, exec_lo, s8
	s_cbranch_execnz .LBB89_252
; %bb.253:
	s_or_b32 exec_lo, exec_lo, s8
.LBB89_254:
	s_or_b32 exec_lo, exec_lo, s6
	v_mov_b32_e32 v60, 0
	ds_read_b128 v[64:67], v60 offset:112
	s_waitcnt lgkmcnt(0)
	v_mul_f64 v[60:61], v[3:4], v[66:67]
	v_mul_f64 v[66:67], v[1:2], v[66:67]
	v_fma_f64 v[1:2], v[1:2], v[64:65], -v[60:61]
	v_fma_f64 v[3:4], v[3:4], v[64:65], v[66:67]
	buffer_store_dword v2, off, s[0:3], 0 offset:116
	buffer_store_dword v1, off, s[0:3], 0 offset:112
	;; [unrolled: 1-line block ×4, first 2 shown]
.LBB89_255:
	s_or_b32 exec_lo, exec_lo, s4
	v_mov_b32_e32 v4, s25
	s_mov_b32 s4, exec_lo
	s_clause 0x3
	buffer_load_dword v1, v4, s[0:3], 0 offen
	buffer_load_dword v2, v4, s[0:3], 0 offen offset:4
	buffer_load_dword v3, v4, s[0:3], 0 offen offset:8
	;; [unrolled: 1-line block ×3, first 2 shown]
	s_waitcnt vmcnt(0)
	ds_write_b128 v58, v[1:4]
	s_waitcnt lgkmcnt(0)
	s_waitcnt_vscnt null, 0x0
	s_barrier
	buffer_gl0_inv
	v_cmpx_gt_u32_e32 8, v0
	s_cbranch_execz .LBB89_263
; %bb.256:
	ds_read_b128 v[1:4], v58
	v_cmp_ne_u32_e32 vcc_lo, 1, v59
	s_cbranch_vccnz .LBB89_258
; %bb.257:
	s_clause 0x3
	buffer_load_dword v60, v57, s[0:3], 0 offen offset:8
	buffer_load_dword v61, v57, s[0:3], 0 offen offset:12
	buffer_load_dword v64, v57, s[0:3], 0 offen
	buffer_load_dword v65, v57, s[0:3], 0 offen offset:4
	s_waitcnt vmcnt(2) lgkmcnt(0)
	v_mul_f64 v[66:67], v[3:4], v[60:61]
	v_mul_f64 v[60:61], v[1:2], v[60:61]
	s_waitcnt vmcnt(0)
	v_fma_f64 v[1:2], v[1:2], v[64:65], -v[66:67]
	v_fma_f64 v[3:4], v[3:4], v[64:65], v[60:61]
.LBB89_258:
	s_mov_b32 s6, exec_lo
	v_cmpx_ne_u32_e32 7, v0
	s_cbranch_execz .LBB89_262
; %bb.259:
	v_add_nc_u32_e32 v60, 0x1b0, v63
	v_add3_u32 v61, 0, v63, 16
	v_mov_b32_e32 v62, v0
	s_mov_b32 s8, 0
	.p2align	6
.LBB89_260:                             ; =>This Inner Loop Header: Depth=1
	s_clause 0x3
	buffer_load_dword v68, v61, s[0:3], 0 offen offset:8
	buffer_load_dword v69, v61, s[0:3], 0 offen offset:12
	buffer_load_dword v70, v61, s[0:3], 0 offen
	buffer_load_dword v71, v61, s[0:3], 0 offen offset:4
	ds_read_b128 v[64:67], v60
	v_add_nc_u32_e32 v62, 1, v62
	v_add_nc_u32_e32 v60, 16, v60
	;; [unrolled: 1-line block ×3, first 2 shown]
	v_cmp_lt_u32_e32 vcc_lo, 6, v62
	s_or_b32 s8, vcc_lo, s8
	s_waitcnt vmcnt(2) lgkmcnt(0)
	v_mul_f64 v[72:73], v[66:67], v[68:69]
	v_mul_f64 v[68:69], v[64:65], v[68:69]
	s_waitcnt vmcnt(0)
	v_fma_f64 v[64:65], v[64:65], v[70:71], -v[72:73]
	v_fma_f64 v[66:67], v[66:67], v[70:71], v[68:69]
	v_add_f64 v[1:2], v[1:2], v[64:65]
	v_add_f64 v[3:4], v[3:4], v[66:67]
	s_andn2_b32 exec_lo, exec_lo, s8
	s_cbranch_execnz .LBB89_260
; %bb.261:
	s_or_b32 exec_lo, exec_lo, s8
.LBB89_262:
	s_or_b32 exec_lo, exec_lo, s6
	v_mov_b32_e32 v60, 0
	ds_read_b128 v[64:67], v60 offset:128
	s_waitcnt lgkmcnt(0)
	v_mul_f64 v[60:61], v[3:4], v[66:67]
	v_mul_f64 v[66:67], v[1:2], v[66:67]
	v_fma_f64 v[1:2], v[1:2], v[64:65], -v[60:61]
	v_fma_f64 v[3:4], v[3:4], v[64:65], v[66:67]
	buffer_store_dword v2, off, s[0:3], 0 offset:132
	buffer_store_dword v1, off, s[0:3], 0 offset:128
	;; [unrolled: 1-line block ×4, first 2 shown]
.LBB89_263:
	s_or_b32 exec_lo, exec_lo, s4
	v_mov_b32_e32 v4, s24
	s_mov_b32 s4, exec_lo
	s_clause 0x3
	buffer_load_dword v1, v4, s[0:3], 0 offen
	buffer_load_dword v2, v4, s[0:3], 0 offen offset:4
	buffer_load_dword v3, v4, s[0:3], 0 offen offset:8
	;; [unrolled: 1-line block ×3, first 2 shown]
	s_waitcnt vmcnt(0)
	ds_write_b128 v58, v[1:4]
	s_waitcnt lgkmcnt(0)
	s_waitcnt_vscnt null, 0x0
	s_barrier
	buffer_gl0_inv
	v_cmpx_gt_u32_e32 9, v0
	s_cbranch_execz .LBB89_271
; %bb.264:
	ds_read_b128 v[1:4], v58
	v_cmp_ne_u32_e32 vcc_lo, 1, v59
	s_cbranch_vccnz .LBB89_266
; %bb.265:
	s_clause 0x3
	buffer_load_dword v60, v57, s[0:3], 0 offen offset:8
	buffer_load_dword v61, v57, s[0:3], 0 offen offset:12
	buffer_load_dword v64, v57, s[0:3], 0 offen
	buffer_load_dword v65, v57, s[0:3], 0 offen offset:4
	s_waitcnt vmcnt(2) lgkmcnt(0)
	v_mul_f64 v[66:67], v[3:4], v[60:61]
	v_mul_f64 v[60:61], v[1:2], v[60:61]
	s_waitcnt vmcnt(0)
	v_fma_f64 v[1:2], v[1:2], v[64:65], -v[66:67]
	v_fma_f64 v[3:4], v[3:4], v[64:65], v[60:61]
.LBB89_266:
	s_mov_b32 s6, exec_lo
	v_cmpx_ne_u32_e32 8, v0
	s_cbranch_execz .LBB89_270
; %bb.267:
	v_add_nc_u32_e32 v60, 0x1b0, v63
	v_add3_u32 v61, 0, v63, 16
	v_mov_b32_e32 v62, v0
	s_mov_b32 s8, 0
	.p2align	6
.LBB89_268:                             ; =>This Inner Loop Header: Depth=1
	s_clause 0x3
	buffer_load_dword v68, v61, s[0:3], 0 offen offset:8
	buffer_load_dword v69, v61, s[0:3], 0 offen offset:12
	buffer_load_dword v70, v61, s[0:3], 0 offen
	buffer_load_dword v71, v61, s[0:3], 0 offen offset:4
	ds_read_b128 v[64:67], v60
	v_add_nc_u32_e32 v62, 1, v62
	v_add_nc_u32_e32 v60, 16, v60
	v_add_nc_u32_e32 v61, 16, v61
	v_cmp_lt_u32_e32 vcc_lo, 7, v62
	s_or_b32 s8, vcc_lo, s8
	s_waitcnt vmcnt(2) lgkmcnt(0)
	v_mul_f64 v[72:73], v[66:67], v[68:69]
	v_mul_f64 v[68:69], v[64:65], v[68:69]
	s_waitcnt vmcnt(0)
	v_fma_f64 v[64:65], v[64:65], v[70:71], -v[72:73]
	v_fma_f64 v[66:67], v[66:67], v[70:71], v[68:69]
	v_add_f64 v[1:2], v[1:2], v[64:65]
	v_add_f64 v[3:4], v[3:4], v[66:67]
	s_andn2_b32 exec_lo, exec_lo, s8
	s_cbranch_execnz .LBB89_268
; %bb.269:
	s_or_b32 exec_lo, exec_lo, s8
.LBB89_270:
	s_or_b32 exec_lo, exec_lo, s6
	v_mov_b32_e32 v60, 0
	ds_read_b128 v[64:67], v60 offset:144
	s_waitcnt lgkmcnt(0)
	v_mul_f64 v[60:61], v[3:4], v[66:67]
	v_mul_f64 v[66:67], v[1:2], v[66:67]
	v_fma_f64 v[1:2], v[1:2], v[64:65], -v[60:61]
	v_fma_f64 v[3:4], v[3:4], v[64:65], v[66:67]
	buffer_store_dword v2, off, s[0:3], 0 offset:148
	buffer_store_dword v1, off, s[0:3], 0 offset:144
	;; [unrolled: 1-line block ×4, first 2 shown]
.LBB89_271:
	s_or_b32 exec_lo, exec_lo, s4
	v_mov_b32_e32 v4, s23
	s_mov_b32 s4, exec_lo
	s_clause 0x3
	buffer_load_dword v1, v4, s[0:3], 0 offen
	buffer_load_dword v2, v4, s[0:3], 0 offen offset:4
	buffer_load_dword v3, v4, s[0:3], 0 offen offset:8
	;; [unrolled: 1-line block ×3, first 2 shown]
	s_waitcnt vmcnt(0)
	ds_write_b128 v58, v[1:4]
	s_waitcnt lgkmcnt(0)
	s_waitcnt_vscnt null, 0x0
	s_barrier
	buffer_gl0_inv
	v_cmpx_gt_u32_e32 10, v0
	s_cbranch_execz .LBB89_279
; %bb.272:
	ds_read_b128 v[1:4], v58
	v_cmp_ne_u32_e32 vcc_lo, 1, v59
	s_cbranch_vccnz .LBB89_274
; %bb.273:
	s_clause 0x3
	buffer_load_dword v60, v57, s[0:3], 0 offen offset:8
	buffer_load_dword v61, v57, s[0:3], 0 offen offset:12
	buffer_load_dword v64, v57, s[0:3], 0 offen
	buffer_load_dword v65, v57, s[0:3], 0 offen offset:4
	s_waitcnt vmcnt(2) lgkmcnt(0)
	v_mul_f64 v[66:67], v[3:4], v[60:61]
	v_mul_f64 v[60:61], v[1:2], v[60:61]
	s_waitcnt vmcnt(0)
	v_fma_f64 v[1:2], v[1:2], v[64:65], -v[66:67]
	v_fma_f64 v[3:4], v[3:4], v[64:65], v[60:61]
.LBB89_274:
	s_mov_b32 s6, exec_lo
	v_cmpx_ne_u32_e32 9, v0
	s_cbranch_execz .LBB89_278
; %bb.275:
	v_add_nc_u32_e32 v60, 0x1b0, v63
	v_add3_u32 v61, 0, v63, 16
	v_mov_b32_e32 v62, v0
	s_mov_b32 s8, 0
	.p2align	6
.LBB89_276:                             ; =>This Inner Loop Header: Depth=1
	s_clause 0x3
	buffer_load_dword v68, v61, s[0:3], 0 offen offset:8
	buffer_load_dword v69, v61, s[0:3], 0 offen offset:12
	buffer_load_dword v70, v61, s[0:3], 0 offen
	buffer_load_dword v71, v61, s[0:3], 0 offen offset:4
	ds_read_b128 v[64:67], v60
	v_add_nc_u32_e32 v62, 1, v62
	v_add_nc_u32_e32 v60, 16, v60
	;; [unrolled: 1-line block ×3, first 2 shown]
	v_cmp_lt_u32_e32 vcc_lo, 8, v62
	s_or_b32 s8, vcc_lo, s8
	s_waitcnt vmcnt(2) lgkmcnt(0)
	v_mul_f64 v[72:73], v[66:67], v[68:69]
	v_mul_f64 v[68:69], v[64:65], v[68:69]
	s_waitcnt vmcnt(0)
	v_fma_f64 v[64:65], v[64:65], v[70:71], -v[72:73]
	v_fma_f64 v[66:67], v[66:67], v[70:71], v[68:69]
	v_add_f64 v[1:2], v[1:2], v[64:65]
	v_add_f64 v[3:4], v[3:4], v[66:67]
	s_andn2_b32 exec_lo, exec_lo, s8
	s_cbranch_execnz .LBB89_276
; %bb.277:
	s_or_b32 exec_lo, exec_lo, s8
.LBB89_278:
	s_or_b32 exec_lo, exec_lo, s6
	v_mov_b32_e32 v60, 0
	ds_read_b128 v[64:67], v60 offset:160
	s_waitcnt lgkmcnt(0)
	v_mul_f64 v[60:61], v[3:4], v[66:67]
	v_mul_f64 v[66:67], v[1:2], v[66:67]
	v_fma_f64 v[1:2], v[1:2], v[64:65], -v[60:61]
	v_fma_f64 v[3:4], v[3:4], v[64:65], v[66:67]
	buffer_store_dword v2, off, s[0:3], 0 offset:164
	buffer_store_dword v1, off, s[0:3], 0 offset:160
	;; [unrolled: 1-line block ×4, first 2 shown]
.LBB89_279:
	s_or_b32 exec_lo, exec_lo, s4
	v_mov_b32_e32 v4, s22
	s_mov_b32 s4, exec_lo
	s_clause 0x3
	buffer_load_dword v1, v4, s[0:3], 0 offen
	buffer_load_dword v2, v4, s[0:3], 0 offen offset:4
	buffer_load_dword v3, v4, s[0:3], 0 offen offset:8
	;; [unrolled: 1-line block ×3, first 2 shown]
	s_waitcnt vmcnt(0)
	ds_write_b128 v58, v[1:4]
	s_waitcnt lgkmcnt(0)
	s_waitcnt_vscnt null, 0x0
	s_barrier
	buffer_gl0_inv
	v_cmpx_gt_u32_e32 11, v0
	s_cbranch_execz .LBB89_287
; %bb.280:
	ds_read_b128 v[1:4], v58
	v_cmp_ne_u32_e32 vcc_lo, 1, v59
	s_cbranch_vccnz .LBB89_282
; %bb.281:
	s_clause 0x3
	buffer_load_dword v60, v57, s[0:3], 0 offen offset:8
	buffer_load_dword v61, v57, s[0:3], 0 offen offset:12
	buffer_load_dword v64, v57, s[0:3], 0 offen
	buffer_load_dword v65, v57, s[0:3], 0 offen offset:4
	s_waitcnt vmcnt(2) lgkmcnt(0)
	v_mul_f64 v[66:67], v[3:4], v[60:61]
	v_mul_f64 v[60:61], v[1:2], v[60:61]
	s_waitcnt vmcnt(0)
	v_fma_f64 v[1:2], v[1:2], v[64:65], -v[66:67]
	v_fma_f64 v[3:4], v[3:4], v[64:65], v[60:61]
.LBB89_282:
	s_mov_b32 s6, exec_lo
	v_cmpx_ne_u32_e32 10, v0
	s_cbranch_execz .LBB89_286
; %bb.283:
	v_add_nc_u32_e32 v60, 0x1b0, v63
	v_add3_u32 v61, 0, v63, 16
	v_mov_b32_e32 v62, v0
	s_mov_b32 s8, 0
	.p2align	6
.LBB89_284:                             ; =>This Inner Loop Header: Depth=1
	s_clause 0x3
	buffer_load_dword v68, v61, s[0:3], 0 offen offset:8
	buffer_load_dword v69, v61, s[0:3], 0 offen offset:12
	buffer_load_dword v70, v61, s[0:3], 0 offen
	buffer_load_dword v71, v61, s[0:3], 0 offen offset:4
	ds_read_b128 v[64:67], v60
	v_add_nc_u32_e32 v62, 1, v62
	v_add_nc_u32_e32 v60, 16, v60
	;; [unrolled: 1-line block ×3, first 2 shown]
	v_cmp_lt_u32_e32 vcc_lo, 9, v62
	s_or_b32 s8, vcc_lo, s8
	s_waitcnt vmcnt(2) lgkmcnt(0)
	v_mul_f64 v[72:73], v[66:67], v[68:69]
	v_mul_f64 v[68:69], v[64:65], v[68:69]
	s_waitcnt vmcnt(0)
	v_fma_f64 v[64:65], v[64:65], v[70:71], -v[72:73]
	v_fma_f64 v[66:67], v[66:67], v[70:71], v[68:69]
	v_add_f64 v[1:2], v[1:2], v[64:65]
	v_add_f64 v[3:4], v[3:4], v[66:67]
	s_andn2_b32 exec_lo, exec_lo, s8
	s_cbranch_execnz .LBB89_284
; %bb.285:
	s_or_b32 exec_lo, exec_lo, s8
.LBB89_286:
	s_or_b32 exec_lo, exec_lo, s6
	v_mov_b32_e32 v60, 0
	ds_read_b128 v[64:67], v60 offset:176
	s_waitcnt lgkmcnt(0)
	v_mul_f64 v[60:61], v[3:4], v[66:67]
	v_mul_f64 v[66:67], v[1:2], v[66:67]
	v_fma_f64 v[1:2], v[1:2], v[64:65], -v[60:61]
	v_fma_f64 v[3:4], v[3:4], v[64:65], v[66:67]
	buffer_store_dword v2, off, s[0:3], 0 offset:180
	buffer_store_dword v1, off, s[0:3], 0 offset:176
	;; [unrolled: 1-line block ×4, first 2 shown]
.LBB89_287:
	s_or_b32 exec_lo, exec_lo, s4
	v_mov_b32_e32 v4, s21
	s_mov_b32 s4, exec_lo
	s_clause 0x3
	buffer_load_dword v1, v4, s[0:3], 0 offen
	buffer_load_dword v2, v4, s[0:3], 0 offen offset:4
	buffer_load_dword v3, v4, s[0:3], 0 offen offset:8
	;; [unrolled: 1-line block ×3, first 2 shown]
	s_waitcnt vmcnt(0)
	ds_write_b128 v58, v[1:4]
	s_waitcnt lgkmcnt(0)
	s_waitcnt_vscnt null, 0x0
	s_barrier
	buffer_gl0_inv
	v_cmpx_gt_u32_e32 12, v0
	s_cbranch_execz .LBB89_295
; %bb.288:
	ds_read_b128 v[1:4], v58
	v_cmp_ne_u32_e32 vcc_lo, 1, v59
	s_cbranch_vccnz .LBB89_290
; %bb.289:
	s_clause 0x3
	buffer_load_dword v60, v57, s[0:3], 0 offen offset:8
	buffer_load_dword v61, v57, s[0:3], 0 offen offset:12
	buffer_load_dword v64, v57, s[0:3], 0 offen
	buffer_load_dword v65, v57, s[0:3], 0 offen offset:4
	s_waitcnt vmcnt(2) lgkmcnt(0)
	v_mul_f64 v[66:67], v[3:4], v[60:61]
	v_mul_f64 v[60:61], v[1:2], v[60:61]
	s_waitcnt vmcnt(0)
	v_fma_f64 v[1:2], v[1:2], v[64:65], -v[66:67]
	v_fma_f64 v[3:4], v[3:4], v[64:65], v[60:61]
.LBB89_290:
	s_mov_b32 s6, exec_lo
	v_cmpx_ne_u32_e32 11, v0
	s_cbranch_execz .LBB89_294
; %bb.291:
	v_add_nc_u32_e32 v60, 0x1b0, v63
	v_add3_u32 v61, 0, v63, 16
	v_mov_b32_e32 v62, v0
	s_mov_b32 s8, 0
	.p2align	6
.LBB89_292:                             ; =>This Inner Loop Header: Depth=1
	s_clause 0x3
	buffer_load_dword v68, v61, s[0:3], 0 offen offset:8
	buffer_load_dword v69, v61, s[0:3], 0 offen offset:12
	buffer_load_dword v70, v61, s[0:3], 0 offen
	buffer_load_dword v71, v61, s[0:3], 0 offen offset:4
	ds_read_b128 v[64:67], v60
	v_add_nc_u32_e32 v62, 1, v62
	v_add_nc_u32_e32 v60, 16, v60
	;; [unrolled: 1-line block ×3, first 2 shown]
	v_cmp_lt_u32_e32 vcc_lo, 10, v62
	s_or_b32 s8, vcc_lo, s8
	s_waitcnt vmcnt(2) lgkmcnt(0)
	v_mul_f64 v[72:73], v[66:67], v[68:69]
	v_mul_f64 v[68:69], v[64:65], v[68:69]
	s_waitcnt vmcnt(0)
	v_fma_f64 v[64:65], v[64:65], v[70:71], -v[72:73]
	v_fma_f64 v[66:67], v[66:67], v[70:71], v[68:69]
	v_add_f64 v[1:2], v[1:2], v[64:65]
	v_add_f64 v[3:4], v[3:4], v[66:67]
	s_andn2_b32 exec_lo, exec_lo, s8
	s_cbranch_execnz .LBB89_292
; %bb.293:
	s_or_b32 exec_lo, exec_lo, s8
.LBB89_294:
	s_or_b32 exec_lo, exec_lo, s6
	v_mov_b32_e32 v60, 0
	ds_read_b128 v[64:67], v60 offset:192
	s_waitcnt lgkmcnt(0)
	v_mul_f64 v[60:61], v[3:4], v[66:67]
	v_mul_f64 v[66:67], v[1:2], v[66:67]
	v_fma_f64 v[1:2], v[1:2], v[64:65], -v[60:61]
	v_fma_f64 v[3:4], v[3:4], v[64:65], v[66:67]
	buffer_store_dword v2, off, s[0:3], 0 offset:196
	buffer_store_dword v1, off, s[0:3], 0 offset:192
	;; [unrolled: 1-line block ×4, first 2 shown]
.LBB89_295:
	s_or_b32 exec_lo, exec_lo, s4
	v_mov_b32_e32 v4, s20
	s_mov_b32 s4, exec_lo
	s_clause 0x3
	buffer_load_dword v1, v4, s[0:3], 0 offen
	buffer_load_dword v2, v4, s[0:3], 0 offen offset:4
	buffer_load_dword v3, v4, s[0:3], 0 offen offset:8
	;; [unrolled: 1-line block ×3, first 2 shown]
	s_waitcnt vmcnt(0)
	ds_write_b128 v58, v[1:4]
	s_waitcnt lgkmcnt(0)
	s_waitcnt_vscnt null, 0x0
	s_barrier
	buffer_gl0_inv
	v_cmpx_gt_u32_e32 13, v0
	s_cbranch_execz .LBB89_303
; %bb.296:
	ds_read_b128 v[1:4], v58
	v_cmp_ne_u32_e32 vcc_lo, 1, v59
	s_cbranch_vccnz .LBB89_298
; %bb.297:
	s_clause 0x3
	buffer_load_dword v60, v57, s[0:3], 0 offen offset:8
	buffer_load_dword v61, v57, s[0:3], 0 offen offset:12
	buffer_load_dword v64, v57, s[0:3], 0 offen
	buffer_load_dword v65, v57, s[0:3], 0 offen offset:4
	s_waitcnt vmcnt(2) lgkmcnt(0)
	v_mul_f64 v[66:67], v[3:4], v[60:61]
	v_mul_f64 v[60:61], v[1:2], v[60:61]
	s_waitcnt vmcnt(0)
	v_fma_f64 v[1:2], v[1:2], v[64:65], -v[66:67]
	v_fma_f64 v[3:4], v[3:4], v[64:65], v[60:61]
.LBB89_298:
	s_mov_b32 s6, exec_lo
	v_cmpx_ne_u32_e32 12, v0
	s_cbranch_execz .LBB89_302
; %bb.299:
	v_add_nc_u32_e32 v60, 0x1b0, v63
	v_add3_u32 v61, 0, v63, 16
	v_mov_b32_e32 v62, v0
	s_mov_b32 s8, 0
	.p2align	6
.LBB89_300:                             ; =>This Inner Loop Header: Depth=1
	s_clause 0x3
	buffer_load_dword v68, v61, s[0:3], 0 offen offset:8
	buffer_load_dword v69, v61, s[0:3], 0 offen offset:12
	buffer_load_dword v70, v61, s[0:3], 0 offen
	buffer_load_dword v71, v61, s[0:3], 0 offen offset:4
	ds_read_b128 v[64:67], v60
	v_add_nc_u32_e32 v62, 1, v62
	v_add_nc_u32_e32 v60, 16, v60
	;; [unrolled: 1-line block ×3, first 2 shown]
	v_cmp_lt_u32_e32 vcc_lo, 11, v62
	s_or_b32 s8, vcc_lo, s8
	s_waitcnt vmcnt(2) lgkmcnt(0)
	v_mul_f64 v[72:73], v[66:67], v[68:69]
	v_mul_f64 v[68:69], v[64:65], v[68:69]
	s_waitcnt vmcnt(0)
	v_fma_f64 v[64:65], v[64:65], v[70:71], -v[72:73]
	v_fma_f64 v[66:67], v[66:67], v[70:71], v[68:69]
	v_add_f64 v[1:2], v[1:2], v[64:65]
	v_add_f64 v[3:4], v[3:4], v[66:67]
	s_andn2_b32 exec_lo, exec_lo, s8
	s_cbranch_execnz .LBB89_300
; %bb.301:
	s_or_b32 exec_lo, exec_lo, s8
.LBB89_302:
	s_or_b32 exec_lo, exec_lo, s6
	v_mov_b32_e32 v60, 0
	ds_read_b128 v[64:67], v60 offset:208
	s_waitcnt lgkmcnt(0)
	v_mul_f64 v[60:61], v[3:4], v[66:67]
	v_mul_f64 v[66:67], v[1:2], v[66:67]
	v_fma_f64 v[1:2], v[1:2], v[64:65], -v[60:61]
	v_fma_f64 v[3:4], v[3:4], v[64:65], v[66:67]
	buffer_store_dword v2, off, s[0:3], 0 offset:212
	buffer_store_dword v1, off, s[0:3], 0 offset:208
	;; [unrolled: 1-line block ×4, first 2 shown]
.LBB89_303:
	s_or_b32 exec_lo, exec_lo, s4
	v_mov_b32_e32 v4, s19
	s_mov_b32 s4, exec_lo
	s_clause 0x3
	buffer_load_dword v1, v4, s[0:3], 0 offen
	buffer_load_dword v2, v4, s[0:3], 0 offen offset:4
	buffer_load_dword v3, v4, s[0:3], 0 offen offset:8
	;; [unrolled: 1-line block ×3, first 2 shown]
	s_waitcnt vmcnt(0)
	ds_write_b128 v58, v[1:4]
	s_waitcnt lgkmcnt(0)
	s_waitcnt_vscnt null, 0x0
	s_barrier
	buffer_gl0_inv
	v_cmpx_gt_u32_e32 14, v0
	s_cbranch_execz .LBB89_311
; %bb.304:
	ds_read_b128 v[1:4], v58
	v_cmp_ne_u32_e32 vcc_lo, 1, v59
	s_cbranch_vccnz .LBB89_306
; %bb.305:
	s_clause 0x3
	buffer_load_dword v60, v57, s[0:3], 0 offen offset:8
	buffer_load_dword v61, v57, s[0:3], 0 offen offset:12
	buffer_load_dword v64, v57, s[0:3], 0 offen
	buffer_load_dword v65, v57, s[0:3], 0 offen offset:4
	s_waitcnt vmcnt(2) lgkmcnt(0)
	v_mul_f64 v[66:67], v[3:4], v[60:61]
	v_mul_f64 v[60:61], v[1:2], v[60:61]
	s_waitcnt vmcnt(0)
	v_fma_f64 v[1:2], v[1:2], v[64:65], -v[66:67]
	v_fma_f64 v[3:4], v[3:4], v[64:65], v[60:61]
.LBB89_306:
	s_mov_b32 s6, exec_lo
	v_cmpx_ne_u32_e32 13, v0
	s_cbranch_execz .LBB89_310
; %bb.307:
	v_add_nc_u32_e32 v60, 0x1b0, v63
	v_add3_u32 v61, 0, v63, 16
	v_mov_b32_e32 v62, v0
	s_mov_b32 s8, 0
	.p2align	6
.LBB89_308:                             ; =>This Inner Loop Header: Depth=1
	s_clause 0x3
	buffer_load_dword v68, v61, s[0:3], 0 offen offset:8
	buffer_load_dword v69, v61, s[0:3], 0 offen offset:12
	buffer_load_dword v70, v61, s[0:3], 0 offen
	buffer_load_dword v71, v61, s[0:3], 0 offen offset:4
	ds_read_b128 v[64:67], v60
	v_add_nc_u32_e32 v62, 1, v62
	v_add_nc_u32_e32 v60, 16, v60
	;; [unrolled: 1-line block ×3, first 2 shown]
	v_cmp_lt_u32_e32 vcc_lo, 12, v62
	s_or_b32 s8, vcc_lo, s8
	s_waitcnt vmcnt(2) lgkmcnt(0)
	v_mul_f64 v[72:73], v[66:67], v[68:69]
	v_mul_f64 v[68:69], v[64:65], v[68:69]
	s_waitcnt vmcnt(0)
	v_fma_f64 v[64:65], v[64:65], v[70:71], -v[72:73]
	v_fma_f64 v[66:67], v[66:67], v[70:71], v[68:69]
	v_add_f64 v[1:2], v[1:2], v[64:65]
	v_add_f64 v[3:4], v[3:4], v[66:67]
	s_andn2_b32 exec_lo, exec_lo, s8
	s_cbranch_execnz .LBB89_308
; %bb.309:
	s_or_b32 exec_lo, exec_lo, s8
.LBB89_310:
	s_or_b32 exec_lo, exec_lo, s6
	v_mov_b32_e32 v60, 0
	ds_read_b128 v[64:67], v60 offset:224
	s_waitcnt lgkmcnt(0)
	v_mul_f64 v[60:61], v[3:4], v[66:67]
	v_mul_f64 v[66:67], v[1:2], v[66:67]
	v_fma_f64 v[1:2], v[1:2], v[64:65], -v[60:61]
	v_fma_f64 v[3:4], v[3:4], v[64:65], v[66:67]
	buffer_store_dword v2, off, s[0:3], 0 offset:228
	buffer_store_dword v1, off, s[0:3], 0 offset:224
	;; [unrolled: 1-line block ×4, first 2 shown]
.LBB89_311:
	s_or_b32 exec_lo, exec_lo, s4
	v_mov_b32_e32 v4, s18
	s_mov_b32 s4, exec_lo
	s_clause 0x3
	buffer_load_dword v1, v4, s[0:3], 0 offen
	buffer_load_dword v2, v4, s[0:3], 0 offen offset:4
	buffer_load_dword v3, v4, s[0:3], 0 offen offset:8
	;; [unrolled: 1-line block ×3, first 2 shown]
	s_waitcnt vmcnt(0)
	ds_write_b128 v58, v[1:4]
	s_waitcnt lgkmcnt(0)
	s_waitcnt_vscnt null, 0x0
	s_barrier
	buffer_gl0_inv
	v_cmpx_gt_u32_e32 15, v0
	s_cbranch_execz .LBB89_319
; %bb.312:
	ds_read_b128 v[1:4], v58
	v_cmp_ne_u32_e32 vcc_lo, 1, v59
	s_cbranch_vccnz .LBB89_314
; %bb.313:
	s_clause 0x3
	buffer_load_dword v60, v57, s[0:3], 0 offen offset:8
	buffer_load_dword v61, v57, s[0:3], 0 offen offset:12
	buffer_load_dword v64, v57, s[0:3], 0 offen
	buffer_load_dword v65, v57, s[0:3], 0 offen offset:4
	s_waitcnt vmcnt(2) lgkmcnt(0)
	v_mul_f64 v[66:67], v[3:4], v[60:61]
	v_mul_f64 v[60:61], v[1:2], v[60:61]
	s_waitcnt vmcnt(0)
	v_fma_f64 v[1:2], v[1:2], v[64:65], -v[66:67]
	v_fma_f64 v[3:4], v[3:4], v[64:65], v[60:61]
.LBB89_314:
	s_mov_b32 s6, exec_lo
	v_cmpx_ne_u32_e32 14, v0
	s_cbranch_execz .LBB89_318
; %bb.315:
	v_add_nc_u32_e32 v60, 0x1b0, v63
	v_add3_u32 v61, 0, v63, 16
	v_mov_b32_e32 v62, v0
	s_mov_b32 s8, 0
	.p2align	6
.LBB89_316:                             ; =>This Inner Loop Header: Depth=1
	s_clause 0x3
	buffer_load_dword v68, v61, s[0:3], 0 offen offset:8
	buffer_load_dword v69, v61, s[0:3], 0 offen offset:12
	buffer_load_dword v70, v61, s[0:3], 0 offen
	buffer_load_dword v71, v61, s[0:3], 0 offen offset:4
	ds_read_b128 v[64:67], v60
	v_add_nc_u32_e32 v62, 1, v62
	v_add_nc_u32_e32 v60, 16, v60
	;; [unrolled: 1-line block ×3, first 2 shown]
	v_cmp_lt_u32_e32 vcc_lo, 13, v62
	s_or_b32 s8, vcc_lo, s8
	s_waitcnt vmcnt(2) lgkmcnt(0)
	v_mul_f64 v[72:73], v[66:67], v[68:69]
	v_mul_f64 v[68:69], v[64:65], v[68:69]
	s_waitcnt vmcnt(0)
	v_fma_f64 v[64:65], v[64:65], v[70:71], -v[72:73]
	v_fma_f64 v[66:67], v[66:67], v[70:71], v[68:69]
	v_add_f64 v[1:2], v[1:2], v[64:65]
	v_add_f64 v[3:4], v[3:4], v[66:67]
	s_andn2_b32 exec_lo, exec_lo, s8
	s_cbranch_execnz .LBB89_316
; %bb.317:
	s_or_b32 exec_lo, exec_lo, s8
.LBB89_318:
	s_or_b32 exec_lo, exec_lo, s6
	v_mov_b32_e32 v60, 0
	ds_read_b128 v[64:67], v60 offset:240
	s_waitcnt lgkmcnt(0)
	v_mul_f64 v[60:61], v[3:4], v[66:67]
	v_mul_f64 v[66:67], v[1:2], v[66:67]
	v_fma_f64 v[1:2], v[1:2], v[64:65], -v[60:61]
	v_fma_f64 v[3:4], v[3:4], v[64:65], v[66:67]
	buffer_store_dword v2, off, s[0:3], 0 offset:244
	buffer_store_dword v1, off, s[0:3], 0 offset:240
	;; [unrolled: 1-line block ×4, first 2 shown]
.LBB89_319:
	s_or_b32 exec_lo, exec_lo, s4
	v_mov_b32_e32 v4, s17
	s_mov_b32 s4, exec_lo
	s_clause 0x3
	buffer_load_dword v1, v4, s[0:3], 0 offen
	buffer_load_dword v2, v4, s[0:3], 0 offen offset:4
	buffer_load_dword v3, v4, s[0:3], 0 offen offset:8
	;; [unrolled: 1-line block ×3, first 2 shown]
	s_waitcnt vmcnt(0)
	ds_write_b128 v58, v[1:4]
	s_waitcnt lgkmcnt(0)
	s_waitcnt_vscnt null, 0x0
	s_barrier
	buffer_gl0_inv
	v_cmpx_gt_u32_e32 16, v0
	s_cbranch_execz .LBB89_327
; %bb.320:
	ds_read_b128 v[1:4], v58
	v_cmp_ne_u32_e32 vcc_lo, 1, v59
	s_cbranch_vccnz .LBB89_322
; %bb.321:
	s_clause 0x3
	buffer_load_dword v60, v57, s[0:3], 0 offen offset:8
	buffer_load_dword v61, v57, s[0:3], 0 offen offset:12
	buffer_load_dword v64, v57, s[0:3], 0 offen
	buffer_load_dword v65, v57, s[0:3], 0 offen offset:4
	s_waitcnt vmcnt(2) lgkmcnt(0)
	v_mul_f64 v[66:67], v[3:4], v[60:61]
	v_mul_f64 v[60:61], v[1:2], v[60:61]
	s_waitcnt vmcnt(0)
	v_fma_f64 v[1:2], v[1:2], v[64:65], -v[66:67]
	v_fma_f64 v[3:4], v[3:4], v[64:65], v[60:61]
.LBB89_322:
	s_mov_b32 s6, exec_lo
	v_cmpx_ne_u32_e32 15, v0
	s_cbranch_execz .LBB89_326
; %bb.323:
	v_add_nc_u32_e32 v60, 0x1b0, v63
	v_add3_u32 v61, 0, v63, 16
	v_mov_b32_e32 v62, v0
	s_mov_b32 s8, 0
	.p2align	6
.LBB89_324:                             ; =>This Inner Loop Header: Depth=1
	s_clause 0x3
	buffer_load_dword v68, v61, s[0:3], 0 offen offset:8
	buffer_load_dword v69, v61, s[0:3], 0 offen offset:12
	buffer_load_dword v70, v61, s[0:3], 0 offen
	buffer_load_dword v71, v61, s[0:3], 0 offen offset:4
	ds_read_b128 v[64:67], v60
	v_add_nc_u32_e32 v62, 1, v62
	v_add_nc_u32_e32 v60, 16, v60
	v_add_nc_u32_e32 v61, 16, v61
	v_cmp_lt_u32_e32 vcc_lo, 14, v62
	s_or_b32 s8, vcc_lo, s8
	s_waitcnt vmcnt(2) lgkmcnt(0)
	v_mul_f64 v[72:73], v[66:67], v[68:69]
	v_mul_f64 v[68:69], v[64:65], v[68:69]
	s_waitcnt vmcnt(0)
	v_fma_f64 v[64:65], v[64:65], v[70:71], -v[72:73]
	v_fma_f64 v[66:67], v[66:67], v[70:71], v[68:69]
	v_add_f64 v[1:2], v[1:2], v[64:65]
	v_add_f64 v[3:4], v[3:4], v[66:67]
	s_andn2_b32 exec_lo, exec_lo, s8
	s_cbranch_execnz .LBB89_324
; %bb.325:
	s_or_b32 exec_lo, exec_lo, s8
.LBB89_326:
	s_or_b32 exec_lo, exec_lo, s6
	v_mov_b32_e32 v60, 0
	ds_read_b128 v[64:67], v60 offset:256
	s_waitcnt lgkmcnt(0)
	v_mul_f64 v[60:61], v[3:4], v[66:67]
	v_mul_f64 v[66:67], v[1:2], v[66:67]
	v_fma_f64 v[1:2], v[1:2], v[64:65], -v[60:61]
	v_fma_f64 v[3:4], v[3:4], v[64:65], v[66:67]
	buffer_store_dword v2, off, s[0:3], 0 offset:260
	buffer_store_dword v1, off, s[0:3], 0 offset:256
	;; [unrolled: 1-line block ×4, first 2 shown]
.LBB89_327:
	s_or_b32 exec_lo, exec_lo, s4
	v_mov_b32_e32 v4, s16
	s_mov_b32 s4, exec_lo
	s_clause 0x3
	buffer_load_dword v1, v4, s[0:3], 0 offen
	buffer_load_dword v2, v4, s[0:3], 0 offen offset:4
	buffer_load_dword v3, v4, s[0:3], 0 offen offset:8
	;; [unrolled: 1-line block ×3, first 2 shown]
	s_waitcnt vmcnt(0)
	ds_write_b128 v58, v[1:4]
	s_waitcnt lgkmcnt(0)
	s_waitcnt_vscnt null, 0x0
	s_barrier
	buffer_gl0_inv
	v_cmpx_gt_u32_e32 17, v0
	s_cbranch_execz .LBB89_335
; %bb.328:
	ds_read_b128 v[1:4], v58
	v_cmp_ne_u32_e32 vcc_lo, 1, v59
	s_cbranch_vccnz .LBB89_330
; %bb.329:
	s_clause 0x3
	buffer_load_dword v60, v57, s[0:3], 0 offen offset:8
	buffer_load_dword v61, v57, s[0:3], 0 offen offset:12
	buffer_load_dword v64, v57, s[0:3], 0 offen
	buffer_load_dword v65, v57, s[0:3], 0 offen offset:4
	s_waitcnt vmcnt(2) lgkmcnt(0)
	v_mul_f64 v[66:67], v[3:4], v[60:61]
	v_mul_f64 v[60:61], v[1:2], v[60:61]
	s_waitcnt vmcnt(0)
	v_fma_f64 v[1:2], v[1:2], v[64:65], -v[66:67]
	v_fma_f64 v[3:4], v[3:4], v[64:65], v[60:61]
.LBB89_330:
	s_mov_b32 s6, exec_lo
	v_cmpx_ne_u32_e32 16, v0
	s_cbranch_execz .LBB89_334
; %bb.331:
	v_add_nc_u32_e32 v60, 0x1b0, v63
	v_add3_u32 v61, 0, v63, 16
	v_mov_b32_e32 v62, v0
	s_mov_b32 s8, 0
	.p2align	6
.LBB89_332:                             ; =>This Inner Loop Header: Depth=1
	s_clause 0x3
	buffer_load_dword v68, v61, s[0:3], 0 offen offset:8
	buffer_load_dword v69, v61, s[0:3], 0 offen offset:12
	buffer_load_dword v70, v61, s[0:3], 0 offen
	buffer_load_dword v71, v61, s[0:3], 0 offen offset:4
	ds_read_b128 v[64:67], v60
	v_add_nc_u32_e32 v62, 1, v62
	v_add_nc_u32_e32 v60, 16, v60
	;; [unrolled: 1-line block ×3, first 2 shown]
	v_cmp_lt_u32_e32 vcc_lo, 15, v62
	s_or_b32 s8, vcc_lo, s8
	s_waitcnt vmcnt(2) lgkmcnt(0)
	v_mul_f64 v[72:73], v[66:67], v[68:69]
	v_mul_f64 v[68:69], v[64:65], v[68:69]
	s_waitcnt vmcnt(0)
	v_fma_f64 v[64:65], v[64:65], v[70:71], -v[72:73]
	v_fma_f64 v[66:67], v[66:67], v[70:71], v[68:69]
	v_add_f64 v[1:2], v[1:2], v[64:65]
	v_add_f64 v[3:4], v[3:4], v[66:67]
	s_andn2_b32 exec_lo, exec_lo, s8
	s_cbranch_execnz .LBB89_332
; %bb.333:
	s_or_b32 exec_lo, exec_lo, s8
.LBB89_334:
	s_or_b32 exec_lo, exec_lo, s6
	v_mov_b32_e32 v60, 0
	ds_read_b128 v[64:67], v60 offset:272
	s_waitcnt lgkmcnt(0)
	v_mul_f64 v[60:61], v[3:4], v[66:67]
	v_mul_f64 v[66:67], v[1:2], v[66:67]
	v_fma_f64 v[1:2], v[1:2], v[64:65], -v[60:61]
	v_fma_f64 v[3:4], v[3:4], v[64:65], v[66:67]
	buffer_store_dword v2, off, s[0:3], 0 offset:276
	buffer_store_dword v1, off, s[0:3], 0 offset:272
	;; [unrolled: 1-line block ×4, first 2 shown]
.LBB89_335:
	s_or_b32 exec_lo, exec_lo, s4
	v_mov_b32_e32 v4, s15
	s_mov_b32 s4, exec_lo
	s_clause 0x3
	buffer_load_dword v1, v4, s[0:3], 0 offen
	buffer_load_dword v2, v4, s[0:3], 0 offen offset:4
	buffer_load_dword v3, v4, s[0:3], 0 offen offset:8
	;; [unrolled: 1-line block ×3, first 2 shown]
	s_waitcnt vmcnt(0)
	ds_write_b128 v58, v[1:4]
	s_waitcnt lgkmcnt(0)
	s_waitcnt_vscnt null, 0x0
	s_barrier
	buffer_gl0_inv
	v_cmpx_gt_u32_e32 18, v0
	s_cbranch_execz .LBB89_343
; %bb.336:
	ds_read_b128 v[1:4], v58
	v_cmp_ne_u32_e32 vcc_lo, 1, v59
	s_cbranch_vccnz .LBB89_338
; %bb.337:
	s_clause 0x3
	buffer_load_dword v60, v57, s[0:3], 0 offen offset:8
	buffer_load_dword v61, v57, s[0:3], 0 offen offset:12
	buffer_load_dword v64, v57, s[0:3], 0 offen
	buffer_load_dword v65, v57, s[0:3], 0 offen offset:4
	s_waitcnt vmcnt(2) lgkmcnt(0)
	v_mul_f64 v[66:67], v[3:4], v[60:61]
	v_mul_f64 v[60:61], v[1:2], v[60:61]
	s_waitcnt vmcnt(0)
	v_fma_f64 v[1:2], v[1:2], v[64:65], -v[66:67]
	v_fma_f64 v[3:4], v[3:4], v[64:65], v[60:61]
.LBB89_338:
	s_mov_b32 s6, exec_lo
	v_cmpx_ne_u32_e32 17, v0
	s_cbranch_execz .LBB89_342
; %bb.339:
	v_add_nc_u32_e32 v60, 0x1b0, v63
	v_add3_u32 v61, 0, v63, 16
	v_mov_b32_e32 v62, v0
	s_mov_b32 s8, 0
	.p2align	6
.LBB89_340:                             ; =>This Inner Loop Header: Depth=1
	s_clause 0x3
	buffer_load_dword v68, v61, s[0:3], 0 offen offset:8
	buffer_load_dword v69, v61, s[0:3], 0 offen offset:12
	buffer_load_dword v70, v61, s[0:3], 0 offen
	buffer_load_dword v71, v61, s[0:3], 0 offen offset:4
	ds_read_b128 v[64:67], v60
	v_add_nc_u32_e32 v62, 1, v62
	v_add_nc_u32_e32 v60, 16, v60
	v_add_nc_u32_e32 v61, 16, v61
	v_cmp_lt_u32_e32 vcc_lo, 16, v62
	s_or_b32 s8, vcc_lo, s8
	s_waitcnt vmcnt(2) lgkmcnt(0)
	v_mul_f64 v[72:73], v[66:67], v[68:69]
	v_mul_f64 v[68:69], v[64:65], v[68:69]
	s_waitcnt vmcnt(0)
	v_fma_f64 v[64:65], v[64:65], v[70:71], -v[72:73]
	v_fma_f64 v[66:67], v[66:67], v[70:71], v[68:69]
	v_add_f64 v[1:2], v[1:2], v[64:65]
	v_add_f64 v[3:4], v[3:4], v[66:67]
	s_andn2_b32 exec_lo, exec_lo, s8
	s_cbranch_execnz .LBB89_340
; %bb.341:
	s_or_b32 exec_lo, exec_lo, s8
.LBB89_342:
	s_or_b32 exec_lo, exec_lo, s6
	v_mov_b32_e32 v60, 0
	ds_read_b128 v[64:67], v60 offset:288
	s_waitcnt lgkmcnt(0)
	v_mul_f64 v[60:61], v[3:4], v[66:67]
	v_mul_f64 v[66:67], v[1:2], v[66:67]
	v_fma_f64 v[1:2], v[1:2], v[64:65], -v[60:61]
	v_fma_f64 v[3:4], v[3:4], v[64:65], v[66:67]
	buffer_store_dword v2, off, s[0:3], 0 offset:292
	buffer_store_dword v1, off, s[0:3], 0 offset:288
	;; [unrolled: 1-line block ×4, first 2 shown]
.LBB89_343:
	s_or_b32 exec_lo, exec_lo, s4
	v_mov_b32_e32 v4, s14
	s_mov_b32 s4, exec_lo
	s_clause 0x3
	buffer_load_dword v1, v4, s[0:3], 0 offen
	buffer_load_dword v2, v4, s[0:3], 0 offen offset:4
	buffer_load_dword v3, v4, s[0:3], 0 offen offset:8
	;; [unrolled: 1-line block ×3, first 2 shown]
	s_waitcnt vmcnt(0)
	ds_write_b128 v58, v[1:4]
	s_waitcnt lgkmcnt(0)
	s_waitcnt_vscnt null, 0x0
	s_barrier
	buffer_gl0_inv
	v_cmpx_gt_u32_e32 19, v0
	s_cbranch_execz .LBB89_351
; %bb.344:
	ds_read_b128 v[1:4], v58
	v_cmp_ne_u32_e32 vcc_lo, 1, v59
	s_cbranch_vccnz .LBB89_346
; %bb.345:
	s_clause 0x3
	buffer_load_dword v60, v57, s[0:3], 0 offen offset:8
	buffer_load_dword v61, v57, s[0:3], 0 offen offset:12
	buffer_load_dword v64, v57, s[0:3], 0 offen
	buffer_load_dword v65, v57, s[0:3], 0 offen offset:4
	s_waitcnt vmcnt(2) lgkmcnt(0)
	v_mul_f64 v[66:67], v[3:4], v[60:61]
	v_mul_f64 v[60:61], v[1:2], v[60:61]
	s_waitcnt vmcnt(0)
	v_fma_f64 v[1:2], v[1:2], v[64:65], -v[66:67]
	v_fma_f64 v[3:4], v[3:4], v[64:65], v[60:61]
.LBB89_346:
	s_mov_b32 s6, exec_lo
	v_cmpx_ne_u32_e32 18, v0
	s_cbranch_execz .LBB89_350
; %bb.347:
	v_add_nc_u32_e32 v60, 0x1b0, v63
	v_add3_u32 v61, 0, v63, 16
	v_mov_b32_e32 v62, v0
	s_mov_b32 s8, 0
	.p2align	6
.LBB89_348:                             ; =>This Inner Loop Header: Depth=1
	s_clause 0x3
	buffer_load_dword v68, v61, s[0:3], 0 offen offset:8
	buffer_load_dword v69, v61, s[0:3], 0 offen offset:12
	buffer_load_dword v70, v61, s[0:3], 0 offen
	buffer_load_dword v71, v61, s[0:3], 0 offen offset:4
	ds_read_b128 v[64:67], v60
	v_add_nc_u32_e32 v62, 1, v62
	v_add_nc_u32_e32 v60, 16, v60
	;; [unrolled: 1-line block ×3, first 2 shown]
	v_cmp_lt_u32_e32 vcc_lo, 17, v62
	s_or_b32 s8, vcc_lo, s8
	s_waitcnt vmcnt(2) lgkmcnt(0)
	v_mul_f64 v[72:73], v[66:67], v[68:69]
	v_mul_f64 v[68:69], v[64:65], v[68:69]
	s_waitcnt vmcnt(0)
	v_fma_f64 v[64:65], v[64:65], v[70:71], -v[72:73]
	v_fma_f64 v[66:67], v[66:67], v[70:71], v[68:69]
	v_add_f64 v[1:2], v[1:2], v[64:65]
	v_add_f64 v[3:4], v[3:4], v[66:67]
	s_andn2_b32 exec_lo, exec_lo, s8
	s_cbranch_execnz .LBB89_348
; %bb.349:
	s_or_b32 exec_lo, exec_lo, s8
.LBB89_350:
	s_or_b32 exec_lo, exec_lo, s6
	v_mov_b32_e32 v60, 0
	ds_read_b128 v[64:67], v60 offset:304
	s_waitcnt lgkmcnt(0)
	v_mul_f64 v[60:61], v[3:4], v[66:67]
	v_mul_f64 v[66:67], v[1:2], v[66:67]
	v_fma_f64 v[1:2], v[1:2], v[64:65], -v[60:61]
	v_fma_f64 v[3:4], v[3:4], v[64:65], v[66:67]
	buffer_store_dword v2, off, s[0:3], 0 offset:308
	buffer_store_dword v1, off, s[0:3], 0 offset:304
	;; [unrolled: 1-line block ×4, first 2 shown]
.LBB89_351:
	s_or_b32 exec_lo, exec_lo, s4
	v_mov_b32_e32 v4, s13
	s_mov_b32 s4, exec_lo
	s_clause 0x3
	buffer_load_dword v1, v4, s[0:3], 0 offen
	buffer_load_dword v2, v4, s[0:3], 0 offen offset:4
	buffer_load_dword v3, v4, s[0:3], 0 offen offset:8
	;; [unrolled: 1-line block ×3, first 2 shown]
	s_waitcnt vmcnt(0)
	ds_write_b128 v58, v[1:4]
	s_waitcnt lgkmcnt(0)
	s_waitcnt_vscnt null, 0x0
	s_barrier
	buffer_gl0_inv
	v_cmpx_gt_u32_e32 20, v0
	s_cbranch_execz .LBB89_359
; %bb.352:
	ds_read_b128 v[1:4], v58
	v_cmp_ne_u32_e32 vcc_lo, 1, v59
	s_cbranch_vccnz .LBB89_354
; %bb.353:
	s_clause 0x3
	buffer_load_dword v60, v57, s[0:3], 0 offen offset:8
	buffer_load_dword v61, v57, s[0:3], 0 offen offset:12
	buffer_load_dword v64, v57, s[0:3], 0 offen
	buffer_load_dword v65, v57, s[0:3], 0 offen offset:4
	s_waitcnt vmcnt(2) lgkmcnt(0)
	v_mul_f64 v[66:67], v[3:4], v[60:61]
	v_mul_f64 v[60:61], v[1:2], v[60:61]
	s_waitcnt vmcnt(0)
	v_fma_f64 v[1:2], v[1:2], v[64:65], -v[66:67]
	v_fma_f64 v[3:4], v[3:4], v[64:65], v[60:61]
.LBB89_354:
	s_mov_b32 s6, exec_lo
	v_cmpx_ne_u32_e32 19, v0
	s_cbranch_execz .LBB89_358
; %bb.355:
	v_add_nc_u32_e32 v60, 0x1b0, v63
	v_add3_u32 v61, 0, v63, 16
	v_mov_b32_e32 v62, v0
	s_mov_b32 s8, 0
	.p2align	6
.LBB89_356:                             ; =>This Inner Loop Header: Depth=1
	s_clause 0x3
	buffer_load_dword v68, v61, s[0:3], 0 offen offset:8
	buffer_load_dword v69, v61, s[0:3], 0 offen offset:12
	buffer_load_dword v70, v61, s[0:3], 0 offen
	buffer_load_dword v71, v61, s[0:3], 0 offen offset:4
	ds_read_b128 v[64:67], v60
	v_add_nc_u32_e32 v62, 1, v62
	v_add_nc_u32_e32 v60, 16, v60
	;; [unrolled: 1-line block ×3, first 2 shown]
	v_cmp_lt_u32_e32 vcc_lo, 18, v62
	s_or_b32 s8, vcc_lo, s8
	s_waitcnt vmcnt(2) lgkmcnt(0)
	v_mul_f64 v[72:73], v[66:67], v[68:69]
	v_mul_f64 v[68:69], v[64:65], v[68:69]
	s_waitcnt vmcnt(0)
	v_fma_f64 v[64:65], v[64:65], v[70:71], -v[72:73]
	v_fma_f64 v[66:67], v[66:67], v[70:71], v[68:69]
	v_add_f64 v[1:2], v[1:2], v[64:65]
	v_add_f64 v[3:4], v[3:4], v[66:67]
	s_andn2_b32 exec_lo, exec_lo, s8
	s_cbranch_execnz .LBB89_356
; %bb.357:
	s_or_b32 exec_lo, exec_lo, s8
.LBB89_358:
	s_or_b32 exec_lo, exec_lo, s6
	v_mov_b32_e32 v60, 0
	ds_read_b128 v[64:67], v60 offset:320
	s_waitcnt lgkmcnt(0)
	v_mul_f64 v[60:61], v[3:4], v[66:67]
	v_mul_f64 v[66:67], v[1:2], v[66:67]
	v_fma_f64 v[1:2], v[1:2], v[64:65], -v[60:61]
	v_fma_f64 v[3:4], v[3:4], v[64:65], v[66:67]
	buffer_store_dword v2, off, s[0:3], 0 offset:324
	buffer_store_dword v1, off, s[0:3], 0 offset:320
	;; [unrolled: 1-line block ×4, first 2 shown]
.LBB89_359:
	s_or_b32 exec_lo, exec_lo, s4
	v_mov_b32_e32 v4, s12
	s_mov_b32 s4, exec_lo
	s_clause 0x3
	buffer_load_dword v1, v4, s[0:3], 0 offen
	buffer_load_dword v2, v4, s[0:3], 0 offen offset:4
	buffer_load_dword v3, v4, s[0:3], 0 offen offset:8
	;; [unrolled: 1-line block ×3, first 2 shown]
	s_waitcnt vmcnt(0)
	ds_write_b128 v58, v[1:4]
	s_waitcnt lgkmcnt(0)
	s_waitcnt_vscnt null, 0x0
	s_barrier
	buffer_gl0_inv
	v_cmpx_gt_u32_e32 21, v0
	s_cbranch_execz .LBB89_367
; %bb.360:
	ds_read_b128 v[1:4], v58
	v_cmp_ne_u32_e32 vcc_lo, 1, v59
	s_cbranch_vccnz .LBB89_362
; %bb.361:
	s_clause 0x3
	buffer_load_dword v60, v57, s[0:3], 0 offen offset:8
	buffer_load_dword v61, v57, s[0:3], 0 offen offset:12
	buffer_load_dword v64, v57, s[0:3], 0 offen
	buffer_load_dword v65, v57, s[0:3], 0 offen offset:4
	s_waitcnt vmcnt(2) lgkmcnt(0)
	v_mul_f64 v[66:67], v[3:4], v[60:61]
	v_mul_f64 v[60:61], v[1:2], v[60:61]
	s_waitcnt vmcnt(0)
	v_fma_f64 v[1:2], v[1:2], v[64:65], -v[66:67]
	v_fma_f64 v[3:4], v[3:4], v[64:65], v[60:61]
.LBB89_362:
	s_mov_b32 s6, exec_lo
	v_cmpx_ne_u32_e32 20, v0
	s_cbranch_execz .LBB89_366
; %bb.363:
	v_add_nc_u32_e32 v60, 0x1b0, v63
	v_add3_u32 v61, 0, v63, 16
	v_mov_b32_e32 v62, v0
	s_mov_b32 s8, 0
	.p2align	6
.LBB89_364:                             ; =>This Inner Loop Header: Depth=1
	s_clause 0x3
	buffer_load_dword v68, v61, s[0:3], 0 offen offset:8
	buffer_load_dword v69, v61, s[0:3], 0 offen offset:12
	buffer_load_dword v70, v61, s[0:3], 0 offen
	buffer_load_dword v71, v61, s[0:3], 0 offen offset:4
	ds_read_b128 v[64:67], v60
	v_add_nc_u32_e32 v62, 1, v62
	v_add_nc_u32_e32 v60, 16, v60
	v_add_nc_u32_e32 v61, 16, v61
	v_cmp_lt_u32_e32 vcc_lo, 19, v62
	s_or_b32 s8, vcc_lo, s8
	s_waitcnt vmcnt(2) lgkmcnt(0)
	v_mul_f64 v[72:73], v[66:67], v[68:69]
	v_mul_f64 v[68:69], v[64:65], v[68:69]
	s_waitcnt vmcnt(0)
	v_fma_f64 v[64:65], v[64:65], v[70:71], -v[72:73]
	v_fma_f64 v[66:67], v[66:67], v[70:71], v[68:69]
	v_add_f64 v[1:2], v[1:2], v[64:65]
	v_add_f64 v[3:4], v[3:4], v[66:67]
	s_andn2_b32 exec_lo, exec_lo, s8
	s_cbranch_execnz .LBB89_364
; %bb.365:
	s_or_b32 exec_lo, exec_lo, s8
.LBB89_366:
	s_or_b32 exec_lo, exec_lo, s6
	v_mov_b32_e32 v60, 0
	ds_read_b128 v[64:67], v60 offset:336
	s_waitcnt lgkmcnt(0)
	v_mul_f64 v[60:61], v[3:4], v[66:67]
	v_mul_f64 v[66:67], v[1:2], v[66:67]
	v_fma_f64 v[1:2], v[1:2], v[64:65], -v[60:61]
	v_fma_f64 v[3:4], v[3:4], v[64:65], v[66:67]
	buffer_store_dword v2, off, s[0:3], 0 offset:340
	buffer_store_dword v1, off, s[0:3], 0 offset:336
	;; [unrolled: 1-line block ×4, first 2 shown]
.LBB89_367:
	s_or_b32 exec_lo, exec_lo, s4
	v_mov_b32_e32 v4, s11
	s_mov_b32 s4, exec_lo
	s_clause 0x3
	buffer_load_dword v1, v4, s[0:3], 0 offen
	buffer_load_dword v2, v4, s[0:3], 0 offen offset:4
	buffer_load_dword v3, v4, s[0:3], 0 offen offset:8
	;; [unrolled: 1-line block ×3, first 2 shown]
	s_waitcnt vmcnt(0)
	ds_write_b128 v58, v[1:4]
	s_waitcnt lgkmcnt(0)
	s_waitcnt_vscnt null, 0x0
	s_barrier
	buffer_gl0_inv
	v_cmpx_gt_u32_e32 22, v0
	s_cbranch_execz .LBB89_375
; %bb.368:
	ds_read_b128 v[1:4], v58
	v_cmp_ne_u32_e32 vcc_lo, 1, v59
	s_cbranch_vccnz .LBB89_370
; %bb.369:
	s_clause 0x3
	buffer_load_dword v60, v57, s[0:3], 0 offen offset:8
	buffer_load_dword v61, v57, s[0:3], 0 offen offset:12
	buffer_load_dword v64, v57, s[0:3], 0 offen
	buffer_load_dword v65, v57, s[0:3], 0 offen offset:4
	s_waitcnt vmcnt(2) lgkmcnt(0)
	v_mul_f64 v[66:67], v[3:4], v[60:61]
	v_mul_f64 v[60:61], v[1:2], v[60:61]
	s_waitcnt vmcnt(0)
	v_fma_f64 v[1:2], v[1:2], v[64:65], -v[66:67]
	v_fma_f64 v[3:4], v[3:4], v[64:65], v[60:61]
.LBB89_370:
	s_mov_b32 s6, exec_lo
	v_cmpx_ne_u32_e32 21, v0
	s_cbranch_execz .LBB89_374
; %bb.371:
	v_add_nc_u32_e32 v60, 0x1b0, v63
	v_add3_u32 v61, 0, v63, 16
	v_mov_b32_e32 v62, v0
	s_mov_b32 s8, 0
	.p2align	6
.LBB89_372:                             ; =>This Inner Loop Header: Depth=1
	s_clause 0x3
	buffer_load_dword v68, v61, s[0:3], 0 offen offset:8
	buffer_load_dword v69, v61, s[0:3], 0 offen offset:12
	buffer_load_dword v70, v61, s[0:3], 0 offen
	buffer_load_dword v71, v61, s[0:3], 0 offen offset:4
	ds_read_b128 v[64:67], v60
	v_add_nc_u32_e32 v62, 1, v62
	v_add_nc_u32_e32 v60, 16, v60
	;; [unrolled: 1-line block ×3, first 2 shown]
	v_cmp_lt_u32_e32 vcc_lo, 20, v62
	s_or_b32 s8, vcc_lo, s8
	s_waitcnt vmcnt(2) lgkmcnt(0)
	v_mul_f64 v[72:73], v[66:67], v[68:69]
	v_mul_f64 v[68:69], v[64:65], v[68:69]
	s_waitcnt vmcnt(0)
	v_fma_f64 v[64:65], v[64:65], v[70:71], -v[72:73]
	v_fma_f64 v[66:67], v[66:67], v[70:71], v[68:69]
	v_add_f64 v[1:2], v[1:2], v[64:65]
	v_add_f64 v[3:4], v[3:4], v[66:67]
	s_andn2_b32 exec_lo, exec_lo, s8
	s_cbranch_execnz .LBB89_372
; %bb.373:
	s_or_b32 exec_lo, exec_lo, s8
.LBB89_374:
	s_or_b32 exec_lo, exec_lo, s6
	v_mov_b32_e32 v60, 0
	ds_read_b128 v[64:67], v60 offset:352
	s_waitcnt lgkmcnt(0)
	v_mul_f64 v[60:61], v[3:4], v[66:67]
	v_mul_f64 v[66:67], v[1:2], v[66:67]
	v_fma_f64 v[1:2], v[1:2], v[64:65], -v[60:61]
	v_fma_f64 v[3:4], v[3:4], v[64:65], v[66:67]
	buffer_store_dword v2, off, s[0:3], 0 offset:356
	buffer_store_dword v1, off, s[0:3], 0 offset:352
	;; [unrolled: 1-line block ×4, first 2 shown]
.LBB89_375:
	s_or_b32 exec_lo, exec_lo, s4
	v_mov_b32_e32 v4, s10
	s_mov_b32 s4, exec_lo
	s_clause 0x3
	buffer_load_dword v1, v4, s[0:3], 0 offen
	buffer_load_dword v2, v4, s[0:3], 0 offen offset:4
	buffer_load_dword v3, v4, s[0:3], 0 offen offset:8
	buffer_load_dword v4, v4, s[0:3], 0 offen offset:12
	s_waitcnt vmcnt(0)
	ds_write_b128 v58, v[1:4]
	s_waitcnt lgkmcnt(0)
	s_waitcnt_vscnt null, 0x0
	s_barrier
	buffer_gl0_inv
	v_cmpx_gt_u32_e32 23, v0
	s_cbranch_execz .LBB89_383
; %bb.376:
	ds_read_b128 v[1:4], v58
	v_cmp_ne_u32_e32 vcc_lo, 1, v59
	s_cbranch_vccnz .LBB89_378
; %bb.377:
	s_clause 0x3
	buffer_load_dword v60, v57, s[0:3], 0 offen offset:8
	buffer_load_dword v61, v57, s[0:3], 0 offen offset:12
	buffer_load_dword v64, v57, s[0:3], 0 offen
	buffer_load_dword v65, v57, s[0:3], 0 offen offset:4
	s_waitcnt vmcnt(2) lgkmcnt(0)
	v_mul_f64 v[66:67], v[3:4], v[60:61]
	v_mul_f64 v[60:61], v[1:2], v[60:61]
	s_waitcnt vmcnt(0)
	v_fma_f64 v[1:2], v[1:2], v[64:65], -v[66:67]
	v_fma_f64 v[3:4], v[3:4], v[64:65], v[60:61]
.LBB89_378:
	s_mov_b32 s6, exec_lo
	v_cmpx_ne_u32_e32 22, v0
	s_cbranch_execz .LBB89_382
; %bb.379:
	v_add_nc_u32_e32 v60, 0x1b0, v63
	v_add3_u32 v61, 0, v63, 16
	v_mov_b32_e32 v62, v0
	s_mov_b32 s8, 0
	.p2align	6
.LBB89_380:                             ; =>This Inner Loop Header: Depth=1
	s_clause 0x3
	buffer_load_dword v68, v61, s[0:3], 0 offen offset:8
	buffer_load_dword v69, v61, s[0:3], 0 offen offset:12
	buffer_load_dword v70, v61, s[0:3], 0 offen
	buffer_load_dword v71, v61, s[0:3], 0 offen offset:4
	ds_read_b128 v[64:67], v60
	v_add_nc_u32_e32 v62, 1, v62
	v_add_nc_u32_e32 v60, 16, v60
	;; [unrolled: 1-line block ×3, first 2 shown]
	v_cmp_lt_u32_e32 vcc_lo, 21, v62
	s_or_b32 s8, vcc_lo, s8
	s_waitcnt vmcnt(2) lgkmcnt(0)
	v_mul_f64 v[72:73], v[66:67], v[68:69]
	v_mul_f64 v[68:69], v[64:65], v[68:69]
	s_waitcnt vmcnt(0)
	v_fma_f64 v[64:65], v[64:65], v[70:71], -v[72:73]
	v_fma_f64 v[66:67], v[66:67], v[70:71], v[68:69]
	v_add_f64 v[1:2], v[1:2], v[64:65]
	v_add_f64 v[3:4], v[3:4], v[66:67]
	s_andn2_b32 exec_lo, exec_lo, s8
	s_cbranch_execnz .LBB89_380
; %bb.381:
	s_or_b32 exec_lo, exec_lo, s8
.LBB89_382:
	s_or_b32 exec_lo, exec_lo, s6
	v_mov_b32_e32 v60, 0
	ds_read_b128 v[64:67], v60 offset:368
	s_waitcnt lgkmcnt(0)
	v_mul_f64 v[60:61], v[3:4], v[66:67]
	v_mul_f64 v[66:67], v[1:2], v[66:67]
	v_fma_f64 v[1:2], v[1:2], v[64:65], -v[60:61]
	v_fma_f64 v[3:4], v[3:4], v[64:65], v[66:67]
	buffer_store_dword v2, off, s[0:3], 0 offset:372
	buffer_store_dword v1, off, s[0:3], 0 offset:368
	;; [unrolled: 1-line block ×4, first 2 shown]
.LBB89_383:
	s_or_b32 exec_lo, exec_lo, s4
	v_mov_b32_e32 v4, s9
	v_cmp_gt_u32_e64 s4, 24, v0
	s_clause 0x3
	buffer_load_dword v1, v4, s[0:3], 0 offen
	buffer_load_dword v2, v4, s[0:3], 0 offen offset:4
	buffer_load_dword v3, v4, s[0:3], 0 offen offset:8
	;; [unrolled: 1-line block ×3, first 2 shown]
	s_waitcnt vmcnt(0)
	ds_write_b128 v58, v[1:4]
	s_waitcnt lgkmcnt(0)
	s_waitcnt_vscnt null, 0x0
	s_barrier
	buffer_gl0_inv
	s_and_saveexec_b32 s6, s4
	s_cbranch_execz .LBB89_391
; %bb.384:
	ds_read_b128 v[1:4], v58
	v_cmp_ne_u32_e32 vcc_lo, 1, v59
	s_cbranch_vccnz .LBB89_386
; %bb.385:
	s_clause 0x3
	buffer_load_dword v60, v57, s[0:3], 0 offen offset:8
	buffer_load_dword v61, v57, s[0:3], 0 offen offset:12
	buffer_load_dword v64, v57, s[0:3], 0 offen
	buffer_load_dword v65, v57, s[0:3], 0 offen offset:4
	s_waitcnt vmcnt(2) lgkmcnt(0)
	v_mul_f64 v[66:67], v[3:4], v[60:61]
	v_mul_f64 v[60:61], v[1:2], v[60:61]
	s_waitcnt vmcnt(0)
	v_fma_f64 v[1:2], v[1:2], v[64:65], -v[66:67]
	v_fma_f64 v[3:4], v[3:4], v[64:65], v[60:61]
.LBB89_386:
	s_mov_b32 s8, exec_lo
	v_cmpx_ne_u32_e32 23, v0
	s_cbranch_execz .LBB89_390
; %bb.387:
	v_add_nc_u32_e32 v60, 0x1b0, v63
	v_add3_u32 v61, 0, v63, 16
	v_mov_b32_e32 v62, v0
	s_mov_b32 s34, 0
	.p2align	6
.LBB89_388:                             ; =>This Inner Loop Header: Depth=1
	s_clause 0x3
	buffer_load_dword v68, v61, s[0:3], 0 offen offset:8
	buffer_load_dword v69, v61, s[0:3], 0 offen offset:12
	buffer_load_dword v70, v61, s[0:3], 0 offen
	buffer_load_dword v71, v61, s[0:3], 0 offen offset:4
	ds_read_b128 v[64:67], v60
	v_add_nc_u32_e32 v62, 1, v62
	v_add_nc_u32_e32 v60, 16, v60
	;; [unrolled: 1-line block ×3, first 2 shown]
	v_cmp_lt_u32_e32 vcc_lo, 22, v62
	s_or_b32 s34, vcc_lo, s34
	s_waitcnt vmcnt(2) lgkmcnt(0)
	v_mul_f64 v[72:73], v[66:67], v[68:69]
	v_mul_f64 v[68:69], v[64:65], v[68:69]
	s_waitcnt vmcnt(0)
	v_fma_f64 v[64:65], v[64:65], v[70:71], -v[72:73]
	v_fma_f64 v[66:67], v[66:67], v[70:71], v[68:69]
	v_add_f64 v[1:2], v[1:2], v[64:65]
	v_add_f64 v[3:4], v[3:4], v[66:67]
	s_andn2_b32 exec_lo, exec_lo, s34
	s_cbranch_execnz .LBB89_388
; %bb.389:
	s_or_b32 exec_lo, exec_lo, s34
.LBB89_390:
	s_or_b32 exec_lo, exec_lo, s8
	v_mov_b32_e32 v60, 0
	ds_read_b128 v[64:67], v60 offset:384
	s_waitcnt lgkmcnt(0)
	v_mul_f64 v[60:61], v[3:4], v[66:67]
	v_mul_f64 v[66:67], v[1:2], v[66:67]
	v_fma_f64 v[1:2], v[1:2], v[64:65], -v[60:61]
	v_fma_f64 v[3:4], v[3:4], v[64:65], v[66:67]
	buffer_store_dword v2, off, s[0:3], 0 offset:388
	buffer_store_dword v1, off, s[0:3], 0 offset:384
	;; [unrolled: 1-line block ×4, first 2 shown]
.LBB89_391:
	s_or_b32 exec_lo, exec_lo, s6
	v_mov_b32_e32 v4, s7
	s_mov_b32 s6, exec_lo
                                        ; implicit-def: $sgpr35
	s_clause 0x3
	buffer_load_dword v1, v4, s[0:3], 0 offen
	buffer_load_dword v2, v4, s[0:3], 0 offen offset:4
	buffer_load_dword v3, v4, s[0:3], 0 offen offset:8
	;; [unrolled: 1-line block ×3, first 2 shown]
	s_waitcnt vmcnt(0)
	ds_write_b128 v58, v[1:4]
	s_waitcnt lgkmcnt(0)
	s_waitcnt_vscnt null, 0x0
	s_barrier
	buffer_gl0_inv
                                        ; implicit-def: $vgpr1_vgpr2
	v_cmpx_ne_u32_e32 25, v0
	s_cbranch_execz .LBB89_399
; %bb.392:
	ds_read_b128 v[1:4], v58
	v_cmp_ne_u32_e32 vcc_lo, 1, v59
	s_cbranch_vccnz .LBB89_394
; %bb.393:
	s_clause 0x3
	buffer_load_dword v58, v57, s[0:3], 0 offen offset:8
	buffer_load_dword v59, v57, s[0:3], 0 offen offset:12
	buffer_load_dword v60, v57, s[0:3], 0 offen
	buffer_load_dword v61, v57, s[0:3], 0 offen offset:4
	s_waitcnt vmcnt(2) lgkmcnt(0)
	v_mul_f64 v[64:65], v[3:4], v[58:59]
	v_mul_f64 v[57:58], v[1:2], v[58:59]
	s_waitcnt vmcnt(0)
	v_fma_f64 v[1:2], v[1:2], v[60:61], -v[64:65]
	v_fma_f64 v[3:4], v[3:4], v[60:61], v[57:58]
.LBB89_394:
	s_and_saveexec_b32 s8, s4
	s_cbranch_execz .LBB89_398
; %bb.395:
	v_add_nc_u32_e32 v57, 0x1b0, v63
	v_add3_u32 v58, 0, v63, 16
	s_mov_b32 s4, 0
	.p2align	6
.LBB89_396:                             ; =>This Inner Loop Header: Depth=1
	s_clause 0x3
	buffer_load_dword v63, v58, s[0:3], 0 offen offset:8
	buffer_load_dword v64, v58, s[0:3], 0 offen offset:12
	buffer_load_dword v65, v58, s[0:3], 0 offen
	buffer_load_dword v66, v58, s[0:3], 0 offen offset:4
	ds_read_b128 v[59:62], v57
	v_add_nc_u32_e32 v0, 1, v0
	v_add_nc_u32_e32 v57, 16, v57
	;; [unrolled: 1-line block ×3, first 2 shown]
	v_cmp_lt_u32_e32 vcc_lo, 23, v0
	s_or_b32 s4, vcc_lo, s4
	s_waitcnt vmcnt(2) lgkmcnt(0)
	v_mul_f64 v[67:68], v[61:62], v[63:64]
	v_mul_f64 v[63:64], v[59:60], v[63:64]
	s_waitcnt vmcnt(0)
	v_fma_f64 v[59:60], v[59:60], v[65:66], -v[67:68]
	v_fma_f64 v[61:62], v[61:62], v[65:66], v[63:64]
	v_add_f64 v[1:2], v[1:2], v[59:60]
	v_add_f64 v[3:4], v[3:4], v[61:62]
	s_andn2_b32 exec_lo, exec_lo, s4
	s_cbranch_execnz .LBB89_396
; %bb.397:
	s_or_b32 exec_lo, exec_lo, s4
.LBB89_398:
	s_or_b32 exec_lo, exec_lo, s8
	v_mov_b32_e32 v0, 0
	s_movk_i32 s35, 0x198
	s_or_b32 s5, s5, exec_lo
	ds_read_b128 v[57:60], v0 offset:400
	s_waitcnt lgkmcnt(0)
	v_mul_f64 v[61:62], v[3:4], v[59:60]
	v_mul_f64 v[59:60], v[1:2], v[59:60]
	v_fma_f64 v[61:62], v[1:2], v[57:58], -v[61:62]
	v_fma_f64 v[1:2], v[3:4], v[57:58], v[59:60]
	buffer_store_dword v62, off, s[0:3], 0 offset:404
	buffer_store_dword v61, off, s[0:3], 0 offset:400
.LBB89_399:
	s_or_b32 exec_lo, exec_lo, s6
.LBB89_400:
	s_and_saveexec_b32 s4, s5
	s_cbranch_execz .LBB89_402
; %bb.401:
	v_mov_b32_e32 v0, s35
	buffer_store_dword v2, v0, s[0:3], 0 offen offset:4
	buffer_store_dword v1, v0, s[0:3], 0 offen
.LBB89_402:
	s_or_b32 exec_lo, exec_lo, s4
	s_clause 0x3
	buffer_load_dword v0, off, s[0:3], 0
	buffer_load_dword v1, off, s[0:3], 0 offset:4
	buffer_load_dword v2, off, s[0:3], 0 offset:8
	;; [unrolled: 1-line block ×3, first 2 shown]
	v_mov_b32_e32 v4, s33
	s_waitcnt vmcnt(0)
	flat_store_dwordx4 v[5:6], v[0:3]
	s_clause 0x3
	buffer_load_dword v0, v4, s[0:3], 0 offen
	buffer_load_dword v1, v4, s[0:3], 0 offen offset:4
	buffer_load_dword v2, v4, s[0:3], 0 offen offset:8
	buffer_load_dword v3, v4, s[0:3], 0 offen offset:12
	v_mov_b32_e32 v4, s31
	s_waitcnt vmcnt(0)
	flat_store_dwordx4 v[7:8], v[0:3]
	s_clause 0x3
	buffer_load_dword v0, v4, s[0:3], 0 offen
	buffer_load_dword v1, v4, s[0:3], 0 offen offset:4
	buffer_load_dword v2, v4, s[0:3], 0 offen offset:8
	buffer_load_dword v3, v4, s[0:3], 0 offen offset:12
	;; [unrolled: 8-line block ×25, first 2 shown]
	s_waitcnt vmcnt(0)
	flat_store_dwordx4 v[55:56], v[0:3]
.LBB89_403:
	s_endpgm
	.section	.rodata,"a",@progbits
	.p2align	6, 0x0
	.amdhsa_kernel _ZN9rocsolver6v33100L18trti2_kernel_smallILi26E19rocblas_complex_numIdEPKPS3_EEv13rocblas_fill_17rocblas_diagonal_T1_iil
		.amdhsa_group_segment_fixed_size 832
		.amdhsa_private_segment_fixed_size 432
		.amdhsa_kernarg_size 32
		.amdhsa_user_sgpr_count 6
		.amdhsa_user_sgpr_private_segment_buffer 1
		.amdhsa_user_sgpr_dispatch_ptr 0
		.amdhsa_user_sgpr_queue_ptr 0
		.amdhsa_user_sgpr_kernarg_segment_ptr 1
		.amdhsa_user_sgpr_dispatch_id 0
		.amdhsa_user_sgpr_flat_scratch_init 0
		.amdhsa_user_sgpr_private_segment_size 0
		.amdhsa_wavefront_size32 1
		.amdhsa_uses_dynamic_stack 0
		.amdhsa_system_sgpr_private_segment_wavefront_offset 1
		.amdhsa_system_sgpr_workgroup_id_x 1
		.amdhsa_system_sgpr_workgroup_id_y 0
		.amdhsa_system_sgpr_workgroup_id_z 0
		.amdhsa_system_sgpr_workgroup_info 0
		.amdhsa_system_vgpr_workitem_id 0
		.amdhsa_next_free_vgpr 74
		.amdhsa_next_free_sgpr 44
		.amdhsa_reserve_vcc 1
		.amdhsa_reserve_flat_scratch 0
		.amdhsa_float_round_mode_32 0
		.amdhsa_float_round_mode_16_64 0
		.amdhsa_float_denorm_mode_32 3
		.amdhsa_float_denorm_mode_16_64 3
		.amdhsa_dx10_clamp 1
		.amdhsa_ieee_mode 1
		.amdhsa_fp16_overflow 0
		.amdhsa_workgroup_processor_mode 1
		.amdhsa_memory_ordered 1
		.amdhsa_forward_progress 1
		.amdhsa_shared_vgpr_count 0
		.amdhsa_exception_fp_ieee_invalid_op 0
		.amdhsa_exception_fp_denorm_src 0
		.amdhsa_exception_fp_ieee_div_zero 0
		.amdhsa_exception_fp_ieee_overflow 0
		.amdhsa_exception_fp_ieee_underflow 0
		.amdhsa_exception_fp_ieee_inexact 0
		.amdhsa_exception_int_div_zero 0
	.end_amdhsa_kernel
	.section	.text._ZN9rocsolver6v33100L18trti2_kernel_smallILi26E19rocblas_complex_numIdEPKPS3_EEv13rocblas_fill_17rocblas_diagonal_T1_iil,"axG",@progbits,_ZN9rocsolver6v33100L18trti2_kernel_smallILi26E19rocblas_complex_numIdEPKPS3_EEv13rocblas_fill_17rocblas_diagonal_T1_iil,comdat
.Lfunc_end89:
	.size	_ZN9rocsolver6v33100L18trti2_kernel_smallILi26E19rocblas_complex_numIdEPKPS3_EEv13rocblas_fill_17rocblas_diagonal_T1_iil, .Lfunc_end89-_ZN9rocsolver6v33100L18trti2_kernel_smallILi26E19rocblas_complex_numIdEPKPS3_EEv13rocblas_fill_17rocblas_diagonal_T1_iil
                                        ; -- End function
	.set _ZN9rocsolver6v33100L18trti2_kernel_smallILi26E19rocblas_complex_numIdEPKPS3_EEv13rocblas_fill_17rocblas_diagonal_T1_iil.num_vgpr, 74
	.set _ZN9rocsolver6v33100L18trti2_kernel_smallILi26E19rocblas_complex_numIdEPKPS3_EEv13rocblas_fill_17rocblas_diagonal_T1_iil.num_agpr, 0
	.set _ZN9rocsolver6v33100L18trti2_kernel_smallILi26E19rocblas_complex_numIdEPKPS3_EEv13rocblas_fill_17rocblas_diagonal_T1_iil.numbered_sgpr, 44
	.set _ZN9rocsolver6v33100L18trti2_kernel_smallILi26E19rocblas_complex_numIdEPKPS3_EEv13rocblas_fill_17rocblas_diagonal_T1_iil.num_named_barrier, 0
	.set _ZN9rocsolver6v33100L18trti2_kernel_smallILi26E19rocblas_complex_numIdEPKPS3_EEv13rocblas_fill_17rocblas_diagonal_T1_iil.private_seg_size, 432
	.set _ZN9rocsolver6v33100L18trti2_kernel_smallILi26E19rocblas_complex_numIdEPKPS3_EEv13rocblas_fill_17rocblas_diagonal_T1_iil.uses_vcc, 1
	.set _ZN9rocsolver6v33100L18trti2_kernel_smallILi26E19rocblas_complex_numIdEPKPS3_EEv13rocblas_fill_17rocblas_diagonal_T1_iil.uses_flat_scratch, 0
	.set _ZN9rocsolver6v33100L18trti2_kernel_smallILi26E19rocblas_complex_numIdEPKPS3_EEv13rocblas_fill_17rocblas_diagonal_T1_iil.has_dyn_sized_stack, 0
	.set _ZN9rocsolver6v33100L18trti2_kernel_smallILi26E19rocblas_complex_numIdEPKPS3_EEv13rocblas_fill_17rocblas_diagonal_T1_iil.has_recursion, 0
	.set _ZN9rocsolver6v33100L18trti2_kernel_smallILi26E19rocblas_complex_numIdEPKPS3_EEv13rocblas_fill_17rocblas_diagonal_T1_iil.has_indirect_call, 0
	.section	.AMDGPU.csdata,"",@progbits
; Kernel info:
; codeLenInByte = 26172
; TotalNumSgprs: 46
; NumVgprs: 74
; ScratchSize: 432
; MemoryBound: 0
; FloatMode: 240
; IeeeMode: 1
; LDSByteSize: 832 bytes/workgroup (compile time only)
; SGPRBlocks: 0
; VGPRBlocks: 9
; NumSGPRsForWavesPerEU: 46
; NumVGPRsForWavesPerEU: 74
; Occupancy: 12
; WaveLimiterHint : 1
; COMPUTE_PGM_RSRC2:SCRATCH_EN: 1
; COMPUTE_PGM_RSRC2:USER_SGPR: 6
; COMPUTE_PGM_RSRC2:TRAP_HANDLER: 0
; COMPUTE_PGM_RSRC2:TGID_X_EN: 1
; COMPUTE_PGM_RSRC2:TGID_Y_EN: 0
; COMPUTE_PGM_RSRC2:TGID_Z_EN: 0
; COMPUTE_PGM_RSRC2:TIDIG_COMP_CNT: 0
	.section	.text._ZN9rocsolver6v33100L18trti2_kernel_smallILi27E19rocblas_complex_numIdEPKPS3_EEv13rocblas_fill_17rocblas_diagonal_T1_iil,"axG",@progbits,_ZN9rocsolver6v33100L18trti2_kernel_smallILi27E19rocblas_complex_numIdEPKPS3_EEv13rocblas_fill_17rocblas_diagonal_T1_iil,comdat
	.globl	_ZN9rocsolver6v33100L18trti2_kernel_smallILi27E19rocblas_complex_numIdEPKPS3_EEv13rocblas_fill_17rocblas_diagonal_T1_iil ; -- Begin function _ZN9rocsolver6v33100L18trti2_kernel_smallILi27E19rocblas_complex_numIdEPKPS3_EEv13rocblas_fill_17rocblas_diagonal_T1_iil
	.p2align	8
	.type	_ZN9rocsolver6v33100L18trti2_kernel_smallILi27E19rocblas_complex_numIdEPKPS3_EEv13rocblas_fill_17rocblas_diagonal_T1_iil,@function
_ZN9rocsolver6v33100L18trti2_kernel_smallILi27E19rocblas_complex_numIdEPKPS3_EEv13rocblas_fill_17rocblas_diagonal_T1_iil: ; @_ZN9rocsolver6v33100L18trti2_kernel_smallILi27E19rocblas_complex_numIdEPKPS3_EEv13rocblas_fill_17rocblas_diagonal_T1_iil
; %bb.0:
	s_add_u32 s0, s0, s7
	s_addc_u32 s1, s1, 0
	s_mov_b32 s7, exec_lo
	v_cmpx_gt_u32_e32 27, v0
	s_cbranch_execz .LBB90_419
; %bb.1:
	s_clause 0x1
	s_load_dwordx2 s[12:13], s[4:5], 0x10
	s_load_dwordx4 s[8:11], s[4:5], 0x0
	s_ashr_i32 s7, s6, 31
	v_lshlrev_b32_e32 v65, 4, v0
	s_lshl_b64 s[4:5], s[6:7], 3
	s_movk_i32 s14, 0xd0
	s_movk_i32 s15, 0xe0
	;; [unrolled: 1-line block ×14, first 2 shown]
	s_waitcnt lgkmcnt(0)
	s_ashr_i32 s7, s12, 31
	s_add_u32 s4, s10, s4
	s_addc_u32 s5, s11, s5
	s_mov_b32 s6, s12
	s_load_dwordx2 s[4:5], s[4:5], 0x0
	s_lshl_b64 s[6:7], s[6:7], 4
	v_add3_u32 v7, s13, s13, v0
	s_movk_i32 s10, 0x90
	s_movk_i32 s11, 0xa0
	;; [unrolled: 1-line block ×3, first 2 shown]
	v_ashrrev_i32_e32 v8, 31, v7
	v_lshlrev_b64 v[8:9], 4, v[7:8]
	v_add_nc_u32_e32 v7, s13, v7
	s_waitcnt lgkmcnt(0)
	s_add_u32 s6, s4, s6
	s_addc_u32 s7, s5, s7
	v_add_co_u32 v5, s4, s6, v65
	v_add_co_ci_u32_e64 v6, null, s7, 0, s4
	s_mov_b32 s4, s13
	s_ashr_i32 s5, s13, 31
	s_lshl_b64 s[4:5], s[4:5], 4
	flat_load_dwordx4 v[1:4], v[5:6]
	v_add_co_u32 v57, vcc_lo, v5, s4
	v_add_co_ci_u32_e64 v58, null, s5, v6, vcc_lo
	v_add_co_u32 v55, vcc_lo, s6, v8
	v_add_co_ci_u32_e64 v56, null, s7, v9, vcc_lo
	v_ashrrev_i32_e32 v8, 31, v7
	s_cmpk_lg_i32 s9, 0x84
	s_movk_i32 s4, 0x50
	s_movk_i32 s5, 0x60
	s_cselect_b32 s34, -1, 0
	v_lshlrev_b64 v[8:9], 4, v[7:8]
	v_add_nc_u32_e32 v7, s13, v7
	s_cmpk_eq_i32 s9, 0x84
	s_waitcnt vmcnt(0) lgkmcnt(0)
	buffer_store_dword v4, off, s[0:3], 0 offset:12
	buffer_store_dword v3, off, s[0:3], 0 offset:8
	;; [unrolled: 1-line block ×3, first 2 shown]
	buffer_store_dword v1, off, s[0:3], 0
	flat_load_dwordx4 v[1:4], v[57:58]
	v_add_co_u32 v53, vcc_lo, s6, v8
	v_add_co_ci_u32_e64 v54, null, s7, v9, vcc_lo
	v_ashrrev_i32_e32 v8, 31, v7
	s_waitcnt vmcnt(0) lgkmcnt(0)
	buffer_store_dword v4, off, s[0:3], 0 offset:28
	buffer_store_dword v3, off, s[0:3], 0 offset:24
	;; [unrolled: 1-line block ×4, first 2 shown]
	flat_load_dwordx4 v[1:4], v[55:56]
	v_lshlrev_b64 v[8:9], 4, v[7:8]
	v_add_nc_u32_e32 v7, s13, v7
	s_waitcnt vmcnt(0) lgkmcnt(0)
	buffer_store_dword v4, off, s[0:3], 0 offset:44
	buffer_store_dword v3, off, s[0:3], 0 offset:40
	;; [unrolled: 1-line block ×4, first 2 shown]
	flat_load_dwordx4 v[1:4], v[53:54]
	v_add_co_u32 v51, vcc_lo, s6, v8
	v_add_co_ci_u32_e64 v52, null, s7, v9, vcc_lo
	v_ashrrev_i32_e32 v8, 31, v7
	s_waitcnt vmcnt(0) lgkmcnt(0)
	buffer_store_dword v4, off, s[0:3], 0 offset:60
	buffer_store_dword v3, off, s[0:3], 0 offset:56
	;; [unrolled: 1-line block ×4, first 2 shown]
	flat_load_dwordx4 v[1:4], v[51:52]
	v_lshlrev_b64 v[8:9], 4, v[7:8]
	v_add_nc_u32_e32 v7, s13, v7
	s_waitcnt vmcnt(0) lgkmcnt(0)
	buffer_store_dword v4, off, s[0:3], 0 offset:76
	buffer_store_dword v3, off, s[0:3], 0 offset:72
	;; [unrolled: 1-line block ×4, first 2 shown]
	v_add_co_u32 v49, vcc_lo, s6, v8
	v_add_co_ci_u32_e64 v50, null, s7, v9, vcc_lo
	v_ashrrev_i32_e32 v8, 31, v7
	flat_load_dwordx4 v[1:4], v[49:50]
	s_waitcnt vmcnt(0) lgkmcnt(0)
	buffer_store_dword v4, off, s[0:3], 0 offset:92
	buffer_store_dword v3, off, s[0:3], 0 offset:88
	buffer_store_dword v2, off, s[0:3], 0 offset:84
	buffer_store_dword v1, off, s[0:3], 0 offset:80
	v_lshlrev_b64 v[8:9], 4, v[7:8]
	v_add_nc_u32_e32 v7, s13, v7
	v_add_co_u32 v47, vcc_lo, s6, v8
	v_add_co_ci_u32_e64 v48, null, s7, v9, vcc_lo
	v_ashrrev_i32_e32 v8, 31, v7
	flat_load_dwordx4 v[1:4], v[47:48]
	s_waitcnt vmcnt(0) lgkmcnt(0)
	buffer_store_dword v4, off, s[0:3], 0 offset:108
	buffer_store_dword v3, off, s[0:3], 0 offset:104
	buffer_store_dword v2, off, s[0:3], 0 offset:100
	buffer_store_dword v1, off, s[0:3], 0 offset:96
	v_lshlrev_b64 v[8:9], 4, v[7:8]
	v_add_nc_u32_e32 v7, s13, v7
	;; [unrolled: 11-line block ×18, first 2 shown]
	v_add_co_u32 v13, vcc_lo, s6, v8
	v_add_co_ci_u32_e64 v14, null, s7, v9, vcc_lo
	v_ashrrev_i32_e32 v8, 31, v7
	v_add_nc_u32_e32 v11, s13, v7
	flat_load_dwordx4 v[1:4], v[13:14]
	s_waitcnt vmcnt(0) lgkmcnt(0)
	buffer_store_dword v4, off, s[0:3], 0 offset:380
	buffer_store_dword v3, off, s[0:3], 0 offset:376
	;; [unrolled: 1-line block ×4, first 2 shown]
	v_lshlrev_b64 v[9:10], 4, v[7:8]
	v_ashrrev_i32_e32 v12, 31, v11
	v_add_co_u32 v9, vcc_lo, s6, v9
	v_add_co_ci_u32_e64 v10, null, s7, v10, vcc_lo
	v_lshlrev_b64 v[7:8], 4, v[11:12]
	v_add_nc_u32_e32 v11, s13, v11
	s_movk_i32 s13, 0xc0
	flat_load_dwordx4 v[1:4], v[9:10]
	s_waitcnt vmcnt(0) lgkmcnt(0)
	buffer_store_dword v4, off, s[0:3], 0 offset:396
	buffer_store_dword v3, off, s[0:3], 0 offset:392
	;; [unrolled: 1-line block ×4, first 2 shown]
	v_add_co_u32 v7, vcc_lo, s6, v7
	v_add_co_ci_u32_e64 v8, null, s7, v8, vcc_lo
	v_ashrrev_i32_e32 v12, 31, v11
	flat_load_dwordx4 v[1:4], v[7:8]
	s_waitcnt vmcnt(0) lgkmcnt(0)
	buffer_store_dword v4, off, s[0:3], 0 offset:412
	buffer_store_dword v3, off, s[0:3], 0 offset:408
	;; [unrolled: 1-line block ×4, first 2 shown]
	v_lshlrev_b64 v[11:12], 4, v[11:12]
	v_add_co_u32 v11, vcc_lo, s6, v11
	v_add_co_ci_u32_e64 v12, null, s7, v12, vcc_lo
	s_movk_i32 s6, 0x70
	s_movk_i32 s7, 0x80
	flat_load_dwordx4 v[1:4], v[11:12]
	s_waitcnt vmcnt(0) lgkmcnt(0)
	buffer_store_dword v4, off, s[0:3], 0 offset:428
	buffer_store_dword v3, off, s[0:3], 0 offset:424
	;; [unrolled: 1-line block ×4, first 2 shown]
	s_cbranch_scc1 .LBB90_7
; %bb.2:
	v_lshl_add_u32 v66, v0, 4, 0
                                        ; implicit-def: $vgpr61_vgpr62
                                        ; implicit-def: $vgpr3_vgpr4
	s_clause 0x3
	buffer_load_dword v59, v66, s[0:3], 0 offen
	buffer_load_dword v60, v66, s[0:3], 0 offen offset:4
	buffer_load_dword v63, v66, s[0:3], 0 offen offset:8
	;; [unrolled: 1-line block ×3, first 2 shown]
	s_waitcnt vmcnt(0)
	v_cmp_ngt_f64_e64 s9, |v[59:60]|, |v[63:64]|
	s_and_saveexec_b32 s18, s9
	s_xor_b32 s9, exec_lo, s18
	s_cbranch_execz .LBB90_4
; %bb.3:
	v_div_scale_f64 v[1:2], null, v[63:64], v[63:64], v[59:60]
	v_div_scale_f64 v[67:68], vcc_lo, v[59:60], v[63:64], v[59:60]
	v_rcp_f64_e32 v[3:4], v[1:2]
	v_fma_f64 v[61:62], -v[1:2], v[3:4], 1.0
	v_fma_f64 v[3:4], v[3:4], v[61:62], v[3:4]
	v_fma_f64 v[61:62], -v[1:2], v[3:4], 1.0
	v_fma_f64 v[3:4], v[3:4], v[61:62], v[3:4]
	v_mul_f64 v[61:62], v[67:68], v[3:4]
	v_fma_f64 v[1:2], -v[1:2], v[61:62], v[67:68]
	v_div_fmas_f64 v[1:2], v[1:2], v[3:4], v[61:62]
	v_div_fixup_f64 v[1:2], v[1:2], v[63:64], v[59:60]
	v_fma_f64 v[3:4], v[59:60], v[1:2], v[63:64]
	v_div_scale_f64 v[59:60], null, v[3:4], v[3:4], 1.0
	v_div_scale_f64 v[67:68], vcc_lo, 1.0, v[3:4], 1.0
	v_rcp_f64_e32 v[61:62], v[59:60]
	v_fma_f64 v[63:64], -v[59:60], v[61:62], 1.0
	v_fma_f64 v[61:62], v[61:62], v[63:64], v[61:62]
	v_fma_f64 v[63:64], -v[59:60], v[61:62], 1.0
	v_fma_f64 v[61:62], v[61:62], v[63:64], v[61:62]
	v_mul_f64 v[63:64], v[67:68], v[61:62]
	v_fma_f64 v[59:60], -v[59:60], v[63:64], v[67:68]
	v_div_fmas_f64 v[59:60], v[59:60], v[61:62], v[63:64]
                                        ; implicit-def: $vgpr63_vgpr64
	v_div_fixup_f64 v[3:4], v[59:60], v[3:4], 1.0
                                        ; implicit-def: $vgpr59_vgpr60
	v_mul_f64 v[61:62], v[1:2], v[3:4]
	v_xor_b32_e32 v4, 0x80000000, v4
	v_xor_b32_e32 v2, 0x80000000, v62
	v_mov_b32_e32 v1, v61
.LBB90_4:
	s_andn2_saveexec_b32 s9, s9
	s_cbranch_execz .LBB90_6
; %bb.5:
	v_div_scale_f64 v[1:2], null, v[59:60], v[59:60], v[63:64]
	v_div_scale_f64 v[67:68], vcc_lo, v[63:64], v[59:60], v[63:64]
	v_rcp_f64_e32 v[3:4], v[1:2]
	v_fma_f64 v[61:62], -v[1:2], v[3:4], 1.0
	v_fma_f64 v[3:4], v[3:4], v[61:62], v[3:4]
	v_fma_f64 v[61:62], -v[1:2], v[3:4], 1.0
	v_fma_f64 v[3:4], v[3:4], v[61:62], v[3:4]
	v_mul_f64 v[61:62], v[67:68], v[3:4]
	v_fma_f64 v[1:2], -v[1:2], v[61:62], v[67:68]
	v_div_fmas_f64 v[1:2], v[1:2], v[3:4], v[61:62]
	v_div_fixup_f64 v[1:2], v[1:2], v[59:60], v[63:64]
	v_fma_f64 v[3:4], v[63:64], v[1:2], v[59:60]
	v_div_scale_f64 v[59:60], null, v[3:4], v[3:4], 1.0
	v_rcp_f64_e32 v[61:62], v[59:60]
	v_fma_f64 v[63:64], -v[59:60], v[61:62], 1.0
	v_fma_f64 v[61:62], v[61:62], v[63:64], v[61:62]
	v_fma_f64 v[63:64], -v[59:60], v[61:62], 1.0
	v_fma_f64 v[61:62], v[61:62], v[63:64], v[61:62]
	v_div_scale_f64 v[63:64], vcc_lo, 1.0, v[3:4], 1.0
	v_mul_f64 v[67:68], v[63:64], v[61:62]
	v_fma_f64 v[59:60], -v[59:60], v[67:68], v[63:64]
	v_div_fmas_f64 v[59:60], v[59:60], v[61:62], v[67:68]
	v_div_fixup_f64 v[61:62], v[59:60], v[3:4], 1.0
	v_mul_f64 v[3:4], v[1:2], -v[61:62]
	v_xor_b32_e32 v2, 0x80000000, v62
	v_mov_b32_e32 v1, v61
.LBB90_6:
	s_or_b32 exec_lo, exec_lo, s9
	buffer_store_dword v4, v66, s[0:3], 0 offen offset:12
	v_xor_b32_e32 v4, 0x80000000, v4
	buffer_store_dword v62, v66, s[0:3], 0 offen offset:4
	buffer_store_dword v61, v66, s[0:3], 0 offen
	buffer_store_dword v3, v66, s[0:3], 0 offen offset:8
	s_branch .LBB90_8
.LBB90_7:
	v_mov_b32_e32 v1, 0
	v_mov_b32_e32 v3, 0
	;; [unrolled: 1-line block ×4, first 2 shown]
.LBB90_8:
	v_add_nc_u32_e32 v60, 0x1b0, v65
	v_mov_b32_e32 v59, v65
	s_mov_b32 s33, 16
	s_mov_b32 s31, 32
	;; [unrolled: 1-line block ×25, first 2 shown]
	s_cmpk_eq_i32 s8, 0x79
	ds_write_b128 v65, v[1:4]
	s_cbranch_scc1 .LBB90_212
; %bb.9:
	v_mov_b32_e32 v4, s7
	v_cmp_eq_u32_e64 s4, 26, v0
	s_clause 0x3
	buffer_load_dword v1, v4, s[0:3], 0 offen
	buffer_load_dword v2, v4, s[0:3], 0 offen offset:4
	buffer_load_dword v3, v4, s[0:3], 0 offen offset:8
	;; [unrolled: 1-line block ×3, first 2 shown]
	s_waitcnt vmcnt(0)
	ds_write_b128 v60, v[1:4]
	s_waitcnt lgkmcnt(0)
	s_waitcnt_vscnt null, 0x0
	s_barrier
	buffer_gl0_inv
	s_and_saveexec_b32 s5, s4
	s_cbranch_execz .LBB90_13
; %bb.10:
	ds_read_b128 v[1:4], v60
	s_andn2_b32 vcc_lo, exec_lo, s34
	s_cbranch_vccnz .LBB90_12
; %bb.11:
	s_clause 0x3
	buffer_load_dword v61, v59, s[0:3], 0 offen offset:8
	buffer_load_dword v62, v59, s[0:3], 0 offen offset:12
	buffer_load_dword v63, v59, s[0:3], 0 offen
	buffer_load_dword v64, v59, s[0:3], 0 offen offset:4
	s_waitcnt vmcnt(2) lgkmcnt(0)
	v_mul_f64 v[66:67], v[3:4], v[61:62]
	v_mul_f64 v[61:62], v[1:2], v[61:62]
	s_waitcnt vmcnt(0)
	v_fma_f64 v[1:2], v[1:2], v[63:64], -v[66:67]
	v_fma_f64 v[3:4], v[3:4], v[63:64], v[61:62]
.LBB90_12:
	v_mov_b32_e32 v61, 0
	ds_read_b128 v[61:64], v61 offset:400
	s_waitcnt lgkmcnt(0)
	v_mul_f64 v[66:67], v[3:4], v[63:64]
	v_mul_f64 v[63:64], v[1:2], v[63:64]
	v_fma_f64 v[1:2], v[1:2], v[61:62], -v[66:67]
	v_fma_f64 v[3:4], v[3:4], v[61:62], v[63:64]
	buffer_store_dword v2, off, s[0:3], 0 offset:404
	buffer_store_dword v1, off, s[0:3], 0 offset:400
	;; [unrolled: 1-line block ×4, first 2 shown]
.LBB90_13:
	s_or_b32 exec_lo, exec_lo, s5
	v_mov_b32_e32 v4, s9
	v_cmp_lt_u32_e64 s5, 24, v0
	s_clause 0x3
	buffer_load_dword v1, v4, s[0:3], 0 offen
	buffer_load_dword v2, v4, s[0:3], 0 offen offset:4
	buffer_load_dword v3, v4, s[0:3], 0 offen offset:8
	;; [unrolled: 1-line block ×3, first 2 shown]
	s_waitcnt vmcnt(0)
	ds_write_b128 v60, v[1:4]
	s_waitcnt lgkmcnt(0)
	s_waitcnt_vscnt null, 0x0
	s_barrier
	buffer_gl0_inv
	s_and_saveexec_b32 s8, s5
	s_cbranch_execz .LBB90_19
; %bb.14:
	ds_read_b128 v[1:4], v60
	s_andn2_b32 vcc_lo, exec_lo, s34
	s_cbranch_vccnz .LBB90_16
; %bb.15:
	s_clause 0x3
	buffer_load_dword v61, v59, s[0:3], 0 offen offset:8
	buffer_load_dword v62, v59, s[0:3], 0 offen offset:12
	buffer_load_dword v63, v59, s[0:3], 0 offen
	buffer_load_dword v64, v59, s[0:3], 0 offen offset:4
	s_waitcnt vmcnt(2) lgkmcnt(0)
	v_mul_f64 v[66:67], v[3:4], v[61:62]
	v_mul_f64 v[61:62], v[1:2], v[61:62]
	s_waitcnt vmcnt(0)
	v_fma_f64 v[1:2], v[1:2], v[63:64], -v[66:67]
	v_fma_f64 v[3:4], v[3:4], v[63:64], v[61:62]
.LBB90_16:
	s_and_saveexec_b32 s35, s4
	s_cbranch_execz .LBB90_18
; %bb.17:
	s_clause 0x3
	buffer_load_dword v66, off, s[0:3], 0 offset:408
	buffer_load_dword v67, off, s[0:3], 0 offset:412
	;; [unrolled: 1-line block ×4, first 2 shown]
	v_mov_b32_e32 v61, 0
	ds_read_b128 v[61:64], v61 offset:832
	s_waitcnt vmcnt(2) lgkmcnt(0)
	v_mul_f64 v[70:71], v[61:62], v[66:67]
	v_mul_f64 v[66:67], v[63:64], v[66:67]
	s_waitcnt vmcnt(0)
	v_fma_f64 v[63:64], v[63:64], v[68:69], v[70:71]
	v_fma_f64 v[61:62], v[61:62], v[68:69], -v[66:67]
	v_add_f64 v[3:4], v[3:4], v[63:64]
	v_add_f64 v[1:2], v[1:2], v[61:62]
.LBB90_18:
	s_or_b32 exec_lo, exec_lo, s35
	v_mov_b32_e32 v61, 0
	ds_read_b128 v[61:64], v61 offset:384
	s_waitcnt lgkmcnt(0)
	v_mul_f64 v[66:67], v[3:4], v[63:64]
	v_mul_f64 v[63:64], v[1:2], v[63:64]
	v_fma_f64 v[1:2], v[1:2], v[61:62], -v[66:67]
	v_fma_f64 v[3:4], v[3:4], v[61:62], v[63:64]
	buffer_store_dword v2, off, s[0:3], 0 offset:388
	buffer_store_dword v1, off, s[0:3], 0 offset:384
	;; [unrolled: 1-line block ×4, first 2 shown]
.LBB90_19:
	s_or_b32 exec_lo, exec_lo, s8
	v_mov_b32_e32 v4, s10
	v_cmp_lt_u32_e64 s4, 23, v0
	s_clause 0x3
	buffer_load_dword v1, v4, s[0:3], 0 offen
	buffer_load_dword v2, v4, s[0:3], 0 offen offset:4
	buffer_load_dword v3, v4, s[0:3], 0 offen offset:8
	;; [unrolled: 1-line block ×3, first 2 shown]
	s_waitcnt vmcnt(0)
	ds_write_b128 v60, v[1:4]
	s_waitcnt lgkmcnt(0)
	s_waitcnt_vscnt null, 0x0
	s_barrier
	buffer_gl0_inv
	s_and_saveexec_b32 s8, s4
	s_cbranch_execz .LBB90_27
; %bb.20:
	ds_read_b128 v[1:4], v60
	s_andn2_b32 vcc_lo, exec_lo, s34
	s_cbranch_vccnz .LBB90_22
; %bb.21:
	s_clause 0x3
	buffer_load_dword v61, v59, s[0:3], 0 offen offset:8
	buffer_load_dword v62, v59, s[0:3], 0 offen offset:12
	buffer_load_dword v63, v59, s[0:3], 0 offen
	buffer_load_dword v64, v59, s[0:3], 0 offen offset:4
	s_waitcnt vmcnt(2) lgkmcnt(0)
	v_mul_f64 v[66:67], v[3:4], v[61:62]
	v_mul_f64 v[61:62], v[1:2], v[61:62]
	s_waitcnt vmcnt(0)
	v_fma_f64 v[1:2], v[1:2], v[63:64], -v[66:67]
	v_fma_f64 v[3:4], v[3:4], v[63:64], v[61:62]
.LBB90_22:
	s_and_saveexec_b32 s35, s5
	s_cbranch_execz .LBB90_26
; %bb.23:
	v_subrev_nc_u32_e32 v61, 24, v0
	s_movk_i32 s36, 0x330
	s_mov_b32 s5, 0
	s_mov_b32 s37, s9
	.p2align	6
.LBB90_24:                              ; =>This Inner Loop Header: Depth=1
	v_mov_b32_e32 v64, s37
	v_add_nc_u32_e32 v61, -1, v61
	s_add_i32 s37, s37, 16
	s_clause 0x3
	buffer_load_dword v62, v64, s[0:3], 0 offen offset:8
	buffer_load_dword v63, v64, s[0:3], 0 offen offset:12
	buffer_load_dword v70, v64, s[0:3], 0 offen
	buffer_load_dword v71, v64, s[0:3], 0 offen offset:4
	v_mov_b32_e32 v64, s36
	v_cmp_eq_u32_e32 vcc_lo, 0, v61
	s_add_i32 s36, s36, 16
	ds_read_b128 v[66:69], v64
	s_or_b32 s5, vcc_lo, s5
	s_waitcnt vmcnt(2) lgkmcnt(0)
	v_mul_f64 v[72:73], v[68:69], v[62:63]
	v_mul_f64 v[62:63], v[66:67], v[62:63]
	s_waitcnt vmcnt(0)
	v_fma_f64 v[66:67], v[66:67], v[70:71], -v[72:73]
	v_fma_f64 v[62:63], v[68:69], v[70:71], v[62:63]
	v_add_f64 v[1:2], v[1:2], v[66:67]
	v_add_f64 v[3:4], v[3:4], v[62:63]
	s_andn2_b32 exec_lo, exec_lo, s5
	s_cbranch_execnz .LBB90_24
; %bb.25:
	s_or_b32 exec_lo, exec_lo, s5
.LBB90_26:
	s_or_b32 exec_lo, exec_lo, s35
	v_mov_b32_e32 v61, 0
	ds_read_b128 v[61:64], v61 offset:368
	s_waitcnt lgkmcnt(0)
	v_mul_f64 v[66:67], v[3:4], v[63:64]
	v_mul_f64 v[63:64], v[1:2], v[63:64]
	v_fma_f64 v[1:2], v[1:2], v[61:62], -v[66:67]
	v_fma_f64 v[3:4], v[3:4], v[61:62], v[63:64]
	buffer_store_dword v2, off, s[0:3], 0 offset:372
	buffer_store_dword v1, off, s[0:3], 0 offset:368
	buffer_store_dword v4, off, s[0:3], 0 offset:380
	buffer_store_dword v3, off, s[0:3], 0 offset:376
.LBB90_27:
	s_or_b32 exec_lo, exec_lo, s8
	v_mov_b32_e32 v4, s11
	v_cmp_lt_u32_e64 s5, 22, v0
	s_clause 0x3
	buffer_load_dword v1, v4, s[0:3], 0 offen
	buffer_load_dword v2, v4, s[0:3], 0 offen offset:4
	buffer_load_dword v3, v4, s[0:3], 0 offen offset:8
	;; [unrolled: 1-line block ×3, first 2 shown]
	s_waitcnt vmcnt(0)
	ds_write_b128 v60, v[1:4]
	s_waitcnt lgkmcnt(0)
	s_waitcnt_vscnt null, 0x0
	s_barrier
	buffer_gl0_inv
	s_and_saveexec_b32 s8, s5
	s_cbranch_execz .LBB90_35
; %bb.28:
	ds_read_b128 v[1:4], v60
	s_andn2_b32 vcc_lo, exec_lo, s34
	s_cbranch_vccnz .LBB90_30
; %bb.29:
	s_clause 0x3
	buffer_load_dword v61, v59, s[0:3], 0 offen offset:8
	buffer_load_dword v62, v59, s[0:3], 0 offen offset:12
	buffer_load_dword v63, v59, s[0:3], 0 offen
	buffer_load_dword v64, v59, s[0:3], 0 offen offset:4
	s_waitcnt vmcnt(2) lgkmcnt(0)
	v_mul_f64 v[66:67], v[3:4], v[61:62]
	v_mul_f64 v[61:62], v[1:2], v[61:62]
	s_waitcnt vmcnt(0)
	v_fma_f64 v[1:2], v[1:2], v[63:64], -v[66:67]
	v_fma_f64 v[3:4], v[3:4], v[63:64], v[61:62]
.LBB90_30:
	s_and_saveexec_b32 s35, s4
	s_cbranch_execz .LBB90_34
; %bb.31:
	v_subrev_nc_u32_e32 v61, 23, v0
	s_movk_i32 s36, 0x320
	s_mov_b32 s4, 0
	s_mov_b32 s37, s10
	.p2align	6
.LBB90_32:                              ; =>This Inner Loop Header: Depth=1
	v_mov_b32_e32 v64, s37
	v_add_nc_u32_e32 v61, -1, v61
	s_add_i32 s37, s37, 16
	s_clause 0x3
	buffer_load_dword v62, v64, s[0:3], 0 offen offset:8
	buffer_load_dword v63, v64, s[0:3], 0 offen offset:12
	buffer_load_dword v70, v64, s[0:3], 0 offen
	buffer_load_dword v71, v64, s[0:3], 0 offen offset:4
	v_mov_b32_e32 v64, s36
	v_cmp_eq_u32_e32 vcc_lo, 0, v61
	s_add_i32 s36, s36, 16
	ds_read_b128 v[66:69], v64
	s_or_b32 s4, vcc_lo, s4
	s_waitcnt vmcnt(2) lgkmcnt(0)
	v_mul_f64 v[72:73], v[68:69], v[62:63]
	v_mul_f64 v[62:63], v[66:67], v[62:63]
	s_waitcnt vmcnt(0)
	v_fma_f64 v[66:67], v[66:67], v[70:71], -v[72:73]
	v_fma_f64 v[62:63], v[68:69], v[70:71], v[62:63]
	v_add_f64 v[1:2], v[1:2], v[66:67]
	v_add_f64 v[3:4], v[3:4], v[62:63]
	s_andn2_b32 exec_lo, exec_lo, s4
	s_cbranch_execnz .LBB90_32
; %bb.33:
	s_or_b32 exec_lo, exec_lo, s4
.LBB90_34:
	s_or_b32 exec_lo, exec_lo, s35
	v_mov_b32_e32 v61, 0
	ds_read_b128 v[61:64], v61 offset:352
	s_waitcnt lgkmcnt(0)
	v_mul_f64 v[66:67], v[3:4], v[63:64]
	v_mul_f64 v[63:64], v[1:2], v[63:64]
	v_fma_f64 v[1:2], v[1:2], v[61:62], -v[66:67]
	v_fma_f64 v[3:4], v[3:4], v[61:62], v[63:64]
	buffer_store_dword v2, off, s[0:3], 0 offset:356
	buffer_store_dword v1, off, s[0:3], 0 offset:352
	;; [unrolled: 1-line block ×4, first 2 shown]
.LBB90_35:
	s_or_b32 exec_lo, exec_lo, s8
	v_mov_b32_e32 v4, s12
	v_cmp_lt_u32_e64 s4, 21, v0
	s_clause 0x3
	buffer_load_dword v1, v4, s[0:3], 0 offen
	buffer_load_dword v2, v4, s[0:3], 0 offen offset:4
	buffer_load_dword v3, v4, s[0:3], 0 offen offset:8
	;; [unrolled: 1-line block ×3, first 2 shown]
	s_waitcnt vmcnt(0)
	ds_write_b128 v60, v[1:4]
	s_waitcnt lgkmcnt(0)
	s_waitcnt_vscnt null, 0x0
	s_barrier
	buffer_gl0_inv
	s_and_saveexec_b32 s8, s4
	s_cbranch_execz .LBB90_43
; %bb.36:
	ds_read_b128 v[1:4], v60
	s_andn2_b32 vcc_lo, exec_lo, s34
	s_cbranch_vccnz .LBB90_38
; %bb.37:
	s_clause 0x3
	buffer_load_dword v61, v59, s[0:3], 0 offen offset:8
	buffer_load_dword v62, v59, s[0:3], 0 offen offset:12
	buffer_load_dword v63, v59, s[0:3], 0 offen
	buffer_load_dword v64, v59, s[0:3], 0 offen offset:4
	s_waitcnt vmcnt(2) lgkmcnt(0)
	v_mul_f64 v[66:67], v[3:4], v[61:62]
	v_mul_f64 v[61:62], v[1:2], v[61:62]
	s_waitcnt vmcnt(0)
	v_fma_f64 v[1:2], v[1:2], v[63:64], -v[66:67]
	v_fma_f64 v[3:4], v[3:4], v[63:64], v[61:62]
.LBB90_38:
	s_and_saveexec_b32 s35, s5
	s_cbranch_execz .LBB90_42
; %bb.39:
	v_subrev_nc_u32_e32 v61, 22, v0
	s_movk_i32 s36, 0x310
	s_mov_b32 s5, 0
	s_mov_b32 s37, s11
	.p2align	6
.LBB90_40:                              ; =>This Inner Loop Header: Depth=1
	v_mov_b32_e32 v64, s37
	v_add_nc_u32_e32 v61, -1, v61
	s_add_i32 s37, s37, 16
	s_clause 0x3
	buffer_load_dword v62, v64, s[0:3], 0 offen offset:8
	buffer_load_dword v63, v64, s[0:3], 0 offen offset:12
	buffer_load_dword v70, v64, s[0:3], 0 offen
	buffer_load_dword v71, v64, s[0:3], 0 offen offset:4
	v_mov_b32_e32 v64, s36
	v_cmp_eq_u32_e32 vcc_lo, 0, v61
	s_add_i32 s36, s36, 16
	ds_read_b128 v[66:69], v64
	s_or_b32 s5, vcc_lo, s5
	s_waitcnt vmcnt(2) lgkmcnt(0)
	v_mul_f64 v[72:73], v[68:69], v[62:63]
	v_mul_f64 v[62:63], v[66:67], v[62:63]
	s_waitcnt vmcnt(0)
	v_fma_f64 v[66:67], v[66:67], v[70:71], -v[72:73]
	v_fma_f64 v[62:63], v[68:69], v[70:71], v[62:63]
	v_add_f64 v[1:2], v[1:2], v[66:67]
	v_add_f64 v[3:4], v[3:4], v[62:63]
	s_andn2_b32 exec_lo, exec_lo, s5
	s_cbranch_execnz .LBB90_40
; %bb.41:
	s_or_b32 exec_lo, exec_lo, s5
.LBB90_42:
	s_or_b32 exec_lo, exec_lo, s35
	v_mov_b32_e32 v61, 0
	ds_read_b128 v[61:64], v61 offset:336
	s_waitcnt lgkmcnt(0)
	v_mul_f64 v[66:67], v[3:4], v[63:64]
	v_mul_f64 v[63:64], v[1:2], v[63:64]
	v_fma_f64 v[1:2], v[1:2], v[61:62], -v[66:67]
	v_fma_f64 v[3:4], v[3:4], v[61:62], v[63:64]
	buffer_store_dword v2, off, s[0:3], 0 offset:340
	buffer_store_dword v1, off, s[0:3], 0 offset:336
	;; [unrolled: 1-line block ×4, first 2 shown]
.LBB90_43:
	s_or_b32 exec_lo, exec_lo, s8
	v_mov_b32_e32 v4, s13
	v_cmp_lt_u32_e64 s5, 20, v0
	s_clause 0x3
	buffer_load_dword v1, v4, s[0:3], 0 offen
	buffer_load_dword v2, v4, s[0:3], 0 offen offset:4
	buffer_load_dword v3, v4, s[0:3], 0 offen offset:8
	;; [unrolled: 1-line block ×3, first 2 shown]
	s_waitcnt vmcnt(0)
	ds_write_b128 v60, v[1:4]
	s_waitcnt lgkmcnt(0)
	s_waitcnt_vscnt null, 0x0
	s_barrier
	buffer_gl0_inv
	s_and_saveexec_b32 s8, s5
	s_cbranch_execz .LBB90_51
; %bb.44:
	ds_read_b128 v[1:4], v60
	s_andn2_b32 vcc_lo, exec_lo, s34
	s_cbranch_vccnz .LBB90_46
; %bb.45:
	s_clause 0x3
	buffer_load_dword v61, v59, s[0:3], 0 offen offset:8
	buffer_load_dword v62, v59, s[0:3], 0 offen offset:12
	buffer_load_dword v63, v59, s[0:3], 0 offen
	buffer_load_dword v64, v59, s[0:3], 0 offen offset:4
	s_waitcnt vmcnt(2) lgkmcnt(0)
	v_mul_f64 v[66:67], v[3:4], v[61:62]
	v_mul_f64 v[61:62], v[1:2], v[61:62]
	s_waitcnt vmcnt(0)
	v_fma_f64 v[1:2], v[1:2], v[63:64], -v[66:67]
	v_fma_f64 v[3:4], v[3:4], v[63:64], v[61:62]
.LBB90_46:
	s_and_saveexec_b32 s35, s4
	s_cbranch_execz .LBB90_50
; %bb.47:
	v_subrev_nc_u32_e32 v61, 21, v0
	s_movk_i32 s36, 0x300
	s_mov_b32 s4, 0
	s_mov_b32 s37, s12
	.p2align	6
.LBB90_48:                              ; =>This Inner Loop Header: Depth=1
	v_mov_b32_e32 v64, s37
	v_add_nc_u32_e32 v61, -1, v61
	s_add_i32 s37, s37, 16
	s_clause 0x3
	buffer_load_dword v62, v64, s[0:3], 0 offen offset:8
	buffer_load_dword v63, v64, s[0:3], 0 offen offset:12
	buffer_load_dword v70, v64, s[0:3], 0 offen
	buffer_load_dword v71, v64, s[0:3], 0 offen offset:4
	v_mov_b32_e32 v64, s36
	v_cmp_eq_u32_e32 vcc_lo, 0, v61
	s_add_i32 s36, s36, 16
	ds_read_b128 v[66:69], v64
	s_or_b32 s4, vcc_lo, s4
	s_waitcnt vmcnt(2) lgkmcnt(0)
	v_mul_f64 v[72:73], v[68:69], v[62:63]
	v_mul_f64 v[62:63], v[66:67], v[62:63]
	s_waitcnt vmcnt(0)
	v_fma_f64 v[66:67], v[66:67], v[70:71], -v[72:73]
	v_fma_f64 v[62:63], v[68:69], v[70:71], v[62:63]
	v_add_f64 v[1:2], v[1:2], v[66:67]
	v_add_f64 v[3:4], v[3:4], v[62:63]
	s_andn2_b32 exec_lo, exec_lo, s4
	s_cbranch_execnz .LBB90_48
; %bb.49:
	s_or_b32 exec_lo, exec_lo, s4
.LBB90_50:
	s_or_b32 exec_lo, exec_lo, s35
	v_mov_b32_e32 v61, 0
	ds_read_b128 v[61:64], v61 offset:320
	s_waitcnt lgkmcnt(0)
	v_mul_f64 v[66:67], v[3:4], v[63:64]
	v_mul_f64 v[63:64], v[1:2], v[63:64]
	v_fma_f64 v[1:2], v[1:2], v[61:62], -v[66:67]
	v_fma_f64 v[3:4], v[3:4], v[61:62], v[63:64]
	buffer_store_dword v2, off, s[0:3], 0 offset:324
	buffer_store_dword v1, off, s[0:3], 0 offset:320
	;; [unrolled: 1-line block ×4, first 2 shown]
.LBB90_51:
	s_or_b32 exec_lo, exec_lo, s8
	v_mov_b32_e32 v4, s14
	v_cmp_lt_u32_e64 s4, 19, v0
	s_clause 0x3
	buffer_load_dword v1, v4, s[0:3], 0 offen
	buffer_load_dword v2, v4, s[0:3], 0 offen offset:4
	buffer_load_dword v3, v4, s[0:3], 0 offen offset:8
	;; [unrolled: 1-line block ×3, first 2 shown]
	s_waitcnt vmcnt(0)
	ds_write_b128 v60, v[1:4]
	s_waitcnt lgkmcnt(0)
	s_waitcnt_vscnt null, 0x0
	s_barrier
	buffer_gl0_inv
	s_and_saveexec_b32 s8, s4
	s_cbranch_execz .LBB90_59
; %bb.52:
	ds_read_b128 v[1:4], v60
	s_andn2_b32 vcc_lo, exec_lo, s34
	s_cbranch_vccnz .LBB90_54
; %bb.53:
	s_clause 0x3
	buffer_load_dword v61, v59, s[0:3], 0 offen offset:8
	buffer_load_dword v62, v59, s[0:3], 0 offen offset:12
	buffer_load_dword v63, v59, s[0:3], 0 offen
	buffer_load_dword v64, v59, s[0:3], 0 offen offset:4
	s_waitcnt vmcnt(2) lgkmcnt(0)
	v_mul_f64 v[66:67], v[3:4], v[61:62]
	v_mul_f64 v[61:62], v[1:2], v[61:62]
	s_waitcnt vmcnt(0)
	v_fma_f64 v[1:2], v[1:2], v[63:64], -v[66:67]
	v_fma_f64 v[3:4], v[3:4], v[63:64], v[61:62]
.LBB90_54:
	s_and_saveexec_b32 s35, s5
	s_cbranch_execz .LBB90_58
; %bb.55:
	v_subrev_nc_u32_e32 v61, 20, v0
	s_movk_i32 s36, 0x2f0
	s_mov_b32 s5, 0
	s_mov_b32 s37, s13
	.p2align	6
.LBB90_56:                              ; =>This Inner Loop Header: Depth=1
	v_mov_b32_e32 v64, s37
	v_add_nc_u32_e32 v61, -1, v61
	s_add_i32 s37, s37, 16
	s_clause 0x3
	buffer_load_dword v62, v64, s[0:3], 0 offen offset:8
	buffer_load_dword v63, v64, s[0:3], 0 offen offset:12
	buffer_load_dword v70, v64, s[0:3], 0 offen
	buffer_load_dword v71, v64, s[0:3], 0 offen offset:4
	v_mov_b32_e32 v64, s36
	v_cmp_eq_u32_e32 vcc_lo, 0, v61
	s_add_i32 s36, s36, 16
	ds_read_b128 v[66:69], v64
	s_or_b32 s5, vcc_lo, s5
	s_waitcnt vmcnt(2) lgkmcnt(0)
	v_mul_f64 v[72:73], v[68:69], v[62:63]
	v_mul_f64 v[62:63], v[66:67], v[62:63]
	s_waitcnt vmcnt(0)
	v_fma_f64 v[66:67], v[66:67], v[70:71], -v[72:73]
	v_fma_f64 v[62:63], v[68:69], v[70:71], v[62:63]
	v_add_f64 v[1:2], v[1:2], v[66:67]
	v_add_f64 v[3:4], v[3:4], v[62:63]
	s_andn2_b32 exec_lo, exec_lo, s5
	s_cbranch_execnz .LBB90_56
; %bb.57:
	s_or_b32 exec_lo, exec_lo, s5
.LBB90_58:
	s_or_b32 exec_lo, exec_lo, s35
	v_mov_b32_e32 v61, 0
	ds_read_b128 v[61:64], v61 offset:304
	s_waitcnt lgkmcnt(0)
	v_mul_f64 v[66:67], v[3:4], v[63:64]
	v_mul_f64 v[63:64], v[1:2], v[63:64]
	v_fma_f64 v[1:2], v[1:2], v[61:62], -v[66:67]
	v_fma_f64 v[3:4], v[3:4], v[61:62], v[63:64]
	buffer_store_dword v2, off, s[0:3], 0 offset:308
	buffer_store_dword v1, off, s[0:3], 0 offset:304
	;; [unrolled: 1-line block ×4, first 2 shown]
.LBB90_59:
	s_or_b32 exec_lo, exec_lo, s8
	v_mov_b32_e32 v4, s15
	v_cmp_lt_u32_e64 s5, 18, v0
	s_clause 0x3
	buffer_load_dword v1, v4, s[0:3], 0 offen
	buffer_load_dword v2, v4, s[0:3], 0 offen offset:4
	buffer_load_dword v3, v4, s[0:3], 0 offen offset:8
	;; [unrolled: 1-line block ×3, first 2 shown]
	s_waitcnt vmcnt(0)
	ds_write_b128 v60, v[1:4]
	s_waitcnt lgkmcnt(0)
	s_waitcnt_vscnt null, 0x0
	s_barrier
	buffer_gl0_inv
	s_and_saveexec_b32 s8, s5
	s_cbranch_execz .LBB90_67
; %bb.60:
	ds_read_b128 v[1:4], v60
	s_andn2_b32 vcc_lo, exec_lo, s34
	s_cbranch_vccnz .LBB90_62
; %bb.61:
	s_clause 0x3
	buffer_load_dword v61, v59, s[0:3], 0 offen offset:8
	buffer_load_dword v62, v59, s[0:3], 0 offen offset:12
	buffer_load_dword v63, v59, s[0:3], 0 offen
	buffer_load_dword v64, v59, s[0:3], 0 offen offset:4
	s_waitcnt vmcnt(2) lgkmcnt(0)
	v_mul_f64 v[66:67], v[3:4], v[61:62]
	v_mul_f64 v[61:62], v[1:2], v[61:62]
	s_waitcnt vmcnt(0)
	v_fma_f64 v[1:2], v[1:2], v[63:64], -v[66:67]
	v_fma_f64 v[3:4], v[3:4], v[63:64], v[61:62]
.LBB90_62:
	s_and_saveexec_b32 s35, s4
	s_cbranch_execz .LBB90_66
; %bb.63:
	v_subrev_nc_u32_e32 v61, 19, v0
	s_movk_i32 s36, 0x2e0
	s_mov_b32 s4, 0
	s_mov_b32 s37, s14
	.p2align	6
.LBB90_64:                              ; =>This Inner Loop Header: Depth=1
	v_mov_b32_e32 v64, s37
	v_add_nc_u32_e32 v61, -1, v61
	s_add_i32 s37, s37, 16
	s_clause 0x3
	buffer_load_dword v62, v64, s[0:3], 0 offen offset:8
	buffer_load_dword v63, v64, s[0:3], 0 offen offset:12
	buffer_load_dword v70, v64, s[0:3], 0 offen
	buffer_load_dword v71, v64, s[0:3], 0 offen offset:4
	v_mov_b32_e32 v64, s36
	v_cmp_eq_u32_e32 vcc_lo, 0, v61
	s_add_i32 s36, s36, 16
	ds_read_b128 v[66:69], v64
	s_or_b32 s4, vcc_lo, s4
	s_waitcnt vmcnt(2) lgkmcnt(0)
	v_mul_f64 v[72:73], v[68:69], v[62:63]
	v_mul_f64 v[62:63], v[66:67], v[62:63]
	s_waitcnt vmcnt(0)
	v_fma_f64 v[66:67], v[66:67], v[70:71], -v[72:73]
	v_fma_f64 v[62:63], v[68:69], v[70:71], v[62:63]
	v_add_f64 v[1:2], v[1:2], v[66:67]
	v_add_f64 v[3:4], v[3:4], v[62:63]
	s_andn2_b32 exec_lo, exec_lo, s4
	s_cbranch_execnz .LBB90_64
; %bb.65:
	s_or_b32 exec_lo, exec_lo, s4
.LBB90_66:
	s_or_b32 exec_lo, exec_lo, s35
	v_mov_b32_e32 v61, 0
	ds_read_b128 v[61:64], v61 offset:288
	s_waitcnt lgkmcnt(0)
	v_mul_f64 v[66:67], v[3:4], v[63:64]
	v_mul_f64 v[63:64], v[1:2], v[63:64]
	v_fma_f64 v[1:2], v[1:2], v[61:62], -v[66:67]
	v_fma_f64 v[3:4], v[3:4], v[61:62], v[63:64]
	buffer_store_dword v2, off, s[0:3], 0 offset:292
	buffer_store_dword v1, off, s[0:3], 0 offset:288
	;; [unrolled: 1-line block ×4, first 2 shown]
.LBB90_67:
	s_or_b32 exec_lo, exec_lo, s8
	v_mov_b32_e32 v4, s16
	v_cmp_lt_u32_e64 s4, 17, v0
	s_clause 0x3
	buffer_load_dword v1, v4, s[0:3], 0 offen
	buffer_load_dword v2, v4, s[0:3], 0 offen offset:4
	buffer_load_dword v3, v4, s[0:3], 0 offen offset:8
	;; [unrolled: 1-line block ×3, first 2 shown]
	s_waitcnt vmcnt(0)
	ds_write_b128 v60, v[1:4]
	s_waitcnt lgkmcnt(0)
	s_waitcnt_vscnt null, 0x0
	s_barrier
	buffer_gl0_inv
	s_and_saveexec_b32 s8, s4
	s_cbranch_execz .LBB90_75
; %bb.68:
	ds_read_b128 v[1:4], v60
	s_andn2_b32 vcc_lo, exec_lo, s34
	s_cbranch_vccnz .LBB90_70
; %bb.69:
	s_clause 0x3
	buffer_load_dword v61, v59, s[0:3], 0 offen offset:8
	buffer_load_dword v62, v59, s[0:3], 0 offen offset:12
	buffer_load_dword v63, v59, s[0:3], 0 offen
	buffer_load_dword v64, v59, s[0:3], 0 offen offset:4
	s_waitcnt vmcnt(2) lgkmcnt(0)
	v_mul_f64 v[66:67], v[3:4], v[61:62]
	v_mul_f64 v[61:62], v[1:2], v[61:62]
	s_waitcnt vmcnt(0)
	v_fma_f64 v[1:2], v[1:2], v[63:64], -v[66:67]
	v_fma_f64 v[3:4], v[3:4], v[63:64], v[61:62]
.LBB90_70:
	s_and_saveexec_b32 s35, s5
	s_cbranch_execz .LBB90_74
; %bb.71:
	v_subrev_nc_u32_e32 v61, 18, v0
	s_movk_i32 s36, 0x2d0
	s_mov_b32 s5, 0
	s_mov_b32 s37, s15
	.p2align	6
.LBB90_72:                              ; =>This Inner Loop Header: Depth=1
	v_mov_b32_e32 v64, s37
	v_add_nc_u32_e32 v61, -1, v61
	s_add_i32 s37, s37, 16
	s_clause 0x3
	buffer_load_dword v62, v64, s[0:3], 0 offen offset:8
	buffer_load_dword v63, v64, s[0:3], 0 offen offset:12
	buffer_load_dword v70, v64, s[0:3], 0 offen
	buffer_load_dword v71, v64, s[0:3], 0 offen offset:4
	v_mov_b32_e32 v64, s36
	v_cmp_eq_u32_e32 vcc_lo, 0, v61
	s_add_i32 s36, s36, 16
	ds_read_b128 v[66:69], v64
	s_or_b32 s5, vcc_lo, s5
	s_waitcnt vmcnt(2) lgkmcnt(0)
	v_mul_f64 v[72:73], v[68:69], v[62:63]
	v_mul_f64 v[62:63], v[66:67], v[62:63]
	s_waitcnt vmcnt(0)
	v_fma_f64 v[66:67], v[66:67], v[70:71], -v[72:73]
	v_fma_f64 v[62:63], v[68:69], v[70:71], v[62:63]
	v_add_f64 v[1:2], v[1:2], v[66:67]
	v_add_f64 v[3:4], v[3:4], v[62:63]
	s_andn2_b32 exec_lo, exec_lo, s5
	s_cbranch_execnz .LBB90_72
; %bb.73:
	s_or_b32 exec_lo, exec_lo, s5
.LBB90_74:
	s_or_b32 exec_lo, exec_lo, s35
	v_mov_b32_e32 v61, 0
	ds_read_b128 v[61:64], v61 offset:272
	s_waitcnt lgkmcnt(0)
	v_mul_f64 v[66:67], v[3:4], v[63:64]
	v_mul_f64 v[63:64], v[1:2], v[63:64]
	v_fma_f64 v[1:2], v[1:2], v[61:62], -v[66:67]
	v_fma_f64 v[3:4], v[3:4], v[61:62], v[63:64]
	buffer_store_dword v2, off, s[0:3], 0 offset:276
	buffer_store_dword v1, off, s[0:3], 0 offset:272
	;; [unrolled: 1-line block ×4, first 2 shown]
.LBB90_75:
	s_or_b32 exec_lo, exec_lo, s8
	v_mov_b32_e32 v4, s17
	v_cmp_lt_u32_e64 s5, 16, v0
	s_clause 0x3
	buffer_load_dword v1, v4, s[0:3], 0 offen
	buffer_load_dword v2, v4, s[0:3], 0 offen offset:4
	buffer_load_dword v3, v4, s[0:3], 0 offen offset:8
	;; [unrolled: 1-line block ×3, first 2 shown]
	s_waitcnt vmcnt(0)
	ds_write_b128 v60, v[1:4]
	s_waitcnt lgkmcnt(0)
	s_waitcnt_vscnt null, 0x0
	s_barrier
	buffer_gl0_inv
	s_and_saveexec_b32 s8, s5
	s_cbranch_execz .LBB90_83
; %bb.76:
	ds_read_b128 v[1:4], v60
	s_andn2_b32 vcc_lo, exec_lo, s34
	s_cbranch_vccnz .LBB90_78
; %bb.77:
	s_clause 0x3
	buffer_load_dword v61, v59, s[0:3], 0 offen offset:8
	buffer_load_dword v62, v59, s[0:3], 0 offen offset:12
	buffer_load_dword v63, v59, s[0:3], 0 offen
	buffer_load_dword v64, v59, s[0:3], 0 offen offset:4
	s_waitcnt vmcnt(2) lgkmcnt(0)
	v_mul_f64 v[66:67], v[3:4], v[61:62]
	v_mul_f64 v[61:62], v[1:2], v[61:62]
	s_waitcnt vmcnt(0)
	v_fma_f64 v[1:2], v[1:2], v[63:64], -v[66:67]
	v_fma_f64 v[3:4], v[3:4], v[63:64], v[61:62]
.LBB90_78:
	s_and_saveexec_b32 s35, s4
	s_cbranch_execz .LBB90_82
; %bb.79:
	v_subrev_nc_u32_e32 v61, 17, v0
	s_movk_i32 s36, 0x2c0
	s_mov_b32 s4, 0
	s_mov_b32 s37, s16
	.p2align	6
.LBB90_80:                              ; =>This Inner Loop Header: Depth=1
	v_mov_b32_e32 v64, s37
	v_add_nc_u32_e32 v61, -1, v61
	s_add_i32 s37, s37, 16
	s_clause 0x3
	buffer_load_dword v62, v64, s[0:3], 0 offen offset:8
	buffer_load_dword v63, v64, s[0:3], 0 offen offset:12
	buffer_load_dword v70, v64, s[0:3], 0 offen
	buffer_load_dword v71, v64, s[0:3], 0 offen offset:4
	v_mov_b32_e32 v64, s36
	v_cmp_eq_u32_e32 vcc_lo, 0, v61
	s_add_i32 s36, s36, 16
	ds_read_b128 v[66:69], v64
	s_or_b32 s4, vcc_lo, s4
	s_waitcnt vmcnt(2) lgkmcnt(0)
	v_mul_f64 v[72:73], v[68:69], v[62:63]
	v_mul_f64 v[62:63], v[66:67], v[62:63]
	s_waitcnt vmcnt(0)
	v_fma_f64 v[66:67], v[66:67], v[70:71], -v[72:73]
	v_fma_f64 v[62:63], v[68:69], v[70:71], v[62:63]
	v_add_f64 v[1:2], v[1:2], v[66:67]
	v_add_f64 v[3:4], v[3:4], v[62:63]
	s_andn2_b32 exec_lo, exec_lo, s4
	s_cbranch_execnz .LBB90_80
; %bb.81:
	s_or_b32 exec_lo, exec_lo, s4
.LBB90_82:
	s_or_b32 exec_lo, exec_lo, s35
	v_mov_b32_e32 v61, 0
	ds_read_b128 v[61:64], v61 offset:256
	s_waitcnt lgkmcnt(0)
	v_mul_f64 v[66:67], v[3:4], v[63:64]
	v_mul_f64 v[63:64], v[1:2], v[63:64]
	v_fma_f64 v[1:2], v[1:2], v[61:62], -v[66:67]
	v_fma_f64 v[3:4], v[3:4], v[61:62], v[63:64]
	buffer_store_dword v2, off, s[0:3], 0 offset:260
	buffer_store_dword v1, off, s[0:3], 0 offset:256
	;; [unrolled: 1-line block ×4, first 2 shown]
.LBB90_83:
	s_or_b32 exec_lo, exec_lo, s8
	v_mov_b32_e32 v4, s18
	v_cmp_lt_u32_e64 s4, 15, v0
	s_clause 0x3
	buffer_load_dword v1, v4, s[0:3], 0 offen
	buffer_load_dword v2, v4, s[0:3], 0 offen offset:4
	buffer_load_dword v3, v4, s[0:3], 0 offen offset:8
	;; [unrolled: 1-line block ×3, first 2 shown]
	s_waitcnt vmcnt(0)
	ds_write_b128 v60, v[1:4]
	s_waitcnt lgkmcnt(0)
	s_waitcnt_vscnt null, 0x0
	s_barrier
	buffer_gl0_inv
	s_and_saveexec_b32 s8, s4
	s_cbranch_execz .LBB90_91
; %bb.84:
	ds_read_b128 v[1:4], v60
	s_andn2_b32 vcc_lo, exec_lo, s34
	s_cbranch_vccnz .LBB90_86
; %bb.85:
	s_clause 0x3
	buffer_load_dword v61, v59, s[0:3], 0 offen offset:8
	buffer_load_dword v62, v59, s[0:3], 0 offen offset:12
	buffer_load_dword v63, v59, s[0:3], 0 offen
	buffer_load_dword v64, v59, s[0:3], 0 offen offset:4
	s_waitcnt vmcnt(2) lgkmcnt(0)
	v_mul_f64 v[66:67], v[3:4], v[61:62]
	v_mul_f64 v[61:62], v[1:2], v[61:62]
	s_waitcnt vmcnt(0)
	v_fma_f64 v[1:2], v[1:2], v[63:64], -v[66:67]
	v_fma_f64 v[3:4], v[3:4], v[63:64], v[61:62]
.LBB90_86:
	s_and_saveexec_b32 s35, s5
	s_cbranch_execz .LBB90_90
; %bb.87:
	v_add_nc_u32_e32 v61, -16, v0
	s_movk_i32 s36, 0x2b0
	s_mov_b32 s5, 0
	s_mov_b32 s37, s17
	.p2align	6
.LBB90_88:                              ; =>This Inner Loop Header: Depth=1
	v_mov_b32_e32 v64, s37
	v_add_nc_u32_e32 v61, -1, v61
	s_add_i32 s37, s37, 16
	s_clause 0x3
	buffer_load_dword v62, v64, s[0:3], 0 offen offset:8
	buffer_load_dword v63, v64, s[0:3], 0 offen offset:12
	buffer_load_dword v70, v64, s[0:3], 0 offen
	buffer_load_dword v71, v64, s[0:3], 0 offen offset:4
	v_mov_b32_e32 v64, s36
	v_cmp_eq_u32_e32 vcc_lo, 0, v61
	s_add_i32 s36, s36, 16
	ds_read_b128 v[66:69], v64
	s_or_b32 s5, vcc_lo, s5
	s_waitcnt vmcnt(2) lgkmcnt(0)
	v_mul_f64 v[72:73], v[68:69], v[62:63]
	v_mul_f64 v[62:63], v[66:67], v[62:63]
	s_waitcnt vmcnt(0)
	v_fma_f64 v[66:67], v[66:67], v[70:71], -v[72:73]
	v_fma_f64 v[62:63], v[68:69], v[70:71], v[62:63]
	v_add_f64 v[1:2], v[1:2], v[66:67]
	v_add_f64 v[3:4], v[3:4], v[62:63]
	s_andn2_b32 exec_lo, exec_lo, s5
	s_cbranch_execnz .LBB90_88
; %bb.89:
	s_or_b32 exec_lo, exec_lo, s5
.LBB90_90:
	s_or_b32 exec_lo, exec_lo, s35
	v_mov_b32_e32 v61, 0
	ds_read_b128 v[61:64], v61 offset:240
	s_waitcnt lgkmcnt(0)
	v_mul_f64 v[66:67], v[3:4], v[63:64]
	v_mul_f64 v[63:64], v[1:2], v[63:64]
	v_fma_f64 v[1:2], v[1:2], v[61:62], -v[66:67]
	v_fma_f64 v[3:4], v[3:4], v[61:62], v[63:64]
	buffer_store_dword v2, off, s[0:3], 0 offset:244
	buffer_store_dword v1, off, s[0:3], 0 offset:240
	;; [unrolled: 1-line block ×4, first 2 shown]
.LBB90_91:
	s_or_b32 exec_lo, exec_lo, s8
	v_mov_b32_e32 v4, s19
	v_cmp_lt_u32_e64 s5, 14, v0
	s_clause 0x3
	buffer_load_dword v1, v4, s[0:3], 0 offen
	buffer_load_dword v2, v4, s[0:3], 0 offen offset:4
	buffer_load_dword v3, v4, s[0:3], 0 offen offset:8
	;; [unrolled: 1-line block ×3, first 2 shown]
	s_waitcnt vmcnt(0)
	ds_write_b128 v60, v[1:4]
	s_waitcnt lgkmcnt(0)
	s_waitcnt_vscnt null, 0x0
	s_barrier
	buffer_gl0_inv
	s_and_saveexec_b32 s8, s5
	s_cbranch_execz .LBB90_99
; %bb.92:
	ds_read_b128 v[1:4], v60
	s_andn2_b32 vcc_lo, exec_lo, s34
	s_cbranch_vccnz .LBB90_94
; %bb.93:
	s_clause 0x3
	buffer_load_dword v61, v59, s[0:3], 0 offen offset:8
	buffer_load_dword v62, v59, s[0:3], 0 offen offset:12
	buffer_load_dword v63, v59, s[0:3], 0 offen
	buffer_load_dword v64, v59, s[0:3], 0 offen offset:4
	s_waitcnt vmcnt(2) lgkmcnt(0)
	v_mul_f64 v[66:67], v[3:4], v[61:62]
	v_mul_f64 v[61:62], v[1:2], v[61:62]
	s_waitcnt vmcnt(0)
	v_fma_f64 v[1:2], v[1:2], v[63:64], -v[66:67]
	v_fma_f64 v[3:4], v[3:4], v[63:64], v[61:62]
.LBB90_94:
	s_and_saveexec_b32 s35, s4
	s_cbranch_execz .LBB90_98
; %bb.95:
	v_add_nc_u32_e32 v61, -15, v0
	s_movk_i32 s36, 0x2a0
	s_mov_b32 s4, 0
	s_mov_b32 s37, s18
	.p2align	6
.LBB90_96:                              ; =>This Inner Loop Header: Depth=1
	v_mov_b32_e32 v64, s37
	v_add_nc_u32_e32 v61, -1, v61
	s_add_i32 s37, s37, 16
	s_clause 0x3
	buffer_load_dword v62, v64, s[0:3], 0 offen offset:8
	buffer_load_dword v63, v64, s[0:3], 0 offen offset:12
	buffer_load_dword v70, v64, s[0:3], 0 offen
	buffer_load_dword v71, v64, s[0:3], 0 offen offset:4
	v_mov_b32_e32 v64, s36
	v_cmp_eq_u32_e32 vcc_lo, 0, v61
	s_add_i32 s36, s36, 16
	ds_read_b128 v[66:69], v64
	s_or_b32 s4, vcc_lo, s4
	s_waitcnt vmcnt(2) lgkmcnt(0)
	v_mul_f64 v[72:73], v[68:69], v[62:63]
	v_mul_f64 v[62:63], v[66:67], v[62:63]
	s_waitcnt vmcnt(0)
	v_fma_f64 v[66:67], v[66:67], v[70:71], -v[72:73]
	v_fma_f64 v[62:63], v[68:69], v[70:71], v[62:63]
	v_add_f64 v[1:2], v[1:2], v[66:67]
	v_add_f64 v[3:4], v[3:4], v[62:63]
	s_andn2_b32 exec_lo, exec_lo, s4
	s_cbranch_execnz .LBB90_96
; %bb.97:
	s_or_b32 exec_lo, exec_lo, s4
.LBB90_98:
	s_or_b32 exec_lo, exec_lo, s35
	v_mov_b32_e32 v61, 0
	ds_read_b128 v[61:64], v61 offset:224
	s_waitcnt lgkmcnt(0)
	v_mul_f64 v[66:67], v[3:4], v[63:64]
	v_mul_f64 v[63:64], v[1:2], v[63:64]
	v_fma_f64 v[1:2], v[1:2], v[61:62], -v[66:67]
	v_fma_f64 v[3:4], v[3:4], v[61:62], v[63:64]
	buffer_store_dword v2, off, s[0:3], 0 offset:228
	buffer_store_dword v1, off, s[0:3], 0 offset:224
	;; [unrolled: 1-line block ×4, first 2 shown]
.LBB90_99:
	s_or_b32 exec_lo, exec_lo, s8
	v_mov_b32_e32 v4, s20
	v_cmp_lt_u32_e64 s4, 13, v0
	s_clause 0x3
	buffer_load_dword v1, v4, s[0:3], 0 offen
	buffer_load_dword v2, v4, s[0:3], 0 offen offset:4
	buffer_load_dword v3, v4, s[0:3], 0 offen offset:8
	;; [unrolled: 1-line block ×3, first 2 shown]
	s_waitcnt vmcnt(0)
	ds_write_b128 v60, v[1:4]
	s_waitcnt lgkmcnt(0)
	s_waitcnt_vscnt null, 0x0
	s_barrier
	buffer_gl0_inv
	s_and_saveexec_b32 s8, s4
	s_cbranch_execz .LBB90_107
; %bb.100:
	ds_read_b128 v[1:4], v60
	s_andn2_b32 vcc_lo, exec_lo, s34
	s_cbranch_vccnz .LBB90_102
; %bb.101:
	s_clause 0x3
	buffer_load_dword v61, v59, s[0:3], 0 offen offset:8
	buffer_load_dword v62, v59, s[0:3], 0 offen offset:12
	buffer_load_dword v63, v59, s[0:3], 0 offen
	buffer_load_dword v64, v59, s[0:3], 0 offen offset:4
	s_waitcnt vmcnt(2) lgkmcnt(0)
	v_mul_f64 v[66:67], v[3:4], v[61:62]
	v_mul_f64 v[61:62], v[1:2], v[61:62]
	s_waitcnt vmcnt(0)
	v_fma_f64 v[1:2], v[1:2], v[63:64], -v[66:67]
	v_fma_f64 v[3:4], v[3:4], v[63:64], v[61:62]
.LBB90_102:
	s_and_saveexec_b32 s35, s5
	s_cbranch_execz .LBB90_106
; %bb.103:
	v_add_nc_u32_e32 v61, -14, v0
	s_movk_i32 s36, 0x290
	s_mov_b32 s5, 0
	s_mov_b32 s37, s19
	.p2align	6
.LBB90_104:                             ; =>This Inner Loop Header: Depth=1
	v_mov_b32_e32 v64, s37
	v_add_nc_u32_e32 v61, -1, v61
	s_add_i32 s37, s37, 16
	s_clause 0x3
	buffer_load_dword v62, v64, s[0:3], 0 offen offset:8
	buffer_load_dword v63, v64, s[0:3], 0 offen offset:12
	buffer_load_dword v70, v64, s[0:3], 0 offen
	buffer_load_dword v71, v64, s[0:3], 0 offen offset:4
	v_mov_b32_e32 v64, s36
	v_cmp_eq_u32_e32 vcc_lo, 0, v61
	s_add_i32 s36, s36, 16
	ds_read_b128 v[66:69], v64
	s_or_b32 s5, vcc_lo, s5
	s_waitcnt vmcnt(2) lgkmcnt(0)
	v_mul_f64 v[72:73], v[68:69], v[62:63]
	v_mul_f64 v[62:63], v[66:67], v[62:63]
	s_waitcnt vmcnt(0)
	v_fma_f64 v[66:67], v[66:67], v[70:71], -v[72:73]
	v_fma_f64 v[62:63], v[68:69], v[70:71], v[62:63]
	v_add_f64 v[1:2], v[1:2], v[66:67]
	v_add_f64 v[3:4], v[3:4], v[62:63]
	s_andn2_b32 exec_lo, exec_lo, s5
	s_cbranch_execnz .LBB90_104
; %bb.105:
	s_or_b32 exec_lo, exec_lo, s5
.LBB90_106:
	s_or_b32 exec_lo, exec_lo, s35
	v_mov_b32_e32 v61, 0
	ds_read_b128 v[61:64], v61 offset:208
	s_waitcnt lgkmcnt(0)
	v_mul_f64 v[66:67], v[3:4], v[63:64]
	v_mul_f64 v[63:64], v[1:2], v[63:64]
	v_fma_f64 v[1:2], v[1:2], v[61:62], -v[66:67]
	v_fma_f64 v[3:4], v[3:4], v[61:62], v[63:64]
	buffer_store_dword v2, off, s[0:3], 0 offset:212
	buffer_store_dword v1, off, s[0:3], 0 offset:208
	;; [unrolled: 1-line block ×4, first 2 shown]
.LBB90_107:
	s_or_b32 exec_lo, exec_lo, s8
	v_mov_b32_e32 v4, s21
	v_cmp_lt_u32_e64 s5, 12, v0
	s_clause 0x3
	buffer_load_dword v1, v4, s[0:3], 0 offen
	buffer_load_dword v2, v4, s[0:3], 0 offen offset:4
	buffer_load_dword v3, v4, s[0:3], 0 offen offset:8
	;; [unrolled: 1-line block ×3, first 2 shown]
	s_waitcnt vmcnt(0)
	ds_write_b128 v60, v[1:4]
	s_waitcnt lgkmcnt(0)
	s_waitcnt_vscnt null, 0x0
	s_barrier
	buffer_gl0_inv
	s_and_saveexec_b32 s8, s5
	s_cbranch_execz .LBB90_115
; %bb.108:
	ds_read_b128 v[1:4], v60
	s_andn2_b32 vcc_lo, exec_lo, s34
	s_cbranch_vccnz .LBB90_110
; %bb.109:
	s_clause 0x3
	buffer_load_dword v61, v59, s[0:3], 0 offen offset:8
	buffer_load_dword v62, v59, s[0:3], 0 offen offset:12
	buffer_load_dword v63, v59, s[0:3], 0 offen
	buffer_load_dword v64, v59, s[0:3], 0 offen offset:4
	s_waitcnt vmcnt(2) lgkmcnt(0)
	v_mul_f64 v[66:67], v[3:4], v[61:62]
	v_mul_f64 v[61:62], v[1:2], v[61:62]
	s_waitcnt vmcnt(0)
	v_fma_f64 v[1:2], v[1:2], v[63:64], -v[66:67]
	v_fma_f64 v[3:4], v[3:4], v[63:64], v[61:62]
.LBB90_110:
	s_and_saveexec_b32 s35, s4
	s_cbranch_execz .LBB90_114
; %bb.111:
	v_add_nc_u32_e32 v61, -13, v0
	s_movk_i32 s36, 0x280
	s_mov_b32 s4, 0
	s_mov_b32 s37, s20
	.p2align	6
.LBB90_112:                             ; =>This Inner Loop Header: Depth=1
	v_mov_b32_e32 v64, s37
	v_add_nc_u32_e32 v61, -1, v61
	s_add_i32 s37, s37, 16
	s_clause 0x3
	buffer_load_dword v62, v64, s[0:3], 0 offen offset:8
	buffer_load_dword v63, v64, s[0:3], 0 offen offset:12
	buffer_load_dword v70, v64, s[0:3], 0 offen
	buffer_load_dword v71, v64, s[0:3], 0 offen offset:4
	v_mov_b32_e32 v64, s36
	v_cmp_eq_u32_e32 vcc_lo, 0, v61
	s_add_i32 s36, s36, 16
	ds_read_b128 v[66:69], v64
	s_or_b32 s4, vcc_lo, s4
	s_waitcnt vmcnt(2) lgkmcnt(0)
	v_mul_f64 v[72:73], v[68:69], v[62:63]
	v_mul_f64 v[62:63], v[66:67], v[62:63]
	s_waitcnt vmcnt(0)
	v_fma_f64 v[66:67], v[66:67], v[70:71], -v[72:73]
	v_fma_f64 v[62:63], v[68:69], v[70:71], v[62:63]
	v_add_f64 v[1:2], v[1:2], v[66:67]
	v_add_f64 v[3:4], v[3:4], v[62:63]
	s_andn2_b32 exec_lo, exec_lo, s4
	s_cbranch_execnz .LBB90_112
; %bb.113:
	s_or_b32 exec_lo, exec_lo, s4
.LBB90_114:
	s_or_b32 exec_lo, exec_lo, s35
	v_mov_b32_e32 v61, 0
	ds_read_b128 v[61:64], v61 offset:192
	s_waitcnt lgkmcnt(0)
	v_mul_f64 v[66:67], v[3:4], v[63:64]
	v_mul_f64 v[63:64], v[1:2], v[63:64]
	v_fma_f64 v[1:2], v[1:2], v[61:62], -v[66:67]
	v_fma_f64 v[3:4], v[3:4], v[61:62], v[63:64]
	buffer_store_dword v2, off, s[0:3], 0 offset:196
	buffer_store_dword v1, off, s[0:3], 0 offset:192
	;; [unrolled: 1-line block ×4, first 2 shown]
.LBB90_115:
	s_or_b32 exec_lo, exec_lo, s8
	v_mov_b32_e32 v4, s22
	v_cmp_lt_u32_e64 s4, 11, v0
	s_clause 0x3
	buffer_load_dword v1, v4, s[0:3], 0 offen
	buffer_load_dword v2, v4, s[0:3], 0 offen offset:4
	buffer_load_dword v3, v4, s[0:3], 0 offen offset:8
	;; [unrolled: 1-line block ×3, first 2 shown]
	s_waitcnt vmcnt(0)
	ds_write_b128 v60, v[1:4]
	s_waitcnt lgkmcnt(0)
	s_waitcnt_vscnt null, 0x0
	s_barrier
	buffer_gl0_inv
	s_and_saveexec_b32 s8, s4
	s_cbranch_execz .LBB90_123
; %bb.116:
	ds_read_b128 v[1:4], v60
	s_andn2_b32 vcc_lo, exec_lo, s34
	s_cbranch_vccnz .LBB90_118
; %bb.117:
	s_clause 0x3
	buffer_load_dword v61, v59, s[0:3], 0 offen offset:8
	buffer_load_dword v62, v59, s[0:3], 0 offen offset:12
	buffer_load_dword v63, v59, s[0:3], 0 offen
	buffer_load_dword v64, v59, s[0:3], 0 offen offset:4
	s_waitcnt vmcnt(2) lgkmcnt(0)
	v_mul_f64 v[66:67], v[3:4], v[61:62]
	v_mul_f64 v[61:62], v[1:2], v[61:62]
	s_waitcnt vmcnt(0)
	v_fma_f64 v[1:2], v[1:2], v[63:64], -v[66:67]
	v_fma_f64 v[3:4], v[3:4], v[63:64], v[61:62]
.LBB90_118:
	s_and_saveexec_b32 s35, s5
	s_cbranch_execz .LBB90_122
; %bb.119:
	v_add_nc_u32_e32 v61, -12, v0
	s_movk_i32 s36, 0x270
	s_mov_b32 s5, 0
	s_mov_b32 s37, s21
	.p2align	6
.LBB90_120:                             ; =>This Inner Loop Header: Depth=1
	v_mov_b32_e32 v64, s37
	v_add_nc_u32_e32 v61, -1, v61
	s_add_i32 s37, s37, 16
	s_clause 0x3
	buffer_load_dword v62, v64, s[0:3], 0 offen offset:8
	buffer_load_dword v63, v64, s[0:3], 0 offen offset:12
	buffer_load_dword v70, v64, s[0:3], 0 offen
	buffer_load_dword v71, v64, s[0:3], 0 offen offset:4
	v_mov_b32_e32 v64, s36
	v_cmp_eq_u32_e32 vcc_lo, 0, v61
	s_add_i32 s36, s36, 16
	ds_read_b128 v[66:69], v64
	s_or_b32 s5, vcc_lo, s5
	s_waitcnt vmcnt(2) lgkmcnt(0)
	v_mul_f64 v[72:73], v[68:69], v[62:63]
	v_mul_f64 v[62:63], v[66:67], v[62:63]
	s_waitcnt vmcnt(0)
	v_fma_f64 v[66:67], v[66:67], v[70:71], -v[72:73]
	v_fma_f64 v[62:63], v[68:69], v[70:71], v[62:63]
	v_add_f64 v[1:2], v[1:2], v[66:67]
	v_add_f64 v[3:4], v[3:4], v[62:63]
	s_andn2_b32 exec_lo, exec_lo, s5
	s_cbranch_execnz .LBB90_120
; %bb.121:
	s_or_b32 exec_lo, exec_lo, s5
.LBB90_122:
	s_or_b32 exec_lo, exec_lo, s35
	v_mov_b32_e32 v61, 0
	ds_read_b128 v[61:64], v61 offset:176
	s_waitcnt lgkmcnt(0)
	v_mul_f64 v[66:67], v[3:4], v[63:64]
	v_mul_f64 v[63:64], v[1:2], v[63:64]
	v_fma_f64 v[1:2], v[1:2], v[61:62], -v[66:67]
	v_fma_f64 v[3:4], v[3:4], v[61:62], v[63:64]
	buffer_store_dword v2, off, s[0:3], 0 offset:180
	buffer_store_dword v1, off, s[0:3], 0 offset:176
	;; [unrolled: 1-line block ×4, first 2 shown]
.LBB90_123:
	s_or_b32 exec_lo, exec_lo, s8
	v_mov_b32_e32 v4, s23
	v_cmp_lt_u32_e64 s5, 10, v0
	s_clause 0x3
	buffer_load_dword v1, v4, s[0:3], 0 offen
	buffer_load_dword v2, v4, s[0:3], 0 offen offset:4
	buffer_load_dword v3, v4, s[0:3], 0 offen offset:8
	;; [unrolled: 1-line block ×3, first 2 shown]
	s_waitcnt vmcnt(0)
	ds_write_b128 v60, v[1:4]
	s_waitcnt lgkmcnt(0)
	s_waitcnt_vscnt null, 0x0
	s_barrier
	buffer_gl0_inv
	s_and_saveexec_b32 s8, s5
	s_cbranch_execz .LBB90_131
; %bb.124:
	ds_read_b128 v[1:4], v60
	s_andn2_b32 vcc_lo, exec_lo, s34
	s_cbranch_vccnz .LBB90_126
; %bb.125:
	s_clause 0x3
	buffer_load_dword v61, v59, s[0:3], 0 offen offset:8
	buffer_load_dword v62, v59, s[0:3], 0 offen offset:12
	buffer_load_dword v63, v59, s[0:3], 0 offen
	buffer_load_dword v64, v59, s[0:3], 0 offen offset:4
	s_waitcnt vmcnt(2) lgkmcnt(0)
	v_mul_f64 v[66:67], v[3:4], v[61:62]
	v_mul_f64 v[61:62], v[1:2], v[61:62]
	s_waitcnt vmcnt(0)
	v_fma_f64 v[1:2], v[1:2], v[63:64], -v[66:67]
	v_fma_f64 v[3:4], v[3:4], v[63:64], v[61:62]
.LBB90_126:
	s_and_saveexec_b32 s35, s4
	s_cbranch_execz .LBB90_130
; %bb.127:
	v_add_nc_u32_e32 v61, -11, v0
	s_movk_i32 s36, 0x260
	s_mov_b32 s4, 0
	s_mov_b32 s37, s22
	.p2align	6
.LBB90_128:                             ; =>This Inner Loop Header: Depth=1
	v_mov_b32_e32 v64, s37
	v_add_nc_u32_e32 v61, -1, v61
	s_add_i32 s37, s37, 16
	s_clause 0x3
	buffer_load_dword v62, v64, s[0:3], 0 offen offset:8
	buffer_load_dword v63, v64, s[0:3], 0 offen offset:12
	buffer_load_dword v70, v64, s[0:3], 0 offen
	buffer_load_dword v71, v64, s[0:3], 0 offen offset:4
	v_mov_b32_e32 v64, s36
	v_cmp_eq_u32_e32 vcc_lo, 0, v61
	s_add_i32 s36, s36, 16
	ds_read_b128 v[66:69], v64
	s_or_b32 s4, vcc_lo, s4
	s_waitcnt vmcnt(2) lgkmcnt(0)
	v_mul_f64 v[72:73], v[68:69], v[62:63]
	v_mul_f64 v[62:63], v[66:67], v[62:63]
	s_waitcnt vmcnt(0)
	v_fma_f64 v[66:67], v[66:67], v[70:71], -v[72:73]
	v_fma_f64 v[62:63], v[68:69], v[70:71], v[62:63]
	v_add_f64 v[1:2], v[1:2], v[66:67]
	v_add_f64 v[3:4], v[3:4], v[62:63]
	s_andn2_b32 exec_lo, exec_lo, s4
	s_cbranch_execnz .LBB90_128
; %bb.129:
	s_or_b32 exec_lo, exec_lo, s4
.LBB90_130:
	s_or_b32 exec_lo, exec_lo, s35
	v_mov_b32_e32 v61, 0
	ds_read_b128 v[61:64], v61 offset:160
	s_waitcnt lgkmcnt(0)
	v_mul_f64 v[66:67], v[3:4], v[63:64]
	v_mul_f64 v[63:64], v[1:2], v[63:64]
	v_fma_f64 v[1:2], v[1:2], v[61:62], -v[66:67]
	v_fma_f64 v[3:4], v[3:4], v[61:62], v[63:64]
	buffer_store_dword v2, off, s[0:3], 0 offset:164
	buffer_store_dword v1, off, s[0:3], 0 offset:160
	;; [unrolled: 1-line block ×4, first 2 shown]
.LBB90_131:
	s_or_b32 exec_lo, exec_lo, s8
	v_mov_b32_e32 v4, s24
	v_cmp_lt_u32_e64 s4, 9, v0
	s_clause 0x3
	buffer_load_dword v1, v4, s[0:3], 0 offen
	buffer_load_dword v2, v4, s[0:3], 0 offen offset:4
	buffer_load_dword v3, v4, s[0:3], 0 offen offset:8
	;; [unrolled: 1-line block ×3, first 2 shown]
	s_waitcnt vmcnt(0)
	ds_write_b128 v60, v[1:4]
	s_waitcnt lgkmcnt(0)
	s_waitcnt_vscnt null, 0x0
	s_barrier
	buffer_gl0_inv
	s_and_saveexec_b32 s8, s4
	s_cbranch_execz .LBB90_139
; %bb.132:
	ds_read_b128 v[1:4], v60
	s_andn2_b32 vcc_lo, exec_lo, s34
	s_cbranch_vccnz .LBB90_134
; %bb.133:
	s_clause 0x3
	buffer_load_dword v61, v59, s[0:3], 0 offen offset:8
	buffer_load_dword v62, v59, s[0:3], 0 offen offset:12
	buffer_load_dword v63, v59, s[0:3], 0 offen
	buffer_load_dword v64, v59, s[0:3], 0 offen offset:4
	s_waitcnt vmcnt(2) lgkmcnt(0)
	v_mul_f64 v[66:67], v[3:4], v[61:62]
	v_mul_f64 v[61:62], v[1:2], v[61:62]
	s_waitcnt vmcnt(0)
	v_fma_f64 v[1:2], v[1:2], v[63:64], -v[66:67]
	v_fma_f64 v[3:4], v[3:4], v[63:64], v[61:62]
.LBB90_134:
	s_and_saveexec_b32 s35, s5
	s_cbranch_execz .LBB90_138
; %bb.135:
	v_add_nc_u32_e32 v61, -10, v0
	s_movk_i32 s36, 0x250
	s_mov_b32 s5, 0
	s_mov_b32 s37, s23
	.p2align	6
.LBB90_136:                             ; =>This Inner Loop Header: Depth=1
	v_mov_b32_e32 v64, s37
	v_add_nc_u32_e32 v61, -1, v61
	s_add_i32 s37, s37, 16
	s_clause 0x3
	buffer_load_dword v62, v64, s[0:3], 0 offen offset:8
	buffer_load_dword v63, v64, s[0:3], 0 offen offset:12
	buffer_load_dword v70, v64, s[0:3], 0 offen
	buffer_load_dword v71, v64, s[0:3], 0 offen offset:4
	v_mov_b32_e32 v64, s36
	v_cmp_eq_u32_e32 vcc_lo, 0, v61
	s_add_i32 s36, s36, 16
	ds_read_b128 v[66:69], v64
	s_or_b32 s5, vcc_lo, s5
	s_waitcnt vmcnt(2) lgkmcnt(0)
	v_mul_f64 v[72:73], v[68:69], v[62:63]
	v_mul_f64 v[62:63], v[66:67], v[62:63]
	s_waitcnt vmcnt(0)
	v_fma_f64 v[66:67], v[66:67], v[70:71], -v[72:73]
	v_fma_f64 v[62:63], v[68:69], v[70:71], v[62:63]
	v_add_f64 v[1:2], v[1:2], v[66:67]
	v_add_f64 v[3:4], v[3:4], v[62:63]
	s_andn2_b32 exec_lo, exec_lo, s5
	s_cbranch_execnz .LBB90_136
; %bb.137:
	s_or_b32 exec_lo, exec_lo, s5
.LBB90_138:
	s_or_b32 exec_lo, exec_lo, s35
	v_mov_b32_e32 v61, 0
	ds_read_b128 v[61:64], v61 offset:144
	s_waitcnt lgkmcnt(0)
	v_mul_f64 v[66:67], v[3:4], v[63:64]
	v_mul_f64 v[63:64], v[1:2], v[63:64]
	v_fma_f64 v[1:2], v[1:2], v[61:62], -v[66:67]
	v_fma_f64 v[3:4], v[3:4], v[61:62], v[63:64]
	buffer_store_dword v2, off, s[0:3], 0 offset:148
	buffer_store_dword v1, off, s[0:3], 0 offset:144
	;; [unrolled: 1-line block ×4, first 2 shown]
.LBB90_139:
	s_or_b32 exec_lo, exec_lo, s8
	v_mov_b32_e32 v4, s25
	v_cmp_lt_u32_e64 s5, 8, v0
	s_clause 0x3
	buffer_load_dword v1, v4, s[0:3], 0 offen
	buffer_load_dword v2, v4, s[0:3], 0 offen offset:4
	buffer_load_dword v3, v4, s[0:3], 0 offen offset:8
	;; [unrolled: 1-line block ×3, first 2 shown]
	s_waitcnt vmcnt(0)
	ds_write_b128 v60, v[1:4]
	s_waitcnt lgkmcnt(0)
	s_waitcnt_vscnt null, 0x0
	s_barrier
	buffer_gl0_inv
	s_and_saveexec_b32 s8, s5
	s_cbranch_execz .LBB90_147
; %bb.140:
	ds_read_b128 v[1:4], v60
	s_andn2_b32 vcc_lo, exec_lo, s34
	s_cbranch_vccnz .LBB90_142
; %bb.141:
	s_clause 0x3
	buffer_load_dword v61, v59, s[0:3], 0 offen offset:8
	buffer_load_dword v62, v59, s[0:3], 0 offen offset:12
	buffer_load_dword v63, v59, s[0:3], 0 offen
	buffer_load_dword v64, v59, s[0:3], 0 offen offset:4
	s_waitcnt vmcnt(2) lgkmcnt(0)
	v_mul_f64 v[66:67], v[3:4], v[61:62]
	v_mul_f64 v[61:62], v[1:2], v[61:62]
	s_waitcnt vmcnt(0)
	v_fma_f64 v[1:2], v[1:2], v[63:64], -v[66:67]
	v_fma_f64 v[3:4], v[3:4], v[63:64], v[61:62]
.LBB90_142:
	s_and_saveexec_b32 s35, s4
	s_cbranch_execz .LBB90_146
; %bb.143:
	v_add_nc_u32_e32 v61, -9, v0
	s_movk_i32 s36, 0x240
	s_mov_b32 s4, 0
	s_mov_b32 s37, s24
	.p2align	6
.LBB90_144:                             ; =>This Inner Loop Header: Depth=1
	v_mov_b32_e32 v64, s37
	v_add_nc_u32_e32 v61, -1, v61
	s_add_i32 s37, s37, 16
	s_clause 0x3
	buffer_load_dword v62, v64, s[0:3], 0 offen offset:8
	buffer_load_dword v63, v64, s[0:3], 0 offen offset:12
	buffer_load_dword v70, v64, s[0:3], 0 offen
	buffer_load_dword v71, v64, s[0:3], 0 offen offset:4
	v_mov_b32_e32 v64, s36
	v_cmp_eq_u32_e32 vcc_lo, 0, v61
	s_add_i32 s36, s36, 16
	ds_read_b128 v[66:69], v64
	s_or_b32 s4, vcc_lo, s4
	s_waitcnt vmcnt(2) lgkmcnt(0)
	v_mul_f64 v[72:73], v[68:69], v[62:63]
	v_mul_f64 v[62:63], v[66:67], v[62:63]
	s_waitcnt vmcnt(0)
	v_fma_f64 v[66:67], v[66:67], v[70:71], -v[72:73]
	v_fma_f64 v[62:63], v[68:69], v[70:71], v[62:63]
	v_add_f64 v[1:2], v[1:2], v[66:67]
	v_add_f64 v[3:4], v[3:4], v[62:63]
	s_andn2_b32 exec_lo, exec_lo, s4
	s_cbranch_execnz .LBB90_144
; %bb.145:
	s_or_b32 exec_lo, exec_lo, s4
.LBB90_146:
	s_or_b32 exec_lo, exec_lo, s35
	v_mov_b32_e32 v61, 0
	ds_read_b128 v[61:64], v61 offset:128
	s_waitcnt lgkmcnt(0)
	v_mul_f64 v[66:67], v[3:4], v[63:64]
	v_mul_f64 v[63:64], v[1:2], v[63:64]
	v_fma_f64 v[1:2], v[1:2], v[61:62], -v[66:67]
	v_fma_f64 v[3:4], v[3:4], v[61:62], v[63:64]
	buffer_store_dword v2, off, s[0:3], 0 offset:132
	buffer_store_dword v1, off, s[0:3], 0 offset:128
	;; [unrolled: 1-line block ×4, first 2 shown]
.LBB90_147:
	s_or_b32 exec_lo, exec_lo, s8
	v_mov_b32_e32 v4, s26
	v_cmp_lt_u32_e64 s4, 7, v0
	s_clause 0x3
	buffer_load_dword v1, v4, s[0:3], 0 offen
	buffer_load_dword v2, v4, s[0:3], 0 offen offset:4
	buffer_load_dword v3, v4, s[0:3], 0 offen offset:8
	;; [unrolled: 1-line block ×3, first 2 shown]
	s_waitcnt vmcnt(0)
	ds_write_b128 v60, v[1:4]
	s_waitcnt lgkmcnt(0)
	s_waitcnt_vscnt null, 0x0
	s_barrier
	buffer_gl0_inv
	s_and_saveexec_b32 s8, s4
	s_cbranch_execz .LBB90_155
; %bb.148:
	ds_read_b128 v[1:4], v60
	s_andn2_b32 vcc_lo, exec_lo, s34
	s_cbranch_vccnz .LBB90_150
; %bb.149:
	s_clause 0x3
	buffer_load_dword v61, v59, s[0:3], 0 offen offset:8
	buffer_load_dword v62, v59, s[0:3], 0 offen offset:12
	buffer_load_dword v63, v59, s[0:3], 0 offen
	buffer_load_dword v64, v59, s[0:3], 0 offen offset:4
	s_waitcnt vmcnt(2) lgkmcnt(0)
	v_mul_f64 v[66:67], v[3:4], v[61:62]
	v_mul_f64 v[61:62], v[1:2], v[61:62]
	s_waitcnt vmcnt(0)
	v_fma_f64 v[1:2], v[1:2], v[63:64], -v[66:67]
	v_fma_f64 v[3:4], v[3:4], v[63:64], v[61:62]
.LBB90_150:
	s_and_saveexec_b32 s35, s5
	s_cbranch_execz .LBB90_154
; %bb.151:
	v_add_nc_u32_e32 v61, -8, v0
	s_movk_i32 s36, 0x230
	s_mov_b32 s5, 0
	s_mov_b32 s37, s25
	.p2align	6
.LBB90_152:                             ; =>This Inner Loop Header: Depth=1
	v_mov_b32_e32 v64, s37
	v_add_nc_u32_e32 v61, -1, v61
	s_add_i32 s37, s37, 16
	s_clause 0x3
	buffer_load_dword v62, v64, s[0:3], 0 offen offset:8
	buffer_load_dword v63, v64, s[0:3], 0 offen offset:12
	buffer_load_dword v70, v64, s[0:3], 0 offen
	buffer_load_dword v71, v64, s[0:3], 0 offen offset:4
	v_mov_b32_e32 v64, s36
	v_cmp_eq_u32_e32 vcc_lo, 0, v61
	s_add_i32 s36, s36, 16
	ds_read_b128 v[66:69], v64
	s_or_b32 s5, vcc_lo, s5
	s_waitcnt vmcnt(2) lgkmcnt(0)
	v_mul_f64 v[72:73], v[68:69], v[62:63]
	v_mul_f64 v[62:63], v[66:67], v[62:63]
	s_waitcnt vmcnt(0)
	v_fma_f64 v[66:67], v[66:67], v[70:71], -v[72:73]
	v_fma_f64 v[62:63], v[68:69], v[70:71], v[62:63]
	v_add_f64 v[1:2], v[1:2], v[66:67]
	v_add_f64 v[3:4], v[3:4], v[62:63]
	s_andn2_b32 exec_lo, exec_lo, s5
	s_cbranch_execnz .LBB90_152
; %bb.153:
	s_or_b32 exec_lo, exec_lo, s5
.LBB90_154:
	s_or_b32 exec_lo, exec_lo, s35
	v_mov_b32_e32 v61, 0
	ds_read_b128 v[61:64], v61 offset:112
	s_waitcnt lgkmcnt(0)
	v_mul_f64 v[66:67], v[3:4], v[63:64]
	v_mul_f64 v[63:64], v[1:2], v[63:64]
	v_fma_f64 v[1:2], v[1:2], v[61:62], -v[66:67]
	v_fma_f64 v[3:4], v[3:4], v[61:62], v[63:64]
	buffer_store_dword v2, off, s[0:3], 0 offset:116
	buffer_store_dword v1, off, s[0:3], 0 offset:112
	;; [unrolled: 1-line block ×4, first 2 shown]
.LBB90_155:
	s_or_b32 exec_lo, exec_lo, s8
	v_mov_b32_e32 v4, s27
	v_cmp_lt_u32_e64 s5, 6, v0
	s_clause 0x3
	buffer_load_dword v1, v4, s[0:3], 0 offen
	buffer_load_dword v2, v4, s[0:3], 0 offen offset:4
	buffer_load_dword v3, v4, s[0:3], 0 offen offset:8
	;; [unrolled: 1-line block ×3, first 2 shown]
	s_waitcnt vmcnt(0)
	ds_write_b128 v60, v[1:4]
	s_waitcnt lgkmcnt(0)
	s_waitcnt_vscnt null, 0x0
	s_barrier
	buffer_gl0_inv
	s_and_saveexec_b32 s8, s5
	s_cbranch_execz .LBB90_163
; %bb.156:
	ds_read_b128 v[1:4], v60
	s_andn2_b32 vcc_lo, exec_lo, s34
	s_cbranch_vccnz .LBB90_158
; %bb.157:
	s_clause 0x3
	buffer_load_dword v61, v59, s[0:3], 0 offen offset:8
	buffer_load_dword v62, v59, s[0:3], 0 offen offset:12
	buffer_load_dword v63, v59, s[0:3], 0 offen
	buffer_load_dword v64, v59, s[0:3], 0 offen offset:4
	s_waitcnt vmcnt(2) lgkmcnt(0)
	v_mul_f64 v[66:67], v[3:4], v[61:62]
	v_mul_f64 v[61:62], v[1:2], v[61:62]
	s_waitcnt vmcnt(0)
	v_fma_f64 v[1:2], v[1:2], v[63:64], -v[66:67]
	v_fma_f64 v[3:4], v[3:4], v[63:64], v[61:62]
.LBB90_158:
	s_and_saveexec_b32 s35, s4
	s_cbranch_execz .LBB90_162
; %bb.159:
	v_add_nc_u32_e32 v61, -7, v0
	s_movk_i32 s36, 0x220
	s_mov_b32 s4, 0
	s_mov_b32 s37, s26
	.p2align	6
.LBB90_160:                             ; =>This Inner Loop Header: Depth=1
	v_mov_b32_e32 v64, s37
	v_add_nc_u32_e32 v61, -1, v61
	s_add_i32 s37, s37, 16
	s_clause 0x3
	buffer_load_dword v62, v64, s[0:3], 0 offen offset:8
	buffer_load_dword v63, v64, s[0:3], 0 offen offset:12
	buffer_load_dword v70, v64, s[0:3], 0 offen
	buffer_load_dword v71, v64, s[0:3], 0 offen offset:4
	v_mov_b32_e32 v64, s36
	v_cmp_eq_u32_e32 vcc_lo, 0, v61
	s_add_i32 s36, s36, 16
	ds_read_b128 v[66:69], v64
	s_or_b32 s4, vcc_lo, s4
	s_waitcnt vmcnt(2) lgkmcnt(0)
	v_mul_f64 v[72:73], v[68:69], v[62:63]
	v_mul_f64 v[62:63], v[66:67], v[62:63]
	s_waitcnt vmcnt(0)
	v_fma_f64 v[66:67], v[66:67], v[70:71], -v[72:73]
	v_fma_f64 v[62:63], v[68:69], v[70:71], v[62:63]
	v_add_f64 v[1:2], v[1:2], v[66:67]
	v_add_f64 v[3:4], v[3:4], v[62:63]
	s_andn2_b32 exec_lo, exec_lo, s4
	s_cbranch_execnz .LBB90_160
; %bb.161:
	s_or_b32 exec_lo, exec_lo, s4
.LBB90_162:
	s_or_b32 exec_lo, exec_lo, s35
	v_mov_b32_e32 v61, 0
	ds_read_b128 v[61:64], v61 offset:96
	s_waitcnt lgkmcnt(0)
	v_mul_f64 v[66:67], v[3:4], v[63:64]
	v_mul_f64 v[63:64], v[1:2], v[63:64]
	v_fma_f64 v[1:2], v[1:2], v[61:62], -v[66:67]
	v_fma_f64 v[3:4], v[3:4], v[61:62], v[63:64]
	buffer_store_dword v2, off, s[0:3], 0 offset:100
	buffer_store_dword v1, off, s[0:3], 0 offset:96
	;; [unrolled: 1-line block ×4, first 2 shown]
.LBB90_163:
	s_or_b32 exec_lo, exec_lo, s8
	v_mov_b32_e32 v4, s28
	v_cmp_lt_u32_e64 s4, 5, v0
	s_clause 0x3
	buffer_load_dword v1, v4, s[0:3], 0 offen
	buffer_load_dword v2, v4, s[0:3], 0 offen offset:4
	buffer_load_dword v3, v4, s[0:3], 0 offen offset:8
	;; [unrolled: 1-line block ×3, first 2 shown]
	s_waitcnt vmcnt(0)
	ds_write_b128 v60, v[1:4]
	s_waitcnt lgkmcnt(0)
	s_waitcnt_vscnt null, 0x0
	s_barrier
	buffer_gl0_inv
	s_and_saveexec_b32 s8, s4
	s_cbranch_execz .LBB90_171
; %bb.164:
	ds_read_b128 v[1:4], v60
	s_andn2_b32 vcc_lo, exec_lo, s34
	s_cbranch_vccnz .LBB90_166
; %bb.165:
	s_clause 0x3
	buffer_load_dword v61, v59, s[0:3], 0 offen offset:8
	buffer_load_dword v62, v59, s[0:3], 0 offen offset:12
	buffer_load_dword v63, v59, s[0:3], 0 offen
	buffer_load_dword v64, v59, s[0:3], 0 offen offset:4
	s_waitcnt vmcnt(2) lgkmcnt(0)
	v_mul_f64 v[66:67], v[3:4], v[61:62]
	v_mul_f64 v[61:62], v[1:2], v[61:62]
	s_waitcnt vmcnt(0)
	v_fma_f64 v[1:2], v[1:2], v[63:64], -v[66:67]
	v_fma_f64 v[3:4], v[3:4], v[63:64], v[61:62]
.LBB90_166:
	s_and_saveexec_b32 s35, s5
	s_cbranch_execz .LBB90_170
; %bb.167:
	v_add_nc_u32_e32 v61, -6, v0
	s_movk_i32 s36, 0x210
	s_mov_b32 s5, 0
	s_mov_b32 s37, s27
	.p2align	6
.LBB90_168:                             ; =>This Inner Loop Header: Depth=1
	v_mov_b32_e32 v64, s37
	v_add_nc_u32_e32 v61, -1, v61
	s_add_i32 s37, s37, 16
	s_clause 0x3
	buffer_load_dword v62, v64, s[0:3], 0 offen offset:8
	buffer_load_dword v63, v64, s[0:3], 0 offen offset:12
	buffer_load_dword v70, v64, s[0:3], 0 offen
	buffer_load_dword v71, v64, s[0:3], 0 offen offset:4
	v_mov_b32_e32 v64, s36
	v_cmp_eq_u32_e32 vcc_lo, 0, v61
	s_add_i32 s36, s36, 16
	ds_read_b128 v[66:69], v64
	s_or_b32 s5, vcc_lo, s5
	s_waitcnt vmcnt(2) lgkmcnt(0)
	v_mul_f64 v[72:73], v[68:69], v[62:63]
	v_mul_f64 v[62:63], v[66:67], v[62:63]
	s_waitcnt vmcnt(0)
	v_fma_f64 v[66:67], v[66:67], v[70:71], -v[72:73]
	v_fma_f64 v[62:63], v[68:69], v[70:71], v[62:63]
	v_add_f64 v[1:2], v[1:2], v[66:67]
	v_add_f64 v[3:4], v[3:4], v[62:63]
	s_andn2_b32 exec_lo, exec_lo, s5
	s_cbranch_execnz .LBB90_168
; %bb.169:
	s_or_b32 exec_lo, exec_lo, s5
.LBB90_170:
	s_or_b32 exec_lo, exec_lo, s35
	v_mov_b32_e32 v61, 0
	ds_read_b128 v[61:64], v61 offset:80
	s_waitcnt lgkmcnt(0)
	v_mul_f64 v[66:67], v[3:4], v[63:64]
	v_mul_f64 v[63:64], v[1:2], v[63:64]
	v_fma_f64 v[1:2], v[1:2], v[61:62], -v[66:67]
	v_fma_f64 v[3:4], v[3:4], v[61:62], v[63:64]
	buffer_store_dword v2, off, s[0:3], 0 offset:84
	buffer_store_dword v1, off, s[0:3], 0 offset:80
	;; [unrolled: 1-line block ×4, first 2 shown]
.LBB90_171:
	s_or_b32 exec_lo, exec_lo, s8
	v_mov_b32_e32 v4, s29
	v_cmp_lt_u32_e64 s5, 4, v0
	s_clause 0x3
	buffer_load_dword v1, v4, s[0:3], 0 offen
	buffer_load_dword v2, v4, s[0:3], 0 offen offset:4
	buffer_load_dword v3, v4, s[0:3], 0 offen offset:8
	;; [unrolled: 1-line block ×3, first 2 shown]
	s_waitcnt vmcnt(0)
	ds_write_b128 v60, v[1:4]
	s_waitcnt lgkmcnt(0)
	s_waitcnt_vscnt null, 0x0
	s_barrier
	buffer_gl0_inv
	s_and_saveexec_b32 s8, s5
	s_cbranch_execz .LBB90_179
; %bb.172:
	ds_read_b128 v[1:4], v60
	s_andn2_b32 vcc_lo, exec_lo, s34
	s_cbranch_vccnz .LBB90_174
; %bb.173:
	s_clause 0x3
	buffer_load_dword v61, v59, s[0:3], 0 offen offset:8
	buffer_load_dword v62, v59, s[0:3], 0 offen offset:12
	buffer_load_dword v63, v59, s[0:3], 0 offen
	buffer_load_dword v64, v59, s[0:3], 0 offen offset:4
	s_waitcnt vmcnt(2) lgkmcnt(0)
	v_mul_f64 v[66:67], v[3:4], v[61:62]
	v_mul_f64 v[61:62], v[1:2], v[61:62]
	s_waitcnt vmcnt(0)
	v_fma_f64 v[1:2], v[1:2], v[63:64], -v[66:67]
	v_fma_f64 v[3:4], v[3:4], v[63:64], v[61:62]
.LBB90_174:
	s_and_saveexec_b32 s35, s4
	s_cbranch_execz .LBB90_178
; %bb.175:
	v_add_nc_u32_e32 v61, -5, v0
	s_movk_i32 s36, 0x200
	s_mov_b32 s4, 0
	s_mov_b32 s37, s28
	.p2align	6
.LBB90_176:                             ; =>This Inner Loop Header: Depth=1
	v_mov_b32_e32 v64, s37
	v_add_nc_u32_e32 v61, -1, v61
	s_add_i32 s37, s37, 16
	s_clause 0x3
	buffer_load_dword v62, v64, s[0:3], 0 offen offset:8
	buffer_load_dword v63, v64, s[0:3], 0 offen offset:12
	buffer_load_dword v70, v64, s[0:3], 0 offen
	buffer_load_dword v71, v64, s[0:3], 0 offen offset:4
	v_mov_b32_e32 v64, s36
	v_cmp_eq_u32_e32 vcc_lo, 0, v61
	s_add_i32 s36, s36, 16
	ds_read_b128 v[66:69], v64
	s_or_b32 s4, vcc_lo, s4
	s_waitcnt vmcnt(2) lgkmcnt(0)
	v_mul_f64 v[72:73], v[68:69], v[62:63]
	v_mul_f64 v[62:63], v[66:67], v[62:63]
	s_waitcnt vmcnt(0)
	v_fma_f64 v[66:67], v[66:67], v[70:71], -v[72:73]
	v_fma_f64 v[62:63], v[68:69], v[70:71], v[62:63]
	v_add_f64 v[1:2], v[1:2], v[66:67]
	v_add_f64 v[3:4], v[3:4], v[62:63]
	s_andn2_b32 exec_lo, exec_lo, s4
	s_cbranch_execnz .LBB90_176
; %bb.177:
	s_or_b32 exec_lo, exec_lo, s4
.LBB90_178:
	s_or_b32 exec_lo, exec_lo, s35
	v_mov_b32_e32 v61, 0
	ds_read_b128 v[61:64], v61 offset:64
	s_waitcnt lgkmcnt(0)
	v_mul_f64 v[66:67], v[3:4], v[63:64]
	v_mul_f64 v[63:64], v[1:2], v[63:64]
	v_fma_f64 v[1:2], v[1:2], v[61:62], -v[66:67]
	v_fma_f64 v[3:4], v[3:4], v[61:62], v[63:64]
	buffer_store_dword v2, off, s[0:3], 0 offset:68
	buffer_store_dword v1, off, s[0:3], 0 offset:64
	;; [unrolled: 1-line block ×4, first 2 shown]
.LBB90_179:
	s_or_b32 exec_lo, exec_lo, s8
	v_mov_b32_e32 v4, s30
	v_cmp_lt_u32_e64 s4, 3, v0
	s_clause 0x3
	buffer_load_dword v1, v4, s[0:3], 0 offen
	buffer_load_dword v2, v4, s[0:3], 0 offen offset:4
	buffer_load_dword v3, v4, s[0:3], 0 offen offset:8
	;; [unrolled: 1-line block ×3, first 2 shown]
	s_waitcnt vmcnt(0)
	ds_write_b128 v60, v[1:4]
	s_waitcnt lgkmcnt(0)
	s_waitcnt_vscnt null, 0x0
	s_barrier
	buffer_gl0_inv
	s_and_saveexec_b32 s8, s4
	s_cbranch_execz .LBB90_187
; %bb.180:
	ds_read_b128 v[1:4], v60
	s_andn2_b32 vcc_lo, exec_lo, s34
	s_cbranch_vccnz .LBB90_182
; %bb.181:
	s_clause 0x3
	buffer_load_dword v61, v59, s[0:3], 0 offen offset:8
	buffer_load_dword v62, v59, s[0:3], 0 offen offset:12
	buffer_load_dword v63, v59, s[0:3], 0 offen
	buffer_load_dword v64, v59, s[0:3], 0 offen offset:4
	s_waitcnt vmcnt(2) lgkmcnt(0)
	v_mul_f64 v[66:67], v[3:4], v[61:62]
	v_mul_f64 v[61:62], v[1:2], v[61:62]
	s_waitcnt vmcnt(0)
	v_fma_f64 v[1:2], v[1:2], v[63:64], -v[66:67]
	v_fma_f64 v[3:4], v[3:4], v[63:64], v[61:62]
.LBB90_182:
	s_and_saveexec_b32 s35, s5
	s_cbranch_execz .LBB90_186
; %bb.183:
	v_add_nc_u32_e32 v61, -4, v0
	s_movk_i32 s36, 0x1f0
	s_mov_b32 s5, 0
	s_mov_b32 s37, s29
	.p2align	6
.LBB90_184:                             ; =>This Inner Loop Header: Depth=1
	v_mov_b32_e32 v64, s37
	v_add_nc_u32_e32 v61, -1, v61
	s_add_i32 s37, s37, 16
	s_clause 0x3
	buffer_load_dword v62, v64, s[0:3], 0 offen offset:8
	buffer_load_dword v63, v64, s[0:3], 0 offen offset:12
	buffer_load_dword v70, v64, s[0:3], 0 offen
	buffer_load_dword v71, v64, s[0:3], 0 offen offset:4
	v_mov_b32_e32 v64, s36
	v_cmp_eq_u32_e32 vcc_lo, 0, v61
	s_add_i32 s36, s36, 16
	ds_read_b128 v[66:69], v64
	s_or_b32 s5, vcc_lo, s5
	s_waitcnt vmcnt(2) lgkmcnt(0)
	v_mul_f64 v[72:73], v[68:69], v[62:63]
	v_mul_f64 v[62:63], v[66:67], v[62:63]
	s_waitcnt vmcnt(0)
	v_fma_f64 v[66:67], v[66:67], v[70:71], -v[72:73]
	v_fma_f64 v[62:63], v[68:69], v[70:71], v[62:63]
	v_add_f64 v[1:2], v[1:2], v[66:67]
	v_add_f64 v[3:4], v[3:4], v[62:63]
	s_andn2_b32 exec_lo, exec_lo, s5
	s_cbranch_execnz .LBB90_184
; %bb.185:
	s_or_b32 exec_lo, exec_lo, s5
.LBB90_186:
	s_or_b32 exec_lo, exec_lo, s35
	v_mov_b32_e32 v61, 0
	ds_read_b128 v[61:64], v61 offset:48
	s_waitcnt lgkmcnt(0)
	v_mul_f64 v[66:67], v[3:4], v[63:64]
	v_mul_f64 v[63:64], v[1:2], v[63:64]
	v_fma_f64 v[1:2], v[1:2], v[61:62], -v[66:67]
	v_fma_f64 v[3:4], v[3:4], v[61:62], v[63:64]
	buffer_store_dword v2, off, s[0:3], 0 offset:52
	buffer_store_dword v1, off, s[0:3], 0 offset:48
	;; [unrolled: 1-line block ×4, first 2 shown]
.LBB90_187:
	s_or_b32 exec_lo, exec_lo, s8
	v_mov_b32_e32 v4, s31
	v_cmp_lt_u32_e64 s5, 2, v0
	s_clause 0x3
	buffer_load_dword v1, v4, s[0:3], 0 offen
	buffer_load_dword v2, v4, s[0:3], 0 offen offset:4
	buffer_load_dword v3, v4, s[0:3], 0 offen offset:8
	;; [unrolled: 1-line block ×3, first 2 shown]
	s_waitcnt vmcnt(0)
	ds_write_b128 v60, v[1:4]
	s_waitcnt lgkmcnt(0)
	s_waitcnt_vscnt null, 0x0
	s_barrier
	buffer_gl0_inv
	s_and_saveexec_b32 s8, s5
	s_cbranch_execz .LBB90_195
; %bb.188:
	ds_read_b128 v[1:4], v60
	s_andn2_b32 vcc_lo, exec_lo, s34
	s_cbranch_vccnz .LBB90_190
; %bb.189:
	s_clause 0x3
	buffer_load_dword v61, v59, s[0:3], 0 offen offset:8
	buffer_load_dword v62, v59, s[0:3], 0 offen offset:12
	buffer_load_dword v63, v59, s[0:3], 0 offen
	buffer_load_dword v64, v59, s[0:3], 0 offen offset:4
	s_waitcnt vmcnt(2) lgkmcnt(0)
	v_mul_f64 v[66:67], v[3:4], v[61:62]
	v_mul_f64 v[61:62], v[1:2], v[61:62]
	s_waitcnt vmcnt(0)
	v_fma_f64 v[1:2], v[1:2], v[63:64], -v[66:67]
	v_fma_f64 v[3:4], v[3:4], v[63:64], v[61:62]
.LBB90_190:
	s_and_saveexec_b32 s35, s4
	s_cbranch_execz .LBB90_194
; %bb.191:
	v_add_nc_u32_e32 v61, -3, v0
	s_movk_i32 s36, 0x1e0
	s_mov_b32 s4, 0
	s_mov_b32 s37, s30
	.p2align	6
.LBB90_192:                             ; =>This Inner Loop Header: Depth=1
	v_mov_b32_e32 v64, s37
	v_add_nc_u32_e32 v61, -1, v61
	s_add_i32 s37, s37, 16
	s_clause 0x3
	buffer_load_dword v62, v64, s[0:3], 0 offen offset:8
	buffer_load_dword v63, v64, s[0:3], 0 offen offset:12
	buffer_load_dword v70, v64, s[0:3], 0 offen
	buffer_load_dword v71, v64, s[0:3], 0 offen offset:4
	v_mov_b32_e32 v64, s36
	v_cmp_eq_u32_e32 vcc_lo, 0, v61
	s_add_i32 s36, s36, 16
	ds_read_b128 v[66:69], v64
	s_or_b32 s4, vcc_lo, s4
	s_waitcnt vmcnt(2) lgkmcnt(0)
	v_mul_f64 v[72:73], v[68:69], v[62:63]
	v_mul_f64 v[62:63], v[66:67], v[62:63]
	s_waitcnt vmcnt(0)
	v_fma_f64 v[66:67], v[66:67], v[70:71], -v[72:73]
	v_fma_f64 v[62:63], v[68:69], v[70:71], v[62:63]
	v_add_f64 v[1:2], v[1:2], v[66:67]
	v_add_f64 v[3:4], v[3:4], v[62:63]
	s_andn2_b32 exec_lo, exec_lo, s4
	s_cbranch_execnz .LBB90_192
; %bb.193:
	s_or_b32 exec_lo, exec_lo, s4
.LBB90_194:
	s_or_b32 exec_lo, exec_lo, s35
	v_mov_b32_e32 v61, 0
	ds_read_b128 v[61:64], v61 offset:32
	s_waitcnt lgkmcnt(0)
	v_mul_f64 v[66:67], v[3:4], v[63:64]
	v_mul_f64 v[63:64], v[1:2], v[63:64]
	v_fma_f64 v[1:2], v[1:2], v[61:62], -v[66:67]
	v_fma_f64 v[3:4], v[3:4], v[61:62], v[63:64]
	buffer_store_dword v2, off, s[0:3], 0 offset:36
	buffer_store_dword v1, off, s[0:3], 0 offset:32
	;; [unrolled: 1-line block ×4, first 2 shown]
.LBB90_195:
	s_or_b32 exec_lo, exec_lo, s8
	v_mov_b32_e32 v4, s33
	v_cmp_lt_u32_e64 s4, 1, v0
	s_clause 0x3
	buffer_load_dword v1, v4, s[0:3], 0 offen
	buffer_load_dword v2, v4, s[0:3], 0 offen offset:4
	buffer_load_dword v3, v4, s[0:3], 0 offen offset:8
	buffer_load_dword v4, v4, s[0:3], 0 offen offset:12
	s_waitcnt vmcnt(0)
	ds_write_b128 v60, v[1:4]
	s_waitcnt lgkmcnt(0)
	s_waitcnt_vscnt null, 0x0
	s_barrier
	buffer_gl0_inv
	s_and_saveexec_b32 s8, s4
	s_cbranch_execz .LBB90_203
; %bb.196:
	ds_read_b128 v[1:4], v60
	s_andn2_b32 vcc_lo, exec_lo, s34
	s_cbranch_vccnz .LBB90_198
; %bb.197:
	s_clause 0x3
	buffer_load_dword v61, v59, s[0:3], 0 offen offset:8
	buffer_load_dword v62, v59, s[0:3], 0 offen offset:12
	buffer_load_dword v63, v59, s[0:3], 0 offen
	buffer_load_dword v64, v59, s[0:3], 0 offen offset:4
	s_waitcnt vmcnt(2) lgkmcnt(0)
	v_mul_f64 v[66:67], v[3:4], v[61:62]
	v_mul_f64 v[61:62], v[1:2], v[61:62]
	s_waitcnt vmcnt(0)
	v_fma_f64 v[1:2], v[1:2], v[63:64], -v[66:67]
	v_fma_f64 v[3:4], v[3:4], v[63:64], v[61:62]
.LBB90_198:
	s_and_saveexec_b32 s35, s5
	s_cbranch_execz .LBB90_202
; %bb.199:
	v_add_nc_u32_e32 v61, -2, v0
	s_movk_i32 s36, 0x1d0
	s_mov_b32 s5, 0
	s_mov_b32 s37, s31
	.p2align	6
.LBB90_200:                             ; =>This Inner Loop Header: Depth=1
	v_mov_b32_e32 v64, s37
	v_add_nc_u32_e32 v61, -1, v61
	s_add_i32 s37, s37, 16
	s_clause 0x3
	buffer_load_dword v62, v64, s[0:3], 0 offen offset:8
	buffer_load_dword v63, v64, s[0:3], 0 offen offset:12
	buffer_load_dword v70, v64, s[0:3], 0 offen
	buffer_load_dword v71, v64, s[0:3], 0 offen offset:4
	v_mov_b32_e32 v64, s36
	v_cmp_eq_u32_e32 vcc_lo, 0, v61
	s_add_i32 s36, s36, 16
	ds_read_b128 v[66:69], v64
	s_or_b32 s5, vcc_lo, s5
	s_waitcnt vmcnt(2) lgkmcnt(0)
	v_mul_f64 v[72:73], v[68:69], v[62:63]
	v_mul_f64 v[62:63], v[66:67], v[62:63]
	s_waitcnt vmcnt(0)
	v_fma_f64 v[66:67], v[66:67], v[70:71], -v[72:73]
	v_fma_f64 v[62:63], v[68:69], v[70:71], v[62:63]
	v_add_f64 v[1:2], v[1:2], v[66:67]
	v_add_f64 v[3:4], v[3:4], v[62:63]
	s_andn2_b32 exec_lo, exec_lo, s5
	s_cbranch_execnz .LBB90_200
; %bb.201:
	s_or_b32 exec_lo, exec_lo, s5
.LBB90_202:
	s_or_b32 exec_lo, exec_lo, s35
	v_mov_b32_e32 v61, 0
	ds_read_b128 v[61:64], v61 offset:16
	s_waitcnt lgkmcnt(0)
	v_mul_f64 v[66:67], v[3:4], v[63:64]
	v_mul_f64 v[63:64], v[1:2], v[63:64]
	v_fma_f64 v[1:2], v[1:2], v[61:62], -v[66:67]
	v_fma_f64 v[3:4], v[3:4], v[61:62], v[63:64]
	buffer_store_dword v2, off, s[0:3], 0 offset:20
	buffer_store_dword v1, off, s[0:3], 0 offset:16
	;; [unrolled: 1-line block ×4, first 2 shown]
.LBB90_203:
	s_or_b32 exec_lo, exec_lo, s8
	s_clause 0x3
	buffer_load_dword v1, off, s[0:3], 0
	buffer_load_dword v2, off, s[0:3], 0 offset:4
	buffer_load_dword v3, off, s[0:3], 0 offset:8
	;; [unrolled: 1-line block ×3, first 2 shown]
	s_mov_b32 s8, 0
	s_mov_b32 s5, 0
	s_mov_b32 s35, exec_lo
                                        ; implicit-def: $sgpr36
	s_waitcnt vmcnt(0)
	ds_write_b128 v60, v[1:4]
	s_waitcnt lgkmcnt(0)
	s_waitcnt_vscnt null, 0x0
	s_barrier
	buffer_gl0_inv
                                        ; implicit-def: $vgpr1_vgpr2
	v_cmpx_ne_u32_e32 0, v0
	s_cbranch_execz .LBB90_211
; %bb.204:
	ds_read_b128 v[1:4], v60
	s_andn2_b32 vcc_lo, exec_lo, s34
	s_cbranch_vccnz .LBB90_206
; %bb.205:
	s_clause 0x3
	buffer_load_dword v61, v59, s[0:3], 0 offen offset:8
	buffer_load_dword v62, v59, s[0:3], 0 offen offset:12
	buffer_load_dword v63, v59, s[0:3], 0 offen
	buffer_load_dword v64, v59, s[0:3], 0 offen offset:4
	s_waitcnt vmcnt(2) lgkmcnt(0)
	v_mul_f64 v[66:67], v[3:4], v[61:62]
	v_mul_f64 v[61:62], v[1:2], v[61:62]
	s_waitcnt vmcnt(0)
	v_fma_f64 v[1:2], v[1:2], v[63:64], -v[66:67]
	v_fma_f64 v[3:4], v[3:4], v[63:64], v[61:62]
.LBB90_206:
	s_and_saveexec_b32 s5, s4
	s_cbranch_execz .LBB90_210
; %bb.207:
	v_add_nc_u32_e32 v61, -1, v0
	s_movk_i32 s36, 0x1c0
	s_mov_b32 s4, 0
	s_mov_b32 s37, s33
	.p2align	6
.LBB90_208:                             ; =>This Inner Loop Header: Depth=1
	v_mov_b32_e32 v64, s37
	v_add_nc_u32_e32 v61, -1, v61
	s_add_i32 s37, s37, 16
	s_clause 0x3
	buffer_load_dword v62, v64, s[0:3], 0 offen offset:8
	buffer_load_dword v63, v64, s[0:3], 0 offen offset:12
	buffer_load_dword v70, v64, s[0:3], 0 offen
	buffer_load_dword v71, v64, s[0:3], 0 offen offset:4
	v_mov_b32_e32 v64, s36
	v_cmp_eq_u32_e32 vcc_lo, 0, v61
	s_add_i32 s36, s36, 16
	ds_read_b128 v[66:69], v64
	s_or_b32 s4, vcc_lo, s4
	s_waitcnt vmcnt(2) lgkmcnt(0)
	v_mul_f64 v[72:73], v[68:69], v[62:63]
	v_mul_f64 v[62:63], v[66:67], v[62:63]
	s_waitcnt vmcnt(0)
	v_fma_f64 v[66:67], v[66:67], v[70:71], -v[72:73]
	v_fma_f64 v[62:63], v[68:69], v[70:71], v[62:63]
	v_add_f64 v[1:2], v[1:2], v[66:67]
	v_add_f64 v[3:4], v[3:4], v[62:63]
	s_andn2_b32 exec_lo, exec_lo, s4
	s_cbranch_execnz .LBB90_208
; %bb.209:
	s_or_b32 exec_lo, exec_lo, s4
.LBB90_210:
	s_or_b32 exec_lo, exec_lo, s5
	v_mov_b32_e32 v61, 0
	s_mov_b32 s5, exec_lo
	s_or_b32 s36, 0, 8
	ds_read_b128 v[61:64], v61
	s_waitcnt lgkmcnt(0)
	v_mul_f64 v[66:67], v[3:4], v[63:64]
	v_mul_f64 v[63:64], v[1:2], v[63:64]
	v_fma_f64 v[66:67], v[1:2], v[61:62], -v[66:67]
	v_fma_f64 v[1:2], v[3:4], v[61:62], v[63:64]
	buffer_store_dword v67, off, s[0:3], 0 offset:4
	buffer_store_dword v66, off, s[0:3], 0
.LBB90_211:
	s_or_b32 exec_lo, exec_lo, s35
	s_and_b32 vcc_lo, exec_lo, s8
	s_cbranch_vccnz .LBB90_213
	s_branch .LBB90_416
.LBB90_212:
	s_mov_b32 s5, 0
                                        ; implicit-def: $vgpr1_vgpr2
                                        ; implicit-def: $sgpr36
	s_cbranch_execz .LBB90_416
.LBB90_213:
	v_mov_b32_e32 v4, s33
	v_cmp_eq_u32_e64 s4, 0, v0
	v_cndmask_b32_e64 v61, 0, 1, s34
	s_clause 0x3
	buffer_load_dword v1, v4, s[0:3], 0 offen
	buffer_load_dword v2, v4, s[0:3], 0 offen offset:4
	buffer_load_dword v3, v4, s[0:3], 0 offen offset:8
	;; [unrolled: 1-line block ×3, first 2 shown]
	s_waitcnt vmcnt(0)
	ds_write_b128 v60, v[1:4]
	s_waitcnt lgkmcnt(0)
	s_waitcnt_vscnt null, 0x0
	s_barrier
	buffer_gl0_inv
	s_and_saveexec_b32 s8, s4
	s_cbranch_execz .LBB90_217
; %bb.214:
	ds_read_b128 v[1:4], v60
	s_andn2_b32 vcc_lo, exec_lo, s34
	s_cbranch_vccnz .LBB90_216
; %bb.215:
	s_clause 0x3
	buffer_load_dword v62, v59, s[0:3], 0 offen offset:8
	buffer_load_dword v63, v59, s[0:3], 0 offen offset:12
	buffer_load_dword v66, v59, s[0:3], 0 offen
	buffer_load_dword v67, v59, s[0:3], 0 offen offset:4
	s_waitcnt vmcnt(2) lgkmcnt(0)
	v_mul_f64 v[68:69], v[3:4], v[62:63]
	v_mul_f64 v[62:63], v[1:2], v[62:63]
	s_waitcnt vmcnt(0)
	v_fma_f64 v[1:2], v[1:2], v[66:67], -v[68:69]
	v_fma_f64 v[3:4], v[3:4], v[66:67], v[62:63]
.LBB90_216:
	v_mov_b32_e32 v62, 0
	ds_read_b128 v[66:69], v62 offset:16
	s_waitcnt lgkmcnt(0)
	v_mul_f64 v[62:63], v[3:4], v[68:69]
	v_mul_f64 v[68:69], v[1:2], v[68:69]
	v_fma_f64 v[1:2], v[1:2], v[66:67], -v[62:63]
	v_fma_f64 v[3:4], v[3:4], v[66:67], v[68:69]
	buffer_store_dword v2, off, s[0:3], 0 offset:20
	buffer_store_dword v1, off, s[0:3], 0 offset:16
	;; [unrolled: 1-line block ×4, first 2 shown]
.LBB90_217:
	s_or_b32 exec_lo, exec_lo, s8
	v_mov_b32_e32 v4, s31
	s_mov_b32 s8, exec_lo
	s_clause 0x3
	buffer_load_dword v1, v4, s[0:3], 0 offen
	buffer_load_dword v2, v4, s[0:3], 0 offen offset:4
	buffer_load_dword v3, v4, s[0:3], 0 offen offset:8
	;; [unrolled: 1-line block ×3, first 2 shown]
	s_waitcnt vmcnt(0)
	ds_write_b128 v60, v[1:4]
	s_waitcnt lgkmcnt(0)
	s_waitcnt_vscnt null, 0x0
	s_barrier
	buffer_gl0_inv
	v_cmpx_gt_u32_e32 2, v0
	s_cbranch_execz .LBB90_223
; %bb.218:
	ds_read_b128 v[1:4], v60
	v_cmp_ne_u32_e32 vcc_lo, 1, v61
	s_cbranch_vccnz .LBB90_220
; %bb.219:
	s_clause 0x3
	buffer_load_dword v62, v59, s[0:3], 0 offen offset:8
	buffer_load_dword v63, v59, s[0:3], 0 offen offset:12
	buffer_load_dword v66, v59, s[0:3], 0 offen
	buffer_load_dword v67, v59, s[0:3], 0 offen offset:4
	s_waitcnt vmcnt(2) lgkmcnt(0)
	v_mul_f64 v[68:69], v[3:4], v[62:63]
	v_mul_f64 v[62:63], v[1:2], v[62:63]
	s_waitcnt vmcnt(0)
	v_fma_f64 v[1:2], v[1:2], v[66:67], -v[68:69]
	v_fma_f64 v[3:4], v[3:4], v[66:67], v[62:63]
.LBB90_220:
	s_and_saveexec_b32 s34, s4
	s_cbranch_execz .LBB90_222
; %bb.221:
	s_clause 0x3
	buffer_load_dword v62, off, s[0:3], 0 offset:24
	buffer_load_dword v63, off, s[0:3], 0 offset:28
	;; [unrolled: 1-line block ×4, first 2 shown]
	v_mov_b32_e32 v64, 0
	ds_read_b128 v[66:69], v64 offset:448
	s_waitcnt vmcnt(2) lgkmcnt(0)
	v_mul_f64 v[72:73], v[68:69], v[62:63]
	v_mul_f64 v[62:63], v[66:67], v[62:63]
	s_waitcnt vmcnt(0)
	v_fma_f64 v[66:67], v[66:67], v[70:71], -v[72:73]
	v_fma_f64 v[62:63], v[68:69], v[70:71], v[62:63]
	v_add_f64 v[1:2], v[1:2], v[66:67]
	v_add_f64 v[3:4], v[3:4], v[62:63]
.LBB90_222:
	s_or_b32 exec_lo, exec_lo, s34
	v_mov_b32_e32 v62, 0
	ds_read_b128 v[66:69], v62 offset:32
	s_waitcnt lgkmcnt(0)
	v_mul_f64 v[62:63], v[3:4], v[68:69]
	v_mul_f64 v[68:69], v[1:2], v[68:69]
	v_fma_f64 v[1:2], v[1:2], v[66:67], -v[62:63]
	v_fma_f64 v[3:4], v[3:4], v[66:67], v[68:69]
	buffer_store_dword v2, off, s[0:3], 0 offset:36
	buffer_store_dword v1, off, s[0:3], 0 offset:32
	;; [unrolled: 1-line block ×4, first 2 shown]
.LBB90_223:
	s_or_b32 exec_lo, exec_lo, s8
	v_mov_b32_e32 v4, s30
	s_mov_b32 s8, exec_lo
	s_clause 0x3
	buffer_load_dword v1, v4, s[0:3], 0 offen
	buffer_load_dword v2, v4, s[0:3], 0 offen offset:4
	buffer_load_dword v3, v4, s[0:3], 0 offen offset:8
	;; [unrolled: 1-line block ×3, first 2 shown]
	s_waitcnt vmcnt(0)
	ds_write_b128 v60, v[1:4]
	s_waitcnt lgkmcnt(0)
	s_waitcnt_vscnt null, 0x0
	s_barrier
	buffer_gl0_inv
	v_cmpx_gt_u32_e32 3, v0
	s_cbranch_execz .LBB90_231
; %bb.224:
	ds_read_b128 v[1:4], v60
	v_cmp_ne_u32_e32 vcc_lo, 1, v61
	s_cbranch_vccnz .LBB90_226
; %bb.225:
	s_clause 0x3
	buffer_load_dword v62, v59, s[0:3], 0 offen offset:8
	buffer_load_dword v63, v59, s[0:3], 0 offen offset:12
	buffer_load_dword v66, v59, s[0:3], 0 offen
	buffer_load_dword v67, v59, s[0:3], 0 offen offset:4
	s_waitcnt vmcnt(2) lgkmcnt(0)
	v_mul_f64 v[68:69], v[3:4], v[62:63]
	v_mul_f64 v[62:63], v[1:2], v[62:63]
	s_waitcnt vmcnt(0)
	v_fma_f64 v[1:2], v[1:2], v[66:67], -v[68:69]
	v_fma_f64 v[3:4], v[3:4], v[66:67], v[62:63]
.LBB90_226:
	s_mov_b32 s34, exec_lo
	v_cmpx_ne_u32_e32 2, v0
	s_cbranch_execz .LBB90_230
; %bb.227:
	s_clause 0x3
	buffer_load_dword v62, v59, s[0:3], 0 offen offset:24
	buffer_load_dword v63, v59, s[0:3], 0 offen offset:28
	;; [unrolled: 1-line block ×4, first 2 shown]
	ds_read_b128 v[66:69], v60 offset:16
	s_waitcnt vmcnt(2) lgkmcnt(0)
	v_mul_f64 v[72:73], v[68:69], v[62:63]
	v_mul_f64 v[62:63], v[66:67], v[62:63]
	s_waitcnt vmcnt(0)
	v_fma_f64 v[66:67], v[66:67], v[70:71], -v[72:73]
	v_fma_f64 v[62:63], v[68:69], v[70:71], v[62:63]
	v_add_f64 v[1:2], v[1:2], v[66:67]
	v_add_f64 v[3:4], v[3:4], v[62:63]
	s_and_saveexec_b32 s35, s4
	s_cbranch_execz .LBB90_229
; %bb.228:
	s_clause 0x3
	buffer_load_dword v62, off, s[0:3], 0 offset:40
	buffer_load_dword v63, off, s[0:3], 0 offset:44
	;; [unrolled: 1-line block ×4, first 2 shown]
	v_mov_b32_e32 v64, 0
	ds_read_b128 v[66:69], v64 offset:464
	s_waitcnt vmcnt(2) lgkmcnt(0)
	v_mul_f64 v[72:73], v[66:67], v[62:63]
	v_mul_f64 v[62:63], v[68:69], v[62:63]
	s_waitcnt vmcnt(0)
	v_fma_f64 v[68:69], v[68:69], v[70:71], v[72:73]
	v_fma_f64 v[62:63], v[66:67], v[70:71], -v[62:63]
	v_add_f64 v[3:4], v[3:4], v[68:69]
	v_add_f64 v[1:2], v[1:2], v[62:63]
.LBB90_229:
	s_or_b32 exec_lo, exec_lo, s35
.LBB90_230:
	s_or_b32 exec_lo, exec_lo, s34
	v_mov_b32_e32 v62, 0
	ds_read_b128 v[66:69], v62 offset:48
	s_waitcnt lgkmcnt(0)
	v_mul_f64 v[62:63], v[3:4], v[68:69]
	v_mul_f64 v[68:69], v[1:2], v[68:69]
	v_fma_f64 v[1:2], v[1:2], v[66:67], -v[62:63]
	v_fma_f64 v[3:4], v[3:4], v[66:67], v[68:69]
	buffer_store_dword v2, off, s[0:3], 0 offset:52
	buffer_store_dword v1, off, s[0:3], 0 offset:48
	;; [unrolled: 1-line block ×4, first 2 shown]
.LBB90_231:
	s_or_b32 exec_lo, exec_lo, s8
	v_mov_b32_e32 v4, s29
	s_mov_b32 s4, exec_lo
	s_clause 0x3
	buffer_load_dword v1, v4, s[0:3], 0 offen
	buffer_load_dword v2, v4, s[0:3], 0 offen offset:4
	buffer_load_dword v3, v4, s[0:3], 0 offen offset:8
	;; [unrolled: 1-line block ×3, first 2 shown]
	s_waitcnt vmcnt(0)
	ds_write_b128 v60, v[1:4]
	s_waitcnt lgkmcnt(0)
	s_waitcnt_vscnt null, 0x0
	s_barrier
	buffer_gl0_inv
	v_cmpx_gt_u32_e32 4, v0
	s_cbranch_execz .LBB90_239
; %bb.232:
	ds_read_b128 v[1:4], v60
	v_cmp_ne_u32_e32 vcc_lo, 1, v61
	s_cbranch_vccnz .LBB90_234
; %bb.233:
	s_clause 0x3
	buffer_load_dword v62, v59, s[0:3], 0 offen offset:8
	buffer_load_dword v63, v59, s[0:3], 0 offen offset:12
	buffer_load_dword v66, v59, s[0:3], 0 offen
	buffer_load_dword v67, v59, s[0:3], 0 offen offset:4
	s_waitcnt vmcnt(2) lgkmcnt(0)
	v_mul_f64 v[68:69], v[3:4], v[62:63]
	v_mul_f64 v[62:63], v[1:2], v[62:63]
	s_waitcnt vmcnt(0)
	v_fma_f64 v[1:2], v[1:2], v[66:67], -v[68:69]
	v_fma_f64 v[3:4], v[3:4], v[66:67], v[62:63]
.LBB90_234:
	s_mov_b32 s8, exec_lo
	v_cmpx_ne_u32_e32 3, v0
	s_cbranch_execz .LBB90_238
; %bb.235:
	v_add_nc_u32_e32 v62, 0x1c0, v65
	v_add3_u32 v63, 0, v65, 16
	v_mov_b32_e32 v64, v0
	s_mov_b32 s34, 0
	.p2align	6
.LBB90_236:                             ; =>This Inner Loop Header: Depth=1
	s_clause 0x3
	buffer_load_dword v70, v63, s[0:3], 0 offen offset:8
	buffer_load_dword v71, v63, s[0:3], 0 offen offset:12
	buffer_load_dword v72, v63, s[0:3], 0 offen
	buffer_load_dword v73, v63, s[0:3], 0 offen offset:4
	ds_read_b128 v[66:69], v62
	v_add_nc_u32_e32 v64, 1, v64
	v_add_nc_u32_e32 v62, 16, v62
	;; [unrolled: 1-line block ×3, first 2 shown]
	v_cmp_lt_u32_e32 vcc_lo, 2, v64
	s_or_b32 s34, vcc_lo, s34
	s_waitcnt vmcnt(2) lgkmcnt(0)
	v_mul_f64 v[74:75], v[68:69], v[70:71]
	v_mul_f64 v[70:71], v[66:67], v[70:71]
	s_waitcnt vmcnt(0)
	v_fma_f64 v[66:67], v[66:67], v[72:73], -v[74:75]
	v_fma_f64 v[68:69], v[68:69], v[72:73], v[70:71]
	v_add_f64 v[1:2], v[1:2], v[66:67]
	v_add_f64 v[3:4], v[3:4], v[68:69]
	s_andn2_b32 exec_lo, exec_lo, s34
	s_cbranch_execnz .LBB90_236
; %bb.237:
	s_or_b32 exec_lo, exec_lo, s34
.LBB90_238:
	s_or_b32 exec_lo, exec_lo, s8
	v_mov_b32_e32 v62, 0
	ds_read_b128 v[66:69], v62 offset:64
	s_waitcnt lgkmcnt(0)
	v_mul_f64 v[62:63], v[3:4], v[68:69]
	v_mul_f64 v[68:69], v[1:2], v[68:69]
	v_fma_f64 v[1:2], v[1:2], v[66:67], -v[62:63]
	v_fma_f64 v[3:4], v[3:4], v[66:67], v[68:69]
	buffer_store_dword v2, off, s[0:3], 0 offset:68
	buffer_store_dword v1, off, s[0:3], 0 offset:64
	;; [unrolled: 1-line block ×4, first 2 shown]
.LBB90_239:
	s_or_b32 exec_lo, exec_lo, s4
	v_mov_b32_e32 v4, s28
	s_mov_b32 s4, exec_lo
	s_clause 0x3
	buffer_load_dword v1, v4, s[0:3], 0 offen
	buffer_load_dword v2, v4, s[0:3], 0 offen offset:4
	buffer_load_dword v3, v4, s[0:3], 0 offen offset:8
	;; [unrolled: 1-line block ×3, first 2 shown]
	s_waitcnt vmcnt(0)
	ds_write_b128 v60, v[1:4]
	s_waitcnt lgkmcnt(0)
	s_waitcnt_vscnt null, 0x0
	s_barrier
	buffer_gl0_inv
	v_cmpx_gt_u32_e32 5, v0
	s_cbranch_execz .LBB90_247
; %bb.240:
	ds_read_b128 v[1:4], v60
	v_cmp_ne_u32_e32 vcc_lo, 1, v61
	s_cbranch_vccnz .LBB90_242
; %bb.241:
	s_clause 0x3
	buffer_load_dword v62, v59, s[0:3], 0 offen offset:8
	buffer_load_dword v63, v59, s[0:3], 0 offen offset:12
	buffer_load_dword v66, v59, s[0:3], 0 offen
	buffer_load_dword v67, v59, s[0:3], 0 offen offset:4
	s_waitcnt vmcnt(2) lgkmcnt(0)
	v_mul_f64 v[68:69], v[3:4], v[62:63]
	v_mul_f64 v[62:63], v[1:2], v[62:63]
	s_waitcnt vmcnt(0)
	v_fma_f64 v[1:2], v[1:2], v[66:67], -v[68:69]
	v_fma_f64 v[3:4], v[3:4], v[66:67], v[62:63]
.LBB90_242:
	s_mov_b32 s8, exec_lo
	v_cmpx_ne_u32_e32 4, v0
	s_cbranch_execz .LBB90_246
; %bb.243:
	v_add_nc_u32_e32 v62, 0x1c0, v65
	v_add3_u32 v63, 0, v65, 16
	v_mov_b32_e32 v64, v0
	s_mov_b32 s34, 0
	.p2align	6
.LBB90_244:                             ; =>This Inner Loop Header: Depth=1
	s_clause 0x3
	buffer_load_dword v70, v63, s[0:3], 0 offen offset:8
	buffer_load_dword v71, v63, s[0:3], 0 offen offset:12
	buffer_load_dword v72, v63, s[0:3], 0 offen
	buffer_load_dword v73, v63, s[0:3], 0 offen offset:4
	ds_read_b128 v[66:69], v62
	v_add_nc_u32_e32 v64, 1, v64
	v_add_nc_u32_e32 v62, 16, v62
	;; [unrolled: 1-line block ×3, first 2 shown]
	v_cmp_lt_u32_e32 vcc_lo, 3, v64
	s_or_b32 s34, vcc_lo, s34
	s_waitcnt vmcnt(2) lgkmcnt(0)
	v_mul_f64 v[74:75], v[68:69], v[70:71]
	v_mul_f64 v[70:71], v[66:67], v[70:71]
	s_waitcnt vmcnt(0)
	v_fma_f64 v[66:67], v[66:67], v[72:73], -v[74:75]
	v_fma_f64 v[68:69], v[68:69], v[72:73], v[70:71]
	v_add_f64 v[1:2], v[1:2], v[66:67]
	v_add_f64 v[3:4], v[3:4], v[68:69]
	s_andn2_b32 exec_lo, exec_lo, s34
	s_cbranch_execnz .LBB90_244
; %bb.245:
	s_or_b32 exec_lo, exec_lo, s34
.LBB90_246:
	s_or_b32 exec_lo, exec_lo, s8
	v_mov_b32_e32 v62, 0
	ds_read_b128 v[66:69], v62 offset:80
	s_waitcnt lgkmcnt(0)
	v_mul_f64 v[62:63], v[3:4], v[68:69]
	v_mul_f64 v[68:69], v[1:2], v[68:69]
	v_fma_f64 v[1:2], v[1:2], v[66:67], -v[62:63]
	v_fma_f64 v[3:4], v[3:4], v[66:67], v[68:69]
	buffer_store_dword v2, off, s[0:3], 0 offset:84
	buffer_store_dword v1, off, s[0:3], 0 offset:80
	;; [unrolled: 1-line block ×4, first 2 shown]
.LBB90_247:
	s_or_b32 exec_lo, exec_lo, s4
	v_mov_b32_e32 v4, s27
	s_mov_b32 s4, exec_lo
	s_clause 0x3
	buffer_load_dword v1, v4, s[0:3], 0 offen
	buffer_load_dword v2, v4, s[0:3], 0 offen offset:4
	buffer_load_dword v3, v4, s[0:3], 0 offen offset:8
	buffer_load_dword v4, v4, s[0:3], 0 offen offset:12
	s_waitcnt vmcnt(0)
	ds_write_b128 v60, v[1:4]
	s_waitcnt lgkmcnt(0)
	s_waitcnt_vscnt null, 0x0
	s_barrier
	buffer_gl0_inv
	v_cmpx_gt_u32_e32 6, v0
	s_cbranch_execz .LBB90_255
; %bb.248:
	ds_read_b128 v[1:4], v60
	v_cmp_ne_u32_e32 vcc_lo, 1, v61
	s_cbranch_vccnz .LBB90_250
; %bb.249:
	s_clause 0x3
	buffer_load_dword v62, v59, s[0:3], 0 offen offset:8
	buffer_load_dword v63, v59, s[0:3], 0 offen offset:12
	buffer_load_dword v66, v59, s[0:3], 0 offen
	buffer_load_dword v67, v59, s[0:3], 0 offen offset:4
	s_waitcnt vmcnt(2) lgkmcnt(0)
	v_mul_f64 v[68:69], v[3:4], v[62:63]
	v_mul_f64 v[62:63], v[1:2], v[62:63]
	s_waitcnt vmcnt(0)
	v_fma_f64 v[1:2], v[1:2], v[66:67], -v[68:69]
	v_fma_f64 v[3:4], v[3:4], v[66:67], v[62:63]
.LBB90_250:
	s_mov_b32 s8, exec_lo
	v_cmpx_ne_u32_e32 5, v0
	s_cbranch_execz .LBB90_254
; %bb.251:
	v_add_nc_u32_e32 v62, 0x1c0, v65
	v_add3_u32 v63, 0, v65, 16
	v_mov_b32_e32 v64, v0
	s_mov_b32 s34, 0
	.p2align	6
.LBB90_252:                             ; =>This Inner Loop Header: Depth=1
	s_clause 0x3
	buffer_load_dword v70, v63, s[0:3], 0 offen offset:8
	buffer_load_dword v71, v63, s[0:3], 0 offen offset:12
	buffer_load_dword v72, v63, s[0:3], 0 offen
	buffer_load_dword v73, v63, s[0:3], 0 offen offset:4
	ds_read_b128 v[66:69], v62
	v_add_nc_u32_e32 v64, 1, v64
	v_add_nc_u32_e32 v62, 16, v62
	;; [unrolled: 1-line block ×3, first 2 shown]
	v_cmp_lt_u32_e32 vcc_lo, 4, v64
	s_or_b32 s34, vcc_lo, s34
	s_waitcnt vmcnt(2) lgkmcnt(0)
	v_mul_f64 v[74:75], v[68:69], v[70:71]
	v_mul_f64 v[70:71], v[66:67], v[70:71]
	s_waitcnt vmcnt(0)
	v_fma_f64 v[66:67], v[66:67], v[72:73], -v[74:75]
	v_fma_f64 v[68:69], v[68:69], v[72:73], v[70:71]
	v_add_f64 v[1:2], v[1:2], v[66:67]
	v_add_f64 v[3:4], v[3:4], v[68:69]
	s_andn2_b32 exec_lo, exec_lo, s34
	s_cbranch_execnz .LBB90_252
; %bb.253:
	s_or_b32 exec_lo, exec_lo, s34
.LBB90_254:
	s_or_b32 exec_lo, exec_lo, s8
	v_mov_b32_e32 v62, 0
	ds_read_b128 v[66:69], v62 offset:96
	s_waitcnt lgkmcnt(0)
	v_mul_f64 v[62:63], v[3:4], v[68:69]
	v_mul_f64 v[68:69], v[1:2], v[68:69]
	v_fma_f64 v[1:2], v[1:2], v[66:67], -v[62:63]
	v_fma_f64 v[3:4], v[3:4], v[66:67], v[68:69]
	buffer_store_dword v2, off, s[0:3], 0 offset:100
	buffer_store_dword v1, off, s[0:3], 0 offset:96
	;; [unrolled: 1-line block ×4, first 2 shown]
.LBB90_255:
	s_or_b32 exec_lo, exec_lo, s4
	v_mov_b32_e32 v4, s26
	s_mov_b32 s4, exec_lo
	s_clause 0x3
	buffer_load_dword v1, v4, s[0:3], 0 offen
	buffer_load_dword v2, v4, s[0:3], 0 offen offset:4
	buffer_load_dword v3, v4, s[0:3], 0 offen offset:8
	;; [unrolled: 1-line block ×3, first 2 shown]
	s_waitcnt vmcnt(0)
	ds_write_b128 v60, v[1:4]
	s_waitcnt lgkmcnt(0)
	s_waitcnt_vscnt null, 0x0
	s_barrier
	buffer_gl0_inv
	v_cmpx_gt_u32_e32 7, v0
	s_cbranch_execz .LBB90_263
; %bb.256:
	ds_read_b128 v[1:4], v60
	v_cmp_ne_u32_e32 vcc_lo, 1, v61
	s_cbranch_vccnz .LBB90_258
; %bb.257:
	s_clause 0x3
	buffer_load_dword v62, v59, s[0:3], 0 offen offset:8
	buffer_load_dword v63, v59, s[0:3], 0 offen offset:12
	buffer_load_dword v66, v59, s[0:3], 0 offen
	buffer_load_dword v67, v59, s[0:3], 0 offen offset:4
	s_waitcnt vmcnt(2) lgkmcnt(0)
	v_mul_f64 v[68:69], v[3:4], v[62:63]
	v_mul_f64 v[62:63], v[1:2], v[62:63]
	s_waitcnt vmcnt(0)
	v_fma_f64 v[1:2], v[1:2], v[66:67], -v[68:69]
	v_fma_f64 v[3:4], v[3:4], v[66:67], v[62:63]
.LBB90_258:
	s_mov_b32 s8, exec_lo
	v_cmpx_ne_u32_e32 6, v0
	s_cbranch_execz .LBB90_262
; %bb.259:
	v_add_nc_u32_e32 v62, 0x1c0, v65
	v_add3_u32 v63, 0, v65, 16
	v_mov_b32_e32 v64, v0
	s_mov_b32 s34, 0
	.p2align	6
.LBB90_260:                             ; =>This Inner Loop Header: Depth=1
	s_clause 0x3
	buffer_load_dword v70, v63, s[0:3], 0 offen offset:8
	buffer_load_dword v71, v63, s[0:3], 0 offen offset:12
	buffer_load_dword v72, v63, s[0:3], 0 offen
	buffer_load_dword v73, v63, s[0:3], 0 offen offset:4
	ds_read_b128 v[66:69], v62
	v_add_nc_u32_e32 v64, 1, v64
	v_add_nc_u32_e32 v62, 16, v62
	;; [unrolled: 1-line block ×3, first 2 shown]
	v_cmp_lt_u32_e32 vcc_lo, 5, v64
	s_or_b32 s34, vcc_lo, s34
	s_waitcnt vmcnt(2) lgkmcnt(0)
	v_mul_f64 v[74:75], v[68:69], v[70:71]
	v_mul_f64 v[70:71], v[66:67], v[70:71]
	s_waitcnt vmcnt(0)
	v_fma_f64 v[66:67], v[66:67], v[72:73], -v[74:75]
	v_fma_f64 v[68:69], v[68:69], v[72:73], v[70:71]
	v_add_f64 v[1:2], v[1:2], v[66:67]
	v_add_f64 v[3:4], v[3:4], v[68:69]
	s_andn2_b32 exec_lo, exec_lo, s34
	s_cbranch_execnz .LBB90_260
; %bb.261:
	s_or_b32 exec_lo, exec_lo, s34
.LBB90_262:
	s_or_b32 exec_lo, exec_lo, s8
	v_mov_b32_e32 v62, 0
	ds_read_b128 v[66:69], v62 offset:112
	s_waitcnt lgkmcnt(0)
	v_mul_f64 v[62:63], v[3:4], v[68:69]
	v_mul_f64 v[68:69], v[1:2], v[68:69]
	v_fma_f64 v[1:2], v[1:2], v[66:67], -v[62:63]
	v_fma_f64 v[3:4], v[3:4], v[66:67], v[68:69]
	buffer_store_dword v2, off, s[0:3], 0 offset:116
	buffer_store_dword v1, off, s[0:3], 0 offset:112
	;; [unrolled: 1-line block ×4, first 2 shown]
.LBB90_263:
	s_or_b32 exec_lo, exec_lo, s4
	v_mov_b32_e32 v4, s25
	s_mov_b32 s4, exec_lo
	s_clause 0x3
	buffer_load_dword v1, v4, s[0:3], 0 offen
	buffer_load_dword v2, v4, s[0:3], 0 offen offset:4
	buffer_load_dword v3, v4, s[0:3], 0 offen offset:8
	;; [unrolled: 1-line block ×3, first 2 shown]
	s_waitcnt vmcnt(0)
	ds_write_b128 v60, v[1:4]
	s_waitcnt lgkmcnt(0)
	s_waitcnt_vscnt null, 0x0
	s_barrier
	buffer_gl0_inv
	v_cmpx_gt_u32_e32 8, v0
	s_cbranch_execz .LBB90_271
; %bb.264:
	ds_read_b128 v[1:4], v60
	v_cmp_ne_u32_e32 vcc_lo, 1, v61
	s_cbranch_vccnz .LBB90_266
; %bb.265:
	s_clause 0x3
	buffer_load_dword v62, v59, s[0:3], 0 offen offset:8
	buffer_load_dword v63, v59, s[0:3], 0 offen offset:12
	buffer_load_dword v66, v59, s[0:3], 0 offen
	buffer_load_dword v67, v59, s[0:3], 0 offen offset:4
	s_waitcnt vmcnt(2) lgkmcnt(0)
	v_mul_f64 v[68:69], v[3:4], v[62:63]
	v_mul_f64 v[62:63], v[1:2], v[62:63]
	s_waitcnt vmcnt(0)
	v_fma_f64 v[1:2], v[1:2], v[66:67], -v[68:69]
	v_fma_f64 v[3:4], v[3:4], v[66:67], v[62:63]
.LBB90_266:
	s_mov_b32 s8, exec_lo
	v_cmpx_ne_u32_e32 7, v0
	s_cbranch_execz .LBB90_270
; %bb.267:
	v_add_nc_u32_e32 v62, 0x1c0, v65
	v_add3_u32 v63, 0, v65, 16
	v_mov_b32_e32 v64, v0
	s_mov_b32 s34, 0
	.p2align	6
.LBB90_268:                             ; =>This Inner Loop Header: Depth=1
	s_clause 0x3
	buffer_load_dword v70, v63, s[0:3], 0 offen offset:8
	buffer_load_dword v71, v63, s[0:3], 0 offen offset:12
	buffer_load_dword v72, v63, s[0:3], 0 offen
	buffer_load_dword v73, v63, s[0:3], 0 offen offset:4
	ds_read_b128 v[66:69], v62
	v_add_nc_u32_e32 v64, 1, v64
	v_add_nc_u32_e32 v62, 16, v62
	;; [unrolled: 1-line block ×3, first 2 shown]
	v_cmp_lt_u32_e32 vcc_lo, 6, v64
	s_or_b32 s34, vcc_lo, s34
	s_waitcnt vmcnt(2) lgkmcnt(0)
	v_mul_f64 v[74:75], v[68:69], v[70:71]
	v_mul_f64 v[70:71], v[66:67], v[70:71]
	s_waitcnt vmcnt(0)
	v_fma_f64 v[66:67], v[66:67], v[72:73], -v[74:75]
	v_fma_f64 v[68:69], v[68:69], v[72:73], v[70:71]
	v_add_f64 v[1:2], v[1:2], v[66:67]
	v_add_f64 v[3:4], v[3:4], v[68:69]
	s_andn2_b32 exec_lo, exec_lo, s34
	s_cbranch_execnz .LBB90_268
; %bb.269:
	s_or_b32 exec_lo, exec_lo, s34
.LBB90_270:
	s_or_b32 exec_lo, exec_lo, s8
	v_mov_b32_e32 v62, 0
	ds_read_b128 v[66:69], v62 offset:128
	s_waitcnt lgkmcnt(0)
	v_mul_f64 v[62:63], v[3:4], v[68:69]
	v_mul_f64 v[68:69], v[1:2], v[68:69]
	v_fma_f64 v[1:2], v[1:2], v[66:67], -v[62:63]
	v_fma_f64 v[3:4], v[3:4], v[66:67], v[68:69]
	buffer_store_dword v2, off, s[0:3], 0 offset:132
	buffer_store_dword v1, off, s[0:3], 0 offset:128
	;; [unrolled: 1-line block ×4, first 2 shown]
.LBB90_271:
	s_or_b32 exec_lo, exec_lo, s4
	v_mov_b32_e32 v4, s24
	s_mov_b32 s4, exec_lo
	s_clause 0x3
	buffer_load_dword v1, v4, s[0:3], 0 offen
	buffer_load_dword v2, v4, s[0:3], 0 offen offset:4
	buffer_load_dword v3, v4, s[0:3], 0 offen offset:8
	;; [unrolled: 1-line block ×3, first 2 shown]
	s_waitcnt vmcnt(0)
	ds_write_b128 v60, v[1:4]
	s_waitcnt lgkmcnt(0)
	s_waitcnt_vscnt null, 0x0
	s_barrier
	buffer_gl0_inv
	v_cmpx_gt_u32_e32 9, v0
	s_cbranch_execz .LBB90_279
; %bb.272:
	ds_read_b128 v[1:4], v60
	v_cmp_ne_u32_e32 vcc_lo, 1, v61
	s_cbranch_vccnz .LBB90_274
; %bb.273:
	s_clause 0x3
	buffer_load_dword v62, v59, s[0:3], 0 offen offset:8
	buffer_load_dword v63, v59, s[0:3], 0 offen offset:12
	buffer_load_dword v66, v59, s[0:3], 0 offen
	buffer_load_dword v67, v59, s[0:3], 0 offen offset:4
	s_waitcnt vmcnt(2) lgkmcnt(0)
	v_mul_f64 v[68:69], v[3:4], v[62:63]
	v_mul_f64 v[62:63], v[1:2], v[62:63]
	s_waitcnt vmcnt(0)
	v_fma_f64 v[1:2], v[1:2], v[66:67], -v[68:69]
	v_fma_f64 v[3:4], v[3:4], v[66:67], v[62:63]
.LBB90_274:
	s_mov_b32 s8, exec_lo
	v_cmpx_ne_u32_e32 8, v0
	s_cbranch_execz .LBB90_278
; %bb.275:
	v_add_nc_u32_e32 v62, 0x1c0, v65
	v_add3_u32 v63, 0, v65, 16
	v_mov_b32_e32 v64, v0
	s_mov_b32 s34, 0
	.p2align	6
.LBB90_276:                             ; =>This Inner Loop Header: Depth=1
	s_clause 0x3
	buffer_load_dword v70, v63, s[0:3], 0 offen offset:8
	buffer_load_dword v71, v63, s[0:3], 0 offen offset:12
	buffer_load_dword v72, v63, s[0:3], 0 offen
	buffer_load_dword v73, v63, s[0:3], 0 offen offset:4
	ds_read_b128 v[66:69], v62
	v_add_nc_u32_e32 v64, 1, v64
	v_add_nc_u32_e32 v62, 16, v62
	;; [unrolled: 1-line block ×3, first 2 shown]
	v_cmp_lt_u32_e32 vcc_lo, 7, v64
	s_or_b32 s34, vcc_lo, s34
	s_waitcnt vmcnt(2) lgkmcnt(0)
	v_mul_f64 v[74:75], v[68:69], v[70:71]
	v_mul_f64 v[70:71], v[66:67], v[70:71]
	s_waitcnt vmcnt(0)
	v_fma_f64 v[66:67], v[66:67], v[72:73], -v[74:75]
	v_fma_f64 v[68:69], v[68:69], v[72:73], v[70:71]
	v_add_f64 v[1:2], v[1:2], v[66:67]
	v_add_f64 v[3:4], v[3:4], v[68:69]
	s_andn2_b32 exec_lo, exec_lo, s34
	s_cbranch_execnz .LBB90_276
; %bb.277:
	s_or_b32 exec_lo, exec_lo, s34
.LBB90_278:
	s_or_b32 exec_lo, exec_lo, s8
	v_mov_b32_e32 v62, 0
	ds_read_b128 v[66:69], v62 offset:144
	s_waitcnt lgkmcnt(0)
	v_mul_f64 v[62:63], v[3:4], v[68:69]
	v_mul_f64 v[68:69], v[1:2], v[68:69]
	v_fma_f64 v[1:2], v[1:2], v[66:67], -v[62:63]
	v_fma_f64 v[3:4], v[3:4], v[66:67], v[68:69]
	buffer_store_dword v2, off, s[0:3], 0 offset:148
	buffer_store_dword v1, off, s[0:3], 0 offset:144
	;; [unrolled: 1-line block ×4, first 2 shown]
.LBB90_279:
	s_or_b32 exec_lo, exec_lo, s4
	v_mov_b32_e32 v4, s23
	s_mov_b32 s4, exec_lo
	s_clause 0x3
	buffer_load_dword v1, v4, s[0:3], 0 offen
	buffer_load_dword v2, v4, s[0:3], 0 offen offset:4
	buffer_load_dword v3, v4, s[0:3], 0 offen offset:8
	;; [unrolled: 1-line block ×3, first 2 shown]
	s_waitcnt vmcnt(0)
	ds_write_b128 v60, v[1:4]
	s_waitcnt lgkmcnt(0)
	s_waitcnt_vscnt null, 0x0
	s_barrier
	buffer_gl0_inv
	v_cmpx_gt_u32_e32 10, v0
	s_cbranch_execz .LBB90_287
; %bb.280:
	ds_read_b128 v[1:4], v60
	v_cmp_ne_u32_e32 vcc_lo, 1, v61
	s_cbranch_vccnz .LBB90_282
; %bb.281:
	s_clause 0x3
	buffer_load_dword v62, v59, s[0:3], 0 offen offset:8
	buffer_load_dword v63, v59, s[0:3], 0 offen offset:12
	buffer_load_dword v66, v59, s[0:3], 0 offen
	buffer_load_dword v67, v59, s[0:3], 0 offen offset:4
	s_waitcnt vmcnt(2) lgkmcnt(0)
	v_mul_f64 v[68:69], v[3:4], v[62:63]
	v_mul_f64 v[62:63], v[1:2], v[62:63]
	s_waitcnt vmcnt(0)
	v_fma_f64 v[1:2], v[1:2], v[66:67], -v[68:69]
	v_fma_f64 v[3:4], v[3:4], v[66:67], v[62:63]
.LBB90_282:
	s_mov_b32 s8, exec_lo
	v_cmpx_ne_u32_e32 9, v0
	s_cbranch_execz .LBB90_286
; %bb.283:
	v_add_nc_u32_e32 v62, 0x1c0, v65
	v_add3_u32 v63, 0, v65, 16
	v_mov_b32_e32 v64, v0
	s_mov_b32 s34, 0
	.p2align	6
.LBB90_284:                             ; =>This Inner Loop Header: Depth=1
	s_clause 0x3
	buffer_load_dword v70, v63, s[0:3], 0 offen offset:8
	buffer_load_dword v71, v63, s[0:3], 0 offen offset:12
	buffer_load_dword v72, v63, s[0:3], 0 offen
	buffer_load_dword v73, v63, s[0:3], 0 offen offset:4
	ds_read_b128 v[66:69], v62
	v_add_nc_u32_e32 v64, 1, v64
	v_add_nc_u32_e32 v62, 16, v62
	;; [unrolled: 1-line block ×3, first 2 shown]
	v_cmp_lt_u32_e32 vcc_lo, 8, v64
	s_or_b32 s34, vcc_lo, s34
	s_waitcnt vmcnt(2) lgkmcnt(0)
	v_mul_f64 v[74:75], v[68:69], v[70:71]
	v_mul_f64 v[70:71], v[66:67], v[70:71]
	s_waitcnt vmcnt(0)
	v_fma_f64 v[66:67], v[66:67], v[72:73], -v[74:75]
	v_fma_f64 v[68:69], v[68:69], v[72:73], v[70:71]
	v_add_f64 v[1:2], v[1:2], v[66:67]
	v_add_f64 v[3:4], v[3:4], v[68:69]
	s_andn2_b32 exec_lo, exec_lo, s34
	s_cbranch_execnz .LBB90_284
; %bb.285:
	s_or_b32 exec_lo, exec_lo, s34
.LBB90_286:
	s_or_b32 exec_lo, exec_lo, s8
	v_mov_b32_e32 v62, 0
	ds_read_b128 v[66:69], v62 offset:160
	s_waitcnt lgkmcnt(0)
	v_mul_f64 v[62:63], v[3:4], v[68:69]
	v_mul_f64 v[68:69], v[1:2], v[68:69]
	v_fma_f64 v[1:2], v[1:2], v[66:67], -v[62:63]
	v_fma_f64 v[3:4], v[3:4], v[66:67], v[68:69]
	buffer_store_dword v2, off, s[0:3], 0 offset:164
	buffer_store_dword v1, off, s[0:3], 0 offset:160
	;; [unrolled: 1-line block ×4, first 2 shown]
.LBB90_287:
	s_or_b32 exec_lo, exec_lo, s4
	v_mov_b32_e32 v4, s22
	s_mov_b32 s4, exec_lo
	s_clause 0x3
	buffer_load_dword v1, v4, s[0:3], 0 offen
	buffer_load_dword v2, v4, s[0:3], 0 offen offset:4
	buffer_load_dword v3, v4, s[0:3], 0 offen offset:8
	;; [unrolled: 1-line block ×3, first 2 shown]
	s_waitcnt vmcnt(0)
	ds_write_b128 v60, v[1:4]
	s_waitcnt lgkmcnt(0)
	s_waitcnt_vscnt null, 0x0
	s_barrier
	buffer_gl0_inv
	v_cmpx_gt_u32_e32 11, v0
	s_cbranch_execz .LBB90_295
; %bb.288:
	ds_read_b128 v[1:4], v60
	v_cmp_ne_u32_e32 vcc_lo, 1, v61
	s_cbranch_vccnz .LBB90_290
; %bb.289:
	s_clause 0x3
	buffer_load_dword v62, v59, s[0:3], 0 offen offset:8
	buffer_load_dword v63, v59, s[0:3], 0 offen offset:12
	buffer_load_dword v66, v59, s[0:3], 0 offen
	buffer_load_dword v67, v59, s[0:3], 0 offen offset:4
	s_waitcnt vmcnt(2) lgkmcnt(0)
	v_mul_f64 v[68:69], v[3:4], v[62:63]
	v_mul_f64 v[62:63], v[1:2], v[62:63]
	s_waitcnt vmcnt(0)
	v_fma_f64 v[1:2], v[1:2], v[66:67], -v[68:69]
	v_fma_f64 v[3:4], v[3:4], v[66:67], v[62:63]
.LBB90_290:
	s_mov_b32 s8, exec_lo
	v_cmpx_ne_u32_e32 10, v0
	s_cbranch_execz .LBB90_294
; %bb.291:
	v_add_nc_u32_e32 v62, 0x1c0, v65
	v_add3_u32 v63, 0, v65, 16
	v_mov_b32_e32 v64, v0
	s_mov_b32 s34, 0
	.p2align	6
.LBB90_292:                             ; =>This Inner Loop Header: Depth=1
	s_clause 0x3
	buffer_load_dword v70, v63, s[0:3], 0 offen offset:8
	buffer_load_dword v71, v63, s[0:3], 0 offen offset:12
	buffer_load_dword v72, v63, s[0:3], 0 offen
	buffer_load_dword v73, v63, s[0:3], 0 offen offset:4
	ds_read_b128 v[66:69], v62
	v_add_nc_u32_e32 v64, 1, v64
	v_add_nc_u32_e32 v62, 16, v62
	;; [unrolled: 1-line block ×3, first 2 shown]
	v_cmp_lt_u32_e32 vcc_lo, 9, v64
	s_or_b32 s34, vcc_lo, s34
	s_waitcnt vmcnt(2) lgkmcnt(0)
	v_mul_f64 v[74:75], v[68:69], v[70:71]
	v_mul_f64 v[70:71], v[66:67], v[70:71]
	s_waitcnt vmcnt(0)
	v_fma_f64 v[66:67], v[66:67], v[72:73], -v[74:75]
	v_fma_f64 v[68:69], v[68:69], v[72:73], v[70:71]
	v_add_f64 v[1:2], v[1:2], v[66:67]
	v_add_f64 v[3:4], v[3:4], v[68:69]
	s_andn2_b32 exec_lo, exec_lo, s34
	s_cbranch_execnz .LBB90_292
; %bb.293:
	s_or_b32 exec_lo, exec_lo, s34
.LBB90_294:
	s_or_b32 exec_lo, exec_lo, s8
	v_mov_b32_e32 v62, 0
	ds_read_b128 v[66:69], v62 offset:176
	s_waitcnt lgkmcnt(0)
	v_mul_f64 v[62:63], v[3:4], v[68:69]
	v_mul_f64 v[68:69], v[1:2], v[68:69]
	v_fma_f64 v[1:2], v[1:2], v[66:67], -v[62:63]
	v_fma_f64 v[3:4], v[3:4], v[66:67], v[68:69]
	buffer_store_dword v2, off, s[0:3], 0 offset:180
	buffer_store_dword v1, off, s[0:3], 0 offset:176
	buffer_store_dword v4, off, s[0:3], 0 offset:188
	buffer_store_dword v3, off, s[0:3], 0 offset:184
.LBB90_295:
	s_or_b32 exec_lo, exec_lo, s4
	v_mov_b32_e32 v4, s21
	s_mov_b32 s4, exec_lo
	s_clause 0x3
	buffer_load_dword v1, v4, s[0:3], 0 offen
	buffer_load_dword v2, v4, s[0:3], 0 offen offset:4
	buffer_load_dword v3, v4, s[0:3], 0 offen offset:8
	;; [unrolled: 1-line block ×3, first 2 shown]
	s_waitcnt vmcnt(0)
	ds_write_b128 v60, v[1:4]
	s_waitcnt lgkmcnt(0)
	s_waitcnt_vscnt null, 0x0
	s_barrier
	buffer_gl0_inv
	v_cmpx_gt_u32_e32 12, v0
	s_cbranch_execz .LBB90_303
; %bb.296:
	ds_read_b128 v[1:4], v60
	v_cmp_ne_u32_e32 vcc_lo, 1, v61
	s_cbranch_vccnz .LBB90_298
; %bb.297:
	s_clause 0x3
	buffer_load_dword v62, v59, s[0:3], 0 offen offset:8
	buffer_load_dword v63, v59, s[0:3], 0 offen offset:12
	buffer_load_dword v66, v59, s[0:3], 0 offen
	buffer_load_dword v67, v59, s[0:3], 0 offen offset:4
	s_waitcnt vmcnt(2) lgkmcnt(0)
	v_mul_f64 v[68:69], v[3:4], v[62:63]
	v_mul_f64 v[62:63], v[1:2], v[62:63]
	s_waitcnt vmcnt(0)
	v_fma_f64 v[1:2], v[1:2], v[66:67], -v[68:69]
	v_fma_f64 v[3:4], v[3:4], v[66:67], v[62:63]
.LBB90_298:
	s_mov_b32 s8, exec_lo
	v_cmpx_ne_u32_e32 11, v0
	s_cbranch_execz .LBB90_302
; %bb.299:
	v_add_nc_u32_e32 v62, 0x1c0, v65
	v_add3_u32 v63, 0, v65, 16
	v_mov_b32_e32 v64, v0
	s_mov_b32 s34, 0
	.p2align	6
.LBB90_300:                             ; =>This Inner Loop Header: Depth=1
	s_clause 0x3
	buffer_load_dword v70, v63, s[0:3], 0 offen offset:8
	buffer_load_dword v71, v63, s[0:3], 0 offen offset:12
	buffer_load_dword v72, v63, s[0:3], 0 offen
	buffer_load_dword v73, v63, s[0:3], 0 offen offset:4
	ds_read_b128 v[66:69], v62
	v_add_nc_u32_e32 v64, 1, v64
	v_add_nc_u32_e32 v62, 16, v62
	;; [unrolled: 1-line block ×3, first 2 shown]
	v_cmp_lt_u32_e32 vcc_lo, 10, v64
	s_or_b32 s34, vcc_lo, s34
	s_waitcnt vmcnt(2) lgkmcnt(0)
	v_mul_f64 v[74:75], v[68:69], v[70:71]
	v_mul_f64 v[70:71], v[66:67], v[70:71]
	s_waitcnt vmcnt(0)
	v_fma_f64 v[66:67], v[66:67], v[72:73], -v[74:75]
	v_fma_f64 v[68:69], v[68:69], v[72:73], v[70:71]
	v_add_f64 v[1:2], v[1:2], v[66:67]
	v_add_f64 v[3:4], v[3:4], v[68:69]
	s_andn2_b32 exec_lo, exec_lo, s34
	s_cbranch_execnz .LBB90_300
; %bb.301:
	s_or_b32 exec_lo, exec_lo, s34
.LBB90_302:
	s_or_b32 exec_lo, exec_lo, s8
	v_mov_b32_e32 v62, 0
	ds_read_b128 v[66:69], v62 offset:192
	s_waitcnt lgkmcnt(0)
	v_mul_f64 v[62:63], v[3:4], v[68:69]
	v_mul_f64 v[68:69], v[1:2], v[68:69]
	v_fma_f64 v[1:2], v[1:2], v[66:67], -v[62:63]
	v_fma_f64 v[3:4], v[3:4], v[66:67], v[68:69]
	buffer_store_dword v2, off, s[0:3], 0 offset:196
	buffer_store_dword v1, off, s[0:3], 0 offset:192
	;; [unrolled: 1-line block ×4, first 2 shown]
.LBB90_303:
	s_or_b32 exec_lo, exec_lo, s4
	v_mov_b32_e32 v4, s20
	s_mov_b32 s4, exec_lo
	s_clause 0x3
	buffer_load_dword v1, v4, s[0:3], 0 offen
	buffer_load_dword v2, v4, s[0:3], 0 offen offset:4
	buffer_load_dword v3, v4, s[0:3], 0 offen offset:8
	;; [unrolled: 1-line block ×3, first 2 shown]
	s_waitcnt vmcnt(0)
	ds_write_b128 v60, v[1:4]
	s_waitcnt lgkmcnt(0)
	s_waitcnt_vscnt null, 0x0
	s_barrier
	buffer_gl0_inv
	v_cmpx_gt_u32_e32 13, v0
	s_cbranch_execz .LBB90_311
; %bb.304:
	ds_read_b128 v[1:4], v60
	v_cmp_ne_u32_e32 vcc_lo, 1, v61
	s_cbranch_vccnz .LBB90_306
; %bb.305:
	s_clause 0x3
	buffer_load_dword v62, v59, s[0:3], 0 offen offset:8
	buffer_load_dword v63, v59, s[0:3], 0 offen offset:12
	buffer_load_dword v66, v59, s[0:3], 0 offen
	buffer_load_dword v67, v59, s[0:3], 0 offen offset:4
	s_waitcnt vmcnt(2) lgkmcnt(0)
	v_mul_f64 v[68:69], v[3:4], v[62:63]
	v_mul_f64 v[62:63], v[1:2], v[62:63]
	s_waitcnt vmcnt(0)
	v_fma_f64 v[1:2], v[1:2], v[66:67], -v[68:69]
	v_fma_f64 v[3:4], v[3:4], v[66:67], v[62:63]
.LBB90_306:
	s_mov_b32 s8, exec_lo
	v_cmpx_ne_u32_e32 12, v0
	s_cbranch_execz .LBB90_310
; %bb.307:
	v_add_nc_u32_e32 v62, 0x1c0, v65
	v_add3_u32 v63, 0, v65, 16
	v_mov_b32_e32 v64, v0
	s_mov_b32 s34, 0
	.p2align	6
.LBB90_308:                             ; =>This Inner Loop Header: Depth=1
	s_clause 0x3
	buffer_load_dword v70, v63, s[0:3], 0 offen offset:8
	buffer_load_dword v71, v63, s[0:3], 0 offen offset:12
	buffer_load_dword v72, v63, s[0:3], 0 offen
	buffer_load_dword v73, v63, s[0:3], 0 offen offset:4
	ds_read_b128 v[66:69], v62
	v_add_nc_u32_e32 v64, 1, v64
	v_add_nc_u32_e32 v62, 16, v62
	;; [unrolled: 1-line block ×3, first 2 shown]
	v_cmp_lt_u32_e32 vcc_lo, 11, v64
	s_or_b32 s34, vcc_lo, s34
	s_waitcnt vmcnt(2) lgkmcnt(0)
	v_mul_f64 v[74:75], v[68:69], v[70:71]
	v_mul_f64 v[70:71], v[66:67], v[70:71]
	s_waitcnt vmcnt(0)
	v_fma_f64 v[66:67], v[66:67], v[72:73], -v[74:75]
	v_fma_f64 v[68:69], v[68:69], v[72:73], v[70:71]
	v_add_f64 v[1:2], v[1:2], v[66:67]
	v_add_f64 v[3:4], v[3:4], v[68:69]
	s_andn2_b32 exec_lo, exec_lo, s34
	s_cbranch_execnz .LBB90_308
; %bb.309:
	s_or_b32 exec_lo, exec_lo, s34
.LBB90_310:
	s_or_b32 exec_lo, exec_lo, s8
	v_mov_b32_e32 v62, 0
	ds_read_b128 v[66:69], v62 offset:208
	s_waitcnt lgkmcnt(0)
	v_mul_f64 v[62:63], v[3:4], v[68:69]
	v_mul_f64 v[68:69], v[1:2], v[68:69]
	v_fma_f64 v[1:2], v[1:2], v[66:67], -v[62:63]
	v_fma_f64 v[3:4], v[3:4], v[66:67], v[68:69]
	buffer_store_dword v2, off, s[0:3], 0 offset:212
	buffer_store_dword v1, off, s[0:3], 0 offset:208
	;; [unrolled: 1-line block ×4, first 2 shown]
.LBB90_311:
	s_or_b32 exec_lo, exec_lo, s4
	v_mov_b32_e32 v4, s19
	s_mov_b32 s4, exec_lo
	s_clause 0x3
	buffer_load_dword v1, v4, s[0:3], 0 offen
	buffer_load_dword v2, v4, s[0:3], 0 offen offset:4
	buffer_load_dword v3, v4, s[0:3], 0 offen offset:8
	;; [unrolled: 1-line block ×3, first 2 shown]
	s_waitcnt vmcnt(0)
	ds_write_b128 v60, v[1:4]
	s_waitcnt lgkmcnt(0)
	s_waitcnt_vscnt null, 0x0
	s_barrier
	buffer_gl0_inv
	v_cmpx_gt_u32_e32 14, v0
	s_cbranch_execz .LBB90_319
; %bb.312:
	ds_read_b128 v[1:4], v60
	v_cmp_ne_u32_e32 vcc_lo, 1, v61
	s_cbranch_vccnz .LBB90_314
; %bb.313:
	s_clause 0x3
	buffer_load_dword v62, v59, s[0:3], 0 offen offset:8
	buffer_load_dword v63, v59, s[0:3], 0 offen offset:12
	buffer_load_dword v66, v59, s[0:3], 0 offen
	buffer_load_dword v67, v59, s[0:3], 0 offen offset:4
	s_waitcnt vmcnt(2) lgkmcnt(0)
	v_mul_f64 v[68:69], v[3:4], v[62:63]
	v_mul_f64 v[62:63], v[1:2], v[62:63]
	s_waitcnt vmcnt(0)
	v_fma_f64 v[1:2], v[1:2], v[66:67], -v[68:69]
	v_fma_f64 v[3:4], v[3:4], v[66:67], v[62:63]
.LBB90_314:
	s_mov_b32 s8, exec_lo
	v_cmpx_ne_u32_e32 13, v0
	s_cbranch_execz .LBB90_318
; %bb.315:
	v_add_nc_u32_e32 v62, 0x1c0, v65
	v_add3_u32 v63, 0, v65, 16
	v_mov_b32_e32 v64, v0
	s_mov_b32 s34, 0
	.p2align	6
.LBB90_316:                             ; =>This Inner Loop Header: Depth=1
	s_clause 0x3
	buffer_load_dword v70, v63, s[0:3], 0 offen offset:8
	buffer_load_dword v71, v63, s[0:3], 0 offen offset:12
	buffer_load_dword v72, v63, s[0:3], 0 offen
	buffer_load_dword v73, v63, s[0:3], 0 offen offset:4
	ds_read_b128 v[66:69], v62
	v_add_nc_u32_e32 v64, 1, v64
	v_add_nc_u32_e32 v62, 16, v62
	v_add_nc_u32_e32 v63, 16, v63
	v_cmp_lt_u32_e32 vcc_lo, 12, v64
	s_or_b32 s34, vcc_lo, s34
	s_waitcnt vmcnt(2) lgkmcnt(0)
	v_mul_f64 v[74:75], v[68:69], v[70:71]
	v_mul_f64 v[70:71], v[66:67], v[70:71]
	s_waitcnt vmcnt(0)
	v_fma_f64 v[66:67], v[66:67], v[72:73], -v[74:75]
	v_fma_f64 v[68:69], v[68:69], v[72:73], v[70:71]
	v_add_f64 v[1:2], v[1:2], v[66:67]
	v_add_f64 v[3:4], v[3:4], v[68:69]
	s_andn2_b32 exec_lo, exec_lo, s34
	s_cbranch_execnz .LBB90_316
; %bb.317:
	s_or_b32 exec_lo, exec_lo, s34
.LBB90_318:
	s_or_b32 exec_lo, exec_lo, s8
	v_mov_b32_e32 v62, 0
	ds_read_b128 v[66:69], v62 offset:224
	s_waitcnt lgkmcnt(0)
	v_mul_f64 v[62:63], v[3:4], v[68:69]
	v_mul_f64 v[68:69], v[1:2], v[68:69]
	v_fma_f64 v[1:2], v[1:2], v[66:67], -v[62:63]
	v_fma_f64 v[3:4], v[3:4], v[66:67], v[68:69]
	buffer_store_dword v2, off, s[0:3], 0 offset:228
	buffer_store_dword v1, off, s[0:3], 0 offset:224
	;; [unrolled: 1-line block ×4, first 2 shown]
.LBB90_319:
	s_or_b32 exec_lo, exec_lo, s4
	v_mov_b32_e32 v4, s18
	s_mov_b32 s4, exec_lo
	s_clause 0x3
	buffer_load_dword v1, v4, s[0:3], 0 offen
	buffer_load_dword v2, v4, s[0:3], 0 offen offset:4
	buffer_load_dword v3, v4, s[0:3], 0 offen offset:8
	;; [unrolled: 1-line block ×3, first 2 shown]
	s_waitcnt vmcnt(0)
	ds_write_b128 v60, v[1:4]
	s_waitcnt lgkmcnt(0)
	s_waitcnt_vscnt null, 0x0
	s_barrier
	buffer_gl0_inv
	v_cmpx_gt_u32_e32 15, v0
	s_cbranch_execz .LBB90_327
; %bb.320:
	ds_read_b128 v[1:4], v60
	v_cmp_ne_u32_e32 vcc_lo, 1, v61
	s_cbranch_vccnz .LBB90_322
; %bb.321:
	s_clause 0x3
	buffer_load_dword v62, v59, s[0:3], 0 offen offset:8
	buffer_load_dword v63, v59, s[0:3], 0 offen offset:12
	buffer_load_dword v66, v59, s[0:3], 0 offen
	buffer_load_dword v67, v59, s[0:3], 0 offen offset:4
	s_waitcnt vmcnt(2) lgkmcnt(0)
	v_mul_f64 v[68:69], v[3:4], v[62:63]
	v_mul_f64 v[62:63], v[1:2], v[62:63]
	s_waitcnt vmcnt(0)
	v_fma_f64 v[1:2], v[1:2], v[66:67], -v[68:69]
	v_fma_f64 v[3:4], v[3:4], v[66:67], v[62:63]
.LBB90_322:
	s_mov_b32 s8, exec_lo
	v_cmpx_ne_u32_e32 14, v0
	s_cbranch_execz .LBB90_326
; %bb.323:
	v_add_nc_u32_e32 v62, 0x1c0, v65
	v_add3_u32 v63, 0, v65, 16
	v_mov_b32_e32 v64, v0
	s_mov_b32 s34, 0
	.p2align	6
.LBB90_324:                             ; =>This Inner Loop Header: Depth=1
	s_clause 0x3
	buffer_load_dword v70, v63, s[0:3], 0 offen offset:8
	buffer_load_dword v71, v63, s[0:3], 0 offen offset:12
	buffer_load_dword v72, v63, s[0:3], 0 offen
	buffer_load_dword v73, v63, s[0:3], 0 offen offset:4
	ds_read_b128 v[66:69], v62
	v_add_nc_u32_e32 v64, 1, v64
	v_add_nc_u32_e32 v62, 16, v62
	v_add_nc_u32_e32 v63, 16, v63
	v_cmp_lt_u32_e32 vcc_lo, 13, v64
	s_or_b32 s34, vcc_lo, s34
	s_waitcnt vmcnt(2) lgkmcnt(0)
	v_mul_f64 v[74:75], v[68:69], v[70:71]
	v_mul_f64 v[70:71], v[66:67], v[70:71]
	s_waitcnt vmcnt(0)
	v_fma_f64 v[66:67], v[66:67], v[72:73], -v[74:75]
	v_fma_f64 v[68:69], v[68:69], v[72:73], v[70:71]
	v_add_f64 v[1:2], v[1:2], v[66:67]
	v_add_f64 v[3:4], v[3:4], v[68:69]
	s_andn2_b32 exec_lo, exec_lo, s34
	s_cbranch_execnz .LBB90_324
; %bb.325:
	s_or_b32 exec_lo, exec_lo, s34
.LBB90_326:
	s_or_b32 exec_lo, exec_lo, s8
	v_mov_b32_e32 v62, 0
	ds_read_b128 v[66:69], v62 offset:240
	s_waitcnt lgkmcnt(0)
	v_mul_f64 v[62:63], v[3:4], v[68:69]
	v_mul_f64 v[68:69], v[1:2], v[68:69]
	v_fma_f64 v[1:2], v[1:2], v[66:67], -v[62:63]
	v_fma_f64 v[3:4], v[3:4], v[66:67], v[68:69]
	buffer_store_dword v2, off, s[0:3], 0 offset:244
	buffer_store_dword v1, off, s[0:3], 0 offset:240
	;; [unrolled: 1-line block ×4, first 2 shown]
.LBB90_327:
	s_or_b32 exec_lo, exec_lo, s4
	v_mov_b32_e32 v4, s17
	s_mov_b32 s4, exec_lo
	s_clause 0x3
	buffer_load_dword v1, v4, s[0:3], 0 offen
	buffer_load_dword v2, v4, s[0:3], 0 offen offset:4
	buffer_load_dword v3, v4, s[0:3], 0 offen offset:8
	;; [unrolled: 1-line block ×3, first 2 shown]
	s_waitcnt vmcnt(0)
	ds_write_b128 v60, v[1:4]
	s_waitcnt lgkmcnt(0)
	s_waitcnt_vscnt null, 0x0
	s_barrier
	buffer_gl0_inv
	v_cmpx_gt_u32_e32 16, v0
	s_cbranch_execz .LBB90_335
; %bb.328:
	ds_read_b128 v[1:4], v60
	v_cmp_ne_u32_e32 vcc_lo, 1, v61
	s_cbranch_vccnz .LBB90_330
; %bb.329:
	s_clause 0x3
	buffer_load_dword v62, v59, s[0:3], 0 offen offset:8
	buffer_load_dword v63, v59, s[0:3], 0 offen offset:12
	buffer_load_dword v66, v59, s[0:3], 0 offen
	buffer_load_dword v67, v59, s[0:3], 0 offen offset:4
	s_waitcnt vmcnt(2) lgkmcnt(0)
	v_mul_f64 v[68:69], v[3:4], v[62:63]
	v_mul_f64 v[62:63], v[1:2], v[62:63]
	s_waitcnt vmcnt(0)
	v_fma_f64 v[1:2], v[1:2], v[66:67], -v[68:69]
	v_fma_f64 v[3:4], v[3:4], v[66:67], v[62:63]
.LBB90_330:
	s_mov_b32 s8, exec_lo
	v_cmpx_ne_u32_e32 15, v0
	s_cbranch_execz .LBB90_334
; %bb.331:
	v_add_nc_u32_e32 v62, 0x1c0, v65
	v_add3_u32 v63, 0, v65, 16
	v_mov_b32_e32 v64, v0
	s_mov_b32 s34, 0
	.p2align	6
.LBB90_332:                             ; =>This Inner Loop Header: Depth=1
	s_clause 0x3
	buffer_load_dword v70, v63, s[0:3], 0 offen offset:8
	buffer_load_dword v71, v63, s[0:3], 0 offen offset:12
	buffer_load_dword v72, v63, s[0:3], 0 offen
	buffer_load_dword v73, v63, s[0:3], 0 offen offset:4
	ds_read_b128 v[66:69], v62
	v_add_nc_u32_e32 v64, 1, v64
	v_add_nc_u32_e32 v62, 16, v62
	;; [unrolled: 1-line block ×3, first 2 shown]
	v_cmp_lt_u32_e32 vcc_lo, 14, v64
	s_or_b32 s34, vcc_lo, s34
	s_waitcnt vmcnt(2) lgkmcnt(0)
	v_mul_f64 v[74:75], v[68:69], v[70:71]
	v_mul_f64 v[70:71], v[66:67], v[70:71]
	s_waitcnt vmcnt(0)
	v_fma_f64 v[66:67], v[66:67], v[72:73], -v[74:75]
	v_fma_f64 v[68:69], v[68:69], v[72:73], v[70:71]
	v_add_f64 v[1:2], v[1:2], v[66:67]
	v_add_f64 v[3:4], v[3:4], v[68:69]
	s_andn2_b32 exec_lo, exec_lo, s34
	s_cbranch_execnz .LBB90_332
; %bb.333:
	s_or_b32 exec_lo, exec_lo, s34
.LBB90_334:
	s_or_b32 exec_lo, exec_lo, s8
	v_mov_b32_e32 v62, 0
	ds_read_b128 v[66:69], v62 offset:256
	s_waitcnt lgkmcnt(0)
	v_mul_f64 v[62:63], v[3:4], v[68:69]
	v_mul_f64 v[68:69], v[1:2], v[68:69]
	v_fma_f64 v[1:2], v[1:2], v[66:67], -v[62:63]
	v_fma_f64 v[3:4], v[3:4], v[66:67], v[68:69]
	buffer_store_dword v2, off, s[0:3], 0 offset:260
	buffer_store_dword v1, off, s[0:3], 0 offset:256
	;; [unrolled: 1-line block ×4, first 2 shown]
.LBB90_335:
	s_or_b32 exec_lo, exec_lo, s4
	v_mov_b32_e32 v4, s16
	s_mov_b32 s4, exec_lo
	s_clause 0x3
	buffer_load_dword v1, v4, s[0:3], 0 offen
	buffer_load_dword v2, v4, s[0:3], 0 offen offset:4
	buffer_load_dword v3, v4, s[0:3], 0 offen offset:8
	;; [unrolled: 1-line block ×3, first 2 shown]
	s_waitcnt vmcnt(0)
	ds_write_b128 v60, v[1:4]
	s_waitcnt lgkmcnt(0)
	s_waitcnt_vscnt null, 0x0
	s_barrier
	buffer_gl0_inv
	v_cmpx_gt_u32_e32 17, v0
	s_cbranch_execz .LBB90_343
; %bb.336:
	ds_read_b128 v[1:4], v60
	v_cmp_ne_u32_e32 vcc_lo, 1, v61
	s_cbranch_vccnz .LBB90_338
; %bb.337:
	s_clause 0x3
	buffer_load_dword v62, v59, s[0:3], 0 offen offset:8
	buffer_load_dword v63, v59, s[0:3], 0 offen offset:12
	buffer_load_dword v66, v59, s[0:3], 0 offen
	buffer_load_dword v67, v59, s[0:3], 0 offen offset:4
	s_waitcnt vmcnt(2) lgkmcnt(0)
	v_mul_f64 v[68:69], v[3:4], v[62:63]
	v_mul_f64 v[62:63], v[1:2], v[62:63]
	s_waitcnt vmcnt(0)
	v_fma_f64 v[1:2], v[1:2], v[66:67], -v[68:69]
	v_fma_f64 v[3:4], v[3:4], v[66:67], v[62:63]
.LBB90_338:
	s_mov_b32 s8, exec_lo
	v_cmpx_ne_u32_e32 16, v0
	s_cbranch_execz .LBB90_342
; %bb.339:
	v_add_nc_u32_e32 v62, 0x1c0, v65
	v_add3_u32 v63, 0, v65, 16
	v_mov_b32_e32 v64, v0
	s_mov_b32 s34, 0
	.p2align	6
.LBB90_340:                             ; =>This Inner Loop Header: Depth=1
	s_clause 0x3
	buffer_load_dword v70, v63, s[0:3], 0 offen offset:8
	buffer_load_dword v71, v63, s[0:3], 0 offen offset:12
	buffer_load_dword v72, v63, s[0:3], 0 offen
	buffer_load_dword v73, v63, s[0:3], 0 offen offset:4
	ds_read_b128 v[66:69], v62
	v_add_nc_u32_e32 v64, 1, v64
	v_add_nc_u32_e32 v62, 16, v62
	;; [unrolled: 1-line block ×3, first 2 shown]
	v_cmp_lt_u32_e32 vcc_lo, 15, v64
	s_or_b32 s34, vcc_lo, s34
	s_waitcnt vmcnt(2) lgkmcnt(0)
	v_mul_f64 v[74:75], v[68:69], v[70:71]
	v_mul_f64 v[70:71], v[66:67], v[70:71]
	s_waitcnt vmcnt(0)
	v_fma_f64 v[66:67], v[66:67], v[72:73], -v[74:75]
	v_fma_f64 v[68:69], v[68:69], v[72:73], v[70:71]
	v_add_f64 v[1:2], v[1:2], v[66:67]
	v_add_f64 v[3:4], v[3:4], v[68:69]
	s_andn2_b32 exec_lo, exec_lo, s34
	s_cbranch_execnz .LBB90_340
; %bb.341:
	s_or_b32 exec_lo, exec_lo, s34
.LBB90_342:
	s_or_b32 exec_lo, exec_lo, s8
	v_mov_b32_e32 v62, 0
	ds_read_b128 v[66:69], v62 offset:272
	s_waitcnt lgkmcnt(0)
	v_mul_f64 v[62:63], v[3:4], v[68:69]
	v_mul_f64 v[68:69], v[1:2], v[68:69]
	v_fma_f64 v[1:2], v[1:2], v[66:67], -v[62:63]
	v_fma_f64 v[3:4], v[3:4], v[66:67], v[68:69]
	buffer_store_dword v2, off, s[0:3], 0 offset:276
	buffer_store_dword v1, off, s[0:3], 0 offset:272
	;; [unrolled: 1-line block ×4, first 2 shown]
.LBB90_343:
	s_or_b32 exec_lo, exec_lo, s4
	v_mov_b32_e32 v4, s15
	s_mov_b32 s4, exec_lo
	s_clause 0x3
	buffer_load_dword v1, v4, s[0:3], 0 offen
	buffer_load_dword v2, v4, s[0:3], 0 offen offset:4
	buffer_load_dword v3, v4, s[0:3], 0 offen offset:8
	;; [unrolled: 1-line block ×3, first 2 shown]
	s_waitcnt vmcnt(0)
	ds_write_b128 v60, v[1:4]
	s_waitcnt lgkmcnt(0)
	s_waitcnt_vscnt null, 0x0
	s_barrier
	buffer_gl0_inv
	v_cmpx_gt_u32_e32 18, v0
	s_cbranch_execz .LBB90_351
; %bb.344:
	ds_read_b128 v[1:4], v60
	v_cmp_ne_u32_e32 vcc_lo, 1, v61
	s_cbranch_vccnz .LBB90_346
; %bb.345:
	s_clause 0x3
	buffer_load_dword v62, v59, s[0:3], 0 offen offset:8
	buffer_load_dword v63, v59, s[0:3], 0 offen offset:12
	buffer_load_dword v66, v59, s[0:3], 0 offen
	buffer_load_dword v67, v59, s[0:3], 0 offen offset:4
	s_waitcnt vmcnt(2) lgkmcnt(0)
	v_mul_f64 v[68:69], v[3:4], v[62:63]
	v_mul_f64 v[62:63], v[1:2], v[62:63]
	s_waitcnt vmcnt(0)
	v_fma_f64 v[1:2], v[1:2], v[66:67], -v[68:69]
	v_fma_f64 v[3:4], v[3:4], v[66:67], v[62:63]
.LBB90_346:
	s_mov_b32 s8, exec_lo
	v_cmpx_ne_u32_e32 17, v0
	s_cbranch_execz .LBB90_350
; %bb.347:
	v_add_nc_u32_e32 v62, 0x1c0, v65
	v_add3_u32 v63, 0, v65, 16
	v_mov_b32_e32 v64, v0
	s_mov_b32 s34, 0
	.p2align	6
.LBB90_348:                             ; =>This Inner Loop Header: Depth=1
	s_clause 0x3
	buffer_load_dword v70, v63, s[0:3], 0 offen offset:8
	buffer_load_dword v71, v63, s[0:3], 0 offen offset:12
	buffer_load_dword v72, v63, s[0:3], 0 offen
	buffer_load_dword v73, v63, s[0:3], 0 offen offset:4
	ds_read_b128 v[66:69], v62
	v_add_nc_u32_e32 v64, 1, v64
	v_add_nc_u32_e32 v62, 16, v62
	;; [unrolled: 1-line block ×3, first 2 shown]
	v_cmp_lt_u32_e32 vcc_lo, 16, v64
	s_or_b32 s34, vcc_lo, s34
	s_waitcnt vmcnt(2) lgkmcnt(0)
	v_mul_f64 v[74:75], v[68:69], v[70:71]
	v_mul_f64 v[70:71], v[66:67], v[70:71]
	s_waitcnt vmcnt(0)
	v_fma_f64 v[66:67], v[66:67], v[72:73], -v[74:75]
	v_fma_f64 v[68:69], v[68:69], v[72:73], v[70:71]
	v_add_f64 v[1:2], v[1:2], v[66:67]
	v_add_f64 v[3:4], v[3:4], v[68:69]
	s_andn2_b32 exec_lo, exec_lo, s34
	s_cbranch_execnz .LBB90_348
; %bb.349:
	s_or_b32 exec_lo, exec_lo, s34
.LBB90_350:
	s_or_b32 exec_lo, exec_lo, s8
	v_mov_b32_e32 v62, 0
	ds_read_b128 v[66:69], v62 offset:288
	s_waitcnt lgkmcnt(0)
	v_mul_f64 v[62:63], v[3:4], v[68:69]
	v_mul_f64 v[68:69], v[1:2], v[68:69]
	v_fma_f64 v[1:2], v[1:2], v[66:67], -v[62:63]
	v_fma_f64 v[3:4], v[3:4], v[66:67], v[68:69]
	buffer_store_dword v2, off, s[0:3], 0 offset:292
	buffer_store_dword v1, off, s[0:3], 0 offset:288
	;; [unrolled: 1-line block ×4, first 2 shown]
.LBB90_351:
	s_or_b32 exec_lo, exec_lo, s4
	v_mov_b32_e32 v4, s14
	s_mov_b32 s4, exec_lo
	s_clause 0x3
	buffer_load_dword v1, v4, s[0:3], 0 offen
	buffer_load_dword v2, v4, s[0:3], 0 offen offset:4
	buffer_load_dword v3, v4, s[0:3], 0 offen offset:8
	;; [unrolled: 1-line block ×3, first 2 shown]
	s_waitcnt vmcnt(0)
	ds_write_b128 v60, v[1:4]
	s_waitcnt lgkmcnt(0)
	s_waitcnt_vscnt null, 0x0
	s_barrier
	buffer_gl0_inv
	v_cmpx_gt_u32_e32 19, v0
	s_cbranch_execz .LBB90_359
; %bb.352:
	ds_read_b128 v[1:4], v60
	v_cmp_ne_u32_e32 vcc_lo, 1, v61
	s_cbranch_vccnz .LBB90_354
; %bb.353:
	s_clause 0x3
	buffer_load_dword v62, v59, s[0:3], 0 offen offset:8
	buffer_load_dword v63, v59, s[0:3], 0 offen offset:12
	buffer_load_dword v66, v59, s[0:3], 0 offen
	buffer_load_dword v67, v59, s[0:3], 0 offen offset:4
	s_waitcnt vmcnt(2) lgkmcnt(0)
	v_mul_f64 v[68:69], v[3:4], v[62:63]
	v_mul_f64 v[62:63], v[1:2], v[62:63]
	s_waitcnt vmcnt(0)
	v_fma_f64 v[1:2], v[1:2], v[66:67], -v[68:69]
	v_fma_f64 v[3:4], v[3:4], v[66:67], v[62:63]
.LBB90_354:
	s_mov_b32 s8, exec_lo
	v_cmpx_ne_u32_e32 18, v0
	s_cbranch_execz .LBB90_358
; %bb.355:
	v_add_nc_u32_e32 v62, 0x1c0, v65
	v_add3_u32 v63, 0, v65, 16
	v_mov_b32_e32 v64, v0
	s_mov_b32 s34, 0
	.p2align	6
.LBB90_356:                             ; =>This Inner Loop Header: Depth=1
	s_clause 0x3
	buffer_load_dword v70, v63, s[0:3], 0 offen offset:8
	buffer_load_dword v71, v63, s[0:3], 0 offen offset:12
	buffer_load_dword v72, v63, s[0:3], 0 offen
	buffer_load_dword v73, v63, s[0:3], 0 offen offset:4
	ds_read_b128 v[66:69], v62
	v_add_nc_u32_e32 v64, 1, v64
	v_add_nc_u32_e32 v62, 16, v62
	;; [unrolled: 1-line block ×3, first 2 shown]
	v_cmp_lt_u32_e32 vcc_lo, 17, v64
	s_or_b32 s34, vcc_lo, s34
	s_waitcnt vmcnt(2) lgkmcnt(0)
	v_mul_f64 v[74:75], v[68:69], v[70:71]
	v_mul_f64 v[70:71], v[66:67], v[70:71]
	s_waitcnt vmcnt(0)
	v_fma_f64 v[66:67], v[66:67], v[72:73], -v[74:75]
	v_fma_f64 v[68:69], v[68:69], v[72:73], v[70:71]
	v_add_f64 v[1:2], v[1:2], v[66:67]
	v_add_f64 v[3:4], v[3:4], v[68:69]
	s_andn2_b32 exec_lo, exec_lo, s34
	s_cbranch_execnz .LBB90_356
; %bb.357:
	s_or_b32 exec_lo, exec_lo, s34
.LBB90_358:
	s_or_b32 exec_lo, exec_lo, s8
	v_mov_b32_e32 v62, 0
	ds_read_b128 v[66:69], v62 offset:304
	s_waitcnt lgkmcnt(0)
	v_mul_f64 v[62:63], v[3:4], v[68:69]
	v_mul_f64 v[68:69], v[1:2], v[68:69]
	v_fma_f64 v[1:2], v[1:2], v[66:67], -v[62:63]
	v_fma_f64 v[3:4], v[3:4], v[66:67], v[68:69]
	buffer_store_dword v2, off, s[0:3], 0 offset:308
	buffer_store_dword v1, off, s[0:3], 0 offset:304
	;; [unrolled: 1-line block ×4, first 2 shown]
.LBB90_359:
	s_or_b32 exec_lo, exec_lo, s4
	v_mov_b32_e32 v4, s13
	s_mov_b32 s4, exec_lo
	s_clause 0x3
	buffer_load_dword v1, v4, s[0:3], 0 offen
	buffer_load_dword v2, v4, s[0:3], 0 offen offset:4
	buffer_load_dword v3, v4, s[0:3], 0 offen offset:8
	;; [unrolled: 1-line block ×3, first 2 shown]
	s_waitcnt vmcnt(0)
	ds_write_b128 v60, v[1:4]
	s_waitcnt lgkmcnt(0)
	s_waitcnt_vscnt null, 0x0
	s_barrier
	buffer_gl0_inv
	v_cmpx_gt_u32_e32 20, v0
	s_cbranch_execz .LBB90_367
; %bb.360:
	ds_read_b128 v[1:4], v60
	v_cmp_ne_u32_e32 vcc_lo, 1, v61
	s_cbranch_vccnz .LBB90_362
; %bb.361:
	s_clause 0x3
	buffer_load_dword v62, v59, s[0:3], 0 offen offset:8
	buffer_load_dword v63, v59, s[0:3], 0 offen offset:12
	buffer_load_dword v66, v59, s[0:3], 0 offen
	buffer_load_dword v67, v59, s[0:3], 0 offen offset:4
	s_waitcnt vmcnt(2) lgkmcnt(0)
	v_mul_f64 v[68:69], v[3:4], v[62:63]
	v_mul_f64 v[62:63], v[1:2], v[62:63]
	s_waitcnt vmcnt(0)
	v_fma_f64 v[1:2], v[1:2], v[66:67], -v[68:69]
	v_fma_f64 v[3:4], v[3:4], v[66:67], v[62:63]
.LBB90_362:
	s_mov_b32 s8, exec_lo
	v_cmpx_ne_u32_e32 19, v0
	s_cbranch_execz .LBB90_366
; %bb.363:
	v_add_nc_u32_e32 v62, 0x1c0, v65
	v_add3_u32 v63, 0, v65, 16
	v_mov_b32_e32 v64, v0
	s_mov_b32 s34, 0
	.p2align	6
.LBB90_364:                             ; =>This Inner Loop Header: Depth=1
	s_clause 0x3
	buffer_load_dword v70, v63, s[0:3], 0 offen offset:8
	buffer_load_dword v71, v63, s[0:3], 0 offen offset:12
	buffer_load_dword v72, v63, s[0:3], 0 offen
	buffer_load_dword v73, v63, s[0:3], 0 offen offset:4
	ds_read_b128 v[66:69], v62
	v_add_nc_u32_e32 v64, 1, v64
	v_add_nc_u32_e32 v62, 16, v62
	;; [unrolled: 1-line block ×3, first 2 shown]
	v_cmp_lt_u32_e32 vcc_lo, 18, v64
	s_or_b32 s34, vcc_lo, s34
	s_waitcnt vmcnt(2) lgkmcnt(0)
	v_mul_f64 v[74:75], v[68:69], v[70:71]
	v_mul_f64 v[70:71], v[66:67], v[70:71]
	s_waitcnt vmcnt(0)
	v_fma_f64 v[66:67], v[66:67], v[72:73], -v[74:75]
	v_fma_f64 v[68:69], v[68:69], v[72:73], v[70:71]
	v_add_f64 v[1:2], v[1:2], v[66:67]
	v_add_f64 v[3:4], v[3:4], v[68:69]
	s_andn2_b32 exec_lo, exec_lo, s34
	s_cbranch_execnz .LBB90_364
; %bb.365:
	s_or_b32 exec_lo, exec_lo, s34
.LBB90_366:
	s_or_b32 exec_lo, exec_lo, s8
	v_mov_b32_e32 v62, 0
	ds_read_b128 v[66:69], v62 offset:320
	s_waitcnt lgkmcnt(0)
	v_mul_f64 v[62:63], v[3:4], v[68:69]
	v_mul_f64 v[68:69], v[1:2], v[68:69]
	v_fma_f64 v[1:2], v[1:2], v[66:67], -v[62:63]
	v_fma_f64 v[3:4], v[3:4], v[66:67], v[68:69]
	buffer_store_dword v2, off, s[0:3], 0 offset:324
	buffer_store_dword v1, off, s[0:3], 0 offset:320
	;; [unrolled: 1-line block ×4, first 2 shown]
.LBB90_367:
	s_or_b32 exec_lo, exec_lo, s4
	v_mov_b32_e32 v4, s12
	s_mov_b32 s4, exec_lo
	s_clause 0x3
	buffer_load_dword v1, v4, s[0:3], 0 offen
	buffer_load_dword v2, v4, s[0:3], 0 offen offset:4
	buffer_load_dword v3, v4, s[0:3], 0 offen offset:8
	;; [unrolled: 1-line block ×3, first 2 shown]
	s_waitcnt vmcnt(0)
	ds_write_b128 v60, v[1:4]
	s_waitcnt lgkmcnt(0)
	s_waitcnt_vscnt null, 0x0
	s_barrier
	buffer_gl0_inv
	v_cmpx_gt_u32_e32 21, v0
	s_cbranch_execz .LBB90_375
; %bb.368:
	ds_read_b128 v[1:4], v60
	v_cmp_ne_u32_e32 vcc_lo, 1, v61
	s_cbranch_vccnz .LBB90_370
; %bb.369:
	s_clause 0x3
	buffer_load_dword v62, v59, s[0:3], 0 offen offset:8
	buffer_load_dword v63, v59, s[0:3], 0 offen offset:12
	buffer_load_dword v66, v59, s[0:3], 0 offen
	buffer_load_dword v67, v59, s[0:3], 0 offen offset:4
	s_waitcnt vmcnt(2) lgkmcnt(0)
	v_mul_f64 v[68:69], v[3:4], v[62:63]
	v_mul_f64 v[62:63], v[1:2], v[62:63]
	s_waitcnt vmcnt(0)
	v_fma_f64 v[1:2], v[1:2], v[66:67], -v[68:69]
	v_fma_f64 v[3:4], v[3:4], v[66:67], v[62:63]
.LBB90_370:
	s_mov_b32 s8, exec_lo
	v_cmpx_ne_u32_e32 20, v0
	s_cbranch_execz .LBB90_374
; %bb.371:
	v_add_nc_u32_e32 v62, 0x1c0, v65
	v_add3_u32 v63, 0, v65, 16
	v_mov_b32_e32 v64, v0
	s_mov_b32 s34, 0
	.p2align	6
.LBB90_372:                             ; =>This Inner Loop Header: Depth=1
	s_clause 0x3
	buffer_load_dword v70, v63, s[0:3], 0 offen offset:8
	buffer_load_dword v71, v63, s[0:3], 0 offen offset:12
	buffer_load_dword v72, v63, s[0:3], 0 offen
	buffer_load_dword v73, v63, s[0:3], 0 offen offset:4
	ds_read_b128 v[66:69], v62
	v_add_nc_u32_e32 v64, 1, v64
	v_add_nc_u32_e32 v62, 16, v62
	;; [unrolled: 1-line block ×3, first 2 shown]
	v_cmp_lt_u32_e32 vcc_lo, 19, v64
	s_or_b32 s34, vcc_lo, s34
	s_waitcnt vmcnt(2) lgkmcnt(0)
	v_mul_f64 v[74:75], v[68:69], v[70:71]
	v_mul_f64 v[70:71], v[66:67], v[70:71]
	s_waitcnt vmcnt(0)
	v_fma_f64 v[66:67], v[66:67], v[72:73], -v[74:75]
	v_fma_f64 v[68:69], v[68:69], v[72:73], v[70:71]
	v_add_f64 v[1:2], v[1:2], v[66:67]
	v_add_f64 v[3:4], v[3:4], v[68:69]
	s_andn2_b32 exec_lo, exec_lo, s34
	s_cbranch_execnz .LBB90_372
; %bb.373:
	s_or_b32 exec_lo, exec_lo, s34
.LBB90_374:
	s_or_b32 exec_lo, exec_lo, s8
	v_mov_b32_e32 v62, 0
	ds_read_b128 v[66:69], v62 offset:336
	s_waitcnt lgkmcnt(0)
	v_mul_f64 v[62:63], v[3:4], v[68:69]
	v_mul_f64 v[68:69], v[1:2], v[68:69]
	v_fma_f64 v[1:2], v[1:2], v[66:67], -v[62:63]
	v_fma_f64 v[3:4], v[3:4], v[66:67], v[68:69]
	buffer_store_dword v2, off, s[0:3], 0 offset:340
	buffer_store_dword v1, off, s[0:3], 0 offset:336
	;; [unrolled: 1-line block ×4, first 2 shown]
.LBB90_375:
	s_or_b32 exec_lo, exec_lo, s4
	v_mov_b32_e32 v4, s11
	s_mov_b32 s4, exec_lo
	s_clause 0x3
	buffer_load_dword v1, v4, s[0:3], 0 offen
	buffer_load_dword v2, v4, s[0:3], 0 offen offset:4
	buffer_load_dword v3, v4, s[0:3], 0 offen offset:8
	;; [unrolled: 1-line block ×3, first 2 shown]
	s_waitcnt vmcnt(0)
	ds_write_b128 v60, v[1:4]
	s_waitcnt lgkmcnt(0)
	s_waitcnt_vscnt null, 0x0
	s_barrier
	buffer_gl0_inv
	v_cmpx_gt_u32_e32 22, v0
	s_cbranch_execz .LBB90_383
; %bb.376:
	ds_read_b128 v[1:4], v60
	v_cmp_ne_u32_e32 vcc_lo, 1, v61
	s_cbranch_vccnz .LBB90_378
; %bb.377:
	s_clause 0x3
	buffer_load_dword v62, v59, s[0:3], 0 offen offset:8
	buffer_load_dword v63, v59, s[0:3], 0 offen offset:12
	buffer_load_dword v66, v59, s[0:3], 0 offen
	buffer_load_dword v67, v59, s[0:3], 0 offen offset:4
	s_waitcnt vmcnt(2) lgkmcnt(0)
	v_mul_f64 v[68:69], v[3:4], v[62:63]
	v_mul_f64 v[62:63], v[1:2], v[62:63]
	s_waitcnt vmcnt(0)
	v_fma_f64 v[1:2], v[1:2], v[66:67], -v[68:69]
	v_fma_f64 v[3:4], v[3:4], v[66:67], v[62:63]
.LBB90_378:
	s_mov_b32 s8, exec_lo
	v_cmpx_ne_u32_e32 21, v0
	s_cbranch_execz .LBB90_382
; %bb.379:
	v_add_nc_u32_e32 v62, 0x1c0, v65
	v_add3_u32 v63, 0, v65, 16
	v_mov_b32_e32 v64, v0
	s_mov_b32 s34, 0
	.p2align	6
.LBB90_380:                             ; =>This Inner Loop Header: Depth=1
	s_clause 0x3
	buffer_load_dword v70, v63, s[0:3], 0 offen offset:8
	buffer_load_dword v71, v63, s[0:3], 0 offen offset:12
	buffer_load_dword v72, v63, s[0:3], 0 offen
	buffer_load_dword v73, v63, s[0:3], 0 offen offset:4
	ds_read_b128 v[66:69], v62
	v_add_nc_u32_e32 v64, 1, v64
	v_add_nc_u32_e32 v62, 16, v62
	;; [unrolled: 1-line block ×3, first 2 shown]
	v_cmp_lt_u32_e32 vcc_lo, 20, v64
	s_or_b32 s34, vcc_lo, s34
	s_waitcnt vmcnt(2) lgkmcnt(0)
	v_mul_f64 v[74:75], v[68:69], v[70:71]
	v_mul_f64 v[70:71], v[66:67], v[70:71]
	s_waitcnt vmcnt(0)
	v_fma_f64 v[66:67], v[66:67], v[72:73], -v[74:75]
	v_fma_f64 v[68:69], v[68:69], v[72:73], v[70:71]
	v_add_f64 v[1:2], v[1:2], v[66:67]
	v_add_f64 v[3:4], v[3:4], v[68:69]
	s_andn2_b32 exec_lo, exec_lo, s34
	s_cbranch_execnz .LBB90_380
; %bb.381:
	s_or_b32 exec_lo, exec_lo, s34
.LBB90_382:
	s_or_b32 exec_lo, exec_lo, s8
	v_mov_b32_e32 v62, 0
	ds_read_b128 v[66:69], v62 offset:352
	s_waitcnt lgkmcnt(0)
	v_mul_f64 v[62:63], v[3:4], v[68:69]
	v_mul_f64 v[68:69], v[1:2], v[68:69]
	v_fma_f64 v[1:2], v[1:2], v[66:67], -v[62:63]
	v_fma_f64 v[3:4], v[3:4], v[66:67], v[68:69]
	buffer_store_dword v2, off, s[0:3], 0 offset:356
	buffer_store_dword v1, off, s[0:3], 0 offset:352
	;; [unrolled: 1-line block ×4, first 2 shown]
.LBB90_383:
	s_or_b32 exec_lo, exec_lo, s4
	v_mov_b32_e32 v4, s10
	s_mov_b32 s4, exec_lo
	s_clause 0x3
	buffer_load_dword v1, v4, s[0:3], 0 offen
	buffer_load_dword v2, v4, s[0:3], 0 offen offset:4
	buffer_load_dword v3, v4, s[0:3], 0 offen offset:8
	buffer_load_dword v4, v4, s[0:3], 0 offen offset:12
	s_waitcnt vmcnt(0)
	ds_write_b128 v60, v[1:4]
	s_waitcnt lgkmcnt(0)
	s_waitcnt_vscnt null, 0x0
	s_barrier
	buffer_gl0_inv
	v_cmpx_gt_u32_e32 23, v0
	s_cbranch_execz .LBB90_391
; %bb.384:
	ds_read_b128 v[1:4], v60
	v_cmp_ne_u32_e32 vcc_lo, 1, v61
	s_cbranch_vccnz .LBB90_386
; %bb.385:
	s_clause 0x3
	buffer_load_dword v62, v59, s[0:3], 0 offen offset:8
	buffer_load_dword v63, v59, s[0:3], 0 offen offset:12
	buffer_load_dword v66, v59, s[0:3], 0 offen
	buffer_load_dword v67, v59, s[0:3], 0 offen offset:4
	s_waitcnt vmcnt(2) lgkmcnt(0)
	v_mul_f64 v[68:69], v[3:4], v[62:63]
	v_mul_f64 v[62:63], v[1:2], v[62:63]
	s_waitcnt vmcnt(0)
	v_fma_f64 v[1:2], v[1:2], v[66:67], -v[68:69]
	v_fma_f64 v[3:4], v[3:4], v[66:67], v[62:63]
.LBB90_386:
	s_mov_b32 s8, exec_lo
	v_cmpx_ne_u32_e32 22, v0
	s_cbranch_execz .LBB90_390
; %bb.387:
	v_add_nc_u32_e32 v62, 0x1c0, v65
	v_add3_u32 v63, 0, v65, 16
	v_mov_b32_e32 v64, v0
	s_mov_b32 s34, 0
	.p2align	6
.LBB90_388:                             ; =>This Inner Loop Header: Depth=1
	s_clause 0x3
	buffer_load_dword v70, v63, s[0:3], 0 offen offset:8
	buffer_load_dword v71, v63, s[0:3], 0 offen offset:12
	buffer_load_dword v72, v63, s[0:3], 0 offen
	buffer_load_dword v73, v63, s[0:3], 0 offen offset:4
	ds_read_b128 v[66:69], v62
	v_add_nc_u32_e32 v64, 1, v64
	v_add_nc_u32_e32 v62, 16, v62
	;; [unrolled: 1-line block ×3, first 2 shown]
	v_cmp_lt_u32_e32 vcc_lo, 21, v64
	s_or_b32 s34, vcc_lo, s34
	s_waitcnt vmcnt(2) lgkmcnt(0)
	v_mul_f64 v[74:75], v[68:69], v[70:71]
	v_mul_f64 v[70:71], v[66:67], v[70:71]
	s_waitcnt vmcnt(0)
	v_fma_f64 v[66:67], v[66:67], v[72:73], -v[74:75]
	v_fma_f64 v[68:69], v[68:69], v[72:73], v[70:71]
	v_add_f64 v[1:2], v[1:2], v[66:67]
	v_add_f64 v[3:4], v[3:4], v[68:69]
	s_andn2_b32 exec_lo, exec_lo, s34
	s_cbranch_execnz .LBB90_388
; %bb.389:
	s_or_b32 exec_lo, exec_lo, s34
.LBB90_390:
	s_or_b32 exec_lo, exec_lo, s8
	v_mov_b32_e32 v62, 0
	ds_read_b128 v[66:69], v62 offset:368
	s_waitcnt lgkmcnt(0)
	v_mul_f64 v[62:63], v[3:4], v[68:69]
	v_mul_f64 v[68:69], v[1:2], v[68:69]
	v_fma_f64 v[1:2], v[1:2], v[66:67], -v[62:63]
	v_fma_f64 v[3:4], v[3:4], v[66:67], v[68:69]
	buffer_store_dword v2, off, s[0:3], 0 offset:372
	buffer_store_dword v1, off, s[0:3], 0 offset:368
	;; [unrolled: 1-line block ×4, first 2 shown]
.LBB90_391:
	s_or_b32 exec_lo, exec_lo, s4
	v_mov_b32_e32 v4, s9
	s_mov_b32 s4, exec_lo
	s_clause 0x3
	buffer_load_dword v1, v4, s[0:3], 0 offen
	buffer_load_dword v2, v4, s[0:3], 0 offen offset:4
	buffer_load_dword v3, v4, s[0:3], 0 offen offset:8
	;; [unrolled: 1-line block ×3, first 2 shown]
	s_waitcnt vmcnt(0)
	ds_write_b128 v60, v[1:4]
	s_waitcnt lgkmcnt(0)
	s_waitcnt_vscnt null, 0x0
	s_barrier
	buffer_gl0_inv
	v_cmpx_gt_u32_e32 24, v0
	s_cbranch_execz .LBB90_399
; %bb.392:
	ds_read_b128 v[1:4], v60
	v_cmp_ne_u32_e32 vcc_lo, 1, v61
	s_cbranch_vccnz .LBB90_394
; %bb.393:
	s_clause 0x3
	buffer_load_dword v62, v59, s[0:3], 0 offen offset:8
	buffer_load_dword v63, v59, s[0:3], 0 offen offset:12
	buffer_load_dword v66, v59, s[0:3], 0 offen
	buffer_load_dword v67, v59, s[0:3], 0 offen offset:4
	s_waitcnt vmcnt(2) lgkmcnt(0)
	v_mul_f64 v[68:69], v[3:4], v[62:63]
	v_mul_f64 v[62:63], v[1:2], v[62:63]
	s_waitcnt vmcnt(0)
	v_fma_f64 v[1:2], v[1:2], v[66:67], -v[68:69]
	v_fma_f64 v[3:4], v[3:4], v[66:67], v[62:63]
.LBB90_394:
	s_mov_b32 s8, exec_lo
	v_cmpx_ne_u32_e32 23, v0
	s_cbranch_execz .LBB90_398
; %bb.395:
	v_add_nc_u32_e32 v62, 0x1c0, v65
	v_add3_u32 v63, 0, v65, 16
	v_mov_b32_e32 v64, v0
	s_mov_b32 s34, 0
	.p2align	6
.LBB90_396:                             ; =>This Inner Loop Header: Depth=1
	s_clause 0x3
	buffer_load_dword v70, v63, s[0:3], 0 offen offset:8
	buffer_load_dword v71, v63, s[0:3], 0 offen offset:12
	buffer_load_dword v72, v63, s[0:3], 0 offen
	buffer_load_dword v73, v63, s[0:3], 0 offen offset:4
	ds_read_b128 v[66:69], v62
	v_add_nc_u32_e32 v64, 1, v64
	v_add_nc_u32_e32 v62, 16, v62
	;; [unrolled: 1-line block ×3, first 2 shown]
	v_cmp_lt_u32_e32 vcc_lo, 22, v64
	s_or_b32 s34, vcc_lo, s34
	s_waitcnt vmcnt(2) lgkmcnt(0)
	v_mul_f64 v[74:75], v[68:69], v[70:71]
	v_mul_f64 v[70:71], v[66:67], v[70:71]
	s_waitcnt vmcnt(0)
	v_fma_f64 v[66:67], v[66:67], v[72:73], -v[74:75]
	v_fma_f64 v[68:69], v[68:69], v[72:73], v[70:71]
	v_add_f64 v[1:2], v[1:2], v[66:67]
	v_add_f64 v[3:4], v[3:4], v[68:69]
	s_andn2_b32 exec_lo, exec_lo, s34
	s_cbranch_execnz .LBB90_396
; %bb.397:
	s_or_b32 exec_lo, exec_lo, s34
.LBB90_398:
	s_or_b32 exec_lo, exec_lo, s8
	v_mov_b32_e32 v62, 0
	ds_read_b128 v[66:69], v62 offset:384
	s_waitcnt lgkmcnt(0)
	v_mul_f64 v[62:63], v[3:4], v[68:69]
	v_mul_f64 v[68:69], v[1:2], v[68:69]
	v_fma_f64 v[1:2], v[1:2], v[66:67], -v[62:63]
	v_fma_f64 v[3:4], v[3:4], v[66:67], v[68:69]
	buffer_store_dword v2, off, s[0:3], 0 offset:388
	buffer_store_dword v1, off, s[0:3], 0 offset:384
	;; [unrolled: 1-line block ×4, first 2 shown]
.LBB90_399:
	s_or_b32 exec_lo, exec_lo, s4
	v_mov_b32_e32 v4, s7
	v_cmp_gt_u32_e64 s4, 25, v0
	s_clause 0x3
	buffer_load_dword v1, v4, s[0:3], 0 offen
	buffer_load_dword v2, v4, s[0:3], 0 offen offset:4
	buffer_load_dword v3, v4, s[0:3], 0 offen offset:8
	;; [unrolled: 1-line block ×3, first 2 shown]
	s_waitcnt vmcnt(0)
	ds_write_b128 v60, v[1:4]
	s_waitcnt lgkmcnt(0)
	s_waitcnt_vscnt null, 0x0
	s_barrier
	buffer_gl0_inv
	s_and_saveexec_b32 s8, s4
	s_cbranch_execz .LBB90_407
; %bb.400:
	ds_read_b128 v[1:4], v60
	v_cmp_ne_u32_e32 vcc_lo, 1, v61
	s_cbranch_vccnz .LBB90_402
; %bb.401:
	s_clause 0x3
	buffer_load_dword v62, v59, s[0:3], 0 offen offset:8
	buffer_load_dword v63, v59, s[0:3], 0 offen offset:12
	buffer_load_dword v66, v59, s[0:3], 0 offen
	buffer_load_dword v67, v59, s[0:3], 0 offen offset:4
	s_waitcnt vmcnt(2) lgkmcnt(0)
	v_mul_f64 v[68:69], v[3:4], v[62:63]
	v_mul_f64 v[62:63], v[1:2], v[62:63]
	s_waitcnt vmcnt(0)
	v_fma_f64 v[1:2], v[1:2], v[66:67], -v[68:69]
	v_fma_f64 v[3:4], v[3:4], v[66:67], v[62:63]
.LBB90_402:
	s_mov_b32 s34, exec_lo
	v_cmpx_ne_u32_e32 24, v0
	s_cbranch_execz .LBB90_406
; %bb.403:
	v_add_nc_u32_e32 v62, 0x1c0, v65
	v_add3_u32 v63, 0, v65, 16
	v_mov_b32_e32 v64, v0
	s_mov_b32 s35, 0
	.p2align	6
.LBB90_404:                             ; =>This Inner Loop Header: Depth=1
	s_clause 0x3
	buffer_load_dword v70, v63, s[0:3], 0 offen offset:8
	buffer_load_dword v71, v63, s[0:3], 0 offen offset:12
	buffer_load_dword v72, v63, s[0:3], 0 offen
	buffer_load_dword v73, v63, s[0:3], 0 offen offset:4
	ds_read_b128 v[66:69], v62
	v_add_nc_u32_e32 v64, 1, v64
	v_add_nc_u32_e32 v62, 16, v62
	;; [unrolled: 1-line block ×3, first 2 shown]
	v_cmp_lt_u32_e32 vcc_lo, 23, v64
	s_or_b32 s35, vcc_lo, s35
	s_waitcnt vmcnt(2) lgkmcnt(0)
	v_mul_f64 v[74:75], v[68:69], v[70:71]
	v_mul_f64 v[70:71], v[66:67], v[70:71]
	s_waitcnt vmcnt(0)
	v_fma_f64 v[66:67], v[66:67], v[72:73], -v[74:75]
	v_fma_f64 v[68:69], v[68:69], v[72:73], v[70:71]
	v_add_f64 v[1:2], v[1:2], v[66:67]
	v_add_f64 v[3:4], v[3:4], v[68:69]
	s_andn2_b32 exec_lo, exec_lo, s35
	s_cbranch_execnz .LBB90_404
; %bb.405:
	s_or_b32 exec_lo, exec_lo, s35
.LBB90_406:
	s_or_b32 exec_lo, exec_lo, s34
	v_mov_b32_e32 v62, 0
	ds_read_b128 v[66:69], v62 offset:400
	s_waitcnt lgkmcnt(0)
	v_mul_f64 v[62:63], v[3:4], v[68:69]
	v_mul_f64 v[68:69], v[1:2], v[68:69]
	v_fma_f64 v[1:2], v[1:2], v[66:67], -v[62:63]
	v_fma_f64 v[3:4], v[3:4], v[66:67], v[68:69]
	buffer_store_dword v2, off, s[0:3], 0 offset:404
	buffer_store_dword v1, off, s[0:3], 0 offset:400
	;; [unrolled: 1-line block ×4, first 2 shown]
.LBB90_407:
	s_or_b32 exec_lo, exec_lo, s8
	v_mov_b32_e32 v4, s6
	s_mov_b32 s8, exec_lo
                                        ; implicit-def: $sgpr36
	s_clause 0x3
	buffer_load_dword v1, v4, s[0:3], 0 offen
	buffer_load_dword v2, v4, s[0:3], 0 offen offset:4
	buffer_load_dword v3, v4, s[0:3], 0 offen offset:8
	;; [unrolled: 1-line block ×3, first 2 shown]
	s_waitcnt vmcnt(0)
	ds_write_b128 v60, v[1:4]
	s_waitcnt lgkmcnt(0)
	s_waitcnt_vscnt null, 0x0
	s_barrier
	buffer_gl0_inv
                                        ; implicit-def: $vgpr1_vgpr2
	v_cmpx_ne_u32_e32 26, v0
	s_cbranch_execz .LBB90_415
; %bb.408:
	ds_read_b128 v[1:4], v60
	v_cmp_ne_u32_e32 vcc_lo, 1, v61
	s_cbranch_vccnz .LBB90_410
; %bb.409:
	s_clause 0x3
	buffer_load_dword v60, v59, s[0:3], 0 offen offset:8
	buffer_load_dword v61, v59, s[0:3], 0 offen offset:12
	buffer_load_dword v62, v59, s[0:3], 0 offen
	buffer_load_dword v63, v59, s[0:3], 0 offen offset:4
	s_waitcnt vmcnt(2) lgkmcnt(0)
	v_mul_f64 v[66:67], v[3:4], v[60:61]
	v_mul_f64 v[59:60], v[1:2], v[60:61]
	s_waitcnt vmcnt(0)
	v_fma_f64 v[1:2], v[1:2], v[62:63], -v[66:67]
	v_fma_f64 v[3:4], v[3:4], v[62:63], v[59:60]
.LBB90_410:
	s_and_saveexec_b32 s34, s4
	s_cbranch_execz .LBB90_414
; %bb.411:
	v_add_nc_u32_e32 v59, 0x1c0, v65
	v_add3_u32 v60, 0, v65, 16
	s_mov_b32 s4, 0
	.p2align	6
.LBB90_412:                             ; =>This Inner Loop Header: Depth=1
	s_clause 0x3
	buffer_load_dword v65, v60, s[0:3], 0 offen offset:8
	buffer_load_dword v66, v60, s[0:3], 0 offen offset:12
	buffer_load_dword v67, v60, s[0:3], 0 offen
	buffer_load_dword v68, v60, s[0:3], 0 offen offset:4
	ds_read_b128 v[61:64], v59
	v_add_nc_u32_e32 v0, 1, v0
	v_add_nc_u32_e32 v59, 16, v59
	;; [unrolled: 1-line block ×3, first 2 shown]
	v_cmp_lt_u32_e32 vcc_lo, 24, v0
	s_or_b32 s4, vcc_lo, s4
	s_waitcnt vmcnt(2) lgkmcnt(0)
	v_mul_f64 v[69:70], v[63:64], v[65:66]
	v_mul_f64 v[65:66], v[61:62], v[65:66]
	s_waitcnt vmcnt(0)
	v_fma_f64 v[61:62], v[61:62], v[67:68], -v[69:70]
	v_fma_f64 v[63:64], v[63:64], v[67:68], v[65:66]
	v_add_f64 v[1:2], v[1:2], v[61:62]
	v_add_f64 v[3:4], v[3:4], v[63:64]
	s_andn2_b32 exec_lo, exec_lo, s4
	s_cbranch_execnz .LBB90_412
; %bb.413:
	s_or_b32 exec_lo, exec_lo, s4
.LBB90_414:
	s_or_b32 exec_lo, exec_lo, s34
	v_mov_b32_e32 v0, 0
	s_movk_i32 s36, 0x1a8
	s_or_b32 s5, s5, exec_lo
	ds_read_b128 v[59:62], v0 offset:416
	s_waitcnt lgkmcnt(0)
	v_mul_f64 v[63:64], v[3:4], v[61:62]
	v_mul_f64 v[61:62], v[1:2], v[61:62]
	v_fma_f64 v[63:64], v[1:2], v[59:60], -v[63:64]
	v_fma_f64 v[1:2], v[3:4], v[59:60], v[61:62]
	buffer_store_dword v64, off, s[0:3], 0 offset:420
	buffer_store_dword v63, off, s[0:3], 0 offset:416
.LBB90_415:
	s_or_b32 exec_lo, exec_lo, s8
.LBB90_416:
	s_and_saveexec_b32 s4, s5
	s_cbranch_execz .LBB90_418
; %bb.417:
	v_mov_b32_e32 v0, s36
	buffer_store_dword v2, v0, s[0:3], 0 offen offset:4
	buffer_store_dword v1, v0, s[0:3], 0 offen
.LBB90_418:
	s_or_b32 exec_lo, exec_lo, s4
	s_clause 0x3
	buffer_load_dword v0, off, s[0:3], 0
	buffer_load_dword v1, off, s[0:3], 0 offset:4
	buffer_load_dword v2, off, s[0:3], 0 offset:8
	;; [unrolled: 1-line block ×3, first 2 shown]
	v_mov_b32_e32 v4, s33
	s_waitcnt vmcnt(0)
	flat_store_dwordx4 v[5:6], v[0:3]
	s_clause 0x3
	buffer_load_dword v0, v4, s[0:3], 0 offen
	buffer_load_dword v1, v4, s[0:3], 0 offen offset:4
	buffer_load_dword v2, v4, s[0:3], 0 offen offset:8
	buffer_load_dword v3, v4, s[0:3], 0 offen offset:12
	v_mov_b32_e32 v4, s31
	s_waitcnt vmcnt(0)
	flat_store_dwordx4 v[57:58], v[0:3]
	s_clause 0x3
	buffer_load_dword v0, v4, s[0:3], 0 offen
	buffer_load_dword v1, v4, s[0:3], 0 offen offset:4
	buffer_load_dword v2, v4, s[0:3], 0 offen offset:8
	buffer_load_dword v3, v4, s[0:3], 0 offen offset:12
	;; [unrolled: 8-line block ×26, first 2 shown]
	s_waitcnt vmcnt(0)
	flat_store_dwordx4 v[11:12], v[0:3]
.LBB90_419:
	s_endpgm
	.section	.rodata,"a",@progbits
	.p2align	6, 0x0
	.amdhsa_kernel _ZN9rocsolver6v33100L18trti2_kernel_smallILi27E19rocblas_complex_numIdEPKPS3_EEv13rocblas_fill_17rocblas_diagonal_T1_iil
		.amdhsa_group_segment_fixed_size 864
		.amdhsa_private_segment_fixed_size 448
		.amdhsa_kernarg_size 32
		.amdhsa_user_sgpr_count 6
		.amdhsa_user_sgpr_private_segment_buffer 1
		.amdhsa_user_sgpr_dispatch_ptr 0
		.amdhsa_user_sgpr_queue_ptr 0
		.amdhsa_user_sgpr_kernarg_segment_ptr 1
		.amdhsa_user_sgpr_dispatch_id 0
		.amdhsa_user_sgpr_flat_scratch_init 0
		.amdhsa_user_sgpr_private_segment_size 0
		.amdhsa_wavefront_size32 1
		.amdhsa_uses_dynamic_stack 0
		.amdhsa_system_sgpr_private_segment_wavefront_offset 1
		.amdhsa_system_sgpr_workgroup_id_x 1
		.amdhsa_system_sgpr_workgroup_id_y 0
		.amdhsa_system_sgpr_workgroup_id_z 0
		.amdhsa_system_sgpr_workgroup_info 0
		.amdhsa_system_vgpr_workitem_id 0
		.amdhsa_next_free_vgpr 76
		.amdhsa_next_free_sgpr 45
		.amdhsa_reserve_vcc 1
		.amdhsa_reserve_flat_scratch 0
		.amdhsa_float_round_mode_32 0
		.amdhsa_float_round_mode_16_64 0
		.amdhsa_float_denorm_mode_32 3
		.amdhsa_float_denorm_mode_16_64 3
		.amdhsa_dx10_clamp 1
		.amdhsa_ieee_mode 1
		.amdhsa_fp16_overflow 0
		.amdhsa_workgroup_processor_mode 1
		.amdhsa_memory_ordered 1
		.amdhsa_forward_progress 1
		.amdhsa_shared_vgpr_count 0
		.amdhsa_exception_fp_ieee_invalid_op 0
		.amdhsa_exception_fp_denorm_src 0
		.amdhsa_exception_fp_ieee_div_zero 0
		.amdhsa_exception_fp_ieee_overflow 0
		.amdhsa_exception_fp_ieee_underflow 0
		.amdhsa_exception_fp_ieee_inexact 0
		.amdhsa_exception_int_div_zero 0
	.end_amdhsa_kernel
	.section	.text._ZN9rocsolver6v33100L18trti2_kernel_smallILi27E19rocblas_complex_numIdEPKPS3_EEv13rocblas_fill_17rocblas_diagonal_T1_iil,"axG",@progbits,_ZN9rocsolver6v33100L18trti2_kernel_smallILi27E19rocblas_complex_numIdEPKPS3_EEv13rocblas_fill_17rocblas_diagonal_T1_iil,comdat
.Lfunc_end90:
	.size	_ZN9rocsolver6v33100L18trti2_kernel_smallILi27E19rocblas_complex_numIdEPKPS3_EEv13rocblas_fill_17rocblas_diagonal_T1_iil, .Lfunc_end90-_ZN9rocsolver6v33100L18trti2_kernel_smallILi27E19rocblas_complex_numIdEPKPS3_EEv13rocblas_fill_17rocblas_diagonal_T1_iil
                                        ; -- End function
	.set _ZN9rocsolver6v33100L18trti2_kernel_smallILi27E19rocblas_complex_numIdEPKPS3_EEv13rocblas_fill_17rocblas_diagonal_T1_iil.num_vgpr, 76
	.set _ZN9rocsolver6v33100L18trti2_kernel_smallILi27E19rocblas_complex_numIdEPKPS3_EEv13rocblas_fill_17rocblas_diagonal_T1_iil.num_agpr, 0
	.set _ZN9rocsolver6v33100L18trti2_kernel_smallILi27E19rocblas_complex_numIdEPKPS3_EEv13rocblas_fill_17rocblas_diagonal_T1_iil.numbered_sgpr, 45
	.set _ZN9rocsolver6v33100L18trti2_kernel_smallILi27E19rocblas_complex_numIdEPKPS3_EEv13rocblas_fill_17rocblas_diagonal_T1_iil.num_named_barrier, 0
	.set _ZN9rocsolver6v33100L18trti2_kernel_smallILi27E19rocblas_complex_numIdEPKPS3_EEv13rocblas_fill_17rocblas_diagonal_T1_iil.private_seg_size, 448
	.set _ZN9rocsolver6v33100L18trti2_kernel_smallILi27E19rocblas_complex_numIdEPKPS3_EEv13rocblas_fill_17rocblas_diagonal_T1_iil.uses_vcc, 1
	.set _ZN9rocsolver6v33100L18trti2_kernel_smallILi27E19rocblas_complex_numIdEPKPS3_EEv13rocblas_fill_17rocblas_diagonal_T1_iil.uses_flat_scratch, 0
	.set _ZN9rocsolver6v33100L18trti2_kernel_smallILi27E19rocblas_complex_numIdEPKPS3_EEv13rocblas_fill_17rocblas_diagonal_T1_iil.has_dyn_sized_stack, 0
	.set _ZN9rocsolver6v33100L18trti2_kernel_smallILi27E19rocblas_complex_numIdEPKPS3_EEv13rocblas_fill_17rocblas_diagonal_T1_iil.has_recursion, 0
	.set _ZN9rocsolver6v33100L18trti2_kernel_smallILi27E19rocblas_complex_numIdEPKPS3_EEv13rocblas_fill_17rocblas_diagonal_T1_iil.has_indirect_call, 0
	.section	.AMDGPU.csdata,"",@progbits
; Kernel info:
; codeLenInByte = 27184
; TotalNumSgprs: 47
; NumVgprs: 76
; ScratchSize: 448
; MemoryBound: 0
; FloatMode: 240
; IeeeMode: 1
; LDSByteSize: 864 bytes/workgroup (compile time only)
; SGPRBlocks: 0
; VGPRBlocks: 9
; NumSGPRsForWavesPerEU: 47
; NumVGPRsForWavesPerEU: 76
; Occupancy: 12
; WaveLimiterHint : 1
; COMPUTE_PGM_RSRC2:SCRATCH_EN: 1
; COMPUTE_PGM_RSRC2:USER_SGPR: 6
; COMPUTE_PGM_RSRC2:TRAP_HANDLER: 0
; COMPUTE_PGM_RSRC2:TGID_X_EN: 1
; COMPUTE_PGM_RSRC2:TGID_Y_EN: 0
; COMPUTE_PGM_RSRC2:TGID_Z_EN: 0
; COMPUTE_PGM_RSRC2:TIDIG_COMP_CNT: 0
	.section	.text._ZN9rocsolver6v33100L18trti2_kernel_smallILi28E19rocblas_complex_numIdEPKPS3_EEv13rocblas_fill_17rocblas_diagonal_T1_iil,"axG",@progbits,_ZN9rocsolver6v33100L18trti2_kernel_smallILi28E19rocblas_complex_numIdEPKPS3_EEv13rocblas_fill_17rocblas_diagonal_T1_iil,comdat
	.globl	_ZN9rocsolver6v33100L18trti2_kernel_smallILi28E19rocblas_complex_numIdEPKPS3_EEv13rocblas_fill_17rocblas_diagonal_T1_iil ; -- Begin function _ZN9rocsolver6v33100L18trti2_kernel_smallILi28E19rocblas_complex_numIdEPKPS3_EEv13rocblas_fill_17rocblas_diagonal_T1_iil
	.p2align	8
	.type	_ZN9rocsolver6v33100L18trti2_kernel_smallILi28E19rocblas_complex_numIdEPKPS3_EEv13rocblas_fill_17rocblas_diagonal_T1_iil,@function
_ZN9rocsolver6v33100L18trti2_kernel_smallILi28E19rocblas_complex_numIdEPKPS3_EEv13rocblas_fill_17rocblas_diagonal_T1_iil: ; @_ZN9rocsolver6v33100L18trti2_kernel_smallILi28E19rocblas_complex_numIdEPKPS3_EEv13rocblas_fill_17rocblas_diagonal_T1_iil
; %bb.0:
	s_add_u32 s0, s0, s7
	s_addc_u32 s1, s1, 0
	s_mov_b32 s7, exec_lo
	v_cmpx_gt_u32_e32 28, v0
	s_cbranch_execz .LBB91_435
; %bb.1:
	s_clause 0x1
	s_load_dwordx2 s[12:13], s[4:5], 0x10
	s_load_dwordx4 s[8:11], s[4:5], 0x0
	s_ashr_i32 s7, s6, 31
	v_lshlrev_b32_e32 v67, 4, v0
	s_lshl_b64 s[4:5], s[6:7], 3
	s_movk_i32 s14, 0xd0
	s_movk_i32 s15, 0xe0
	;; [unrolled: 1-line block ×15, first 2 shown]
	s_waitcnt lgkmcnt(0)
	s_ashr_i32 s7, s12, 31
	s_add_u32 s4, s10, s4
	s_addc_u32 s5, s11, s5
	s_mov_b32 s6, s12
	s_load_dwordx2 s[4:5], s[4:5], 0x0
	s_lshl_b64 s[6:7], s[6:7], 4
	v_add3_u32 v7, s13, s13, v0
	s_movk_i32 s10, 0x90
	s_movk_i32 s11, 0xa0
	s_movk_i32 s12, 0xb0
	v_ashrrev_i32_e32 v8, 31, v7
	v_lshlrev_b64 v[8:9], 4, v[7:8]
	v_add_nc_u32_e32 v7, s13, v7
	s_waitcnt lgkmcnt(0)
	s_add_u32 s6, s4, s6
	s_addc_u32 s7, s5, s7
	v_add_co_u32 v5, s4, s6, v67
	v_add_co_ci_u32_e64 v6, null, s7, 0, s4
	s_mov_b32 s4, s13
	s_ashr_i32 s5, s13, 31
	s_lshl_b64 s[4:5], s[4:5], 4
	flat_load_dwordx4 v[1:4], v[5:6]
	v_add_co_u32 v59, vcc_lo, v5, s4
	v_add_co_ci_u32_e64 v60, null, s5, v6, vcc_lo
	v_add_co_u32 v57, vcc_lo, s6, v8
	v_add_co_ci_u32_e64 v58, null, s7, v9, vcc_lo
	v_ashrrev_i32_e32 v8, 31, v7
	s_cmpk_lg_i32 s9, 0x84
	s_movk_i32 s4, 0x50
	s_movk_i32 s5, 0x60
	s_cselect_b32 s36, -1, 0
	v_lshlrev_b64 v[8:9], 4, v[7:8]
	v_add_nc_u32_e32 v7, s13, v7
	s_cmpk_eq_i32 s9, 0x84
	s_waitcnt vmcnt(0) lgkmcnt(0)
	buffer_store_dword v4, off, s[0:3], 0 offset:12
	buffer_store_dword v3, off, s[0:3], 0 offset:8
	;; [unrolled: 1-line block ×3, first 2 shown]
	buffer_store_dword v1, off, s[0:3], 0
	flat_load_dwordx4 v[1:4], v[59:60]
	v_add_co_u32 v53, vcc_lo, s6, v8
	v_add_co_ci_u32_e64 v54, null, s7, v9, vcc_lo
	v_ashrrev_i32_e32 v8, 31, v7
	s_waitcnt vmcnt(0) lgkmcnt(0)
	buffer_store_dword v4, off, s[0:3], 0 offset:28
	buffer_store_dword v3, off, s[0:3], 0 offset:24
	;; [unrolled: 1-line block ×4, first 2 shown]
	flat_load_dwordx4 v[1:4], v[57:58]
	v_lshlrev_b64 v[8:9], 4, v[7:8]
	v_add_nc_u32_e32 v7, s13, v7
	s_waitcnt vmcnt(0) lgkmcnt(0)
	buffer_store_dword v4, off, s[0:3], 0 offset:44
	buffer_store_dword v3, off, s[0:3], 0 offset:40
	;; [unrolled: 1-line block ×4, first 2 shown]
	flat_load_dwordx4 v[1:4], v[53:54]
	v_add_co_u32 v51, vcc_lo, s6, v8
	v_add_co_ci_u32_e64 v52, null, s7, v9, vcc_lo
	v_ashrrev_i32_e32 v8, 31, v7
	s_waitcnt vmcnt(0) lgkmcnt(0)
	buffer_store_dword v4, off, s[0:3], 0 offset:60
	buffer_store_dword v3, off, s[0:3], 0 offset:56
	;; [unrolled: 1-line block ×4, first 2 shown]
	flat_load_dwordx4 v[1:4], v[51:52]
	v_lshlrev_b64 v[8:9], 4, v[7:8]
	v_add_nc_u32_e32 v7, s13, v7
	s_waitcnt vmcnt(0) lgkmcnt(0)
	buffer_store_dword v4, off, s[0:3], 0 offset:76
	buffer_store_dword v3, off, s[0:3], 0 offset:72
	;; [unrolled: 1-line block ×4, first 2 shown]
	v_add_co_u32 v49, vcc_lo, s6, v8
	v_add_co_ci_u32_e64 v50, null, s7, v9, vcc_lo
	v_ashrrev_i32_e32 v8, 31, v7
	flat_load_dwordx4 v[1:4], v[49:50]
	s_waitcnt vmcnt(0) lgkmcnt(0)
	buffer_store_dword v4, off, s[0:3], 0 offset:92
	buffer_store_dword v3, off, s[0:3], 0 offset:88
	buffer_store_dword v2, off, s[0:3], 0 offset:84
	buffer_store_dword v1, off, s[0:3], 0 offset:80
	v_lshlrev_b64 v[8:9], 4, v[7:8]
	v_add_nc_u32_e32 v7, s13, v7
	v_add_co_u32 v47, vcc_lo, s6, v8
	v_add_co_ci_u32_e64 v48, null, s7, v9, vcc_lo
	v_ashrrev_i32_e32 v8, 31, v7
	flat_load_dwordx4 v[1:4], v[47:48]
	s_waitcnt vmcnt(0) lgkmcnt(0)
	buffer_store_dword v4, off, s[0:3], 0 offset:108
	buffer_store_dword v3, off, s[0:3], 0 offset:104
	buffer_store_dword v2, off, s[0:3], 0 offset:100
	buffer_store_dword v1, off, s[0:3], 0 offset:96
	v_lshlrev_b64 v[8:9], 4, v[7:8]
	v_add_nc_u32_e32 v7, s13, v7
	v_add_co_u32 v45, vcc_lo, s6, v8
	v_add_co_ci_u32_e64 v46, null, s7, v9, vcc_lo
	v_ashrrev_i32_e32 v8, 31, v7
	flat_load_dwordx4 v[1:4], v[45:46]
	s_waitcnt vmcnt(0) lgkmcnt(0)
	buffer_store_dword v4, off, s[0:3], 0 offset:124
	buffer_store_dword v3, off, s[0:3], 0 offset:120
	buffer_store_dword v2, off, s[0:3], 0 offset:116
	buffer_store_dword v1, off, s[0:3], 0 offset:112
	v_lshlrev_b64 v[8:9], 4, v[7:8]
	v_add_nc_u32_e32 v7, s13, v7
	v_add_co_u32 v43, vcc_lo, s6, v8
	v_add_co_ci_u32_e64 v44, null, s7, v9, vcc_lo
	v_ashrrev_i32_e32 v8, 31, v7
	flat_load_dwordx4 v[1:4], v[43:44]
	s_waitcnt vmcnt(0) lgkmcnt(0)
	buffer_store_dword v4, off, s[0:3], 0 offset:140
	buffer_store_dword v3, off, s[0:3], 0 offset:136
	buffer_store_dword v2, off, s[0:3], 0 offset:132
	buffer_store_dword v1, off, s[0:3], 0 offset:128
	v_lshlrev_b64 v[8:9], 4, v[7:8]
	v_add_nc_u32_e32 v7, s13, v7
	v_add_co_u32 v41, vcc_lo, s6, v8
	v_add_co_ci_u32_e64 v42, null, s7, v9, vcc_lo
	v_ashrrev_i32_e32 v8, 31, v7
	flat_load_dwordx4 v[1:4], v[41:42]
	s_waitcnt vmcnt(0) lgkmcnt(0)
	buffer_store_dword v4, off, s[0:3], 0 offset:156
	buffer_store_dword v3, off, s[0:3], 0 offset:152
	buffer_store_dword v2, off, s[0:3], 0 offset:148
	buffer_store_dword v1, off, s[0:3], 0 offset:144
	v_lshlrev_b64 v[8:9], 4, v[7:8]
	v_add_nc_u32_e32 v7, s13, v7
	v_add_co_u32 v39, vcc_lo, s6, v8
	v_add_co_ci_u32_e64 v40, null, s7, v9, vcc_lo
	v_ashrrev_i32_e32 v8, 31, v7
	flat_load_dwordx4 v[1:4], v[39:40]
	s_waitcnt vmcnt(0) lgkmcnt(0)
	buffer_store_dword v4, off, s[0:3], 0 offset:172
	buffer_store_dword v3, off, s[0:3], 0 offset:168
	buffer_store_dword v2, off, s[0:3], 0 offset:164
	buffer_store_dword v1, off, s[0:3], 0 offset:160
	v_lshlrev_b64 v[8:9], 4, v[7:8]
	v_add_nc_u32_e32 v7, s13, v7
	v_add_co_u32 v37, vcc_lo, s6, v8
	v_add_co_ci_u32_e64 v38, null, s7, v9, vcc_lo
	v_ashrrev_i32_e32 v8, 31, v7
	flat_load_dwordx4 v[1:4], v[37:38]
	s_waitcnt vmcnt(0) lgkmcnt(0)
	buffer_store_dword v4, off, s[0:3], 0 offset:188
	buffer_store_dword v3, off, s[0:3], 0 offset:184
	buffer_store_dword v2, off, s[0:3], 0 offset:180
	buffer_store_dword v1, off, s[0:3], 0 offset:176
	v_lshlrev_b64 v[8:9], 4, v[7:8]
	v_add_nc_u32_e32 v7, s13, v7
	v_add_co_u32 v35, vcc_lo, s6, v8
	v_add_co_ci_u32_e64 v36, null, s7, v9, vcc_lo
	v_ashrrev_i32_e32 v8, 31, v7
	flat_load_dwordx4 v[1:4], v[35:36]
	s_waitcnt vmcnt(0) lgkmcnt(0)
	buffer_store_dword v4, off, s[0:3], 0 offset:204
	buffer_store_dword v3, off, s[0:3], 0 offset:200
	buffer_store_dword v2, off, s[0:3], 0 offset:196
	buffer_store_dword v1, off, s[0:3], 0 offset:192
	v_lshlrev_b64 v[8:9], 4, v[7:8]
	v_add_nc_u32_e32 v7, s13, v7
	v_add_co_u32 v31, vcc_lo, s6, v8
	v_add_co_ci_u32_e64 v32, null, s7, v9, vcc_lo
	v_ashrrev_i32_e32 v8, 31, v7
	flat_load_dwordx4 v[1:4], v[31:32]
	s_waitcnt vmcnt(0) lgkmcnt(0)
	buffer_store_dword v4, off, s[0:3], 0 offset:220
	buffer_store_dword v3, off, s[0:3], 0 offset:216
	buffer_store_dword v2, off, s[0:3], 0 offset:212
	buffer_store_dword v1, off, s[0:3], 0 offset:208
	v_lshlrev_b64 v[8:9], 4, v[7:8]
	v_add_nc_u32_e32 v7, s13, v7
	v_add_co_u32 v29, vcc_lo, s6, v8
	v_add_co_ci_u32_e64 v30, null, s7, v9, vcc_lo
	v_ashrrev_i32_e32 v8, 31, v7
	flat_load_dwordx4 v[1:4], v[29:30]
	s_waitcnt vmcnt(0) lgkmcnt(0)
	buffer_store_dword v4, off, s[0:3], 0 offset:236
	buffer_store_dword v3, off, s[0:3], 0 offset:232
	buffer_store_dword v2, off, s[0:3], 0 offset:228
	buffer_store_dword v1, off, s[0:3], 0 offset:224
	v_lshlrev_b64 v[8:9], 4, v[7:8]
	v_add_nc_u32_e32 v7, s13, v7
	v_add_co_u32 v27, vcc_lo, s6, v8
	v_add_co_ci_u32_e64 v28, null, s7, v9, vcc_lo
	v_ashrrev_i32_e32 v8, 31, v7
	flat_load_dwordx4 v[1:4], v[27:28]
	s_waitcnt vmcnt(0) lgkmcnt(0)
	buffer_store_dword v4, off, s[0:3], 0 offset:252
	buffer_store_dword v3, off, s[0:3], 0 offset:248
	buffer_store_dword v2, off, s[0:3], 0 offset:244
	buffer_store_dword v1, off, s[0:3], 0 offset:240
	v_lshlrev_b64 v[8:9], 4, v[7:8]
	v_add_nc_u32_e32 v7, s13, v7
	v_add_co_u32 v25, vcc_lo, s6, v8
	v_add_co_ci_u32_e64 v26, null, s7, v9, vcc_lo
	v_ashrrev_i32_e32 v8, 31, v7
	flat_load_dwordx4 v[1:4], v[25:26]
	s_waitcnt vmcnt(0) lgkmcnt(0)
	buffer_store_dword v4, off, s[0:3], 0 offset:268
	buffer_store_dword v3, off, s[0:3], 0 offset:264
	buffer_store_dword v2, off, s[0:3], 0 offset:260
	buffer_store_dword v1, off, s[0:3], 0 offset:256
	v_lshlrev_b64 v[8:9], 4, v[7:8]
	v_add_nc_u32_e32 v7, s13, v7
	v_add_co_u32 v23, vcc_lo, s6, v8
	v_add_co_ci_u32_e64 v24, null, s7, v9, vcc_lo
	v_ashrrev_i32_e32 v8, 31, v7
	flat_load_dwordx4 v[1:4], v[23:24]
	s_waitcnt vmcnt(0) lgkmcnt(0)
	buffer_store_dword v4, off, s[0:3], 0 offset:284
	buffer_store_dword v3, off, s[0:3], 0 offset:280
	buffer_store_dword v2, off, s[0:3], 0 offset:276
	buffer_store_dword v1, off, s[0:3], 0 offset:272
	v_lshlrev_b64 v[8:9], 4, v[7:8]
	v_add_nc_u32_e32 v7, s13, v7
	v_add_co_u32 v21, vcc_lo, s6, v8
	v_add_co_ci_u32_e64 v22, null, s7, v9, vcc_lo
	v_ashrrev_i32_e32 v8, 31, v7
	flat_load_dwordx4 v[1:4], v[21:22]
	s_waitcnt vmcnt(0) lgkmcnt(0)
	buffer_store_dword v4, off, s[0:3], 0 offset:300
	buffer_store_dword v3, off, s[0:3], 0 offset:296
	buffer_store_dword v2, off, s[0:3], 0 offset:292
	buffer_store_dword v1, off, s[0:3], 0 offset:288
	v_lshlrev_b64 v[8:9], 4, v[7:8]
	v_add_nc_u32_e32 v7, s13, v7
	v_add_co_u32 v19, vcc_lo, s6, v8
	v_add_co_ci_u32_e64 v20, null, s7, v9, vcc_lo
	v_ashrrev_i32_e32 v8, 31, v7
	flat_load_dwordx4 v[1:4], v[19:20]
	s_waitcnt vmcnt(0) lgkmcnt(0)
	buffer_store_dword v4, off, s[0:3], 0 offset:316
	buffer_store_dword v3, off, s[0:3], 0 offset:312
	buffer_store_dword v2, off, s[0:3], 0 offset:308
	buffer_store_dword v1, off, s[0:3], 0 offset:304
	v_lshlrev_b64 v[8:9], 4, v[7:8]
	v_add_nc_u32_e32 v7, s13, v7
	v_add_co_u32 v17, vcc_lo, s6, v8
	v_add_co_ci_u32_e64 v18, null, s7, v9, vcc_lo
	v_ashrrev_i32_e32 v8, 31, v7
	flat_load_dwordx4 v[1:4], v[17:18]
	s_waitcnt vmcnt(0) lgkmcnt(0)
	buffer_store_dword v4, off, s[0:3], 0 offset:332
	buffer_store_dword v3, off, s[0:3], 0 offset:328
	buffer_store_dword v2, off, s[0:3], 0 offset:324
	buffer_store_dword v1, off, s[0:3], 0 offset:320
	v_lshlrev_b64 v[8:9], 4, v[7:8]
	v_add_nc_u32_e32 v7, s13, v7
	v_add_co_u32 v15, vcc_lo, s6, v8
	v_add_co_ci_u32_e64 v16, null, s7, v9, vcc_lo
	v_ashrrev_i32_e32 v8, 31, v7
	flat_load_dwordx4 v[1:4], v[15:16]
	s_waitcnt vmcnt(0) lgkmcnt(0)
	buffer_store_dword v4, off, s[0:3], 0 offset:348
	buffer_store_dword v3, off, s[0:3], 0 offset:344
	buffer_store_dword v2, off, s[0:3], 0 offset:340
	buffer_store_dword v1, off, s[0:3], 0 offset:336
	v_lshlrev_b64 v[8:9], 4, v[7:8]
	v_add_nc_u32_e32 v7, s13, v7
	v_add_co_u32 v13, vcc_lo, s6, v8
	v_add_co_ci_u32_e64 v14, null, s7, v9, vcc_lo
	v_ashrrev_i32_e32 v8, 31, v7
	flat_load_dwordx4 v[1:4], v[13:14]
	s_waitcnt vmcnt(0) lgkmcnt(0)
	buffer_store_dword v4, off, s[0:3], 0 offset:364
	buffer_store_dword v3, off, s[0:3], 0 offset:360
	buffer_store_dword v2, off, s[0:3], 0 offset:356
	buffer_store_dword v1, off, s[0:3], 0 offset:352
	v_lshlrev_b64 v[8:9], 4, v[7:8]
	v_add_nc_u32_e32 v7, s13, v7
	v_add_co_u32 v11, vcc_lo, s6, v8
	v_add_co_ci_u32_e64 v12, null, s7, v9, vcc_lo
	v_ashrrev_i32_e32 v8, 31, v7
	v_add_nc_u32_e32 v33, s13, v7
	flat_load_dwordx4 v[1:4], v[11:12]
	s_waitcnt vmcnt(0) lgkmcnt(0)
	buffer_store_dword v4, off, s[0:3], 0 offset:380
	buffer_store_dword v3, off, s[0:3], 0 offset:376
	;; [unrolled: 1-line block ×4, first 2 shown]
	v_lshlrev_b64 v[9:10], 4, v[7:8]
	v_ashrrev_i32_e32 v34, 31, v33
	v_add_nc_u32_e32 v55, s13, v33
	v_add_co_u32 v9, vcc_lo, s6, v9
	v_add_co_ci_u32_e64 v10, null, s7, v10, vcc_lo
	v_lshlrev_b64 v[7:8], 4, v[33:34]
	v_ashrrev_i32_e32 v56, 31, v55
	flat_load_dwordx4 v[1:4], v[9:10]
	s_waitcnt vmcnt(0) lgkmcnt(0)
	buffer_store_dword v4, off, s[0:3], 0 offset:396
	buffer_store_dword v3, off, s[0:3], 0 offset:392
	buffer_store_dword v2, off, s[0:3], 0 offset:388
	buffer_store_dword v1, off, s[0:3], 0 offset:384
	v_add_co_u32 v7, vcc_lo, s6, v7
	v_add_co_ci_u32_e64 v8, null, s7, v8, vcc_lo
	v_lshlrev_b64 v[33:34], 4, v[55:56]
	v_add_nc_u32_e32 v55, s13, v55
	s_movk_i32 s13, 0xc0
	flat_load_dwordx4 v[1:4], v[7:8]
	s_waitcnt vmcnt(0) lgkmcnt(0)
	buffer_store_dword v4, off, s[0:3], 0 offset:412
	buffer_store_dword v3, off, s[0:3], 0 offset:408
	;; [unrolled: 1-line block ×4, first 2 shown]
	v_add_co_u32 v33, vcc_lo, s6, v33
	v_add_co_ci_u32_e64 v34, null, s7, v34, vcc_lo
	v_ashrrev_i32_e32 v56, 31, v55
	flat_load_dwordx4 v[1:4], v[33:34]
	s_waitcnt vmcnt(0) lgkmcnt(0)
	buffer_store_dword v4, off, s[0:3], 0 offset:428
	buffer_store_dword v3, off, s[0:3], 0 offset:424
	buffer_store_dword v2, off, s[0:3], 0 offset:420
	buffer_store_dword v1, off, s[0:3], 0 offset:416
	v_lshlrev_b64 v[55:56], 4, v[55:56]
	v_add_co_u32 v55, vcc_lo, s6, v55
	v_add_co_ci_u32_e64 v56, null, s7, v56, vcc_lo
	s_movk_i32 s6, 0x70
	s_movk_i32 s7, 0x80
	flat_load_dwordx4 v[1:4], v[55:56]
	s_waitcnt vmcnt(0) lgkmcnt(0)
	buffer_store_dword v4, off, s[0:3], 0 offset:444
	buffer_store_dword v3, off, s[0:3], 0 offset:440
	;; [unrolled: 1-line block ×4, first 2 shown]
	s_cbranch_scc1 .LBB91_7
; %bb.2:
	v_lshl_add_u32 v68, v0, 4, 0
                                        ; implicit-def: $vgpr63_vgpr64
                                        ; implicit-def: $vgpr3_vgpr4
	s_clause 0x3
	buffer_load_dword v61, v68, s[0:3], 0 offen
	buffer_load_dword v62, v68, s[0:3], 0 offen offset:4
	buffer_load_dword v65, v68, s[0:3], 0 offen offset:8
	;; [unrolled: 1-line block ×3, first 2 shown]
	s_waitcnt vmcnt(0)
	v_cmp_ngt_f64_e64 s9, |v[61:62]|, |v[65:66]|
	s_and_saveexec_b32 s19, s9
	s_xor_b32 s9, exec_lo, s19
	s_cbranch_execz .LBB91_4
; %bb.3:
	v_div_scale_f64 v[1:2], null, v[65:66], v[65:66], v[61:62]
	v_div_scale_f64 v[69:70], vcc_lo, v[61:62], v[65:66], v[61:62]
	v_rcp_f64_e32 v[3:4], v[1:2]
	v_fma_f64 v[63:64], -v[1:2], v[3:4], 1.0
	v_fma_f64 v[3:4], v[3:4], v[63:64], v[3:4]
	v_fma_f64 v[63:64], -v[1:2], v[3:4], 1.0
	v_fma_f64 v[3:4], v[3:4], v[63:64], v[3:4]
	v_mul_f64 v[63:64], v[69:70], v[3:4]
	v_fma_f64 v[1:2], -v[1:2], v[63:64], v[69:70]
	v_div_fmas_f64 v[1:2], v[1:2], v[3:4], v[63:64]
	v_div_fixup_f64 v[1:2], v[1:2], v[65:66], v[61:62]
	v_fma_f64 v[3:4], v[61:62], v[1:2], v[65:66]
	v_div_scale_f64 v[61:62], null, v[3:4], v[3:4], 1.0
	v_div_scale_f64 v[69:70], vcc_lo, 1.0, v[3:4], 1.0
	v_rcp_f64_e32 v[63:64], v[61:62]
	v_fma_f64 v[65:66], -v[61:62], v[63:64], 1.0
	v_fma_f64 v[63:64], v[63:64], v[65:66], v[63:64]
	v_fma_f64 v[65:66], -v[61:62], v[63:64], 1.0
	v_fma_f64 v[63:64], v[63:64], v[65:66], v[63:64]
	v_mul_f64 v[65:66], v[69:70], v[63:64]
	v_fma_f64 v[61:62], -v[61:62], v[65:66], v[69:70]
	v_div_fmas_f64 v[61:62], v[61:62], v[63:64], v[65:66]
                                        ; implicit-def: $vgpr65_vgpr66
	v_div_fixup_f64 v[3:4], v[61:62], v[3:4], 1.0
                                        ; implicit-def: $vgpr61_vgpr62
	v_mul_f64 v[63:64], v[1:2], v[3:4]
	v_xor_b32_e32 v4, 0x80000000, v4
	v_xor_b32_e32 v2, 0x80000000, v64
	v_mov_b32_e32 v1, v63
.LBB91_4:
	s_andn2_saveexec_b32 s9, s9
	s_cbranch_execz .LBB91_6
; %bb.5:
	v_div_scale_f64 v[1:2], null, v[61:62], v[61:62], v[65:66]
	v_div_scale_f64 v[69:70], vcc_lo, v[65:66], v[61:62], v[65:66]
	v_rcp_f64_e32 v[3:4], v[1:2]
	v_fma_f64 v[63:64], -v[1:2], v[3:4], 1.0
	v_fma_f64 v[3:4], v[3:4], v[63:64], v[3:4]
	v_fma_f64 v[63:64], -v[1:2], v[3:4], 1.0
	v_fma_f64 v[3:4], v[3:4], v[63:64], v[3:4]
	v_mul_f64 v[63:64], v[69:70], v[3:4]
	v_fma_f64 v[1:2], -v[1:2], v[63:64], v[69:70]
	v_div_fmas_f64 v[1:2], v[1:2], v[3:4], v[63:64]
	v_div_fixup_f64 v[1:2], v[1:2], v[61:62], v[65:66]
	v_fma_f64 v[3:4], v[65:66], v[1:2], v[61:62]
	v_div_scale_f64 v[61:62], null, v[3:4], v[3:4], 1.0
	v_rcp_f64_e32 v[63:64], v[61:62]
	v_fma_f64 v[65:66], -v[61:62], v[63:64], 1.0
	v_fma_f64 v[63:64], v[63:64], v[65:66], v[63:64]
	v_fma_f64 v[65:66], -v[61:62], v[63:64], 1.0
	v_fma_f64 v[63:64], v[63:64], v[65:66], v[63:64]
	v_div_scale_f64 v[65:66], vcc_lo, 1.0, v[3:4], 1.0
	v_mul_f64 v[69:70], v[65:66], v[63:64]
	v_fma_f64 v[61:62], -v[61:62], v[69:70], v[65:66]
	v_div_fmas_f64 v[61:62], v[61:62], v[63:64], v[69:70]
	v_div_fixup_f64 v[63:64], v[61:62], v[3:4], 1.0
	v_mul_f64 v[3:4], v[1:2], -v[63:64]
	v_xor_b32_e32 v2, 0x80000000, v64
	v_mov_b32_e32 v1, v63
.LBB91_6:
	s_or_b32 exec_lo, exec_lo, s9
	buffer_store_dword v4, v68, s[0:3], 0 offen offset:12
	v_xor_b32_e32 v4, 0x80000000, v4
	buffer_store_dword v64, v68, s[0:3], 0 offen offset:4
	buffer_store_dword v63, v68, s[0:3], 0 offen
	buffer_store_dword v3, v68, s[0:3], 0 offen offset:8
	s_branch .LBB91_8
.LBB91_7:
	v_mov_b32_e32 v1, 0
	v_mov_b32_e32 v3, 0
	;; [unrolled: 1-line block ×4, first 2 shown]
.LBB91_8:
	v_add_nc_u32_e32 v62, 0x1c0, v67
	v_mov_b32_e32 v61, v67
	s_mov_b32 s35, 16
	s_mov_b32 s34, 32
	;; [unrolled: 1-line block ×26, first 2 shown]
	s_cmpk_eq_i32 s8, 0x79
	ds_write_b128 v67, v[1:4]
	s_cbranch_scc1 .LBB91_220
; %bb.9:
	v_mov_b32_e32 v4, s9
	v_cmp_eq_u32_e64 s4, 27, v0
	s_clause 0x3
	buffer_load_dword v1, v4, s[0:3], 0 offen
	buffer_load_dword v2, v4, s[0:3], 0 offen offset:4
	buffer_load_dword v3, v4, s[0:3], 0 offen offset:8
	;; [unrolled: 1-line block ×3, first 2 shown]
	s_waitcnt vmcnt(0)
	ds_write_b128 v62, v[1:4]
	s_waitcnt lgkmcnt(0)
	s_waitcnt_vscnt null, 0x0
	s_barrier
	buffer_gl0_inv
	s_and_saveexec_b32 s5, s4
	s_cbranch_execz .LBB91_13
; %bb.10:
	ds_read_b128 v[1:4], v62
	s_andn2_b32 vcc_lo, exec_lo, s36
	s_cbranch_vccnz .LBB91_12
; %bb.11:
	s_clause 0x3
	buffer_load_dword v63, v61, s[0:3], 0 offen offset:8
	buffer_load_dword v64, v61, s[0:3], 0 offen offset:12
	buffer_load_dword v65, v61, s[0:3], 0 offen
	buffer_load_dword v66, v61, s[0:3], 0 offen offset:4
	s_waitcnt vmcnt(2) lgkmcnt(0)
	v_mul_f64 v[68:69], v[3:4], v[63:64]
	v_mul_f64 v[63:64], v[1:2], v[63:64]
	s_waitcnt vmcnt(0)
	v_fma_f64 v[1:2], v[1:2], v[65:66], -v[68:69]
	v_fma_f64 v[3:4], v[3:4], v[65:66], v[63:64]
.LBB91_12:
	v_mov_b32_e32 v63, 0
	ds_read_b128 v[63:66], v63 offset:416
	s_waitcnt lgkmcnt(0)
	v_mul_f64 v[68:69], v[3:4], v[65:66]
	v_mul_f64 v[65:66], v[1:2], v[65:66]
	v_fma_f64 v[1:2], v[1:2], v[63:64], -v[68:69]
	v_fma_f64 v[3:4], v[3:4], v[63:64], v[65:66]
	buffer_store_dword v2, off, s[0:3], 0 offset:420
	buffer_store_dword v1, off, s[0:3], 0 offset:416
	;; [unrolled: 1-line block ×4, first 2 shown]
.LBB91_13:
	s_or_b32 exec_lo, exec_lo, s5
	v_mov_b32_e32 v4, s10
	v_cmp_lt_u32_e64 s5, 25, v0
	s_clause 0x3
	buffer_load_dword v1, v4, s[0:3], 0 offen
	buffer_load_dword v2, v4, s[0:3], 0 offen offset:4
	buffer_load_dword v3, v4, s[0:3], 0 offen offset:8
	;; [unrolled: 1-line block ×3, first 2 shown]
	s_waitcnt vmcnt(0)
	ds_write_b128 v62, v[1:4]
	s_waitcnt lgkmcnt(0)
	s_waitcnt_vscnt null, 0x0
	s_barrier
	buffer_gl0_inv
	s_and_saveexec_b32 s6, s5
	s_cbranch_execz .LBB91_19
; %bb.14:
	ds_read_b128 v[1:4], v62
	s_andn2_b32 vcc_lo, exec_lo, s36
	s_cbranch_vccnz .LBB91_16
; %bb.15:
	s_clause 0x3
	buffer_load_dword v63, v61, s[0:3], 0 offen offset:8
	buffer_load_dword v64, v61, s[0:3], 0 offen offset:12
	buffer_load_dword v65, v61, s[0:3], 0 offen
	buffer_load_dword v66, v61, s[0:3], 0 offen offset:4
	s_waitcnt vmcnt(2) lgkmcnt(0)
	v_mul_f64 v[68:69], v[3:4], v[63:64]
	v_mul_f64 v[63:64], v[1:2], v[63:64]
	s_waitcnt vmcnt(0)
	v_fma_f64 v[1:2], v[1:2], v[65:66], -v[68:69]
	v_fma_f64 v[3:4], v[3:4], v[65:66], v[63:64]
.LBB91_16:
	s_and_saveexec_b32 s8, s4
	s_cbranch_execz .LBB91_18
; %bb.17:
	s_clause 0x3
	buffer_load_dword v68, off, s[0:3], 0 offset:424
	buffer_load_dword v69, off, s[0:3], 0 offset:428
	;; [unrolled: 1-line block ×4, first 2 shown]
	v_mov_b32_e32 v63, 0
	ds_read_b128 v[63:66], v63 offset:864
	s_waitcnt vmcnt(2) lgkmcnt(0)
	v_mul_f64 v[72:73], v[63:64], v[68:69]
	v_mul_f64 v[68:69], v[65:66], v[68:69]
	s_waitcnt vmcnt(0)
	v_fma_f64 v[65:66], v[65:66], v[70:71], v[72:73]
	v_fma_f64 v[63:64], v[63:64], v[70:71], -v[68:69]
	v_add_f64 v[3:4], v[3:4], v[65:66]
	v_add_f64 v[1:2], v[1:2], v[63:64]
.LBB91_18:
	s_or_b32 exec_lo, exec_lo, s8
	v_mov_b32_e32 v63, 0
	ds_read_b128 v[63:66], v63 offset:400
	s_waitcnt lgkmcnt(0)
	v_mul_f64 v[68:69], v[3:4], v[65:66]
	v_mul_f64 v[65:66], v[1:2], v[65:66]
	v_fma_f64 v[1:2], v[1:2], v[63:64], -v[68:69]
	v_fma_f64 v[3:4], v[3:4], v[63:64], v[65:66]
	buffer_store_dword v2, off, s[0:3], 0 offset:404
	buffer_store_dword v1, off, s[0:3], 0 offset:400
	;; [unrolled: 1-line block ×4, first 2 shown]
.LBB91_19:
	s_or_b32 exec_lo, exec_lo, s6
	v_mov_b32_e32 v4, s11
	v_cmp_lt_u32_e64 s4, 24, v0
	s_clause 0x3
	buffer_load_dword v1, v4, s[0:3], 0 offen
	buffer_load_dword v2, v4, s[0:3], 0 offen offset:4
	buffer_load_dword v3, v4, s[0:3], 0 offen offset:8
	;; [unrolled: 1-line block ×3, first 2 shown]
	s_waitcnt vmcnt(0)
	ds_write_b128 v62, v[1:4]
	s_waitcnt lgkmcnt(0)
	s_waitcnt_vscnt null, 0x0
	s_barrier
	buffer_gl0_inv
	s_and_saveexec_b32 s6, s4
	s_cbranch_execz .LBB91_27
; %bb.20:
	ds_read_b128 v[1:4], v62
	s_andn2_b32 vcc_lo, exec_lo, s36
	s_cbranch_vccnz .LBB91_22
; %bb.21:
	s_clause 0x3
	buffer_load_dword v63, v61, s[0:3], 0 offen offset:8
	buffer_load_dword v64, v61, s[0:3], 0 offen offset:12
	buffer_load_dword v65, v61, s[0:3], 0 offen
	buffer_load_dword v66, v61, s[0:3], 0 offen offset:4
	s_waitcnt vmcnt(2) lgkmcnt(0)
	v_mul_f64 v[68:69], v[3:4], v[63:64]
	v_mul_f64 v[63:64], v[1:2], v[63:64]
	s_waitcnt vmcnt(0)
	v_fma_f64 v[1:2], v[1:2], v[65:66], -v[68:69]
	v_fma_f64 v[3:4], v[3:4], v[65:66], v[63:64]
.LBB91_22:
	s_and_saveexec_b32 s8, s5
	s_cbranch_execz .LBB91_26
; %bb.23:
	v_subrev_nc_u32_e32 v63, 25, v0
	s_movk_i32 s37, 0x350
	s_mov_b32 s5, 0
	s_mov_b32 s38, s10
	.p2align	6
.LBB91_24:                              ; =>This Inner Loop Header: Depth=1
	v_mov_b32_e32 v66, s38
	v_add_nc_u32_e32 v63, -1, v63
	s_add_i32 s38, s38, 16
	s_clause 0x3
	buffer_load_dword v64, v66, s[0:3], 0 offen offset:8
	buffer_load_dword v65, v66, s[0:3], 0 offen offset:12
	buffer_load_dword v72, v66, s[0:3], 0 offen
	buffer_load_dword v73, v66, s[0:3], 0 offen offset:4
	v_mov_b32_e32 v66, s37
	v_cmp_eq_u32_e32 vcc_lo, 0, v63
	s_add_i32 s37, s37, 16
	ds_read_b128 v[68:71], v66
	s_or_b32 s5, vcc_lo, s5
	s_waitcnt vmcnt(2) lgkmcnt(0)
	v_mul_f64 v[74:75], v[70:71], v[64:65]
	v_mul_f64 v[64:65], v[68:69], v[64:65]
	s_waitcnt vmcnt(0)
	v_fma_f64 v[68:69], v[68:69], v[72:73], -v[74:75]
	v_fma_f64 v[64:65], v[70:71], v[72:73], v[64:65]
	v_add_f64 v[1:2], v[1:2], v[68:69]
	v_add_f64 v[3:4], v[3:4], v[64:65]
	s_andn2_b32 exec_lo, exec_lo, s5
	s_cbranch_execnz .LBB91_24
; %bb.25:
	s_or_b32 exec_lo, exec_lo, s5
.LBB91_26:
	s_or_b32 exec_lo, exec_lo, s8
	v_mov_b32_e32 v63, 0
	ds_read_b128 v[63:66], v63 offset:384
	s_waitcnt lgkmcnt(0)
	v_mul_f64 v[68:69], v[3:4], v[65:66]
	v_mul_f64 v[65:66], v[1:2], v[65:66]
	v_fma_f64 v[1:2], v[1:2], v[63:64], -v[68:69]
	v_fma_f64 v[3:4], v[3:4], v[63:64], v[65:66]
	buffer_store_dword v2, off, s[0:3], 0 offset:388
	buffer_store_dword v1, off, s[0:3], 0 offset:384
	;; [unrolled: 1-line block ×4, first 2 shown]
.LBB91_27:
	s_or_b32 exec_lo, exec_lo, s6
	v_mov_b32_e32 v4, s12
	v_cmp_lt_u32_e64 s5, 23, v0
	s_clause 0x3
	buffer_load_dword v1, v4, s[0:3], 0 offen
	buffer_load_dword v2, v4, s[0:3], 0 offen offset:4
	buffer_load_dword v3, v4, s[0:3], 0 offen offset:8
	buffer_load_dword v4, v4, s[0:3], 0 offen offset:12
	s_waitcnt vmcnt(0)
	ds_write_b128 v62, v[1:4]
	s_waitcnt lgkmcnt(0)
	s_waitcnt_vscnt null, 0x0
	s_barrier
	buffer_gl0_inv
	s_and_saveexec_b32 s6, s5
	s_cbranch_execz .LBB91_35
; %bb.28:
	ds_read_b128 v[1:4], v62
	s_andn2_b32 vcc_lo, exec_lo, s36
	s_cbranch_vccnz .LBB91_30
; %bb.29:
	s_clause 0x3
	buffer_load_dword v63, v61, s[0:3], 0 offen offset:8
	buffer_load_dword v64, v61, s[0:3], 0 offen offset:12
	buffer_load_dword v65, v61, s[0:3], 0 offen
	buffer_load_dword v66, v61, s[0:3], 0 offen offset:4
	s_waitcnt vmcnt(2) lgkmcnt(0)
	v_mul_f64 v[68:69], v[3:4], v[63:64]
	v_mul_f64 v[63:64], v[1:2], v[63:64]
	s_waitcnt vmcnt(0)
	v_fma_f64 v[1:2], v[1:2], v[65:66], -v[68:69]
	v_fma_f64 v[3:4], v[3:4], v[65:66], v[63:64]
.LBB91_30:
	s_and_saveexec_b32 s8, s4
	s_cbranch_execz .LBB91_34
; %bb.31:
	v_subrev_nc_u32_e32 v63, 24, v0
	s_movk_i32 s37, 0x340
	s_mov_b32 s4, 0
	s_mov_b32 s38, s11
	.p2align	6
.LBB91_32:                              ; =>This Inner Loop Header: Depth=1
	v_mov_b32_e32 v66, s38
	v_add_nc_u32_e32 v63, -1, v63
	s_add_i32 s38, s38, 16
	s_clause 0x3
	buffer_load_dword v64, v66, s[0:3], 0 offen offset:8
	buffer_load_dword v65, v66, s[0:3], 0 offen offset:12
	buffer_load_dword v72, v66, s[0:3], 0 offen
	buffer_load_dword v73, v66, s[0:3], 0 offen offset:4
	v_mov_b32_e32 v66, s37
	v_cmp_eq_u32_e32 vcc_lo, 0, v63
	s_add_i32 s37, s37, 16
	ds_read_b128 v[68:71], v66
	s_or_b32 s4, vcc_lo, s4
	s_waitcnt vmcnt(2) lgkmcnt(0)
	v_mul_f64 v[74:75], v[70:71], v[64:65]
	v_mul_f64 v[64:65], v[68:69], v[64:65]
	s_waitcnt vmcnt(0)
	v_fma_f64 v[68:69], v[68:69], v[72:73], -v[74:75]
	v_fma_f64 v[64:65], v[70:71], v[72:73], v[64:65]
	v_add_f64 v[1:2], v[1:2], v[68:69]
	v_add_f64 v[3:4], v[3:4], v[64:65]
	s_andn2_b32 exec_lo, exec_lo, s4
	s_cbranch_execnz .LBB91_32
; %bb.33:
	s_or_b32 exec_lo, exec_lo, s4
.LBB91_34:
	s_or_b32 exec_lo, exec_lo, s8
	v_mov_b32_e32 v63, 0
	ds_read_b128 v[63:66], v63 offset:368
	s_waitcnt lgkmcnt(0)
	v_mul_f64 v[68:69], v[3:4], v[65:66]
	v_mul_f64 v[65:66], v[1:2], v[65:66]
	v_fma_f64 v[1:2], v[1:2], v[63:64], -v[68:69]
	v_fma_f64 v[3:4], v[3:4], v[63:64], v[65:66]
	buffer_store_dword v2, off, s[0:3], 0 offset:372
	buffer_store_dword v1, off, s[0:3], 0 offset:368
	;; [unrolled: 1-line block ×4, first 2 shown]
.LBB91_35:
	s_or_b32 exec_lo, exec_lo, s6
	v_mov_b32_e32 v4, s13
	v_cmp_lt_u32_e64 s4, 22, v0
	s_clause 0x3
	buffer_load_dword v1, v4, s[0:3], 0 offen
	buffer_load_dword v2, v4, s[0:3], 0 offen offset:4
	buffer_load_dword v3, v4, s[0:3], 0 offen offset:8
	;; [unrolled: 1-line block ×3, first 2 shown]
	s_waitcnt vmcnt(0)
	ds_write_b128 v62, v[1:4]
	s_waitcnt lgkmcnt(0)
	s_waitcnt_vscnt null, 0x0
	s_barrier
	buffer_gl0_inv
	s_and_saveexec_b32 s6, s4
	s_cbranch_execz .LBB91_43
; %bb.36:
	ds_read_b128 v[1:4], v62
	s_andn2_b32 vcc_lo, exec_lo, s36
	s_cbranch_vccnz .LBB91_38
; %bb.37:
	s_clause 0x3
	buffer_load_dword v63, v61, s[0:3], 0 offen offset:8
	buffer_load_dword v64, v61, s[0:3], 0 offen offset:12
	buffer_load_dword v65, v61, s[0:3], 0 offen
	buffer_load_dword v66, v61, s[0:3], 0 offen offset:4
	s_waitcnt vmcnt(2) lgkmcnt(0)
	v_mul_f64 v[68:69], v[3:4], v[63:64]
	v_mul_f64 v[63:64], v[1:2], v[63:64]
	s_waitcnt vmcnt(0)
	v_fma_f64 v[1:2], v[1:2], v[65:66], -v[68:69]
	v_fma_f64 v[3:4], v[3:4], v[65:66], v[63:64]
.LBB91_38:
	s_and_saveexec_b32 s8, s5
	s_cbranch_execz .LBB91_42
; %bb.39:
	v_subrev_nc_u32_e32 v63, 23, v0
	s_movk_i32 s37, 0x330
	s_mov_b32 s5, 0
	s_mov_b32 s38, s12
	.p2align	6
.LBB91_40:                              ; =>This Inner Loop Header: Depth=1
	v_mov_b32_e32 v66, s38
	v_add_nc_u32_e32 v63, -1, v63
	s_add_i32 s38, s38, 16
	s_clause 0x3
	buffer_load_dword v64, v66, s[0:3], 0 offen offset:8
	buffer_load_dword v65, v66, s[0:3], 0 offen offset:12
	buffer_load_dword v72, v66, s[0:3], 0 offen
	buffer_load_dword v73, v66, s[0:3], 0 offen offset:4
	v_mov_b32_e32 v66, s37
	v_cmp_eq_u32_e32 vcc_lo, 0, v63
	s_add_i32 s37, s37, 16
	ds_read_b128 v[68:71], v66
	s_or_b32 s5, vcc_lo, s5
	s_waitcnt vmcnt(2) lgkmcnt(0)
	v_mul_f64 v[74:75], v[70:71], v[64:65]
	v_mul_f64 v[64:65], v[68:69], v[64:65]
	s_waitcnt vmcnt(0)
	v_fma_f64 v[68:69], v[68:69], v[72:73], -v[74:75]
	v_fma_f64 v[64:65], v[70:71], v[72:73], v[64:65]
	v_add_f64 v[1:2], v[1:2], v[68:69]
	v_add_f64 v[3:4], v[3:4], v[64:65]
	s_andn2_b32 exec_lo, exec_lo, s5
	s_cbranch_execnz .LBB91_40
; %bb.41:
	s_or_b32 exec_lo, exec_lo, s5
.LBB91_42:
	s_or_b32 exec_lo, exec_lo, s8
	v_mov_b32_e32 v63, 0
	ds_read_b128 v[63:66], v63 offset:352
	s_waitcnt lgkmcnt(0)
	v_mul_f64 v[68:69], v[3:4], v[65:66]
	v_mul_f64 v[65:66], v[1:2], v[65:66]
	v_fma_f64 v[1:2], v[1:2], v[63:64], -v[68:69]
	v_fma_f64 v[3:4], v[3:4], v[63:64], v[65:66]
	buffer_store_dword v2, off, s[0:3], 0 offset:356
	buffer_store_dword v1, off, s[0:3], 0 offset:352
	;; [unrolled: 1-line block ×4, first 2 shown]
.LBB91_43:
	s_or_b32 exec_lo, exec_lo, s6
	v_mov_b32_e32 v4, s14
	v_cmp_lt_u32_e64 s5, 21, v0
	s_clause 0x3
	buffer_load_dword v1, v4, s[0:3], 0 offen
	buffer_load_dword v2, v4, s[0:3], 0 offen offset:4
	buffer_load_dword v3, v4, s[0:3], 0 offen offset:8
	;; [unrolled: 1-line block ×3, first 2 shown]
	s_waitcnt vmcnt(0)
	ds_write_b128 v62, v[1:4]
	s_waitcnt lgkmcnt(0)
	s_waitcnt_vscnt null, 0x0
	s_barrier
	buffer_gl0_inv
	s_and_saveexec_b32 s6, s5
	s_cbranch_execz .LBB91_51
; %bb.44:
	ds_read_b128 v[1:4], v62
	s_andn2_b32 vcc_lo, exec_lo, s36
	s_cbranch_vccnz .LBB91_46
; %bb.45:
	s_clause 0x3
	buffer_load_dword v63, v61, s[0:3], 0 offen offset:8
	buffer_load_dword v64, v61, s[0:3], 0 offen offset:12
	buffer_load_dword v65, v61, s[0:3], 0 offen
	buffer_load_dword v66, v61, s[0:3], 0 offen offset:4
	s_waitcnt vmcnt(2) lgkmcnt(0)
	v_mul_f64 v[68:69], v[3:4], v[63:64]
	v_mul_f64 v[63:64], v[1:2], v[63:64]
	s_waitcnt vmcnt(0)
	v_fma_f64 v[1:2], v[1:2], v[65:66], -v[68:69]
	v_fma_f64 v[3:4], v[3:4], v[65:66], v[63:64]
.LBB91_46:
	s_and_saveexec_b32 s8, s4
	s_cbranch_execz .LBB91_50
; %bb.47:
	v_subrev_nc_u32_e32 v63, 22, v0
	s_movk_i32 s37, 0x320
	s_mov_b32 s4, 0
	s_mov_b32 s38, s13
	.p2align	6
.LBB91_48:                              ; =>This Inner Loop Header: Depth=1
	v_mov_b32_e32 v66, s38
	v_add_nc_u32_e32 v63, -1, v63
	s_add_i32 s38, s38, 16
	s_clause 0x3
	buffer_load_dword v64, v66, s[0:3], 0 offen offset:8
	buffer_load_dword v65, v66, s[0:3], 0 offen offset:12
	buffer_load_dword v72, v66, s[0:3], 0 offen
	buffer_load_dword v73, v66, s[0:3], 0 offen offset:4
	v_mov_b32_e32 v66, s37
	v_cmp_eq_u32_e32 vcc_lo, 0, v63
	s_add_i32 s37, s37, 16
	ds_read_b128 v[68:71], v66
	s_or_b32 s4, vcc_lo, s4
	s_waitcnt vmcnt(2) lgkmcnt(0)
	v_mul_f64 v[74:75], v[70:71], v[64:65]
	v_mul_f64 v[64:65], v[68:69], v[64:65]
	s_waitcnt vmcnt(0)
	v_fma_f64 v[68:69], v[68:69], v[72:73], -v[74:75]
	v_fma_f64 v[64:65], v[70:71], v[72:73], v[64:65]
	v_add_f64 v[1:2], v[1:2], v[68:69]
	v_add_f64 v[3:4], v[3:4], v[64:65]
	s_andn2_b32 exec_lo, exec_lo, s4
	s_cbranch_execnz .LBB91_48
; %bb.49:
	s_or_b32 exec_lo, exec_lo, s4
.LBB91_50:
	s_or_b32 exec_lo, exec_lo, s8
	v_mov_b32_e32 v63, 0
	ds_read_b128 v[63:66], v63 offset:336
	s_waitcnt lgkmcnt(0)
	v_mul_f64 v[68:69], v[3:4], v[65:66]
	v_mul_f64 v[65:66], v[1:2], v[65:66]
	v_fma_f64 v[1:2], v[1:2], v[63:64], -v[68:69]
	v_fma_f64 v[3:4], v[3:4], v[63:64], v[65:66]
	buffer_store_dword v2, off, s[0:3], 0 offset:340
	buffer_store_dword v1, off, s[0:3], 0 offset:336
	;; [unrolled: 1-line block ×4, first 2 shown]
.LBB91_51:
	s_or_b32 exec_lo, exec_lo, s6
	v_mov_b32_e32 v4, s15
	v_cmp_lt_u32_e64 s4, 20, v0
	s_clause 0x3
	buffer_load_dword v1, v4, s[0:3], 0 offen
	buffer_load_dword v2, v4, s[0:3], 0 offen offset:4
	buffer_load_dword v3, v4, s[0:3], 0 offen offset:8
	;; [unrolled: 1-line block ×3, first 2 shown]
	s_waitcnt vmcnt(0)
	ds_write_b128 v62, v[1:4]
	s_waitcnt lgkmcnt(0)
	s_waitcnt_vscnt null, 0x0
	s_barrier
	buffer_gl0_inv
	s_and_saveexec_b32 s6, s4
	s_cbranch_execz .LBB91_59
; %bb.52:
	ds_read_b128 v[1:4], v62
	s_andn2_b32 vcc_lo, exec_lo, s36
	s_cbranch_vccnz .LBB91_54
; %bb.53:
	s_clause 0x3
	buffer_load_dword v63, v61, s[0:3], 0 offen offset:8
	buffer_load_dword v64, v61, s[0:3], 0 offen offset:12
	buffer_load_dword v65, v61, s[0:3], 0 offen
	buffer_load_dword v66, v61, s[0:3], 0 offen offset:4
	s_waitcnt vmcnt(2) lgkmcnt(0)
	v_mul_f64 v[68:69], v[3:4], v[63:64]
	v_mul_f64 v[63:64], v[1:2], v[63:64]
	s_waitcnt vmcnt(0)
	v_fma_f64 v[1:2], v[1:2], v[65:66], -v[68:69]
	v_fma_f64 v[3:4], v[3:4], v[65:66], v[63:64]
.LBB91_54:
	s_and_saveexec_b32 s8, s5
	s_cbranch_execz .LBB91_58
; %bb.55:
	v_subrev_nc_u32_e32 v63, 21, v0
	s_movk_i32 s37, 0x310
	s_mov_b32 s5, 0
	s_mov_b32 s38, s14
	.p2align	6
.LBB91_56:                              ; =>This Inner Loop Header: Depth=1
	v_mov_b32_e32 v66, s38
	v_add_nc_u32_e32 v63, -1, v63
	s_add_i32 s38, s38, 16
	s_clause 0x3
	buffer_load_dword v64, v66, s[0:3], 0 offen offset:8
	buffer_load_dword v65, v66, s[0:3], 0 offen offset:12
	buffer_load_dword v72, v66, s[0:3], 0 offen
	buffer_load_dword v73, v66, s[0:3], 0 offen offset:4
	v_mov_b32_e32 v66, s37
	v_cmp_eq_u32_e32 vcc_lo, 0, v63
	s_add_i32 s37, s37, 16
	ds_read_b128 v[68:71], v66
	s_or_b32 s5, vcc_lo, s5
	s_waitcnt vmcnt(2) lgkmcnt(0)
	v_mul_f64 v[74:75], v[70:71], v[64:65]
	v_mul_f64 v[64:65], v[68:69], v[64:65]
	s_waitcnt vmcnt(0)
	v_fma_f64 v[68:69], v[68:69], v[72:73], -v[74:75]
	v_fma_f64 v[64:65], v[70:71], v[72:73], v[64:65]
	v_add_f64 v[1:2], v[1:2], v[68:69]
	v_add_f64 v[3:4], v[3:4], v[64:65]
	s_andn2_b32 exec_lo, exec_lo, s5
	s_cbranch_execnz .LBB91_56
; %bb.57:
	s_or_b32 exec_lo, exec_lo, s5
.LBB91_58:
	s_or_b32 exec_lo, exec_lo, s8
	v_mov_b32_e32 v63, 0
	ds_read_b128 v[63:66], v63 offset:320
	s_waitcnt lgkmcnt(0)
	v_mul_f64 v[68:69], v[3:4], v[65:66]
	v_mul_f64 v[65:66], v[1:2], v[65:66]
	v_fma_f64 v[1:2], v[1:2], v[63:64], -v[68:69]
	v_fma_f64 v[3:4], v[3:4], v[63:64], v[65:66]
	buffer_store_dword v2, off, s[0:3], 0 offset:324
	buffer_store_dword v1, off, s[0:3], 0 offset:320
	;; [unrolled: 1-line block ×4, first 2 shown]
.LBB91_59:
	s_or_b32 exec_lo, exec_lo, s6
	v_mov_b32_e32 v4, s16
	v_cmp_lt_u32_e64 s5, 19, v0
	s_clause 0x3
	buffer_load_dword v1, v4, s[0:3], 0 offen
	buffer_load_dword v2, v4, s[0:3], 0 offen offset:4
	buffer_load_dword v3, v4, s[0:3], 0 offen offset:8
	;; [unrolled: 1-line block ×3, first 2 shown]
	s_waitcnt vmcnt(0)
	ds_write_b128 v62, v[1:4]
	s_waitcnt lgkmcnt(0)
	s_waitcnt_vscnt null, 0x0
	s_barrier
	buffer_gl0_inv
	s_and_saveexec_b32 s6, s5
	s_cbranch_execz .LBB91_67
; %bb.60:
	ds_read_b128 v[1:4], v62
	s_andn2_b32 vcc_lo, exec_lo, s36
	s_cbranch_vccnz .LBB91_62
; %bb.61:
	s_clause 0x3
	buffer_load_dword v63, v61, s[0:3], 0 offen offset:8
	buffer_load_dword v64, v61, s[0:3], 0 offen offset:12
	buffer_load_dword v65, v61, s[0:3], 0 offen
	buffer_load_dword v66, v61, s[0:3], 0 offen offset:4
	s_waitcnt vmcnt(2) lgkmcnt(0)
	v_mul_f64 v[68:69], v[3:4], v[63:64]
	v_mul_f64 v[63:64], v[1:2], v[63:64]
	s_waitcnt vmcnt(0)
	v_fma_f64 v[1:2], v[1:2], v[65:66], -v[68:69]
	v_fma_f64 v[3:4], v[3:4], v[65:66], v[63:64]
.LBB91_62:
	s_and_saveexec_b32 s8, s4
	s_cbranch_execz .LBB91_66
; %bb.63:
	v_subrev_nc_u32_e32 v63, 20, v0
	s_movk_i32 s37, 0x300
	s_mov_b32 s4, 0
	s_mov_b32 s38, s15
	.p2align	6
.LBB91_64:                              ; =>This Inner Loop Header: Depth=1
	v_mov_b32_e32 v66, s38
	v_add_nc_u32_e32 v63, -1, v63
	s_add_i32 s38, s38, 16
	s_clause 0x3
	buffer_load_dword v64, v66, s[0:3], 0 offen offset:8
	buffer_load_dword v65, v66, s[0:3], 0 offen offset:12
	buffer_load_dword v72, v66, s[0:3], 0 offen
	buffer_load_dword v73, v66, s[0:3], 0 offen offset:4
	v_mov_b32_e32 v66, s37
	v_cmp_eq_u32_e32 vcc_lo, 0, v63
	s_add_i32 s37, s37, 16
	ds_read_b128 v[68:71], v66
	s_or_b32 s4, vcc_lo, s4
	s_waitcnt vmcnt(2) lgkmcnt(0)
	v_mul_f64 v[74:75], v[70:71], v[64:65]
	v_mul_f64 v[64:65], v[68:69], v[64:65]
	s_waitcnt vmcnt(0)
	v_fma_f64 v[68:69], v[68:69], v[72:73], -v[74:75]
	v_fma_f64 v[64:65], v[70:71], v[72:73], v[64:65]
	v_add_f64 v[1:2], v[1:2], v[68:69]
	v_add_f64 v[3:4], v[3:4], v[64:65]
	s_andn2_b32 exec_lo, exec_lo, s4
	s_cbranch_execnz .LBB91_64
; %bb.65:
	s_or_b32 exec_lo, exec_lo, s4
.LBB91_66:
	s_or_b32 exec_lo, exec_lo, s8
	v_mov_b32_e32 v63, 0
	ds_read_b128 v[63:66], v63 offset:304
	s_waitcnt lgkmcnt(0)
	v_mul_f64 v[68:69], v[3:4], v[65:66]
	v_mul_f64 v[65:66], v[1:2], v[65:66]
	v_fma_f64 v[1:2], v[1:2], v[63:64], -v[68:69]
	v_fma_f64 v[3:4], v[3:4], v[63:64], v[65:66]
	buffer_store_dword v2, off, s[0:3], 0 offset:308
	buffer_store_dword v1, off, s[0:3], 0 offset:304
	;; [unrolled: 1-line block ×4, first 2 shown]
.LBB91_67:
	s_or_b32 exec_lo, exec_lo, s6
	v_mov_b32_e32 v4, s17
	v_cmp_lt_u32_e64 s4, 18, v0
	s_clause 0x3
	buffer_load_dword v1, v4, s[0:3], 0 offen
	buffer_load_dword v2, v4, s[0:3], 0 offen offset:4
	buffer_load_dword v3, v4, s[0:3], 0 offen offset:8
	;; [unrolled: 1-line block ×3, first 2 shown]
	s_waitcnt vmcnt(0)
	ds_write_b128 v62, v[1:4]
	s_waitcnt lgkmcnt(0)
	s_waitcnt_vscnt null, 0x0
	s_barrier
	buffer_gl0_inv
	s_and_saveexec_b32 s6, s4
	s_cbranch_execz .LBB91_75
; %bb.68:
	ds_read_b128 v[1:4], v62
	s_andn2_b32 vcc_lo, exec_lo, s36
	s_cbranch_vccnz .LBB91_70
; %bb.69:
	s_clause 0x3
	buffer_load_dword v63, v61, s[0:3], 0 offen offset:8
	buffer_load_dword v64, v61, s[0:3], 0 offen offset:12
	buffer_load_dword v65, v61, s[0:3], 0 offen
	buffer_load_dword v66, v61, s[0:3], 0 offen offset:4
	s_waitcnt vmcnt(2) lgkmcnt(0)
	v_mul_f64 v[68:69], v[3:4], v[63:64]
	v_mul_f64 v[63:64], v[1:2], v[63:64]
	s_waitcnt vmcnt(0)
	v_fma_f64 v[1:2], v[1:2], v[65:66], -v[68:69]
	v_fma_f64 v[3:4], v[3:4], v[65:66], v[63:64]
.LBB91_70:
	s_and_saveexec_b32 s8, s5
	s_cbranch_execz .LBB91_74
; %bb.71:
	v_subrev_nc_u32_e32 v63, 19, v0
	s_movk_i32 s37, 0x2f0
	s_mov_b32 s5, 0
	s_mov_b32 s38, s16
	.p2align	6
.LBB91_72:                              ; =>This Inner Loop Header: Depth=1
	v_mov_b32_e32 v66, s38
	v_add_nc_u32_e32 v63, -1, v63
	s_add_i32 s38, s38, 16
	s_clause 0x3
	buffer_load_dword v64, v66, s[0:3], 0 offen offset:8
	buffer_load_dword v65, v66, s[0:3], 0 offen offset:12
	buffer_load_dword v72, v66, s[0:3], 0 offen
	buffer_load_dword v73, v66, s[0:3], 0 offen offset:4
	v_mov_b32_e32 v66, s37
	v_cmp_eq_u32_e32 vcc_lo, 0, v63
	s_add_i32 s37, s37, 16
	ds_read_b128 v[68:71], v66
	s_or_b32 s5, vcc_lo, s5
	s_waitcnt vmcnt(2) lgkmcnt(0)
	v_mul_f64 v[74:75], v[70:71], v[64:65]
	v_mul_f64 v[64:65], v[68:69], v[64:65]
	s_waitcnt vmcnt(0)
	v_fma_f64 v[68:69], v[68:69], v[72:73], -v[74:75]
	v_fma_f64 v[64:65], v[70:71], v[72:73], v[64:65]
	v_add_f64 v[1:2], v[1:2], v[68:69]
	v_add_f64 v[3:4], v[3:4], v[64:65]
	s_andn2_b32 exec_lo, exec_lo, s5
	s_cbranch_execnz .LBB91_72
; %bb.73:
	s_or_b32 exec_lo, exec_lo, s5
.LBB91_74:
	s_or_b32 exec_lo, exec_lo, s8
	v_mov_b32_e32 v63, 0
	ds_read_b128 v[63:66], v63 offset:288
	s_waitcnt lgkmcnt(0)
	v_mul_f64 v[68:69], v[3:4], v[65:66]
	v_mul_f64 v[65:66], v[1:2], v[65:66]
	v_fma_f64 v[1:2], v[1:2], v[63:64], -v[68:69]
	v_fma_f64 v[3:4], v[3:4], v[63:64], v[65:66]
	buffer_store_dword v2, off, s[0:3], 0 offset:292
	buffer_store_dword v1, off, s[0:3], 0 offset:288
	;; [unrolled: 1-line block ×4, first 2 shown]
.LBB91_75:
	s_or_b32 exec_lo, exec_lo, s6
	v_mov_b32_e32 v4, s18
	v_cmp_lt_u32_e64 s5, 17, v0
	s_clause 0x3
	buffer_load_dword v1, v4, s[0:3], 0 offen
	buffer_load_dword v2, v4, s[0:3], 0 offen offset:4
	buffer_load_dword v3, v4, s[0:3], 0 offen offset:8
	;; [unrolled: 1-line block ×3, first 2 shown]
	s_waitcnt vmcnt(0)
	ds_write_b128 v62, v[1:4]
	s_waitcnt lgkmcnt(0)
	s_waitcnt_vscnt null, 0x0
	s_barrier
	buffer_gl0_inv
	s_and_saveexec_b32 s6, s5
	s_cbranch_execz .LBB91_83
; %bb.76:
	ds_read_b128 v[1:4], v62
	s_andn2_b32 vcc_lo, exec_lo, s36
	s_cbranch_vccnz .LBB91_78
; %bb.77:
	s_clause 0x3
	buffer_load_dword v63, v61, s[0:3], 0 offen offset:8
	buffer_load_dword v64, v61, s[0:3], 0 offen offset:12
	buffer_load_dword v65, v61, s[0:3], 0 offen
	buffer_load_dword v66, v61, s[0:3], 0 offen offset:4
	s_waitcnt vmcnt(2) lgkmcnt(0)
	v_mul_f64 v[68:69], v[3:4], v[63:64]
	v_mul_f64 v[63:64], v[1:2], v[63:64]
	s_waitcnt vmcnt(0)
	v_fma_f64 v[1:2], v[1:2], v[65:66], -v[68:69]
	v_fma_f64 v[3:4], v[3:4], v[65:66], v[63:64]
.LBB91_78:
	s_and_saveexec_b32 s8, s4
	s_cbranch_execz .LBB91_82
; %bb.79:
	v_subrev_nc_u32_e32 v63, 18, v0
	s_movk_i32 s37, 0x2e0
	s_mov_b32 s4, 0
	s_mov_b32 s38, s17
	.p2align	6
.LBB91_80:                              ; =>This Inner Loop Header: Depth=1
	v_mov_b32_e32 v66, s38
	v_add_nc_u32_e32 v63, -1, v63
	s_add_i32 s38, s38, 16
	s_clause 0x3
	buffer_load_dword v64, v66, s[0:3], 0 offen offset:8
	buffer_load_dword v65, v66, s[0:3], 0 offen offset:12
	buffer_load_dword v72, v66, s[0:3], 0 offen
	buffer_load_dword v73, v66, s[0:3], 0 offen offset:4
	v_mov_b32_e32 v66, s37
	v_cmp_eq_u32_e32 vcc_lo, 0, v63
	s_add_i32 s37, s37, 16
	ds_read_b128 v[68:71], v66
	s_or_b32 s4, vcc_lo, s4
	s_waitcnt vmcnt(2) lgkmcnt(0)
	v_mul_f64 v[74:75], v[70:71], v[64:65]
	v_mul_f64 v[64:65], v[68:69], v[64:65]
	s_waitcnt vmcnt(0)
	v_fma_f64 v[68:69], v[68:69], v[72:73], -v[74:75]
	v_fma_f64 v[64:65], v[70:71], v[72:73], v[64:65]
	v_add_f64 v[1:2], v[1:2], v[68:69]
	v_add_f64 v[3:4], v[3:4], v[64:65]
	s_andn2_b32 exec_lo, exec_lo, s4
	s_cbranch_execnz .LBB91_80
; %bb.81:
	s_or_b32 exec_lo, exec_lo, s4
.LBB91_82:
	s_or_b32 exec_lo, exec_lo, s8
	v_mov_b32_e32 v63, 0
	ds_read_b128 v[63:66], v63 offset:272
	s_waitcnt lgkmcnt(0)
	v_mul_f64 v[68:69], v[3:4], v[65:66]
	v_mul_f64 v[65:66], v[1:2], v[65:66]
	v_fma_f64 v[1:2], v[1:2], v[63:64], -v[68:69]
	v_fma_f64 v[3:4], v[3:4], v[63:64], v[65:66]
	buffer_store_dword v2, off, s[0:3], 0 offset:276
	buffer_store_dword v1, off, s[0:3], 0 offset:272
	;; [unrolled: 1-line block ×4, first 2 shown]
.LBB91_83:
	s_or_b32 exec_lo, exec_lo, s6
	v_mov_b32_e32 v4, s19
	v_cmp_lt_u32_e64 s4, 16, v0
	s_clause 0x3
	buffer_load_dword v1, v4, s[0:3], 0 offen
	buffer_load_dword v2, v4, s[0:3], 0 offen offset:4
	buffer_load_dword v3, v4, s[0:3], 0 offen offset:8
	;; [unrolled: 1-line block ×3, first 2 shown]
	s_waitcnt vmcnt(0)
	ds_write_b128 v62, v[1:4]
	s_waitcnt lgkmcnt(0)
	s_waitcnt_vscnt null, 0x0
	s_barrier
	buffer_gl0_inv
	s_and_saveexec_b32 s6, s4
	s_cbranch_execz .LBB91_91
; %bb.84:
	ds_read_b128 v[1:4], v62
	s_andn2_b32 vcc_lo, exec_lo, s36
	s_cbranch_vccnz .LBB91_86
; %bb.85:
	s_clause 0x3
	buffer_load_dword v63, v61, s[0:3], 0 offen offset:8
	buffer_load_dword v64, v61, s[0:3], 0 offen offset:12
	buffer_load_dword v65, v61, s[0:3], 0 offen
	buffer_load_dword v66, v61, s[0:3], 0 offen offset:4
	s_waitcnt vmcnt(2) lgkmcnt(0)
	v_mul_f64 v[68:69], v[3:4], v[63:64]
	v_mul_f64 v[63:64], v[1:2], v[63:64]
	s_waitcnt vmcnt(0)
	v_fma_f64 v[1:2], v[1:2], v[65:66], -v[68:69]
	v_fma_f64 v[3:4], v[3:4], v[65:66], v[63:64]
.LBB91_86:
	s_and_saveexec_b32 s8, s5
	s_cbranch_execz .LBB91_90
; %bb.87:
	v_subrev_nc_u32_e32 v63, 17, v0
	s_movk_i32 s37, 0x2d0
	s_mov_b32 s5, 0
	s_mov_b32 s38, s18
	.p2align	6
.LBB91_88:                              ; =>This Inner Loop Header: Depth=1
	v_mov_b32_e32 v66, s38
	v_add_nc_u32_e32 v63, -1, v63
	s_add_i32 s38, s38, 16
	s_clause 0x3
	buffer_load_dword v64, v66, s[0:3], 0 offen offset:8
	buffer_load_dword v65, v66, s[0:3], 0 offen offset:12
	buffer_load_dword v72, v66, s[0:3], 0 offen
	buffer_load_dword v73, v66, s[0:3], 0 offen offset:4
	v_mov_b32_e32 v66, s37
	v_cmp_eq_u32_e32 vcc_lo, 0, v63
	s_add_i32 s37, s37, 16
	ds_read_b128 v[68:71], v66
	s_or_b32 s5, vcc_lo, s5
	s_waitcnt vmcnt(2) lgkmcnt(0)
	v_mul_f64 v[74:75], v[70:71], v[64:65]
	v_mul_f64 v[64:65], v[68:69], v[64:65]
	s_waitcnt vmcnt(0)
	v_fma_f64 v[68:69], v[68:69], v[72:73], -v[74:75]
	v_fma_f64 v[64:65], v[70:71], v[72:73], v[64:65]
	v_add_f64 v[1:2], v[1:2], v[68:69]
	v_add_f64 v[3:4], v[3:4], v[64:65]
	s_andn2_b32 exec_lo, exec_lo, s5
	s_cbranch_execnz .LBB91_88
; %bb.89:
	s_or_b32 exec_lo, exec_lo, s5
.LBB91_90:
	s_or_b32 exec_lo, exec_lo, s8
	v_mov_b32_e32 v63, 0
	ds_read_b128 v[63:66], v63 offset:256
	s_waitcnt lgkmcnt(0)
	v_mul_f64 v[68:69], v[3:4], v[65:66]
	v_mul_f64 v[65:66], v[1:2], v[65:66]
	v_fma_f64 v[1:2], v[1:2], v[63:64], -v[68:69]
	v_fma_f64 v[3:4], v[3:4], v[63:64], v[65:66]
	buffer_store_dword v2, off, s[0:3], 0 offset:260
	buffer_store_dword v1, off, s[0:3], 0 offset:256
	;; [unrolled: 1-line block ×4, first 2 shown]
.LBB91_91:
	s_or_b32 exec_lo, exec_lo, s6
	v_mov_b32_e32 v4, s20
	v_cmp_lt_u32_e64 s5, 15, v0
	s_clause 0x3
	buffer_load_dword v1, v4, s[0:3], 0 offen
	buffer_load_dword v2, v4, s[0:3], 0 offen offset:4
	buffer_load_dword v3, v4, s[0:3], 0 offen offset:8
	;; [unrolled: 1-line block ×3, first 2 shown]
	s_waitcnt vmcnt(0)
	ds_write_b128 v62, v[1:4]
	s_waitcnt lgkmcnt(0)
	s_waitcnt_vscnt null, 0x0
	s_barrier
	buffer_gl0_inv
	s_and_saveexec_b32 s6, s5
	s_cbranch_execz .LBB91_99
; %bb.92:
	ds_read_b128 v[1:4], v62
	s_andn2_b32 vcc_lo, exec_lo, s36
	s_cbranch_vccnz .LBB91_94
; %bb.93:
	s_clause 0x3
	buffer_load_dword v63, v61, s[0:3], 0 offen offset:8
	buffer_load_dword v64, v61, s[0:3], 0 offen offset:12
	buffer_load_dword v65, v61, s[0:3], 0 offen
	buffer_load_dword v66, v61, s[0:3], 0 offen offset:4
	s_waitcnt vmcnt(2) lgkmcnt(0)
	v_mul_f64 v[68:69], v[3:4], v[63:64]
	v_mul_f64 v[63:64], v[1:2], v[63:64]
	s_waitcnt vmcnt(0)
	v_fma_f64 v[1:2], v[1:2], v[65:66], -v[68:69]
	v_fma_f64 v[3:4], v[3:4], v[65:66], v[63:64]
.LBB91_94:
	s_and_saveexec_b32 s8, s4
	s_cbranch_execz .LBB91_98
; %bb.95:
	v_add_nc_u32_e32 v63, -16, v0
	s_movk_i32 s37, 0x2c0
	s_mov_b32 s4, 0
	s_mov_b32 s38, s19
	.p2align	6
.LBB91_96:                              ; =>This Inner Loop Header: Depth=1
	v_mov_b32_e32 v66, s38
	v_add_nc_u32_e32 v63, -1, v63
	s_add_i32 s38, s38, 16
	s_clause 0x3
	buffer_load_dword v64, v66, s[0:3], 0 offen offset:8
	buffer_load_dword v65, v66, s[0:3], 0 offen offset:12
	buffer_load_dword v72, v66, s[0:3], 0 offen
	buffer_load_dword v73, v66, s[0:3], 0 offen offset:4
	v_mov_b32_e32 v66, s37
	v_cmp_eq_u32_e32 vcc_lo, 0, v63
	s_add_i32 s37, s37, 16
	ds_read_b128 v[68:71], v66
	s_or_b32 s4, vcc_lo, s4
	s_waitcnt vmcnt(2) lgkmcnt(0)
	v_mul_f64 v[74:75], v[70:71], v[64:65]
	v_mul_f64 v[64:65], v[68:69], v[64:65]
	s_waitcnt vmcnt(0)
	v_fma_f64 v[68:69], v[68:69], v[72:73], -v[74:75]
	v_fma_f64 v[64:65], v[70:71], v[72:73], v[64:65]
	v_add_f64 v[1:2], v[1:2], v[68:69]
	v_add_f64 v[3:4], v[3:4], v[64:65]
	s_andn2_b32 exec_lo, exec_lo, s4
	s_cbranch_execnz .LBB91_96
; %bb.97:
	s_or_b32 exec_lo, exec_lo, s4
.LBB91_98:
	s_or_b32 exec_lo, exec_lo, s8
	v_mov_b32_e32 v63, 0
	ds_read_b128 v[63:66], v63 offset:240
	s_waitcnt lgkmcnt(0)
	v_mul_f64 v[68:69], v[3:4], v[65:66]
	v_mul_f64 v[65:66], v[1:2], v[65:66]
	v_fma_f64 v[1:2], v[1:2], v[63:64], -v[68:69]
	v_fma_f64 v[3:4], v[3:4], v[63:64], v[65:66]
	buffer_store_dword v2, off, s[0:3], 0 offset:244
	buffer_store_dword v1, off, s[0:3], 0 offset:240
	;; [unrolled: 1-line block ×4, first 2 shown]
.LBB91_99:
	s_or_b32 exec_lo, exec_lo, s6
	v_mov_b32_e32 v4, s21
	v_cmp_lt_u32_e64 s4, 14, v0
	s_clause 0x3
	buffer_load_dword v1, v4, s[0:3], 0 offen
	buffer_load_dword v2, v4, s[0:3], 0 offen offset:4
	buffer_load_dword v3, v4, s[0:3], 0 offen offset:8
	;; [unrolled: 1-line block ×3, first 2 shown]
	s_waitcnt vmcnt(0)
	ds_write_b128 v62, v[1:4]
	s_waitcnt lgkmcnt(0)
	s_waitcnt_vscnt null, 0x0
	s_barrier
	buffer_gl0_inv
	s_and_saveexec_b32 s6, s4
	s_cbranch_execz .LBB91_107
; %bb.100:
	ds_read_b128 v[1:4], v62
	s_andn2_b32 vcc_lo, exec_lo, s36
	s_cbranch_vccnz .LBB91_102
; %bb.101:
	s_clause 0x3
	buffer_load_dword v63, v61, s[0:3], 0 offen offset:8
	buffer_load_dword v64, v61, s[0:3], 0 offen offset:12
	buffer_load_dword v65, v61, s[0:3], 0 offen
	buffer_load_dword v66, v61, s[0:3], 0 offen offset:4
	s_waitcnt vmcnt(2) lgkmcnt(0)
	v_mul_f64 v[68:69], v[3:4], v[63:64]
	v_mul_f64 v[63:64], v[1:2], v[63:64]
	s_waitcnt vmcnt(0)
	v_fma_f64 v[1:2], v[1:2], v[65:66], -v[68:69]
	v_fma_f64 v[3:4], v[3:4], v[65:66], v[63:64]
.LBB91_102:
	s_and_saveexec_b32 s8, s5
	s_cbranch_execz .LBB91_106
; %bb.103:
	v_add_nc_u32_e32 v63, -15, v0
	s_movk_i32 s37, 0x2b0
	s_mov_b32 s5, 0
	s_mov_b32 s38, s20
	.p2align	6
.LBB91_104:                             ; =>This Inner Loop Header: Depth=1
	v_mov_b32_e32 v66, s38
	v_add_nc_u32_e32 v63, -1, v63
	s_add_i32 s38, s38, 16
	s_clause 0x3
	buffer_load_dword v64, v66, s[0:3], 0 offen offset:8
	buffer_load_dword v65, v66, s[0:3], 0 offen offset:12
	buffer_load_dword v72, v66, s[0:3], 0 offen
	buffer_load_dword v73, v66, s[0:3], 0 offen offset:4
	v_mov_b32_e32 v66, s37
	v_cmp_eq_u32_e32 vcc_lo, 0, v63
	s_add_i32 s37, s37, 16
	ds_read_b128 v[68:71], v66
	s_or_b32 s5, vcc_lo, s5
	s_waitcnt vmcnt(2) lgkmcnt(0)
	v_mul_f64 v[74:75], v[70:71], v[64:65]
	v_mul_f64 v[64:65], v[68:69], v[64:65]
	s_waitcnt vmcnt(0)
	v_fma_f64 v[68:69], v[68:69], v[72:73], -v[74:75]
	v_fma_f64 v[64:65], v[70:71], v[72:73], v[64:65]
	v_add_f64 v[1:2], v[1:2], v[68:69]
	v_add_f64 v[3:4], v[3:4], v[64:65]
	s_andn2_b32 exec_lo, exec_lo, s5
	s_cbranch_execnz .LBB91_104
; %bb.105:
	s_or_b32 exec_lo, exec_lo, s5
.LBB91_106:
	s_or_b32 exec_lo, exec_lo, s8
	v_mov_b32_e32 v63, 0
	ds_read_b128 v[63:66], v63 offset:224
	s_waitcnt lgkmcnt(0)
	v_mul_f64 v[68:69], v[3:4], v[65:66]
	v_mul_f64 v[65:66], v[1:2], v[65:66]
	v_fma_f64 v[1:2], v[1:2], v[63:64], -v[68:69]
	v_fma_f64 v[3:4], v[3:4], v[63:64], v[65:66]
	buffer_store_dword v2, off, s[0:3], 0 offset:228
	buffer_store_dword v1, off, s[0:3], 0 offset:224
	;; [unrolled: 1-line block ×4, first 2 shown]
.LBB91_107:
	s_or_b32 exec_lo, exec_lo, s6
	v_mov_b32_e32 v4, s22
	v_cmp_lt_u32_e64 s5, 13, v0
	s_clause 0x3
	buffer_load_dword v1, v4, s[0:3], 0 offen
	buffer_load_dword v2, v4, s[0:3], 0 offen offset:4
	buffer_load_dword v3, v4, s[0:3], 0 offen offset:8
	;; [unrolled: 1-line block ×3, first 2 shown]
	s_waitcnt vmcnt(0)
	ds_write_b128 v62, v[1:4]
	s_waitcnt lgkmcnt(0)
	s_waitcnt_vscnt null, 0x0
	s_barrier
	buffer_gl0_inv
	s_and_saveexec_b32 s6, s5
	s_cbranch_execz .LBB91_115
; %bb.108:
	ds_read_b128 v[1:4], v62
	s_andn2_b32 vcc_lo, exec_lo, s36
	s_cbranch_vccnz .LBB91_110
; %bb.109:
	s_clause 0x3
	buffer_load_dword v63, v61, s[0:3], 0 offen offset:8
	buffer_load_dword v64, v61, s[0:3], 0 offen offset:12
	buffer_load_dword v65, v61, s[0:3], 0 offen
	buffer_load_dword v66, v61, s[0:3], 0 offen offset:4
	s_waitcnt vmcnt(2) lgkmcnt(0)
	v_mul_f64 v[68:69], v[3:4], v[63:64]
	v_mul_f64 v[63:64], v[1:2], v[63:64]
	s_waitcnt vmcnt(0)
	v_fma_f64 v[1:2], v[1:2], v[65:66], -v[68:69]
	v_fma_f64 v[3:4], v[3:4], v[65:66], v[63:64]
.LBB91_110:
	s_and_saveexec_b32 s8, s4
	s_cbranch_execz .LBB91_114
; %bb.111:
	v_add_nc_u32_e32 v63, -14, v0
	s_movk_i32 s37, 0x2a0
	s_mov_b32 s4, 0
	s_mov_b32 s38, s21
	.p2align	6
.LBB91_112:                             ; =>This Inner Loop Header: Depth=1
	v_mov_b32_e32 v66, s38
	v_add_nc_u32_e32 v63, -1, v63
	s_add_i32 s38, s38, 16
	s_clause 0x3
	buffer_load_dword v64, v66, s[0:3], 0 offen offset:8
	buffer_load_dword v65, v66, s[0:3], 0 offen offset:12
	buffer_load_dword v72, v66, s[0:3], 0 offen
	buffer_load_dword v73, v66, s[0:3], 0 offen offset:4
	v_mov_b32_e32 v66, s37
	v_cmp_eq_u32_e32 vcc_lo, 0, v63
	s_add_i32 s37, s37, 16
	ds_read_b128 v[68:71], v66
	s_or_b32 s4, vcc_lo, s4
	s_waitcnt vmcnt(2) lgkmcnt(0)
	v_mul_f64 v[74:75], v[70:71], v[64:65]
	v_mul_f64 v[64:65], v[68:69], v[64:65]
	s_waitcnt vmcnt(0)
	v_fma_f64 v[68:69], v[68:69], v[72:73], -v[74:75]
	v_fma_f64 v[64:65], v[70:71], v[72:73], v[64:65]
	v_add_f64 v[1:2], v[1:2], v[68:69]
	v_add_f64 v[3:4], v[3:4], v[64:65]
	s_andn2_b32 exec_lo, exec_lo, s4
	s_cbranch_execnz .LBB91_112
; %bb.113:
	s_or_b32 exec_lo, exec_lo, s4
.LBB91_114:
	s_or_b32 exec_lo, exec_lo, s8
	v_mov_b32_e32 v63, 0
	ds_read_b128 v[63:66], v63 offset:208
	s_waitcnt lgkmcnt(0)
	v_mul_f64 v[68:69], v[3:4], v[65:66]
	v_mul_f64 v[65:66], v[1:2], v[65:66]
	v_fma_f64 v[1:2], v[1:2], v[63:64], -v[68:69]
	v_fma_f64 v[3:4], v[3:4], v[63:64], v[65:66]
	buffer_store_dword v2, off, s[0:3], 0 offset:212
	buffer_store_dword v1, off, s[0:3], 0 offset:208
	;; [unrolled: 1-line block ×4, first 2 shown]
.LBB91_115:
	s_or_b32 exec_lo, exec_lo, s6
	v_mov_b32_e32 v4, s23
	v_cmp_lt_u32_e64 s4, 12, v0
	s_clause 0x3
	buffer_load_dword v1, v4, s[0:3], 0 offen
	buffer_load_dword v2, v4, s[0:3], 0 offen offset:4
	buffer_load_dword v3, v4, s[0:3], 0 offen offset:8
	;; [unrolled: 1-line block ×3, first 2 shown]
	s_waitcnt vmcnt(0)
	ds_write_b128 v62, v[1:4]
	s_waitcnt lgkmcnt(0)
	s_waitcnt_vscnt null, 0x0
	s_barrier
	buffer_gl0_inv
	s_and_saveexec_b32 s6, s4
	s_cbranch_execz .LBB91_123
; %bb.116:
	ds_read_b128 v[1:4], v62
	s_andn2_b32 vcc_lo, exec_lo, s36
	s_cbranch_vccnz .LBB91_118
; %bb.117:
	s_clause 0x3
	buffer_load_dword v63, v61, s[0:3], 0 offen offset:8
	buffer_load_dword v64, v61, s[0:3], 0 offen offset:12
	buffer_load_dword v65, v61, s[0:3], 0 offen
	buffer_load_dword v66, v61, s[0:3], 0 offen offset:4
	s_waitcnt vmcnt(2) lgkmcnt(0)
	v_mul_f64 v[68:69], v[3:4], v[63:64]
	v_mul_f64 v[63:64], v[1:2], v[63:64]
	s_waitcnt vmcnt(0)
	v_fma_f64 v[1:2], v[1:2], v[65:66], -v[68:69]
	v_fma_f64 v[3:4], v[3:4], v[65:66], v[63:64]
.LBB91_118:
	s_and_saveexec_b32 s8, s5
	s_cbranch_execz .LBB91_122
; %bb.119:
	v_add_nc_u32_e32 v63, -13, v0
	s_movk_i32 s37, 0x290
	s_mov_b32 s5, 0
	s_mov_b32 s38, s22
	.p2align	6
.LBB91_120:                             ; =>This Inner Loop Header: Depth=1
	v_mov_b32_e32 v66, s38
	v_add_nc_u32_e32 v63, -1, v63
	s_add_i32 s38, s38, 16
	s_clause 0x3
	buffer_load_dword v64, v66, s[0:3], 0 offen offset:8
	buffer_load_dword v65, v66, s[0:3], 0 offen offset:12
	buffer_load_dword v72, v66, s[0:3], 0 offen
	buffer_load_dword v73, v66, s[0:3], 0 offen offset:4
	v_mov_b32_e32 v66, s37
	v_cmp_eq_u32_e32 vcc_lo, 0, v63
	s_add_i32 s37, s37, 16
	ds_read_b128 v[68:71], v66
	s_or_b32 s5, vcc_lo, s5
	s_waitcnt vmcnt(2) lgkmcnt(0)
	v_mul_f64 v[74:75], v[70:71], v[64:65]
	v_mul_f64 v[64:65], v[68:69], v[64:65]
	s_waitcnt vmcnt(0)
	v_fma_f64 v[68:69], v[68:69], v[72:73], -v[74:75]
	v_fma_f64 v[64:65], v[70:71], v[72:73], v[64:65]
	v_add_f64 v[1:2], v[1:2], v[68:69]
	v_add_f64 v[3:4], v[3:4], v[64:65]
	s_andn2_b32 exec_lo, exec_lo, s5
	s_cbranch_execnz .LBB91_120
; %bb.121:
	s_or_b32 exec_lo, exec_lo, s5
.LBB91_122:
	s_or_b32 exec_lo, exec_lo, s8
	v_mov_b32_e32 v63, 0
	ds_read_b128 v[63:66], v63 offset:192
	s_waitcnt lgkmcnt(0)
	v_mul_f64 v[68:69], v[3:4], v[65:66]
	v_mul_f64 v[65:66], v[1:2], v[65:66]
	v_fma_f64 v[1:2], v[1:2], v[63:64], -v[68:69]
	v_fma_f64 v[3:4], v[3:4], v[63:64], v[65:66]
	buffer_store_dword v2, off, s[0:3], 0 offset:196
	buffer_store_dword v1, off, s[0:3], 0 offset:192
	;; [unrolled: 1-line block ×4, first 2 shown]
.LBB91_123:
	s_or_b32 exec_lo, exec_lo, s6
	v_mov_b32_e32 v4, s24
	v_cmp_lt_u32_e64 s5, 11, v0
	s_clause 0x3
	buffer_load_dword v1, v4, s[0:3], 0 offen
	buffer_load_dword v2, v4, s[0:3], 0 offen offset:4
	buffer_load_dword v3, v4, s[0:3], 0 offen offset:8
	buffer_load_dword v4, v4, s[0:3], 0 offen offset:12
	s_waitcnt vmcnt(0)
	ds_write_b128 v62, v[1:4]
	s_waitcnt lgkmcnt(0)
	s_waitcnt_vscnt null, 0x0
	s_barrier
	buffer_gl0_inv
	s_and_saveexec_b32 s6, s5
	s_cbranch_execz .LBB91_131
; %bb.124:
	ds_read_b128 v[1:4], v62
	s_andn2_b32 vcc_lo, exec_lo, s36
	s_cbranch_vccnz .LBB91_126
; %bb.125:
	s_clause 0x3
	buffer_load_dword v63, v61, s[0:3], 0 offen offset:8
	buffer_load_dword v64, v61, s[0:3], 0 offen offset:12
	buffer_load_dword v65, v61, s[0:3], 0 offen
	buffer_load_dword v66, v61, s[0:3], 0 offen offset:4
	s_waitcnt vmcnt(2) lgkmcnt(0)
	v_mul_f64 v[68:69], v[3:4], v[63:64]
	v_mul_f64 v[63:64], v[1:2], v[63:64]
	s_waitcnt vmcnt(0)
	v_fma_f64 v[1:2], v[1:2], v[65:66], -v[68:69]
	v_fma_f64 v[3:4], v[3:4], v[65:66], v[63:64]
.LBB91_126:
	s_and_saveexec_b32 s8, s4
	s_cbranch_execz .LBB91_130
; %bb.127:
	v_add_nc_u32_e32 v63, -12, v0
	s_movk_i32 s37, 0x280
	s_mov_b32 s4, 0
	s_mov_b32 s38, s23
	.p2align	6
.LBB91_128:                             ; =>This Inner Loop Header: Depth=1
	v_mov_b32_e32 v66, s38
	v_add_nc_u32_e32 v63, -1, v63
	s_add_i32 s38, s38, 16
	s_clause 0x3
	buffer_load_dword v64, v66, s[0:3], 0 offen offset:8
	buffer_load_dword v65, v66, s[0:3], 0 offen offset:12
	buffer_load_dword v72, v66, s[0:3], 0 offen
	buffer_load_dword v73, v66, s[0:3], 0 offen offset:4
	v_mov_b32_e32 v66, s37
	v_cmp_eq_u32_e32 vcc_lo, 0, v63
	s_add_i32 s37, s37, 16
	ds_read_b128 v[68:71], v66
	s_or_b32 s4, vcc_lo, s4
	s_waitcnt vmcnt(2) lgkmcnt(0)
	v_mul_f64 v[74:75], v[70:71], v[64:65]
	v_mul_f64 v[64:65], v[68:69], v[64:65]
	s_waitcnt vmcnt(0)
	v_fma_f64 v[68:69], v[68:69], v[72:73], -v[74:75]
	v_fma_f64 v[64:65], v[70:71], v[72:73], v[64:65]
	v_add_f64 v[1:2], v[1:2], v[68:69]
	v_add_f64 v[3:4], v[3:4], v[64:65]
	s_andn2_b32 exec_lo, exec_lo, s4
	s_cbranch_execnz .LBB91_128
; %bb.129:
	s_or_b32 exec_lo, exec_lo, s4
.LBB91_130:
	s_or_b32 exec_lo, exec_lo, s8
	v_mov_b32_e32 v63, 0
	ds_read_b128 v[63:66], v63 offset:176
	s_waitcnt lgkmcnt(0)
	v_mul_f64 v[68:69], v[3:4], v[65:66]
	v_mul_f64 v[65:66], v[1:2], v[65:66]
	v_fma_f64 v[1:2], v[1:2], v[63:64], -v[68:69]
	v_fma_f64 v[3:4], v[3:4], v[63:64], v[65:66]
	buffer_store_dword v2, off, s[0:3], 0 offset:180
	buffer_store_dword v1, off, s[0:3], 0 offset:176
	;; [unrolled: 1-line block ×4, first 2 shown]
.LBB91_131:
	s_or_b32 exec_lo, exec_lo, s6
	v_mov_b32_e32 v4, s25
	v_cmp_lt_u32_e64 s4, 10, v0
	s_clause 0x3
	buffer_load_dword v1, v4, s[0:3], 0 offen
	buffer_load_dword v2, v4, s[0:3], 0 offen offset:4
	buffer_load_dword v3, v4, s[0:3], 0 offen offset:8
	;; [unrolled: 1-line block ×3, first 2 shown]
	s_waitcnt vmcnt(0)
	ds_write_b128 v62, v[1:4]
	s_waitcnt lgkmcnt(0)
	s_waitcnt_vscnt null, 0x0
	s_barrier
	buffer_gl0_inv
	s_and_saveexec_b32 s6, s4
	s_cbranch_execz .LBB91_139
; %bb.132:
	ds_read_b128 v[1:4], v62
	s_andn2_b32 vcc_lo, exec_lo, s36
	s_cbranch_vccnz .LBB91_134
; %bb.133:
	s_clause 0x3
	buffer_load_dword v63, v61, s[0:3], 0 offen offset:8
	buffer_load_dword v64, v61, s[0:3], 0 offen offset:12
	buffer_load_dword v65, v61, s[0:3], 0 offen
	buffer_load_dword v66, v61, s[0:3], 0 offen offset:4
	s_waitcnt vmcnt(2) lgkmcnt(0)
	v_mul_f64 v[68:69], v[3:4], v[63:64]
	v_mul_f64 v[63:64], v[1:2], v[63:64]
	s_waitcnt vmcnt(0)
	v_fma_f64 v[1:2], v[1:2], v[65:66], -v[68:69]
	v_fma_f64 v[3:4], v[3:4], v[65:66], v[63:64]
.LBB91_134:
	s_and_saveexec_b32 s8, s5
	s_cbranch_execz .LBB91_138
; %bb.135:
	v_add_nc_u32_e32 v63, -11, v0
	s_movk_i32 s37, 0x270
	s_mov_b32 s5, 0
	s_mov_b32 s38, s24
	.p2align	6
.LBB91_136:                             ; =>This Inner Loop Header: Depth=1
	v_mov_b32_e32 v66, s38
	v_add_nc_u32_e32 v63, -1, v63
	s_add_i32 s38, s38, 16
	s_clause 0x3
	buffer_load_dword v64, v66, s[0:3], 0 offen offset:8
	buffer_load_dword v65, v66, s[0:3], 0 offen offset:12
	buffer_load_dword v72, v66, s[0:3], 0 offen
	buffer_load_dword v73, v66, s[0:3], 0 offen offset:4
	v_mov_b32_e32 v66, s37
	v_cmp_eq_u32_e32 vcc_lo, 0, v63
	s_add_i32 s37, s37, 16
	ds_read_b128 v[68:71], v66
	s_or_b32 s5, vcc_lo, s5
	s_waitcnt vmcnt(2) lgkmcnt(0)
	v_mul_f64 v[74:75], v[70:71], v[64:65]
	v_mul_f64 v[64:65], v[68:69], v[64:65]
	s_waitcnt vmcnt(0)
	v_fma_f64 v[68:69], v[68:69], v[72:73], -v[74:75]
	v_fma_f64 v[64:65], v[70:71], v[72:73], v[64:65]
	v_add_f64 v[1:2], v[1:2], v[68:69]
	v_add_f64 v[3:4], v[3:4], v[64:65]
	s_andn2_b32 exec_lo, exec_lo, s5
	s_cbranch_execnz .LBB91_136
; %bb.137:
	s_or_b32 exec_lo, exec_lo, s5
.LBB91_138:
	s_or_b32 exec_lo, exec_lo, s8
	v_mov_b32_e32 v63, 0
	ds_read_b128 v[63:66], v63 offset:160
	s_waitcnt lgkmcnt(0)
	v_mul_f64 v[68:69], v[3:4], v[65:66]
	v_mul_f64 v[65:66], v[1:2], v[65:66]
	v_fma_f64 v[1:2], v[1:2], v[63:64], -v[68:69]
	v_fma_f64 v[3:4], v[3:4], v[63:64], v[65:66]
	buffer_store_dword v2, off, s[0:3], 0 offset:164
	buffer_store_dword v1, off, s[0:3], 0 offset:160
	;; [unrolled: 1-line block ×4, first 2 shown]
.LBB91_139:
	s_or_b32 exec_lo, exec_lo, s6
	v_mov_b32_e32 v4, s26
	v_cmp_lt_u32_e64 s5, 9, v0
	s_clause 0x3
	buffer_load_dword v1, v4, s[0:3], 0 offen
	buffer_load_dword v2, v4, s[0:3], 0 offen offset:4
	buffer_load_dword v3, v4, s[0:3], 0 offen offset:8
	;; [unrolled: 1-line block ×3, first 2 shown]
	s_waitcnt vmcnt(0)
	ds_write_b128 v62, v[1:4]
	s_waitcnt lgkmcnt(0)
	s_waitcnt_vscnt null, 0x0
	s_barrier
	buffer_gl0_inv
	s_and_saveexec_b32 s6, s5
	s_cbranch_execz .LBB91_147
; %bb.140:
	ds_read_b128 v[1:4], v62
	s_andn2_b32 vcc_lo, exec_lo, s36
	s_cbranch_vccnz .LBB91_142
; %bb.141:
	s_clause 0x3
	buffer_load_dword v63, v61, s[0:3], 0 offen offset:8
	buffer_load_dword v64, v61, s[0:3], 0 offen offset:12
	buffer_load_dword v65, v61, s[0:3], 0 offen
	buffer_load_dword v66, v61, s[0:3], 0 offen offset:4
	s_waitcnt vmcnt(2) lgkmcnt(0)
	v_mul_f64 v[68:69], v[3:4], v[63:64]
	v_mul_f64 v[63:64], v[1:2], v[63:64]
	s_waitcnt vmcnt(0)
	v_fma_f64 v[1:2], v[1:2], v[65:66], -v[68:69]
	v_fma_f64 v[3:4], v[3:4], v[65:66], v[63:64]
.LBB91_142:
	s_and_saveexec_b32 s8, s4
	s_cbranch_execz .LBB91_146
; %bb.143:
	v_add_nc_u32_e32 v63, -10, v0
	s_movk_i32 s37, 0x260
	s_mov_b32 s4, 0
	s_mov_b32 s38, s25
	.p2align	6
.LBB91_144:                             ; =>This Inner Loop Header: Depth=1
	v_mov_b32_e32 v66, s38
	v_add_nc_u32_e32 v63, -1, v63
	s_add_i32 s38, s38, 16
	s_clause 0x3
	buffer_load_dword v64, v66, s[0:3], 0 offen offset:8
	buffer_load_dword v65, v66, s[0:3], 0 offen offset:12
	buffer_load_dword v72, v66, s[0:3], 0 offen
	buffer_load_dword v73, v66, s[0:3], 0 offen offset:4
	v_mov_b32_e32 v66, s37
	v_cmp_eq_u32_e32 vcc_lo, 0, v63
	s_add_i32 s37, s37, 16
	ds_read_b128 v[68:71], v66
	s_or_b32 s4, vcc_lo, s4
	s_waitcnt vmcnt(2) lgkmcnt(0)
	v_mul_f64 v[74:75], v[70:71], v[64:65]
	v_mul_f64 v[64:65], v[68:69], v[64:65]
	s_waitcnt vmcnt(0)
	v_fma_f64 v[68:69], v[68:69], v[72:73], -v[74:75]
	v_fma_f64 v[64:65], v[70:71], v[72:73], v[64:65]
	v_add_f64 v[1:2], v[1:2], v[68:69]
	v_add_f64 v[3:4], v[3:4], v[64:65]
	s_andn2_b32 exec_lo, exec_lo, s4
	s_cbranch_execnz .LBB91_144
; %bb.145:
	s_or_b32 exec_lo, exec_lo, s4
.LBB91_146:
	s_or_b32 exec_lo, exec_lo, s8
	v_mov_b32_e32 v63, 0
	ds_read_b128 v[63:66], v63 offset:144
	s_waitcnt lgkmcnt(0)
	v_mul_f64 v[68:69], v[3:4], v[65:66]
	v_mul_f64 v[65:66], v[1:2], v[65:66]
	v_fma_f64 v[1:2], v[1:2], v[63:64], -v[68:69]
	v_fma_f64 v[3:4], v[3:4], v[63:64], v[65:66]
	buffer_store_dword v2, off, s[0:3], 0 offset:148
	buffer_store_dword v1, off, s[0:3], 0 offset:144
	;; [unrolled: 1-line block ×4, first 2 shown]
.LBB91_147:
	s_or_b32 exec_lo, exec_lo, s6
	v_mov_b32_e32 v4, s27
	v_cmp_lt_u32_e64 s4, 8, v0
	s_clause 0x3
	buffer_load_dword v1, v4, s[0:3], 0 offen
	buffer_load_dword v2, v4, s[0:3], 0 offen offset:4
	buffer_load_dword v3, v4, s[0:3], 0 offen offset:8
	;; [unrolled: 1-line block ×3, first 2 shown]
	s_waitcnt vmcnt(0)
	ds_write_b128 v62, v[1:4]
	s_waitcnt lgkmcnt(0)
	s_waitcnt_vscnt null, 0x0
	s_barrier
	buffer_gl0_inv
	s_and_saveexec_b32 s6, s4
	s_cbranch_execz .LBB91_155
; %bb.148:
	ds_read_b128 v[1:4], v62
	s_andn2_b32 vcc_lo, exec_lo, s36
	s_cbranch_vccnz .LBB91_150
; %bb.149:
	s_clause 0x3
	buffer_load_dword v63, v61, s[0:3], 0 offen offset:8
	buffer_load_dword v64, v61, s[0:3], 0 offen offset:12
	buffer_load_dword v65, v61, s[0:3], 0 offen
	buffer_load_dword v66, v61, s[0:3], 0 offen offset:4
	s_waitcnt vmcnt(2) lgkmcnt(0)
	v_mul_f64 v[68:69], v[3:4], v[63:64]
	v_mul_f64 v[63:64], v[1:2], v[63:64]
	s_waitcnt vmcnt(0)
	v_fma_f64 v[1:2], v[1:2], v[65:66], -v[68:69]
	v_fma_f64 v[3:4], v[3:4], v[65:66], v[63:64]
.LBB91_150:
	s_and_saveexec_b32 s8, s5
	s_cbranch_execz .LBB91_154
; %bb.151:
	v_add_nc_u32_e32 v63, -9, v0
	s_movk_i32 s37, 0x250
	s_mov_b32 s5, 0
	s_mov_b32 s38, s26
	.p2align	6
.LBB91_152:                             ; =>This Inner Loop Header: Depth=1
	v_mov_b32_e32 v66, s38
	v_add_nc_u32_e32 v63, -1, v63
	s_add_i32 s38, s38, 16
	s_clause 0x3
	buffer_load_dword v64, v66, s[0:3], 0 offen offset:8
	buffer_load_dword v65, v66, s[0:3], 0 offen offset:12
	buffer_load_dword v72, v66, s[0:3], 0 offen
	buffer_load_dword v73, v66, s[0:3], 0 offen offset:4
	v_mov_b32_e32 v66, s37
	v_cmp_eq_u32_e32 vcc_lo, 0, v63
	s_add_i32 s37, s37, 16
	ds_read_b128 v[68:71], v66
	s_or_b32 s5, vcc_lo, s5
	s_waitcnt vmcnt(2) lgkmcnt(0)
	v_mul_f64 v[74:75], v[70:71], v[64:65]
	v_mul_f64 v[64:65], v[68:69], v[64:65]
	s_waitcnt vmcnt(0)
	v_fma_f64 v[68:69], v[68:69], v[72:73], -v[74:75]
	v_fma_f64 v[64:65], v[70:71], v[72:73], v[64:65]
	v_add_f64 v[1:2], v[1:2], v[68:69]
	v_add_f64 v[3:4], v[3:4], v[64:65]
	s_andn2_b32 exec_lo, exec_lo, s5
	s_cbranch_execnz .LBB91_152
; %bb.153:
	s_or_b32 exec_lo, exec_lo, s5
.LBB91_154:
	s_or_b32 exec_lo, exec_lo, s8
	v_mov_b32_e32 v63, 0
	ds_read_b128 v[63:66], v63 offset:128
	s_waitcnt lgkmcnt(0)
	v_mul_f64 v[68:69], v[3:4], v[65:66]
	v_mul_f64 v[65:66], v[1:2], v[65:66]
	v_fma_f64 v[1:2], v[1:2], v[63:64], -v[68:69]
	v_fma_f64 v[3:4], v[3:4], v[63:64], v[65:66]
	buffer_store_dword v2, off, s[0:3], 0 offset:132
	buffer_store_dword v1, off, s[0:3], 0 offset:128
	;; [unrolled: 1-line block ×4, first 2 shown]
.LBB91_155:
	s_or_b32 exec_lo, exec_lo, s6
	v_mov_b32_e32 v4, s28
	v_cmp_lt_u32_e64 s5, 7, v0
	s_clause 0x3
	buffer_load_dword v1, v4, s[0:3], 0 offen
	buffer_load_dword v2, v4, s[0:3], 0 offen offset:4
	buffer_load_dword v3, v4, s[0:3], 0 offen offset:8
	buffer_load_dword v4, v4, s[0:3], 0 offen offset:12
	s_waitcnt vmcnt(0)
	ds_write_b128 v62, v[1:4]
	s_waitcnt lgkmcnt(0)
	s_waitcnt_vscnt null, 0x0
	s_barrier
	buffer_gl0_inv
	s_and_saveexec_b32 s6, s5
	s_cbranch_execz .LBB91_163
; %bb.156:
	ds_read_b128 v[1:4], v62
	s_andn2_b32 vcc_lo, exec_lo, s36
	s_cbranch_vccnz .LBB91_158
; %bb.157:
	s_clause 0x3
	buffer_load_dword v63, v61, s[0:3], 0 offen offset:8
	buffer_load_dword v64, v61, s[0:3], 0 offen offset:12
	buffer_load_dword v65, v61, s[0:3], 0 offen
	buffer_load_dword v66, v61, s[0:3], 0 offen offset:4
	s_waitcnt vmcnt(2) lgkmcnt(0)
	v_mul_f64 v[68:69], v[3:4], v[63:64]
	v_mul_f64 v[63:64], v[1:2], v[63:64]
	s_waitcnt vmcnt(0)
	v_fma_f64 v[1:2], v[1:2], v[65:66], -v[68:69]
	v_fma_f64 v[3:4], v[3:4], v[65:66], v[63:64]
.LBB91_158:
	s_and_saveexec_b32 s8, s4
	s_cbranch_execz .LBB91_162
; %bb.159:
	v_add_nc_u32_e32 v63, -8, v0
	s_movk_i32 s37, 0x240
	s_mov_b32 s4, 0
	s_mov_b32 s38, s27
	.p2align	6
.LBB91_160:                             ; =>This Inner Loop Header: Depth=1
	v_mov_b32_e32 v66, s38
	v_add_nc_u32_e32 v63, -1, v63
	s_add_i32 s38, s38, 16
	s_clause 0x3
	buffer_load_dword v64, v66, s[0:3], 0 offen offset:8
	buffer_load_dword v65, v66, s[0:3], 0 offen offset:12
	buffer_load_dword v72, v66, s[0:3], 0 offen
	buffer_load_dword v73, v66, s[0:3], 0 offen offset:4
	v_mov_b32_e32 v66, s37
	v_cmp_eq_u32_e32 vcc_lo, 0, v63
	s_add_i32 s37, s37, 16
	ds_read_b128 v[68:71], v66
	s_or_b32 s4, vcc_lo, s4
	s_waitcnt vmcnt(2) lgkmcnt(0)
	v_mul_f64 v[74:75], v[70:71], v[64:65]
	v_mul_f64 v[64:65], v[68:69], v[64:65]
	s_waitcnt vmcnt(0)
	v_fma_f64 v[68:69], v[68:69], v[72:73], -v[74:75]
	v_fma_f64 v[64:65], v[70:71], v[72:73], v[64:65]
	v_add_f64 v[1:2], v[1:2], v[68:69]
	v_add_f64 v[3:4], v[3:4], v[64:65]
	s_andn2_b32 exec_lo, exec_lo, s4
	s_cbranch_execnz .LBB91_160
; %bb.161:
	s_or_b32 exec_lo, exec_lo, s4
.LBB91_162:
	s_or_b32 exec_lo, exec_lo, s8
	v_mov_b32_e32 v63, 0
	ds_read_b128 v[63:66], v63 offset:112
	s_waitcnt lgkmcnt(0)
	v_mul_f64 v[68:69], v[3:4], v[65:66]
	v_mul_f64 v[65:66], v[1:2], v[65:66]
	v_fma_f64 v[1:2], v[1:2], v[63:64], -v[68:69]
	v_fma_f64 v[3:4], v[3:4], v[63:64], v[65:66]
	buffer_store_dword v2, off, s[0:3], 0 offset:116
	buffer_store_dword v1, off, s[0:3], 0 offset:112
	;; [unrolled: 1-line block ×4, first 2 shown]
.LBB91_163:
	s_or_b32 exec_lo, exec_lo, s6
	v_mov_b32_e32 v4, s29
	v_cmp_lt_u32_e64 s4, 6, v0
	s_clause 0x3
	buffer_load_dword v1, v4, s[0:3], 0 offen
	buffer_load_dword v2, v4, s[0:3], 0 offen offset:4
	buffer_load_dword v3, v4, s[0:3], 0 offen offset:8
	buffer_load_dword v4, v4, s[0:3], 0 offen offset:12
	s_waitcnt vmcnt(0)
	ds_write_b128 v62, v[1:4]
	s_waitcnt lgkmcnt(0)
	s_waitcnt_vscnt null, 0x0
	s_barrier
	buffer_gl0_inv
	s_and_saveexec_b32 s6, s4
	s_cbranch_execz .LBB91_171
; %bb.164:
	ds_read_b128 v[1:4], v62
	s_andn2_b32 vcc_lo, exec_lo, s36
	s_cbranch_vccnz .LBB91_166
; %bb.165:
	s_clause 0x3
	buffer_load_dword v63, v61, s[0:3], 0 offen offset:8
	buffer_load_dword v64, v61, s[0:3], 0 offen offset:12
	buffer_load_dword v65, v61, s[0:3], 0 offen
	buffer_load_dword v66, v61, s[0:3], 0 offen offset:4
	s_waitcnt vmcnt(2) lgkmcnt(0)
	v_mul_f64 v[68:69], v[3:4], v[63:64]
	v_mul_f64 v[63:64], v[1:2], v[63:64]
	s_waitcnt vmcnt(0)
	v_fma_f64 v[1:2], v[1:2], v[65:66], -v[68:69]
	v_fma_f64 v[3:4], v[3:4], v[65:66], v[63:64]
.LBB91_166:
	s_and_saveexec_b32 s8, s5
	s_cbranch_execz .LBB91_170
; %bb.167:
	v_add_nc_u32_e32 v63, -7, v0
	s_movk_i32 s37, 0x230
	s_mov_b32 s5, 0
	s_mov_b32 s38, s28
	.p2align	6
.LBB91_168:                             ; =>This Inner Loop Header: Depth=1
	v_mov_b32_e32 v66, s38
	v_add_nc_u32_e32 v63, -1, v63
	s_add_i32 s38, s38, 16
	s_clause 0x3
	buffer_load_dword v64, v66, s[0:3], 0 offen offset:8
	buffer_load_dword v65, v66, s[0:3], 0 offen offset:12
	buffer_load_dword v72, v66, s[0:3], 0 offen
	buffer_load_dword v73, v66, s[0:3], 0 offen offset:4
	v_mov_b32_e32 v66, s37
	v_cmp_eq_u32_e32 vcc_lo, 0, v63
	s_add_i32 s37, s37, 16
	ds_read_b128 v[68:71], v66
	s_or_b32 s5, vcc_lo, s5
	s_waitcnt vmcnt(2) lgkmcnt(0)
	v_mul_f64 v[74:75], v[70:71], v[64:65]
	v_mul_f64 v[64:65], v[68:69], v[64:65]
	s_waitcnt vmcnt(0)
	v_fma_f64 v[68:69], v[68:69], v[72:73], -v[74:75]
	v_fma_f64 v[64:65], v[70:71], v[72:73], v[64:65]
	v_add_f64 v[1:2], v[1:2], v[68:69]
	v_add_f64 v[3:4], v[3:4], v[64:65]
	s_andn2_b32 exec_lo, exec_lo, s5
	s_cbranch_execnz .LBB91_168
; %bb.169:
	s_or_b32 exec_lo, exec_lo, s5
.LBB91_170:
	s_or_b32 exec_lo, exec_lo, s8
	v_mov_b32_e32 v63, 0
	ds_read_b128 v[63:66], v63 offset:96
	s_waitcnt lgkmcnt(0)
	v_mul_f64 v[68:69], v[3:4], v[65:66]
	v_mul_f64 v[65:66], v[1:2], v[65:66]
	v_fma_f64 v[1:2], v[1:2], v[63:64], -v[68:69]
	v_fma_f64 v[3:4], v[3:4], v[63:64], v[65:66]
	buffer_store_dword v2, off, s[0:3], 0 offset:100
	buffer_store_dword v1, off, s[0:3], 0 offset:96
	;; [unrolled: 1-line block ×4, first 2 shown]
.LBB91_171:
	s_or_b32 exec_lo, exec_lo, s6
	v_mov_b32_e32 v4, s30
	v_cmp_lt_u32_e64 s5, 5, v0
	s_clause 0x3
	buffer_load_dword v1, v4, s[0:3], 0 offen
	buffer_load_dword v2, v4, s[0:3], 0 offen offset:4
	buffer_load_dword v3, v4, s[0:3], 0 offen offset:8
	;; [unrolled: 1-line block ×3, first 2 shown]
	s_waitcnt vmcnt(0)
	ds_write_b128 v62, v[1:4]
	s_waitcnt lgkmcnt(0)
	s_waitcnt_vscnt null, 0x0
	s_barrier
	buffer_gl0_inv
	s_and_saveexec_b32 s6, s5
	s_cbranch_execz .LBB91_179
; %bb.172:
	ds_read_b128 v[1:4], v62
	s_andn2_b32 vcc_lo, exec_lo, s36
	s_cbranch_vccnz .LBB91_174
; %bb.173:
	s_clause 0x3
	buffer_load_dword v63, v61, s[0:3], 0 offen offset:8
	buffer_load_dword v64, v61, s[0:3], 0 offen offset:12
	buffer_load_dword v65, v61, s[0:3], 0 offen
	buffer_load_dword v66, v61, s[0:3], 0 offen offset:4
	s_waitcnt vmcnt(2) lgkmcnt(0)
	v_mul_f64 v[68:69], v[3:4], v[63:64]
	v_mul_f64 v[63:64], v[1:2], v[63:64]
	s_waitcnt vmcnt(0)
	v_fma_f64 v[1:2], v[1:2], v[65:66], -v[68:69]
	v_fma_f64 v[3:4], v[3:4], v[65:66], v[63:64]
.LBB91_174:
	s_and_saveexec_b32 s8, s4
	s_cbranch_execz .LBB91_178
; %bb.175:
	v_add_nc_u32_e32 v63, -6, v0
	s_movk_i32 s37, 0x220
	s_mov_b32 s4, 0
	s_mov_b32 s38, s29
	.p2align	6
.LBB91_176:                             ; =>This Inner Loop Header: Depth=1
	v_mov_b32_e32 v66, s38
	v_add_nc_u32_e32 v63, -1, v63
	s_add_i32 s38, s38, 16
	s_clause 0x3
	buffer_load_dword v64, v66, s[0:3], 0 offen offset:8
	buffer_load_dword v65, v66, s[0:3], 0 offen offset:12
	buffer_load_dword v72, v66, s[0:3], 0 offen
	buffer_load_dword v73, v66, s[0:3], 0 offen offset:4
	v_mov_b32_e32 v66, s37
	v_cmp_eq_u32_e32 vcc_lo, 0, v63
	s_add_i32 s37, s37, 16
	ds_read_b128 v[68:71], v66
	s_or_b32 s4, vcc_lo, s4
	s_waitcnt vmcnt(2) lgkmcnt(0)
	v_mul_f64 v[74:75], v[70:71], v[64:65]
	v_mul_f64 v[64:65], v[68:69], v[64:65]
	s_waitcnt vmcnt(0)
	v_fma_f64 v[68:69], v[68:69], v[72:73], -v[74:75]
	v_fma_f64 v[64:65], v[70:71], v[72:73], v[64:65]
	v_add_f64 v[1:2], v[1:2], v[68:69]
	v_add_f64 v[3:4], v[3:4], v[64:65]
	s_andn2_b32 exec_lo, exec_lo, s4
	s_cbranch_execnz .LBB91_176
; %bb.177:
	s_or_b32 exec_lo, exec_lo, s4
.LBB91_178:
	s_or_b32 exec_lo, exec_lo, s8
	v_mov_b32_e32 v63, 0
	ds_read_b128 v[63:66], v63 offset:80
	s_waitcnt lgkmcnt(0)
	v_mul_f64 v[68:69], v[3:4], v[65:66]
	v_mul_f64 v[65:66], v[1:2], v[65:66]
	v_fma_f64 v[1:2], v[1:2], v[63:64], -v[68:69]
	v_fma_f64 v[3:4], v[3:4], v[63:64], v[65:66]
	buffer_store_dword v2, off, s[0:3], 0 offset:84
	buffer_store_dword v1, off, s[0:3], 0 offset:80
	;; [unrolled: 1-line block ×4, first 2 shown]
.LBB91_179:
	s_or_b32 exec_lo, exec_lo, s6
	v_mov_b32_e32 v4, s31
	v_cmp_lt_u32_e64 s4, 4, v0
	s_clause 0x3
	buffer_load_dword v1, v4, s[0:3], 0 offen
	buffer_load_dword v2, v4, s[0:3], 0 offen offset:4
	buffer_load_dword v3, v4, s[0:3], 0 offen offset:8
	;; [unrolled: 1-line block ×3, first 2 shown]
	s_waitcnt vmcnt(0)
	ds_write_b128 v62, v[1:4]
	s_waitcnt lgkmcnt(0)
	s_waitcnt_vscnt null, 0x0
	s_barrier
	buffer_gl0_inv
	s_and_saveexec_b32 s6, s4
	s_cbranch_execz .LBB91_187
; %bb.180:
	ds_read_b128 v[1:4], v62
	s_andn2_b32 vcc_lo, exec_lo, s36
	s_cbranch_vccnz .LBB91_182
; %bb.181:
	s_clause 0x3
	buffer_load_dword v63, v61, s[0:3], 0 offen offset:8
	buffer_load_dword v64, v61, s[0:3], 0 offen offset:12
	buffer_load_dword v65, v61, s[0:3], 0 offen
	buffer_load_dword v66, v61, s[0:3], 0 offen offset:4
	s_waitcnt vmcnt(2) lgkmcnt(0)
	v_mul_f64 v[68:69], v[3:4], v[63:64]
	v_mul_f64 v[63:64], v[1:2], v[63:64]
	s_waitcnt vmcnt(0)
	v_fma_f64 v[1:2], v[1:2], v[65:66], -v[68:69]
	v_fma_f64 v[3:4], v[3:4], v[65:66], v[63:64]
.LBB91_182:
	s_and_saveexec_b32 s8, s5
	s_cbranch_execz .LBB91_186
; %bb.183:
	v_add_nc_u32_e32 v63, -5, v0
	s_movk_i32 s37, 0x210
	s_mov_b32 s5, 0
	s_mov_b32 s38, s30
	.p2align	6
.LBB91_184:                             ; =>This Inner Loop Header: Depth=1
	v_mov_b32_e32 v66, s38
	v_add_nc_u32_e32 v63, -1, v63
	s_add_i32 s38, s38, 16
	s_clause 0x3
	buffer_load_dword v64, v66, s[0:3], 0 offen offset:8
	buffer_load_dword v65, v66, s[0:3], 0 offen offset:12
	buffer_load_dword v72, v66, s[0:3], 0 offen
	buffer_load_dword v73, v66, s[0:3], 0 offen offset:4
	v_mov_b32_e32 v66, s37
	v_cmp_eq_u32_e32 vcc_lo, 0, v63
	s_add_i32 s37, s37, 16
	ds_read_b128 v[68:71], v66
	s_or_b32 s5, vcc_lo, s5
	s_waitcnt vmcnt(2) lgkmcnt(0)
	v_mul_f64 v[74:75], v[70:71], v[64:65]
	v_mul_f64 v[64:65], v[68:69], v[64:65]
	s_waitcnt vmcnt(0)
	v_fma_f64 v[68:69], v[68:69], v[72:73], -v[74:75]
	v_fma_f64 v[64:65], v[70:71], v[72:73], v[64:65]
	v_add_f64 v[1:2], v[1:2], v[68:69]
	v_add_f64 v[3:4], v[3:4], v[64:65]
	s_andn2_b32 exec_lo, exec_lo, s5
	s_cbranch_execnz .LBB91_184
; %bb.185:
	s_or_b32 exec_lo, exec_lo, s5
.LBB91_186:
	s_or_b32 exec_lo, exec_lo, s8
	v_mov_b32_e32 v63, 0
	ds_read_b128 v[63:66], v63 offset:64
	s_waitcnt lgkmcnt(0)
	v_mul_f64 v[68:69], v[3:4], v[65:66]
	v_mul_f64 v[65:66], v[1:2], v[65:66]
	v_fma_f64 v[1:2], v[1:2], v[63:64], -v[68:69]
	v_fma_f64 v[3:4], v[3:4], v[63:64], v[65:66]
	buffer_store_dword v2, off, s[0:3], 0 offset:68
	buffer_store_dword v1, off, s[0:3], 0 offset:64
	;; [unrolled: 1-line block ×4, first 2 shown]
.LBB91_187:
	s_or_b32 exec_lo, exec_lo, s6
	v_mov_b32_e32 v4, s33
	v_cmp_lt_u32_e64 s5, 3, v0
	s_clause 0x3
	buffer_load_dword v1, v4, s[0:3], 0 offen
	buffer_load_dword v2, v4, s[0:3], 0 offen offset:4
	buffer_load_dword v3, v4, s[0:3], 0 offen offset:8
	;; [unrolled: 1-line block ×3, first 2 shown]
	s_waitcnt vmcnt(0)
	ds_write_b128 v62, v[1:4]
	s_waitcnt lgkmcnt(0)
	s_waitcnt_vscnt null, 0x0
	s_barrier
	buffer_gl0_inv
	s_and_saveexec_b32 s6, s5
	s_cbranch_execz .LBB91_195
; %bb.188:
	ds_read_b128 v[1:4], v62
	s_andn2_b32 vcc_lo, exec_lo, s36
	s_cbranch_vccnz .LBB91_190
; %bb.189:
	s_clause 0x3
	buffer_load_dword v63, v61, s[0:3], 0 offen offset:8
	buffer_load_dword v64, v61, s[0:3], 0 offen offset:12
	buffer_load_dword v65, v61, s[0:3], 0 offen
	buffer_load_dword v66, v61, s[0:3], 0 offen offset:4
	s_waitcnt vmcnt(2) lgkmcnt(0)
	v_mul_f64 v[68:69], v[3:4], v[63:64]
	v_mul_f64 v[63:64], v[1:2], v[63:64]
	s_waitcnt vmcnt(0)
	v_fma_f64 v[1:2], v[1:2], v[65:66], -v[68:69]
	v_fma_f64 v[3:4], v[3:4], v[65:66], v[63:64]
.LBB91_190:
	s_and_saveexec_b32 s8, s4
	s_cbranch_execz .LBB91_194
; %bb.191:
	v_add_nc_u32_e32 v63, -4, v0
	s_movk_i32 s37, 0x200
	s_mov_b32 s4, 0
	s_mov_b32 s38, s31
	.p2align	6
.LBB91_192:                             ; =>This Inner Loop Header: Depth=1
	v_mov_b32_e32 v66, s38
	v_add_nc_u32_e32 v63, -1, v63
	s_add_i32 s38, s38, 16
	s_clause 0x3
	buffer_load_dword v64, v66, s[0:3], 0 offen offset:8
	buffer_load_dword v65, v66, s[0:3], 0 offen offset:12
	buffer_load_dword v72, v66, s[0:3], 0 offen
	buffer_load_dword v73, v66, s[0:3], 0 offen offset:4
	v_mov_b32_e32 v66, s37
	v_cmp_eq_u32_e32 vcc_lo, 0, v63
	s_add_i32 s37, s37, 16
	ds_read_b128 v[68:71], v66
	s_or_b32 s4, vcc_lo, s4
	s_waitcnt vmcnt(2) lgkmcnt(0)
	v_mul_f64 v[74:75], v[70:71], v[64:65]
	v_mul_f64 v[64:65], v[68:69], v[64:65]
	s_waitcnt vmcnt(0)
	v_fma_f64 v[68:69], v[68:69], v[72:73], -v[74:75]
	v_fma_f64 v[64:65], v[70:71], v[72:73], v[64:65]
	v_add_f64 v[1:2], v[1:2], v[68:69]
	v_add_f64 v[3:4], v[3:4], v[64:65]
	s_andn2_b32 exec_lo, exec_lo, s4
	s_cbranch_execnz .LBB91_192
; %bb.193:
	s_or_b32 exec_lo, exec_lo, s4
.LBB91_194:
	s_or_b32 exec_lo, exec_lo, s8
	v_mov_b32_e32 v63, 0
	ds_read_b128 v[63:66], v63 offset:48
	s_waitcnt lgkmcnt(0)
	v_mul_f64 v[68:69], v[3:4], v[65:66]
	v_mul_f64 v[65:66], v[1:2], v[65:66]
	v_fma_f64 v[1:2], v[1:2], v[63:64], -v[68:69]
	v_fma_f64 v[3:4], v[3:4], v[63:64], v[65:66]
	buffer_store_dword v2, off, s[0:3], 0 offset:52
	buffer_store_dword v1, off, s[0:3], 0 offset:48
	buffer_store_dword v4, off, s[0:3], 0 offset:60
	buffer_store_dword v3, off, s[0:3], 0 offset:56
.LBB91_195:
	s_or_b32 exec_lo, exec_lo, s6
	v_mov_b32_e32 v4, s34
	v_cmp_lt_u32_e64 s6, 2, v0
	s_clause 0x3
	buffer_load_dword v1, v4, s[0:3], 0 offen
	buffer_load_dword v2, v4, s[0:3], 0 offen offset:4
	buffer_load_dword v3, v4, s[0:3], 0 offen offset:8
	;; [unrolled: 1-line block ×3, first 2 shown]
	s_waitcnt vmcnt(0)
	ds_write_b128 v62, v[1:4]
	s_waitcnt lgkmcnt(0)
	s_waitcnt_vscnt null, 0x0
	s_barrier
	buffer_gl0_inv
	s_and_saveexec_b32 s4, s6
	s_cbranch_execz .LBB91_203
; %bb.196:
	ds_read_b128 v[1:4], v62
	s_andn2_b32 vcc_lo, exec_lo, s36
	s_cbranch_vccnz .LBB91_198
; %bb.197:
	s_clause 0x3
	buffer_load_dword v63, v61, s[0:3], 0 offen offset:8
	buffer_load_dword v64, v61, s[0:3], 0 offen offset:12
	buffer_load_dword v65, v61, s[0:3], 0 offen
	buffer_load_dword v66, v61, s[0:3], 0 offen offset:4
	s_waitcnt vmcnt(2) lgkmcnt(0)
	v_mul_f64 v[68:69], v[3:4], v[63:64]
	v_mul_f64 v[63:64], v[1:2], v[63:64]
	s_waitcnt vmcnt(0)
	v_fma_f64 v[1:2], v[1:2], v[65:66], -v[68:69]
	v_fma_f64 v[3:4], v[3:4], v[65:66], v[63:64]
.LBB91_198:
	s_and_saveexec_b32 s8, s5
	s_cbranch_execz .LBB91_202
; %bb.199:
	v_add_nc_u32_e32 v63, -3, v0
	s_movk_i32 s37, 0x1f0
	s_mov_b32 s5, 0
	s_mov_b32 s38, s33
	.p2align	6
.LBB91_200:                             ; =>This Inner Loop Header: Depth=1
	v_mov_b32_e32 v66, s38
	v_add_nc_u32_e32 v63, -1, v63
	s_add_i32 s38, s38, 16
	s_clause 0x3
	buffer_load_dword v64, v66, s[0:3], 0 offen offset:8
	buffer_load_dword v65, v66, s[0:3], 0 offen offset:12
	buffer_load_dword v72, v66, s[0:3], 0 offen
	buffer_load_dword v73, v66, s[0:3], 0 offen offset:4
	v_mov_b32_e32 v66, s37
	v_cmp_eq_u32_e32 vcc_lo, 0, v63
	s_add_i32 s37, s37, 16
	ds_read_b128 v[68:71], v66
	s_or_b32 s5, vcc_lo, s5
	s_waitcnt vmcnt(2) lgkmcnt(0)
	v_mul_f64 v[74:75], v[70:71], v[64:65]
	v_mul_f64 v[64:65], v[68:69], v[64:65]
	s_waitcnt vmcnt(0)
	v_fma_f64 v[68:69], v[68:69], v[72:73], -v[74:75]
	v_fma_f64 v[64:65], v[70:71], v[72:73], v[64:65]
	v_add_f64 v[1:2], v[1:2], v[68:69]
	v_add_f64 v[3:4], v[3:4], v[64:65]
	s_andn2_b32 exec_lo, exec_lo, s5
	s_cbranch_execnz .LBB91_200
; %bb.201:
	s_or_b32 exec_lo, exec_lo, s5
.LBB91_202:
	s_or_b32 exec_lo, exec_lo, s8
	v_mov_b32_e32 v63, 0
	ds_read_b128 v[63:66], v63 offset:32
	s_waitcnt lgkmcnt(0)
	v_mul_f64 v[68:69], v[3:4], v[65:66]
	v_mul_f64 v[65:66], v[1:2], v[65:66]
	v_fma_f64 v[1:2], v[1:2], v[63:64], -v[68:69]
	v_fma_f64 v[3:4], v[3:4], v[63:64], v[65:66]
	buffer_store_dword v2, off, s[0:3], 0 offset:36
	buffer_store_dword v1, off, s[0:3], 0 offset:32
	;; [unrolled: 1-line block ×4, first 2 shown]
.LBB91_203:
	s_or_b32 exec_lo, exec_lo, s4
	v_mov_b32_e32 v4, s35
	v_cmp_lt_u32_e64 s4, 1, v0
	s_clause 0x3
	buffer_load_dword v1, v4, s[0:3], 0 offen
	buffer_load_dword v2, v4, s[0:3], 0 offen offset:4
	buffer_load_dword v3, v4, s[0:3], 0 offen offset:8
	;; [unrolled: 1-line block ×3, first 2 shown]
	s_waitcnt vmcnt(0)
	ds_write_b128 v62, v[1:4]
	s_waitcnt lgkmcnt(0)
	s_waitcnt_vscnt null, 0x0
	s_barrier
	buffer_gl0_inv
	s_and_saveexec_b32 s5, s4
	s_cbranch_execz .LBB91_211
; %bb.204:
	ds_read_b128 v[1:4], v62
	s_andn2_b32 vcc_lo, exec_lo, s36
	s_cbranch_vccnz .LBB91_206
; %bb.205:
	s_clause 0x3
	buffer_load_dword v63, v61, s[0:3], 0 offen offset:8
	buffer_load_dword v64, v61, s[0:3], 0 offen offset:12
	buffer_load_dword v65, v61, s[0:3], 0 offen
	buffer_load_dword v66, v61, s[0:3], 0 offen offset:4
	s_waitcnt vmcnt(2) lgkmcnt(0)
	v_mul_f64 v[68:69], v[3:4], v[63:64]
	v_mul_f64 v[63:64], v[1:2], v[63:64]
	s_waitcnt vmcnt(0)
	v_fma_f64 v[1:2], v[1:2], v[65:66], -v[68:69]
	v_fma_f64 v[3:4], v[3:4], v[65:66], v[63:64]
.LBB91_206:
	s_and_saveexec_b32 s8, s6
	s_cbranch_execz .LBB91_210
; %bb.207:
	v_add_nc_u32_e32 v63, -2, v0
	s_movk_i32 s37, 0x1e0
	s_mov_b32 s6, 0
	s_mov_b32 s38, s34
	.p2align	6
.LBB91_208:                             ; =>This Inner Loop Header: Depth=1
	v_mov_b32_e32 v66, s38
	v_add_nc_u32_e32 v63, -1, v63
	s_add_i32 s38, s38, 16
	s_clause 0x3
	buffer_load_dword v64, v66, s[0:3], 0 offen offset:8
	buffer_load_dword v65, v66, s[0:3], 0 offen offset:12
	buffer_load_dword v72, v66, s[0:3], 0 offen
	buffer_load_dword v73, v66, s[0:3], 0 offen offset:4
	v_mov_b32_e32 v66, s37
	v_cmp_eq_u32_e32 vcc_lo, 0, v63
	s_add_i32 s37, s37, 16
	ds_read_b128 v[68:71], v66
	s_or_b32 s6, vcc_lo, s6
	s_waitcnt vmcnt(2) lgkmcnt(0)
	v_mul_f64 v[74:75], v[70:71], v[64:65]
	v_mul_f64 v[64:65], v[68:69], v[64:65]
	s_waitcnt vmcnt(0)
	v_fma_f64 v[68:69], v[68:69], v[72:73], -v[74:75]
	v_fma_f64 v[64:65], v[70:71], v[72:73], v[64:65]
	v_add_f64 v[1:2], v[1:2], v[68:69]
	v_add_f64 v[3:4], v[3:4], v[64:65]
	s_andn2_b32 exec_lo, exec_lo, s6
	s_cbranch_execnz .LBB91_208
; %bb.209:
	s_or_b32 exec_lo, exec_lo, s6
.LBB91_210:
	s_or_b32 exec_lo, exec_lo, s8
	v_mov_b32_e32 v63, 0
	ds_read_b128 v[63:66], v63 offset:16
	s_waitcnt lgkmcnt(0)
	v_mul_f64 v[68:69], v[3:4], v[65:66]
	v_mul_f64 v[65:66], v[1:2], v[65:66]
	v_fma_f64 v[1:2], v[1:2], v[63:64], -v[68:69]
	v_fma_f64 v[3:4], v[3:4], v[63:64], v[65:66]
	buffer_store_dword v2, off, s[0:3], 0 offset:20
	buffer_store_dword v1, off, s[0:3], 0 offset:16
	;; [unrolled: 1-line block ×4, first 2 shown]
.LBB91_211:
	s_or_b32 exec_lo, exec_lo, s5
	s_clause 0x3
	buffer_load_dword v1, off, s[0:3], 0
	buffer_load_dword v2, off, s[0:3], 0 offset:4
	buffer_load_dword v3, off, s[0:3], 0 offset:8
	;; [unrolled: 1-line block ×3, first 2 shown]
	s_mov_b32 s6, 0
	s_mov_b32 s5, 0
	s_mov_b32 s8, exec_lo
                                        ; implicit-def: $sgpr37
	s_waitcnt vmcnt(0)
	ds_write_b128 v62, v[1:4]
	s_waitcnt lgkmcnt(0)
	s_waitcnt_vscnt null, 0x0
	s_barrier
	buffer_gl0_inv
                                        ; implicit-def: $vgpr1_vgpr2
	v_cmpx_ne_u32_e32 0, v0
	s_cbranch_execz .LBB91_219
; %bb.212:
	ds_read_b128 v[1:4], v62
	s_andn2_b32 vcc_lo, exec_lo, s36
	s_cbranch_vccnz .LBB91_214
; %bb.213:
	s_clause 0x3
	buffer_load_dword v63, v61, s[0:3], 0 offen offset:8
	buffer_load_dword v64, v61, s[0:3], 0 offen offset:12
	buffer_load_dword v65, v61, s[0:3], 0 offen
	buffer_load_dword v66, v61, s[0:3], 0 offen offset:4
	s_waitcnt vmcnt(2) lgkmcnt(0)
	v_mul_f64 v[68:69], v[3:4], v[63:64]
	v_mul_f64 v[63:64], v[1:2], v[63:64]
	s_waitcnt vmcnt(0)
	v_fma_f64 v[1:2], v[1:2], v[65:66], -v[68:69]
	v_fma_f64 v[3:4], v[3:4], v[65:66], v[63:64]
.LBB91_214:
	s_and_saveexec_b32 s5, s4
	s_cbranch_execz .LBB91_218
; %bb.215:
	v_add_nc_u32_e32 v63, -1, v0
	s_movk_i32 s37, 0x1d0
	s_mov_b32 s4, 0
	s_mov_b32 s38, s35
	.p2align	6
.LBB91_216:                             ; =>This Inner Loop Header: Depth=1
	v_mov_b32_e32 v66, s38
	v_add_nc_u32_e32 v63, -1, v63
	s_add_i32 s38, s38, 16
	s_clause 0x3
	buffer_load_dword v64, v66, s[0:3], 0 offen offset:8
	buffer_load_dword v65, v66, s[0:3], 0 offen offset:12
	buffer_load_dword v72, v66, s[0:3], 0 offen
	buffer_load_dword v73, v66, s[0:3], 0 offen offset:4
	v_mov_b32_e32 v66, s37
	v_cmp_eq_u32_e32 vcc_lo, 0, v63
	s_add_i32 s37, s37, 16
	ds_read_b128 v[68:71], v66
	s_or_b32 s4, vcc_lo, s4
	s_waitcnt vmcnt(2) lgkmcnt(0)
	v_mul_f64 v[74:75], v[70:71], v[64:65]
	v_mul_f64 v[64:65], v[68:69], v[64:65]
	s_waitcnt vmcnt(0)
	v_fma_f64 v[68:69], v[68:69], v[72:73], -v[74:75]
	v_fma_f64 v[64:65], v[70:71], v[72:73], v[64:65]
	v_add_f64 v[1:2], v[1:2], v[68:69]
	v_add_f64 v[3:4], v[3:4], v[64:65]
	s_andn2_b32 exec_lo, exec_lo, s4
	s_cbranch_execnz .LBB91_216
; %bb.217:
	s_or_b32 exec_lo, exec_lo, s4
.LBB91_218:
	s_or_b32 exec_lo, exec_lo, s5
	v_mov_b32_e32 v63, 0
	s_mov_b32 s5, exec_lo
	s_or_b32 s37, 0, 8
	ds_read_b128 v[63:66], v63
	s_waitcnt lgkmcnt(0)
	v_mul_f64 v[68:69], v[3:4], v[65:66]
	v_mul_f64 v[65:66], v[1:2], v[65:66]
	v_fma_f64 v[68:69], v[1:2], v[63:64], -v[68:69]
	v_fma_f64 v[1:2], v[3:4], v[63:64], v[65:66]
	buffer_store_dword v69, off, s[0:3], 0 offset:4
	buffer_store_dword v68, off, s[0:3], 0
.LBB91_219:
	s_or_b32 exec_lo, exec_lo, s8
	s_and_b32 vcc_lo, exec_lo, s6
	s_cbranch_vccnz .LBB91_221
	s_branch .LBB91_432
.LBB91_220:
	s_mov_b32 s5, 0
                                        ; implicit-def: $vgpr1_vgpr2
                                        ; implicit-def: $sgpr37
	s_cbranch_execz .LBB91_432
.LBB91_221:
	v_mov_b32_e32 v4, s35
	v_cmp_eq_u32_e64 s4, 0, v0
	v_cndmask_b32_e64 v63, 0, 1, s36
	s_clause 0x3
	buffer_load_dword v1, v4, s[0:3], 0 offen
	buffer_load_dword v2, v4, s[0:3], 0 offen offset:4
	buffer_load_dword v3, v4, s[0:3], 0 offen offset:8
	;; [unrolled: 1-line block ×3, first 2 shown]
	s_waitcnt vmcnt(0)
	ds_write_b128 v62, v[1:4]
	s_waitcnt lgkmcnt(0)
	s_waitcnt_vscnt null, 0x0
	s_barrier
	buffer_gl0_inv
	s_and_saveexec_b32 s6, s4
	s_cbranch_execz .LBB91_225
; %bb.222:
	ds_read_b128 v[1:4], v62
	s_andn2_b32 vcc_lo, exec_lo, s36
	s_cbranch_vccnz .LBB91_224
; %bb.223:
	s_clause 0x3
	buffer_load_dword v64, v61, s[0:3], 0 offen offset:8
	buffer_load_dword v65, v61, s[0:3], 0 offen offset:12
	buffer_load_dword v68, v61, s[0:3], 0 offen
	buffer_load_dword v69, v61, s[0:3], 0 offen offset:4
	s_waitcnt vmcnt(2) lgkmcnt(0)
	v_mul_f64 v[70:71], v[3:4], v[64:65]
	v_mul_f64 v[64:65], v[1:2], v[64:65]
	s_waitcnt vmcnt(0)
	v_fma_f64 v[1:2], v[1:2], v[68:69], -v[70:71]
	v_fma_f64 v[3:4], v[3:4], v[68:69], v[64:65]
.LBB91_224:
	v_mov_b32_e32 v64, 0
	ds_read_b128 v[68:71], v64 offset:16
	s_waitcnt lgkmcnt(0)
	v_mul_f64 v[64:65], v[3:4], v[70:71]
	v_mul_f64 v[70:71], v[1:2], v[70:71]
	v_fma_f64 v[1:2], v[1:2], v[68:69], -v[64:65]
	v_fma_f64 v[3:4], v[3:4], v[68:69], v[70:71]
	buffer_store_dword v2, off, s[0:3], 0 offset:20
	buffer_store_dword v1, off, s[0:3], 0 offset:16
	;; [unrolled: 1-line block ×4, first 2 shown]
.LBB91_225:
	s_or_b32 exec_lo, exec_lo, s6
	v_mov_b32_e32 v4, s34
	s_mov_b32 s6, exec_lo
	s_clause 0x3
	buffer_load_dword v1, v4, s[0:3], 0 offen
	buffer_load_dword v2, v4, s[0:3], 0 offen offset:4
	buffer_load_dword v3, v4, s[0:3], 0 offen offset:8
	;; [unrolled: 1-line block ×3, first 2 shown]
	s_waitcnt vmcnt(0)
	ds_write_b128 v62, v[1:4]
	s_waitcnt lgkmcnt(0)
	s_waitcnt_vscnt null, 0x0
	s_barrier
	buffer_gl0_inv
	v_cmpx_gt_u32_e32 2, v0
	s_cbranch_execz .LBB91_231
; %bb.226:
	ds_read_b128 v[1:4], v62
	v_cmp_ne_u32_e32 vcc_lo, 1, v63
	s_cbranch_vccnz .LBB91_228
; %bb.227:
	s_clause 0x3
	buffer_load_dword v64, v61, s[0:3], 0 offen offset:8
	buffer_load_dword v65, v61, s[0:3], 0 offen offset:12
	buffer_load_dword v68, v61, s[0:3], 0 offen
	buffer_load_dword v69, v61, s[0:3], 0 offen offset:4
	s_waitcnt vmcnt(2) lgkmcnt(0)
	v_mul_f64 v[70:71], v[3:4], v[64:65]
	v_mul_f64 v[64:65], v[1:2], v[64:65]
	s_waitcnt vmcnt(0)
	v_fma_f64 v[1:2], v[1:2], v[68:69], -v[70:71]
	v_fma_f64 v[3:4], v[3:4], v[68:69], v[64:65]
.LBB91_228:
	s_and_saveexec_b32 s8, s4
	s_cbranch_execz .LBB91_230
; %bb.229:
	s_clause 0x3
	buffer_load_dword v64, off, s[0:3], 0 offset:24
	buffer_load_dword v65, off, s[0:3], 0 offset:28
	;; [unrolled: 1-line block ×4, first 2 shown]
	v_mov_b32_e32 v66, 0
	ds_read_b128 v[68:71], v66 offset:464
	s_waitcnt vmcnt(2) lgkmcnt(0)
	v_mul_f64 v[74:75], v[70:71], v[64:65]
	v_mul_f64 v[64:65], v[68:69], v[64:65]
	s_waitcnt vmcnt(0)
	v_fma_f64 v[68:69], v[68:69], v[72:73], -v[74:75]
	v_fma_f64 v[64:65], v[70:71], v[72:73], v[64:65]
	v_add_f64 v[1:2], v[1:2], v[68:69]
	v_add_f64 v[3:4], v[3:4], v[64:65]
.LBB91_230:
	s_or_b32 exec_lo, exec_lo, s8
	v_mov_b32_e32 v64, 0
	ds_read_b128 v[68:71], v64 offset:32
	s_waitcnt lgkmcnt(0)
	v_mul_f64 v[64:65], v[3:4], v[70:71]
	v_mul_f64 v[70:71], v[1:2], v[70:71]
	v_fma_f64 v[1:2], v[1:2], v[68:69], -v[64:65]
	v_fma_f64 v[3:4], v[3:4], v[68:69], v[70:71]
	buffer_store_dword v2, off, s[0:3], 0 offset:36
	buffer_store_dword v1, off, s[0:3], 0 offset:32
	buffer_store_dword v4, off, s[0:3], 0 offset:44
	buffer_store_dword v3, off, s[0:3], 0 offset:40
.LBB91_231:
	s_or_b32 exec_lo, exec_lo, s6
	v_mov_b32_e32 v4, s33
	s_mov_b32 s6, exec_lo
	s_clause 0x3
	buffer_load_dword v1, v4, s[0:3], 0 offen
	buffer_load_dword v2, v4, s[0:3], 0 offen offset:4
	buffer_load_dword v3, v4, s[0:3], 0 offen offset:8
	;; [unrolled: 1-line block ×3, first 2 shown]
	s_waitcnt vmcnt(0)
	ds_write_b128 v62, v[1:4]
	s_waitcnt lgkmcnt(0)
	s_waitcnt_vscnt null, 0x0
	s_barrier
	buffer_gl0_inv
	v_cmpx_gt_u32_e32 3, v0
	s_cbranch_execz .LBB91_239
; %bb.232:
	ds_read_b128 v[1:4], v62
	v_cmp_ne_u32_e32 vcc_lo, 1, v63
	s_cbranch_vccnz .LBB91_234
; %bb.233:
	s_clause 0x3
	buffer_load_dword v64, v61, s[0:3], 0 offen offset:8
	buffer_load_dword v65, v61, s[0:3], 0 offen offset:12
	buffer_load_dword v68, v61, s[0:3], 0 offen
	buffer_load_dword v69, v61, s[0:3], 0 offen offset:4
	s_waitcnt vmcnt(2) lgkmcnt(0)
	v_mul_f64 v[70:71], v[3:4], v[64:65]
	v_mul_f64 v[64:65], v[1:2], v[64:65]
	s_waitcnt vmcnt(0)
	v_fma_f64 v[1:2], v[1:2], v[68:69], -v[70:71]
	v_fma_f64 v[3:4], v[3:4], v[68:69], v[64:65]
.LBB91_234:
	s_mov_b32 s8, exec_lo
	v_cmpx_ne_u32_e32 2, v0
	s_cbranch_execz .LBB91_238
; %bb.235:
	s_clause 0x3
	buffer_load_dword v64, v61, s[0:3], 0 offen offset:24
	buffer_load_dword v65, v61, s[0:3], 0 offen offset:28
	;; [unrolled: 1-line block ×4, first 2 shown]
	ds_read_b128 v[68:71], v62 offset:16
	s_waitcnt vmcnt(2) lgkmcnt(0)
	v_mul_f64 v[74:75], v[70:71], v[64:65]
	v_mul_f64 v[64:65], v[68:69], v[64:65]
	s_waitcnt vmcnt(0)
	v_fma_f64 v[68:69], v[68:69], v[72:73], -v[74:75]
	v_fma_f64 v[64:65], v[70:71], v[72:73], v[64:65]
	v_add_f64 v[1:2], v[1:2], v[68:69]
	v_add_f64 v[3:4], v[3:4], v[64:65]
	s_and_saveexec_b32 s36, s4
	s_cbranch_execz .LBB91_237
; %bb.236:
	s_clause 0x3
	buffer_load_dword v64, off, s[0:3], 0 offset:40
	buffer_load_dword v65, off, s[0:3], 0 offset:44
	;; [unrolled: 1-line block ×4, first 2 shown]
	v_mov_b32_e32 v66, 0
	ds_read_b128 v[68:71], v66 offset:480
	s_waitcnt vmcnt(2) lgkmcnt(0)
	v_mul_f64 v[74:75], v[68:69], v[64:65]
	v_mul_f64 v[64:65], v[70:71], v[64:65]
	s_waitcnt vmcnt(0)
	v_fma_f64 v[70:71], v[70:71], v[72:73], v[74:75]
	v_fma_f64 v[64:65], v[68:69], v[72:73], -v[64:65]
	v_add_f64 v[3:4], v[3:4], v[70:71]
	v_add_f64 v[1:2], v[1:2], v[64:65]
.LBB91_237:
	s_or_b32 exec_lo, exec_lo, s36
.LBB91_238:
	s_or_b32 exec_lo, exec_lo, s8
	v_mov_b32_e32 v64, 0
	ds_read_b128 v[68:71], v64 offset:48
	s_waitcnt lgkmcnt(0)
	v_mul_f64 v[64:65], v[3:4], v[70:71]
	v_mul_f64 v[70:71], v[1:2], v[70:71]
	v_fma_f64 v[1:2], v[1:2], v[68:69], -v[64:65]
	v_fma_f64 v[3:4], v[3:4], v[68:69], v[70:71]
	buffer_store_dword v2, off, s[0:3], 0 offset:52
	buffer_store_dword v1, off, s[0:3], 0 offset:48
	buffer_store_dword v4, off, s[0:3], 0 offset:60
	buffer_store_dword v3, off, s[0:3], 0 offset:56
.LBB91_239:
	s_or_b32 exec_lo, exec_lo, s6
	v_mov_b32_e32 v4, s31
	s_mov_b32 s4, exec_lo
	s_clause 0x3
	buffer_load_dword v1, v4, s[0:3], 0 offen
	buffer_load_dword v2, v4, s[0:3], 0 offen offset:4
	buffer_load_dword v3, v4, s[0:3], 0 offen offset:8
	buffer_load_dword v4, v4, s[0:3], 0 offen offset:12
	s_waitcnt vmcnt(0)
	ds_write_b128 v62, v[1:4]
	s_waitcnt lgkmcnt(0)
	s_waitcnt_vscnt null, 0x0
	s_barrier
	buffer_gl0_inv
	v_cmpx_gt_u32_e32 4, v0
	s_cbranch_execz .LBB91_247
; %bb.240:
	ds_read_b128 v[1:4], v62
	v_cmp_ne_u32_e32 vcc_lo, 1, v63
	s_cbranch_vccnz .LBB91_242
; %bb.241:
	s_clause 0x3
	buffer_load_dword v64, v61, s[0:3], 0 offen offset:8
	buffer_load_dword v65, v61, s[0:3], 0 offen offset:12
	buffer_load_dword v68, v61, s[0:3], 0 offen
	buffer_load_dword v69, v61, s[0:3], 0 offen offset:4
	s_waitcnt vmcnt(2) lgkmcnt(0)
	v_mul_f64 v[70:71], v[3:4], v[64:65]
	v_mul_f64 v[64:65], v[1:2], v[64:65]
	s_waitcnt vmcnt(0)
	v_fma_f64 v[1:2], v[1:2], v[68:69], -v[70:71]
	v_fma_f64 v[3:4], v[3:4], v[68:69], v[64:65]
.LBB91_242:
	s_mov_b32 s6, exec_lo
	v_cmpx_ne_u32_e32 3, v0
	s_cbranch_execz .LBB91_246
; %bb.243:
	v_add_nc_u32_e32 v64, 0x1d0, v67
	v_add3_u32 v65, 0, v67, 16
	v_mov_b32_e32 v66, v0
	s_mov_b32 s8, 0
	.p2align	6
.LBB91_244:                             ; =>This Inner Loop Header: Depth=1
	s_clause 0x3
	buffer_load_dword v72, v65, s[0:3], 0 offen offset:8
	buffer_load_dword v73, v65, s[0:3], 0 offen offset:12
	buffer_load_dword v74, v65, s[0:3], 0 offen
	buffer_load_dword v75, v65, s[0:3], 0 offen offset:4
	ds_read_b128 v[68:71], v64
	v_add_nc_u32_e32 v66, 1, v66
	v_add_nc_u32_e32 v64, 16, v64
	;; [unrolled: 1-line block ×3, first 2 shown]
	v_cmp_lt_u32_e32 vcc_lo, 2, v66
	s_or_b32 s8, vcc_lo, s8
	s_waitcnt vmcnt(2) lgkmcnt(0)
	v_mul_f64 v[76:77], v[70:71], v[72:73]
	v_mul_f64 v[72:73], v[68:69], v[72:73]
	s_waitcnt vmcnt(0)
	v_fma_f64 v[68:69], v[68:69], v[74:75], -v[76:77]
	v_fma_f64 v[70:71], v[70:71], v[74:75], v[72:73]
	v_add_f64 v[1:2], v[1:2], v[68:69]
	v_add_f64 v[3:4], v[3:4], v[70:71]
	s_andn2_b32 exec_lo, exec_lo, s8
	s_cbranch_execnz .LBB91_244
; %bb.245:
	s_or_b32 exec_lo, exec_lo, s8
.LBB91_246:
	s_or_b32 exec_lo, exec_lo, s6
	v_mov_b32_e32 v64, 0
	ds_read_b128 v[68:71], v64 offset:64
	s_waitcnt lgkmcnt(0)
	v_mul_f64 v[64:65], v[3:4], v[70:71]
	v_mul_f64 v[70:71], v[1:2], v[70:71]
	v_fma_f64 v[1:2], v[1:2], v[68:69], -v[64:65]
	v_fma_f64 v[3:4], v[3:4], v[68:69], v[70:71]
	buffer_store_dword v2, off, s[0:3], 0 offset:68
	buffer_store_dword v1, off, s[0:3], 0 offset:64
	;; [unrolled: 1-line block ×4, first 2 shown]
.LBB91_247:
	s_or_b32 exec_lo, exec_lo, s4
	v_mov_b32_e32 v4, s30
	s_mov_b32 s4, exec_lo
	s_clause 0x3
	buffer_load_dword v1, v4, s[0:3], 0 offen
	buffer_load_dword v2, v4, s[0:3], 0 offen offset:4
	buffer_load_dword v3, v4, s[0:3], 0 offen offset:8
	;; [unrolled: 1-line block ×3, first 2 shown]
	s_waitcnt vmcnt(0)
	ds_write_b128 v62, v[1:4]
	s_waitcnt lgkmcnt(0)
	s_waitcnt_vscnt null, 0x0
	s_barrier
	buffer_gl0_inv
	v_cmpx_gt_u32_e32 5, v0
	s_cbranch_execz .LBB91_255
; %bb.248:
	ds_read_b128 v[1:4], v62
	v_cmp_ne_u32_e32 vcc_lo, 1, v63
	s_cbranch_vccnz .LBB91_250
; %bb.249:
	s_clause 0x3
	buffer_load_dword v64, v61, s[0:3], 0 offen offset:8
	buffer_load_dword v65, v61, s[0:3], 0 offen offset:12
	buffer_load_dword v68, v61, s[0:3], 0 offen
	buffer_load_dword v69, v61, s[0:3], 0 offen offset:4
	s_waitcnt vmcnt(2) lgkmcnt(0)
	v_mul_f64 v[70:71], v[3:4], v[64:65]
	v_mul_f64 v[64:65], v[1:2], v[64:65]
	s_waitcnt vmcnt(0)
	v_fma_f64 v[1:2], v[1:2], v[68:69], -v[70:71]
	v_fma_f64 v[3:4], v[3:4], v[68:69], v[64:65]
.LBB91_250:
	s_mov_b32 s6, exec_lo
	v_cmpx_ne_u32_e32 4, v0
	s_cbranch_execz .LBB91_254
; %bb.251:
	v_add_nc_u32_e32 v64, 0x1d0, v67
	v_add3_u32 v65, 0, v67, 16
	v_mov_b32_e32 v66, v0
	s_mov_b32 s8, 0
	.p2align	6
.LBB91_252:                             ; =>This Inner Loop Header: Depth=1
	s_clause 0x3
	buffer_load_dword v72, v65, s[0:3], 0 offen offset:8
	buffer_load_dword v73, v65, s[0:3], 0 offen offset:12
	buffer_load_dword v74, v65, s[0:3], 0 offen
	buffer_load_dword v75, v65, s[0:3], 0 offen offset:4
	ds_read_b128 v[68:71], v64
	v_add_nc_u32_e32 v66, 1, v66
	v_add_nc_u32_e32 v64, 16, v64
	;; [unrolled: 1-line block ×3, first 2 shown]
	v_cmp_lt_u32_e32 vcc_lo, 3, v66
	s_or_b32 s8, vcc_lo, s8
	s_waitcnt vmcnt(2) lgkmcnt(0)
	v_mul_f64 v[76:77], v[70:71], v[72:73]
	v_mul_f64 v[72:73], v[68:69], v[72:73]
	s_waitcnt vmcnt(0)
	v_fma_f64 v[68:69], v[68:69], v[74:75], -v[76:77]
	v_fma_f64 v[70:71], v[70:71], v[74:75], v[72:73]
	v_add_f64 v[1:2], v[1:2], v[68:69]
	v_add_f64 v[3:4], v[3:4], v[70:71]
	s_andn2_b32 exec_lo, exec_lo, s8
	s_cbranch_execnz .LBB91_252
; %bb.253:
	s_or_b32 exec_lo, exec_lo, s8
.LBB91_254:
	s_or_b32 exec_lo, exec_lo, s6
	v_mov_b32_e32 v64, 0
	ds_read_b128 v[68:71], v64 offset:80
	s_waitcnt lgkmcnt(0)
	v_mul_f64 v[64:65], v[3:4], v[70:71]
	v_mul_f64 v[70:71], v[1:2], v[70:71]
	v_fma_f64 v[1:2], v[1:2], v[68:69], -v[64:65]
	v_fma_f64 v[3:4], v[3:4], v[68:69], v[70:71]
	buffer_store_dword v2, off, s[0:3], 0 offset:84
	buffer_store_dword v1, off, s[0:3], 0 offset:80
	;; [unrolled: 1-line block ×4, first 2 shown]
.LBB91_255:
	s_or_b32 exec_lo, exec_lo, s4
	v_mov_b32_e32 v4, s29
	s_mov_b32 s4, exec_lo
	s_clause 0x3
	buffer_load_dword v1, v4, s[0:3], 0 offen
	buffer_load_dword v2, v4, s[0:3], 0 offen offset:4
	buffer_load_dword v3, v4, s[0:3], 0 offen offset:8
	;; [unrolled: 1-line block ×3, first 2 shown]
	s_waitcnt vmcnt(0)
	ds_write_b128 v62, v[1:4]
	s_waitcnt lgkmcnt(0)
	s_waitcnt_vscnt null, 0x0
	s_barrier
	buffer_gl0_inv
	v_cmpx_gt_u32_e32 6, v0
	s_cbranch_execz .LBB91_263
; %bb.256:
	ds_read_b128 v[1:4], v62
	v_cmp_ne_u32_e32 vcc_lo, 1, v63
	s_cbranch_vccnz .LBB91_258
; %bb.257:
	s_clause 0x3
	buffer_load_dword v64, v61, s[0:3], 0 offen offset:8
	buffer_load_dword v65, v61, s[0:3], 0 offen offset:12
	buffer_load_dword v68, v61, s[0:3], 0 offen
	buffer_load_dword v69, v61, s[0:3], 0 offen offset:4
	s_waitcnt vmcnt(2) lgkmcnt(0)
	v_mul_f64 v[70:71], v[3:4], v[64:65]
	v_mul_f64 v[64:65], v[1:2], v[64:65]
	s_waitcnt vmcnt(0)
	v_fma_f64 v[1:2], v[1:2], v[68:69], -v[70:71]
	v_fma_f64 v[3:4], v[3:4], v[68:69], v[64:65]
.LBB91_258:
	s_mov_b32 s6, exec_lo
	v_cmpx_ne_u32_e32 5, v0
	s_cbranch_execz .LBB91_262
; %bb.259:
	v_add_nc_u32_e32 v64, 0x1d0, v67
	v_add3_u32 v65, 0, v67, 16
	v_mov_b32_e32 v66, v0
	s_mov_b32 s8, 0
	.p2align	6
.LBB91_260:                             ; =>This Inner Loop Header: Depth=1
	s_clause 0x3
	buffer_load_dword v72, v65, s[0:3], 0 offen offset:8
	buffer_load_dword v73, v65, s[0:3], 0 offen offset:12
	buffer_load_dword v74, v65, s[0:3], 0 offen
	buffer_load_dword v75, v65, s[0:3], 0 offen offset:4
	ds_read_b128 v[68:71], v64
	v_add_nc_u32_e32 v66, 1, v66
	v_add_nc_u32_e32 v64, 16, v64
	;; [unrolled: 1-line block ×3, first 2 shown]
	v_cmp_lt_u32_e32 vcc_lo, 4, v66
	s_or_b32 s8, vcc_lo, s8
	s_waitcnt vmcnt(2) lgkmcnt(0)
	v_mul_f64 v[76:77], v[70:71], v[72:73]
	v_mul_f64 v[72:73], v[68:69], v[72:73]
	s_waitcnt vmcnt(0)
	v_fma_f64 v[68:69], v[68:69], v[74:75], -v[76:77]
	v_fma_f64 v[70:71], v[70:71], v[74:75], v[72:73]
	v_add_f64 v[1:2], v[1:2], v[68:69]
	v_add_f64 v[3:4], v[3:4], v[70:71]
	s_andn2_b32 exec_lo, exec_lo, s8
	s_cbranch_execnz .LBB91_260
; %bb.261:
	s_or_b32 exec_lo, exec_lo, s8
.LBB91_262:
	s_or_b32 exec_lo, exec_lo, s6
	v_mov_b32_e32 v64, 0
	ds_read_b128 v[68:71], v64 offset:96
	s_waitcnt lgkmcnt(0)
	v_mul_f64 v[64:65], v[3:4], v[70:71]
	v_mul_f64 v[70:71], v[1:2], v[70:71]
	v_fma_f64 v[1:2], v[1:2], v[68:69], -v[64:65]
	v_fma_f64 v[3:4], v[3:4], v[68:69], v[70:71]
	buffer_store_dword v2, off, s[0:3], 0 offset:100
	buffer_store_dword v1, off, s[0:3], 0 offset:96
	;; [unrolled: 1-line block ×4, first 2 shown]
.LBB91_263:
	s_or_b32 exec_lo, exec_lo, s4
	v_mov_b32_e32 v4, s28
	s_mov_b32 s4, exec_lo
	s_clause 0x3
	buffer_load_dword v1, v4, s[0:3], 0 offen
	buffer_load_dword v2, v4, s[0:3], 0 offen offset:4
	buffer_load_dword v3, v4, s[0:3], 0 offen offset:8
	;; [unrolled: 1-line block ×3, first 2 shown]
	s_waitcnt vmcnt(0)
	ds_write_b128 v62, v[1:4]
	s_waitcnt lgkmcnt(0)
	s_waitcnt_vscnt null, 0x0
	s_barrier
	buffer_gl0_inv
	v_cmpx_gt_u32_e32 7, v0
	s_cbranch_execz .LBB91_271
; %bb.264:
	ds_read_b128 v[1:4], v62
	v_cmp_ne_u32_e32 vcc_lo, 1, v63
	s_cbranch_vccnz .LBB91_266
; %bb.265:
	s_clause 0x3
	buffer_load_dword v64, v61, s[0:3], 0 offen offset:8
	buffer_load_dword v65, v61, s[0:3], 0 offen offset:12
	buffer_load_dword v68, v61, s[0:3], 0 offen
	buffer_load_dword v69, v61, s[0:3], 0 offen offset:4
	s_waitcnt vmcnt(2) lgkmcnt(0)
	v_mul_f64 v[70:71], v[3:4], v[64:65]
	v_mul_f64 v[64:65], v[1:2], v[64:65]
	s_waitcnt vmcnt(0)
	v_fma_f64 v[1:2], v[1:2], v[68:69], -v[70:71]
	v_fma_f64 v[3:4], v[3:4], v[68:69], v[64:65]
.LBB91_266:
	s_mov_b32 s6, exec_lo
	v_cmpx_ne_u32_e32 6, v0
	s_cbranch_execz .LBB91_270
; %bb.267:
	v_add_nc_u32_e32 v64, 0x1d0, v67
	v_add3_u32 v65, 0, v67, 16
	v_mov_b32_e32 v66, v0
	s_mov_b32 s8, 0
	.p2align	6
.LBB91_268:                             ; =>This Inner Loop Header: Depth=1
	s_clause 0x3
	buffer_load_dword v72, v65, s[0:3], 0 offen offset:8
	buffer_load_dword v73, v65, s[0:3], 0 offen offset:12
	buffer_load_dword v74, v65, s[0:3], 0 offen
	buffer_load_dword v75, v65, s[0:3], 0 offen offset:4
	ds_read_b128 v[68:71], v64
	v_add_nc_u32_e32 v66, 1, v66
	v_add_nc_u32_e32 v64, 16, v64
	v_add_nc_u32_e32 v65, 16, v65
	v_cmp_lt_u32_e32 vcc_lo, 5, v66
	s_or_b32 s8, vcc_lo, s8
	s_waitcnt vmcnt(2) lgkmcnt(0)
	v_mul_f64 v[76:77], v[70:71], v[72:73]
	v_mul_f64 v[72:73], v[68:69], v[72:73]
	s_waitcnt vmcnt(0)
	v_fma_f64 v[68:69], v[68:69], v[74:75], -v[76:77]
	v_fma_f64 v[70:71], v[70:71], v[74:75], v[72:73]
	v_add_f64 v[1:2], v[1:2], v[68:69]
	v_add_f64 v[3:4], v[3:4], v[70:71]
	s_andn2_b32 exec_lo, exec_lo, s8
	s_cbranch_execnz .LBB91_268
; %bb.269:
	s_or_b32 exec_lo, exec_lo, s8
.LBB91_270:
	s_or_b32 exec_lo, exec_lo, s6
	v_mov_b32_e32 v64, 0
	ds_read_b128 v[68:71], v64 offset:112
	s_waitcnt lgkmcnt(0)
	v_mul_f64 v[64:65], v[3:4], v[70:71]
	v_mul_f64 v[70:71], v[1:2], v[70:71]
	v_fma_f64 v[1:2], v[1:2], v[68:69], -v[64:65]
	v_fma_f64 v[3:4], v[3:4], v[68:69], v[70:71]
	buffer_store_dword v2, off, s[0:3], 0 offset:116
	buffer_store_dword v1, off, s[0:3], 0 offset:112
	;; [unrolled: 1-line block ×4, first 2 shown]
.LBB91_271:
	s_or_b32 exec_lo, exec_lo, s4
	v_mov_b32_e32 v4, s27
	s_mov_b32 s4, exec_lo
	s_clause 0x3
	buffer_load_dword v1, v4, s[0:3], 0 offen
	buffer_load_dword v2, v4, s[0:3], 0 offen offset:4
	buffer_load_dword v3, v4, s[0:3], 0 offen offset:8
	;; [unrolled: 1-line block ×3, first 2 shown]
	s_waitcnt vmcnt(0)
	ds_write_b128 v62, v[1:4]
	s_waitcnt lgkmcnt(0)
	s_waitcnt_vscnt null, 0x0
	s_barrier
	buffer_gl0_inv
	v_cmpx_gt_u32_e32 8, v0
	s_cbranch_execz .LBB91_279
; %bb.272:
	ds_read_b128 v[1:4], v62
	v_cmp_ne_u32_e32 vcc_lo, 1, v63
	s_cbranch_vccnz .LBB91_274
; %bb.273:
	s_clause 0x3
	buffer_load_dword v64, v61, s[0:3], 0 offen offset:8
	buffer_load_dword v65, v61, s[0:3], 0 offen offset:12
	buffer_load_dword v68, v61, s[0:3], 0 offen
	buffer_load_dword v69, v61, s[0:3], 0 offen offset:4
	s_waitcnt vmcnt(2) lgkmcnt(0)
	v_mul_f64 v[70:71], v[3:4], v[64:65]
	v_mul_f64 v[64:65], v[1:2], v[64:65]
	s_waitcnt vmcnt(0)
	v_fma_f64 v[1:2], v[1:2], v[68:69], -v[70:71]
	v_fma_f64 v[3:4], v[3:4], v[68:69], v[64:65]
.LBB91_274:
	s_mov_b32 s6, exec_lo
	v_cmpx_ne_u32_e32 7, v0
	s_cbranch_execz .LBB91_278
; %bb.275:
	v_add_nc_u32_e32 v64, 0x1d0, v67
	v_add3_u32 v65, 0, v67, 16
	v_mov_b32_e32 v66, v0
	s_mov_b32 s8, 0
	.p2align	6
.LBB91_276:                             ; =>This Inner Loop Header: Depth=1
	s_clause 0x3
	buffer_load_dword v72, v65, s[0:3], 0 offen offset:8
	buffer_load_dword v73, v65, s[0:3], 0 offen offset:12
	buffer_load_dword v74, v65, s[0:3], 0 offen
	buffer_load_dword v75, v65, s[0:3], 0 offen offset:4
	ds_read_b128 v[68:71], v64
	v_add_nc_u32_e32 v66, 1, v66
	v_add_nc_u32_e32 v64, 16, v64
	;; [unrolled: 1-line block ×3, first 2 shown]
	v_cmp_lt_u32_e32 vcc_lo, 6, v66
	s_or_b32 s8, vcc_lo, s8
	s_waitcnt vmcnt(2) lgkmcnt(0)
	v_mul_f64 v[76:77], v[70:71], v[72:73]
	v_mul_f64 v[72:73], v[68:69], v[72:73]
	s_waitcnt vmcnt(0)
	v_fma_f64 v[68:69], v[68:69], v[74:75], -v[76:77]
	v_fma_f64 v[70:71], v[70:71], v[74:75], v[72:73]
	v_add_f64 v[1:2], v[1:2], v[68:69]
	v_add_f64 v[3:4], v[3:4], v[70:71]
	s_andn2_b32 exec_lo, exec_lo, s8
	s_cbranch_execnz .LBB91_276
; %bb.277:
	s_or_b32 exec_lo, exec_lo, s8
.LBB91_278:
	s_or_b32 exec_lo, exec_lo, s6
	v_mov_b32_e32 v64, 0
	ds_read_b128 v[68:71], v64 offset:128
	s_waitcnt lgkmcnt(0)
	v_mul_f64 v[64:65], v[3:4], v[70:71]
	v_mul_f64 v[70:71], v[1:2], v[70:71]
	v_fma_f64 v[1:2], v[1:2], v[68:69], -v[64:65]
	v_fma_f64 v[3:4], v[3:4], v[68:69], v[70:71]
	buffer_store_dword v2, off, s[0:3], 0 offset:132
	buffer_store_dword v1, off, s[0:3], 0 offset:128
	;; [unrolled: 1-line block ×4, first 2 shown]
.LBB91_279:
	s_or_b32 exec_lo, exec_lo, s4
	v_mov_b32_e32 v4, s26
	s_mov_b32 s4, exec_lo
	s_clause 0x3
	buffer_load_dword v1, v4, s[0:3], 0 offen
	buffer_load_dword v2, v4, s[0:3], 0 offen offset:4
	buffer_load_dword v3, v4, s[0:3], 0 offen offset:8
	;; [unrolled: 1-line block ×3, first 2 shown]
	s_waitcnt vmcnt(0)
	ds_write_b128 v62, v[1:4]
	s_waitcnt lgkmcnt(0)
	s_waitcnt_vscnt null, 0x0
	s_barrier
	buffer_gl0_inv
	v_cmpx_gt_u32_e32 9, v0
	s_cbranch_execz .LBB91_287
; %bb.280:
	ds_read_b128 v[1:4], v62
	v_cmp_ne_u32_e32 vcc_lo, 1, v63
	s_cbranch_vccnz .LBB91_282
; %bb.281:
	s_clause 0x3
	buffer_load_dword v64, v61, s[0:3], 0 offen offset:8
	buffer_load_dword v65, v61, s[0:3], 0 offen offset:12
	buffer_load_dword v68, v61, s[0:3], 0 offen
	buffer_load_dword v69, v61, s[0:3], 0 offen offset:4
	s_waitcnt vmcnt(2) lgkmcnt(0)
	v_mul_f64 v[70:71], v[3:4], v[64:65]
	v_mul_f64 v[64:65], v[1:2], v[64:65]
	s_waitcnt vmcnt(0)
	v_fma_f64 v[1:2], v[1:2], v[68:69], -v[70:71]
	v_fma_f64 v[3:4], v[3:4], v[68:69], v[64:65]
.LBB91_282:
	s_mov_b32 s6, exec_lo
	v_cmpx_ne_u32_e32 8, v0
	s_cbranch_execz .LBB91_286
; %bb.283:
	v_add_nc_u32_e32 v64, 0x1d0, v67
	v_add3_u32 v65, 0, v67, 16
	v_mov_b32_e32 v66, v0
	s_mov_b32 s8, 0
	.p2align	6
.LBB91_284:                             ; =>This Inner Loop Header: Depth=1
	s_clause 0x3
	buffer_load_dword v72, v65, s[0:3], 0 offen offset:8
	buffer_load_dword v73, v65, s[0:3], 0 offen offset:12
	buffer_load_dword v74, v65, s[0:3], 0 offen
	buffer_load_dword v75, v65, s[0:3], 0 offen offset:4
	ds_read_b128 v[68:71], v64
	v_add_nc_u32_e32 v66, 1, v66
	v_add_nc_u32_e32 v64, 16, v64
	v_add_nc_u32_e32 v65, 16, v65
	v_cmp_lt_u32_e32 vcc_lo, 7, v66
	s_or_b32 s8, vcc_lo, s8
	s_waitcnt vmcnt(2) lgkmcnt(0)
	v_mul_f64 v[76:77], v[70:71], v[72:73]
	v_mul_f64 v[72:73], v[68:69], v[72:73]
	s_waitcnt vmcnt(0)
	v_fma_f64 v[68:69], v[68:69], v[74:75], -v[76:77]
	v_fma_f64 v[70:71], v[70:71], v[74:75], v[72:73]
	v_add_f64 v[1:2], v[1:2], v[68:69]
	v_add_f64 v[3:4], v[3:4], v[70:71]
	s_andn2_b32 exec_lo, exec_lo, s8
	s_cbranch_execnz .LBB91_284
; %bb.285:
	s_or_b32 exec_lo, exec_lo, s8
.LBB91_286:
	s_or_b32 exec_lo, exec_lo, s6
	v_mov_b32_e32 v64, 0
	ds_read_b128 v[68:71], v64 offset:144
	s_waitcnt lgkmcnt(0)
	v_mul_f64 v[64:65], v[3:4], v[70:71]
	v_mul_f64 v[70:71], v[1:2], v[70:71]
	v_fma_f64 v[1:2], v[1:2], v[68:69], -v[64:65]
	v_fma_f64 v[3:4], v[3:4], v[68:69], v[70:71]
	buffer_store_dword v2, off, s[0:3], 0 offset:148
	buffer_store_dword v1, off, s[0:3], 0 offset:144
	;; [unrolled: 1-line block ×4, first 2 shown]
.LBB91_287:
	s_or_b32 exec_lo, exec_lo, s4
	v_mov_b32_e32 v4, s25
	s_mov_b32 s4, exec_lo
	s_clause 0x3
	buffer_load_dword v1, v4, s[0:3], 0 offen
	buffer_load_dword v2, v4, s[0:3], 0 offen offset:4
	buffer_load_dword v3, v4, s[0:3], 0 offen offset:8
	;; [unrolled: 1-line block ×3, first 2 shown]
	s_waitcnt vmcnt(0)
	ds_write_b128 v62, v[1:4]
	s_waitcnt lgkmcnt(0)
	s_waitcnt_vscnt null, 0x0
	s_barrier
	buffer_gl0_inv
	v_cmpx_gt_u32_e32 10, v0
	s_cbranch_execz .LBB91_295
; %bb.288:
	ds_read_b128 v[1:4], v62
	v_cmp_ne_u32_e32 vcc_lo, 1, v63
	s_cbranch_vccnz .LBB91_290
; %bb.289:
	s_clause 0x3
	buffer_load_dword v64, v61, s[0:3], 0 offen offset:8
	buffer_load_dword v65, v61, s[0:3], 0 offen offset:12
	buffer_load_dword v68, v61, s[0:3], 0 offen
	buffer_load_dword v69, v61, s[0:3], 0 offen offset:4
	s_waitcnt vmcnt(2) lgkmcnt(0)
	v_mul_f64 v[70:71], v[3:4], v[64:65]
	v_mul_f64 v[64:65], v[1:2], v[64:65]
	s_waitcnt vmcnt(0)
	v_fma_f64 v[1:2], v[1:2], v[68:69], -v[70:71]
	v_fma_f64 v[3:4], v[3:4], v[68:69], v[64:65]
.LBB91_290:
	s_mov_b32 s6, exec_lo
	v_cmpx_ne_u32_e32 9, v0
	s_cbranch_execz .LBB91_294
; %bb.291:
	v_add_nc_u32_e32 v64, 0x1d0, v67
	v_add3_u32 v65, 0, v67, 16
	v_mov_b32_e32 v66, v0
	s_mov_b32 s8, 0
	.p2align	6
.LBB91_292:                             ; =>This Inner Loop Header: Depth=1
	s_clause 0x3
	buffer_load_dword v72, v65, s[0:3], 0 offen offset:8
	buffer_load_dword v73, v65, s[0:3], 0 offen offset:12
	buffer_load_dword v74, v65, s[0:3], 0 offen
	buffer_load_dword v75, v65, s[0:3], 0 offen offset:4
	ds_read_b128 v[68:71], v64
	v_add_nc_u32_e32 v66, 1, v66
	v_add_nc_u32_e32 v64, 16, v64
	;; [unrolled: 1-line block ×3, first 2 shown]
	v_cmp_lt_u32_e32 vcc_lo, 8, v66
	s_or_b32 s8, vcc_lo, s8
	s_waitcnt vmcnt(2) lgkmcnt(0)
	v_mul_f64 v[76:77], v[70:71], v[72:73]
	v_mul_f64 v[72:73], v[68:69], v[72:73]
	s_waitcnt vmcnt(0)
	v_fma_f64 v[68:69], v[68:69], v[74:75], -v[76:77]
	v_fma_f64 v[70:71], v[70:71], v[74:75], v[72:73]
	v_add_f64 v[1:2], v[1:2], v[68:69]
	v_add_f64 v[3:4], v[3:4], v[70:71]
	s_andn2_b32 exec_lo, exec_lo, s8
	s_cbranch_execnz .LBB91_292
; %bb.293:
	s_or_b32 exec_lo, exec_lo, s8
.LBB91_294:
	s_or_b32 exec_lo, exec_lo, s6
	v_mov_b32_e32 v64, 0
	ds_read_b128 v[68:71], v64 offset:160
	s_waitcnt lgkmcnt(0)
	v_mul_f64 v[64:65], v[3:4], v[70:71]
	v_mul_f64 v[70:71], v[1:2], v[70:71]
	v_fma_f64 v[1:2], v[1:2], v[68:69], -v[64:65]
	v_fma_f64 v[3:4], v[3:4], v[68:69], v[70:71]
	buffer_store_dword v2, off, s[0:3], 0 offset:164
	buffer_store_dword v1, off, s[0:3], 0 offset:160
	;; [unrolled: 1-line block ×4, first 2 shown]
.LBB91_295:
	s_or_b32 exec_lo, exec_lo, s4
	v_mov_b32_e32 v4, s24
	s_mov_b32 s4, exec_lo
	s_clause 0x3
	buffer_load_dword v1, v4, s[0:3], 0 offen
	buffer_load_dword v2, v4, s[0:3], 0 offen offset:4
	buffer_load_dword v3, v4, s[0:3], 0 offen offset:8
	;; [unrolled: 1-line block ×3, first 2 shown]
	s_waitcnt vmcnt(0)
	ds_write_b128 v62, v[1:4]
	s_waitcnt lgkmcnt(0)
	s_waitcnt_vscnt null, 0x0
	s_barrier
	buffer_gl0_inv
	v_cmpx_gt_u32_e32 11, v0
	s_cbranch_execz .LBB91_303
; %bb.296:
	ds_read_b128 v[1:4], v62
	v_cmp_ne_u32_e32 vcc_lo, 1, v63
	s_cbranch_vccnz .LBB91_298
; %bb.297:
	s_clause 0x3
	buffer_load_dword v64, v61, s[0:3], 0 offen offset:8
	buffer_load_dword v65, v61, s[0:3], 0 offen offset:12
	buffer_load_dword v68, v61, s[0:3], 0 offen
	buffer_load_dword v69, v61, s[0:3], 0 offen offset:4
	s_waitcnt vmcnt(2) lgkmcnt(0)
	v_mul_f64 v[70:71], v[3:4], v[64:65]
	v_mul_f64 v[64:65], v[1:2], v[64:65]
	s_waitcnt vmcnt(0)
	v_fma_f64 v[1:2], v[1:2], v[68:69], -v[70:71]
	v_fma_f64 v[3:4], v[3:4], v[68:69], v[64:65]
.LBB91_298:
	s_mov_b32 s6, exec_lo
	v_cmpx_ne_u32_e32 10, v0
	s_cbranch_execz .LBB91_302
; %bb.299:
	v_add_nc_u32_e32 v64, 0x1d0, v67
	v_add3_u32 v65, 0, v67, 16
	v_mov_b32_e32 v66, v0
	s_mov_b32 s8, 0
	.p2align	6
.LBB91_300:                             ; =>This Inner Loop Header: Depth=1
	s_clause 0x3
	buffer_load_dword v72, v65, s[0:3], 0 offen offset:8
	buffer_load_dword v73, v65, s[0:3], 0 offen offset:12
	buffer_load_dword v74, v65, s[0:3], 0 offen
	buffer_load_dword v75, v65, s[0:3], 0 offen offset:4
	ds_read_b128 v[68:71], v64
	v_add_nc_u32_e32 v66, 1, v66
	v_add_nc_u32_e32 v64, 16, v64
	;; [unrolled: 1-line block ×3, first 2 shown]
	v_cmp_lt_u32_e32 vcc_lo, 9, v66
	s_or_b32 s8, vcc_lo, s8
	s_waitcnt vmcnt(2) lgkmcnt(0)
	v_mul_f64 v[76:77], v[70:71], v[72:73]
	v_mul_f64 v[72:73], v[68:69], v[72:73]
	s_waitcnt vmcnt(0)
	v_fma_f64 v[68:69], v[68:69], v[74:75], -v[76:77]
	v_fma_f64 v[70:71], v[70:71], v[74:75], v[72:73]
	v_add_f64 v[1:2], v[1:2], v[68:69]
	v_add_f64 v[3:4], v[3:4], v[70:71]
	s_andn2_b32 exec_lo, exec_lo, s8
	s_cbranch_execnz .LBB91_300
; %bb.301:
	s_or_b32 exec_lo, exec_lo, s8
.LBB91_302:
	s_or_b32 exec_lo, exec_lo, s6
	v_mov_b32_e32 v64, 0
	ds_read_b128 v[68:71], v64 offset:176
	s_waitcnt lgkmcnt(0)
	v_mul_f64 v[64:65], v[3:4], v[70:71]
	v_mul_f64 v[70:71], v[1:2], v[70:71]
	v_fma_f64 v[1:2], v[1:2], v[68:69], -v[64:65]
	v_fma_f64 v[3:4], v[3:4], v[68:69], v[70:71]
	buffer_store_dword v2, off, s[0:3], 0 offset:180
	buffer_store_dword v1, off, s[0:3], 0 offset:176
	buffer_store_dword v4, off, s[0:3], 0 offset:188
	buffer_store_dword v3, off, s[0:3], 0 offset:184
.LBB91_303:
	s_or_b32 exec_lo, exec_lo, s4
	v_mov_b32_e32 v4, s23
	s_mov_b32 s4, exec_lo
	s_clause 0x3
	buffer_load_dword v1, v4, s[0:3], 0 offen
	buffer_load_dword v2, v4, s[0:3], 0 offen offset:4
	buffer_load_dword v3, v4, s[0:3], 0 offen offset:8
	;; [unrolled: 1-line block ×3, first 2 shown]
	s_waitcnt vmcnt(0)
	ds_write_b128 v62, v[1:4]
	s_waitcnt lgkmcnt(0)
	s_waitcnt_vscnt null, 0x0
	s_barrier
	buffer_gl0_inv
	v_cmpx_gt_u32_e32 12, v0
	s_cbranch_execz .LBB91_311
; %bb.304:
	ds_read_b128 v[1:4], v62
	v_cmp_ne_u32_e32 vcc_lo, 1, v63
	s_cbranch_vccnz .LBB91_306
; %bb.305:
	s_clause 0x3
	buffer_load_dword v64, v61, s[0:3], 0 offen offset:8
	buffer_load_dword v65, v61, s[0:3], 0 offen offset:12
	buffer_load_dword v68, v61, s[0:3], 0 offen
	buffer_load_dword v69, v61, s[0:3], 0 offen offset:4
	s_waitcnt vmcnt(2) lgkmcnt(0)
	v_mul_f64 v[70:71], v[3:4], v[64:65]
	v_mul_f64 v[64:65], v[1:2], v[64:65]
	s_waitcnt vmcnt(0)
	v_fma_f64 v[1:2], v[1:2], v[68:69], -v[70:71]
	v_fma_f64 v[3:4], v[3:4], v[68:69], v[64:65]
.LBB91_306:
	s_mov_b32 s6, exec_lo
	v_cmpx_ne_u32_e32 11, v0
	s_cbranch_execz .LBB91_310
; %bb.307:
	v_add_nc_u32_e32 v64, 0x1d0, v67
	v_add3_u32 v65, 0, v67, 16
	v_mov_b32_e32 v66, v0
	s_mov_b32 s8, 0
	.p2align	6
.LBB91_308:                             ; =>This Inner Loop Header: Depth=1
	s_clause 0x3
	buffer_load_dword v72, v65, s[0:3], 0 offen offset:8
	buffer_load_dword v73, v65, s[0:3], 0 offen offset:12
	buffer_load_dword v74, v65, s[0:3], 0 offen
	buffer_load_dword v75, v65, s[0:3], 0 offen offset:4
	ds_read_b128 v[68:71], v64
	v_add_nc_u32_e32 v66, 1, v66
	v_add_nc_u32_e32 v64, 16, v64
	;; [unrolled: 1-line block ×3, first 2 shown]
	v_cmp_lt_u32_e32 vcc_lo, 10, v66
	s_or_b32 s8, vcc_lo, s8
	s_waitcnt vmcnt(2) lgkmcnt(0)
	v_mul_f64 v[76:77], v[70:71], v[72:73]
	v_mul_f64 v[72:73], v[68:69], v[72:73]
	s_waitcnt vmcnt(0)
	v_fma_f64 v[68:69], v[68:69], v[74:75], -v[76:77]
	v_fma_f64 v[70:71], v[70:71], v[74:75], v[72:73]
	v_add_f64 v[1:2], v[1:2], v[68:69]
	v_add_f64 v[3:4], v[3:4], v[70:71]
	s_andn2_b32 exec_lo, exec_lo, s8
	s_cbranch_execnz .LBB91_308
; %bb.309:
	s_or_b32 exec_lo, exec_lo, s8
.LBB91_310:
	s_or_b32 exec_lo, exec_lo, s6
	v_mov_b32_e32 v64, 0
	ds_read_b128 v[68:71], v64 offset:192
	s_waitcnt lgkmcnt(0)
	v_mul_f64 v[64:65], v[3:4], v[70:71]
	v_mul_f64 v[70:71], v[1:2], v[70:71]
	v_fma_f64 v[1:2], v[1:2], v[68:69], -v[64:65]
	v_fma_f64 v[3:4], v[3:4], v[68:69], v[70:71]
	buffer_store_dword v2, off, s[0:3], 0 offset:196
	buffer_store_dword v1, off, s[0:3], 0 offset:192
	;; [unrolled: 1-line block ×4, first 2 shown]
.LBB91_311:
	s_or_b32 exec_lo, exec_lo, s4
	v_mov_b32_e32 v4, s22
	s_mov_b32 s4, exec_lo
	s_clause 0x3
	buffer_load_dword v1, v4, s[0:3], 0 offen
	buffer_load_dword v2, v4, s[0:3], 0 offen offset:4
	buffer_load_dword v3, v4, s[0:3], 0 offen offset:8
	;; [unrolled: 1-line block ×3, first 2 shown]
	s_waitcnt vmcnt(0)
	ds_write_b128 v62, v[1:4]
	s_waitcnt lgkmcnt(0)
	s_waitcnt_vscnt null, 0x0
	s_barrier
	buffer_gl0_inv
	v_cmpx_gt_u32_e32 13, v0
	s_cbranch_execz .LBB91_319
; %bb.312:
	ds_read_b128 v[1:4], v62
	v_cmp_ne_u32_e32 vcc_lo, 1, v63
	s_cbranch_vccnz .LBB91_314
; %bb.313:
	s_clause 0x3
	buffer_load_dword v64, v61, s[0:3], 0 offen offset:8
	buffer_load_dword v65, v61, s[0:3], 0 offen offset:12
	buffer_load_dword v68, v61, s[0:3], 0 offen
	buffer_load_dword v69, v61, s[0:3], 0 offen offset:4
	s_waitcnt vmcnt(2) lgkmcnt(0)
	v_mul_f64 v[70:71], v[3:4], v[64:65]
	v_mul_f64 v[64:65], v[1:2], v[64:65]
	s_waitcnt vmcnt(0)
	v_fma_f64 v[1:2], v[1:2], v[68:69], -v[70:71]
	v_fma_f64 v[3:4], v[3:4], v[68:69], v[64:65]
.LBB91_314:
	s_mov_b32 s6, exec_lo
	v_cmpx_ne_u32_e32 12, v0
	s_cbranch_execz .LBB91_318
; %bb.315:
	v_add_nc_u32_e32 v64, 0x1d0, v67
	v_add3_u32 v65, 0, v67, 16
	v_mov_b32_e32 v66, v0
	s_mov_b32 s8, 0
	.p2align	6
.LBB91_316:                             ; =>This Inner Loop Header: Depth=1
	s_clause 0x3
	buffer_load_dword v72, v65, s[0:3], 0 offen offset:8
	buffer_load_dword v73, v65, s[0:3], 0 offen offset:12
	buffer_load_dword v74, v65, s[0:3], 0 offen
	buffer_load_dword v75, v65, s[0:3], 0 offen offset:4
	ds_read_b128 v[68:71], v64
	v_add_nc_u32_e32 v66, 1, v66
	v_add_nc_u32_e32 v64, 16, v64
	;; [unrolled: 1-line block ×3, first 2 shown]
	v_cmp_lt_u32_e32 vcc_lo, 11, v66
	s_or_b32 s8, vcc_lo, s8
	s_waitcnt vmcnt(2) lgkmcnt(0)
	v_mul_f64 v[76:77], v[70:71], v[72:73]
	v_mul_f64 v[72:73], v[68:69], v[72:73]
	s_waitcnt vmcnt(0)
	v_fma_f64 v[68:69], v[68:69], v[74:75], -v[76:77]
	v_fma_f64 v[70:71], v[70:71], v[74:75], v[72:73]
	v_add_f64 v[1:2], v[1:2], v[68:69]
	v_add_f64 v[3:4], v[3:4], v[70:71]
	s_andn2_b32 exec_lo, exec_lo, s8
	s_cbranch_execnz .LBB91_316
; %bb.317:
	s_or_b32 exec_lo, exec_lo, s8
.LBB91_318:
	s_or_b32 exec_lo, exec_lo, s6
	v_mov_b32_e32 v64, 0
	ds_read_b128 v[68:71], v64 offset:208
	s_waitcnt lgkmcnt(0)
	v_mul_f64 v[64:65], v[3:4], v[70:71]
	v_mul_f64 v[70:71], v[1:2], v[70:71]
	v_fma_f64 v[1:2], v[1:2], v[68:69], -v[64:65]
	v_fma_f64 v[3:4], v[3:4], v[68:69], v[70:71]
	buffer_store_dword v2, off, s[0:3], 0 offset:212
	buffer_store_dword v1, off, s[0:3], 0 offset:208
	;; [unrolled: 1-line block ×4, first 2 shown]
.LBB91_319:
	s_or_b32 exec_lo, exec_lo, s4
	v_mov_b32_e32 v4, s21
	s_mov_b32 s4, exec_lo
	s_clause 0x3
	buffer_load_dword v1, v4, s[0:3], 0 offen
	buffer_load_dword v2, v4, s[0:3], 0 offen offset:4
	buffer_load_dword v3, v4, s[0:3], 0 offen offset:8
	;; [unrolled: 1-line block ×3, first 2 shown]
	s_waitcnt vmcnt(0)
	ds_write_b128 v62, v[1:4]
	s_waitcnt lgkmcnt(0)
	s_waitcnt_vscnt null, 0x0
	s_barrier
	buffer_gl0_inv
	v_cmpx_gt_u32_e32 14, v0
	s_cbranch_execz .LBB91_327
; %bb.320:
	ds_read_b128 v[1:4], v62
	v_cmp_ne_u32_e32 vcc_lo, 1, v63
	s_cbranch_vccnz .LBB91_322
; %bb.321:
	s_clause 0x3
	buffer_load_dword v64, v61, s[0:3], 0 offen offset:8
	buffer_load_dword v65, v61, s[0:3], 0 offen offset:12
	buffer_load_dword v68, v61, s[0:3], 0 offen
	buffer_load_dword v69, v61, s[0:3], 0 offen offset:4
	s_waitcnt vmcnt(2) lgkmcnt(0)
	v_mul_f64 v[70:71], v[3:4], v[64:65]
	v_mul_f64 v[64:65], v[1:2], v[64:65]
	s_waitcnt vmcnt(0)
	v_fma_f64 v[1:2], v[1:2], v[68:69], -v[70:71]
	v_fma_f64 v[3:4], v[3:4], v[68:69], v[64:65]
.LBB91_322:
	s_mov_b32 s6, exec_lo
	v_cmpx_ne_u32_e32 13, v0
	s_cbranch_execz .LBB91_326
; %bb.323:
	v_add_nc_u32_e32 v64, 0x1d0, v67
	v_add3_u32 v65, 0, v67, 16
	v_mov_b32_e32 v66, v0
	s_mov_b32 s8, 0
	.p2align	6
.LBB91_324:                             ; =>This Inner Loop Header: Depth=1
	s_clause 0x3
	buffer_load_dword v72, v65, s[0:3], 0 offen offset:8
	buffer_load_dword v73, v65, s[0:3], 0 offen offset:12
	buffer_load_dword v74, v65, s[0:3], 0 offen
	buffer_load_dword v75, v65, s[0:3], 0 offen offset:4
	ds_read_b128 v[68:71], v64
	v_add_nc_u32_e32 v66, 1, v66
	v_add_nc_u32_e32 v64, 16, v64
	;; [unrolled: 1-line block ×3, first 2 shown]
	v_cmp_lt_u32_e32 vcc_lo, 12, v66
	s_or_b32 s8, vcc_lo, s8
	s_waitcnt vmcnt(2) lgkmcnt(0)
	v_mul_f64 v[76:77], v[70:71], v[72:73]
	v_mul_f64 v[72:73], v[68:69], v[72:73]
	s_waitcnt vmcnt(0)
	v_fma_f64 v[68:69], v[68:69], v[74:75], -v[76:77]
	v_fma_f64 v[70:71], v[70:71], v[74:75], v[72:73]
	v_add_f64 v[1:2], v[1:2], v[68:69]
	v_add_f64 v[3:4], v[3:4], v[70:71]
	s_andn2_b32 exec_lo, exec_lo, s8
	s_cbranch_execnz .LBB91_324
; %bb.325:
	s_or_b32 exec_lo, exec_lo, s8
.LBB91_326:
	s_or_b32 exec_lo, exec_lo, s6
	v_mov_b32_e32 v64, 0
	ds_read_b128 v[68:71], v64 offset:224
	s_waitcnt lgkmcnt(0)
	v_mul_f64 v[64:65], v[3:4], v[70:71]
	v_mul_f64 v[70:71], v[1:2], v[70:71]
	v_fma_f64 v[1:2], v[1:2], v[68:69], -v[64:65]
	v_fma_f64 v[3:4], v[3:4], v[68:69], v[70:71]
	buffer_store_dword v2, off, s[0:3], 0 offset:228
	buffer_store_dword v1, off, s[0:3], 0 offset:224
	;; [unrolled: 1-line block ×4, first 2 shown]
.LBB91_327:
	s_or_b32 exec_lo, exec_lo, s4
	v_mov_b32_e32 v4, s20
	s_mov_b32 s4, exec_lo
	s_clause 0x3
	buffer_load_dword v1, v4, s[0:3], 0 offen
	buffer_load_dword v2, v4, s[0:3], 0 offen offset:4
	buffer_load_dword v3, v4, s[0:3], 0 offen offset:8
	;; [unrolled: 1-line block ×3, first 2 shown]
	s_waitcnt vmcnt(0)
	ds_write_b128 v62, v[1:4]
	s_waitcnt lgkmcnt(0)
	s_waitcnt_vscnt null, 0x0
	s_barrier
	buffer_gl0_inv
	v_cmpx_gt_u32_e32 15, v0
	s_cbranch_execz .LBB91_335
; %bb.328:
	ds_read_b128 v[1:4], v62
	v_cmp_ne_u32_e32 vcc_lo, 1, v63
	s_cbranch_vccnz .LBB91_330
; %bb.329:
	s_clause 0x3
	buffer_load_dword v64, v61, s[0:3], 0 offen offset:8
	buffer_load_dword v65, v61, s[0:3], 0 offen offset:12
	buffer_load_dword v68, v61, s[0:3], 0 offen
	buffer_load_dword v69, v61, s[0:3], 0 offen offset:4
	s_waitcnt vmcnt(2) lgkmcnt(0)
	v_mul_f64 v[70:71], v[3:4], v[64:65]
	v_mul_f64 v[64:65], v[1:2], v[64:65]
	s_waitcnt vmcnt(0)
	v_fma_f64 v[1:2], v[1:2], v[68:69], -v[70:71]
	v_fma_f64 v[3:4], v[3:4], v[68:69], v[64:65]
.LBB91_330:
	s_mov_b32 s6, exec_lo
	v_cmpx_ne_u32_e32 14, v0
	s_cbranch_execz .LBB91_334
; %bb.331:
	v_add_nc_u32_e32 v64, 0x1d0, v67
	v_add3_u32 v65, 0, v67, 16
	v_mov_b32_e32 v66, v0
	s_mov_b32 s8, 0
	.p2align	6
.LBB91_332:                             ; =>This Inner Loop Header: Depth=1
	s_clause 0x3
	buffer_load_dword v72, v65, s[0:3], 0 offen offset:8
	buffer_load_dword v73, v65, s[0:3], 0 offen offset:12
	buffer_load_dword v74, v65, s[0:3], 0 offen
	buffer_load_dword v75, v65, s[0:3], 0 offen offset:4
	ds_read_b128 v[68:71], v64
	v_add_nc_u32_e32 v66, 1, v66
	v_add_nc_u32_e32 v64, 16, v64
	;; [unrolled: 1-line block ×3, first 2 shown]
	v_cmp_lt_u32_e32 vcc_lo, 13, v66
	s_or_b32 s8, vcc_lo, s8
	s_waitcnt vmcnt(2) lgkmcnt(0)
	v_mul_f64 v[76:77], v[70:71], v[72:73]
	v_mul_f64 v[72:73], v[68:69], v[72:73]
	s_waitcnt vmcnt(0)
	v_fma_f64 v[68:69], v[68:69], v[74:75], -v[76:77]
	v_fma_f64 v[70:71], v[70:71], v[74:75], v[72:73]
	v_add_f64 v[1:2], v[1:2], v[68:69]
	v_add_f64 v[3:4], v[3:4], v[70:71]
	s_andn2_b32 exec_lo, exec_lo, s8
	s_cbranch_execnz .LBB91_332
; %bb.333:
	s_or_b32 exec_lo, exec_lo, s8
.LBB91_334:
	s_or_b32 exec_lo, exec_lo, s6
	v_mov_b32_e32 v64, 0
	ds_read_b128 v[68:71], v64 offset:240
	s_waitcnt lgkmcnt(0)
	v_mul_f64 v[64:65], v[3:4], v[70:71]
	v_mul_f64 v[70:71], v[1:2], v[70:71]
	v_fma_f64 v[1:2], v[1:2], v[68:69], -v[64:65]
	v_fma_f64 v[3:4], v[3:4], v[68:69], v[70:71]
	buffer_store_dword v2, off, s[0:3], 0 offset:244
	buffer_store_dword v1, off, s[0:3], 0 offset:240
	;; [unrolled: 1-line block ×4, first 2 shown]
.LBB91_335:
	s_or_b32 exec_lo, exec_lo, s4
	v_mov_b32_e32 v4, s19
	s_mov_b32 s4, exec_lo
	s_clause 0x3
	buffer_load_dword v1, v4, s[0:3], 0 offen
	buffer_load_dword v2, v4, s[0:3], 0 offen offset:4
	buffer_load_dword v3, v4, s[0:3], 0 offen offset:8
	;; [unrolled: 1-line block ×3, first 2 shown]
	s_waitcnt vmcnt(0)
	ds_write_b128 v62, v[1:4]
	s_waitcnt lgkmcnt(0)
	s_waitcnt_vscnt null, 0x0
	s_barrier
	buffer_gl0_inv
	v_cmpx_gt_u32_e32 16, v0
	s_cbranch_execz .LBB91_343
; %bb.336:
	ds_read_b128 v[1:4], v62
	v_cmp_ne_u32_e32 vcc_lo, 1, v63
	s_cbranch_vccnz .LBB91_338
; %bb.337:
	s_clause 0x3
	buffer_load_dword v64, v61, s[0:3], 0 offen offset:8
	buffer_load_dword v65, v61, s[0:3], 0 offen offset:12
	buffer_load_dword v68, v61, s[0:3], 0 offen
	buffer_load_dword v69, v61, s[0:3], 0 offen offset:4
	s_waitcnt vmcnt(2) lgkmcnt(0)
	v_mul_f64 v[70:71], v[3:4], v[64:65]
	v_mul_f64 v[64:65], v[1:2], v[64:65]
	s_waitcnt vmcnt(0)
	v_fma_f64 v[1:2], v[1:2], v[68:69], -v[70:71]
	v_fma_f64 v[3:4], v[3:4], v[68:69], v[64:65]
.LBB91_338:
	s_mov_b32 s6, exec_lo
	v_cmpx_ne_u32_e32 15, v0
	s_cbranch_execz .LBB91_342
; %bb.339:
	v_add_nc_u32_e32 v64, 0x1d0, v67
	v_add3_u32 v65, 0, v67, 16
	v_mov_b32_e32 v66, v0
	s_mov_b32 s8, 0
	.p2align	6
.LBB91_340:                             ; =>This Inner Loop Header: Depth=1
	s_clause 0x3
	buffer_load_dword v72, v65, s[0:3], 0 offen offset:8
	buffer_load_dword v73, v65, s[0:3], 0 offen offset:12
	buffer_load_dword v74, v65, s[0:3], 0 offen
	buffer_load_dword v75, v65, s[0:3], 0 offen offset:4
	ds_read_b128 v[68:71], v64
	v_add_nc_u32_e32 v66, 1, v66
	v_add_nc_u32_e32 v64, 16, v64
	;; [unrolled: 1-line block ×3, first 2 shown]
	v_cmp_lt_u32_e32 vcc_lo, 14, v66
	s_or_b32 s8, vcc_lo, s8
	s_waitcnt vmcnt(2) lgkmcnt(0)
	v_mul_f64 v[76:77], v[70:71], v[72:73]
	v_mul_f64 v[72:73], v[68:69], v[72:73]
	s_waitcnt vmcnt(0)
	v_fma_f64 v[68:69], v[68:69], v[74:75], -v[76:77]
	v_fma_f64 v[70:71], v[70:71], v[74:75], v[72:73]
	v_add_f64 v[1:2], v[1:2], v[68:69]
	v_add_f64 v[3:4], v[3:4], v[70:71]
	s_andn2_b32 exec_lo, exec_lo, s8
	s_cbranch_execnz .LBB91_340
; %bb.341:
	s_or_b32 exec_lo, exec_lo, s8
.LBB91_342:
	s_or_b32 exec_lo, exec_lo, s6
	v_mov_b32_e32 v64, 0
	ds_read_b128 v[68:71], v64 offset:256
	s_waitcnt lgkmcnt(0)
	v_mul_f64 v[64:65], v[3:4], v[70:71]
	v_mul_f64 v[70:71], v[1:2], v[70:71]
	v_fma_f64 v[1:2], v[1:2], v[68:69], -v[64:65]
	v_fma_f64 v[3:4], v[3:4], v[68:69], v[70:71]
	buffer_store_dword v2, off, s[0:3], 0 offset:260
	buffer_store_dword v1, off, s[0:3], 0 offset:256
	;; [unrolled: 1-line block ×4, first 2 shown]
.LBB91_343:
	s_or_b32 exec_lo, exec_lo, s4
	v_mov_b32_e32 v4, s18
	s_mov_b32 s4, exec_lo
	s_clause 0x3
	buffer_load_dword v1, v4, s[0:3], 0 offen
	buffer_load_dword v2, v4, s[0:3], 0 offen offset:4
	buffer_load_dword v3, v4, s[0:3], 0 offen offset:8
	buffer_load_dword v4, v4, s[0:3], 0 offen offset:12
	s_waitcnt vmcnt(0)
	ds_write_b128 v62, v[1:4]
	s_waitcnt lgkmcnt(0)
	s_waitcnt_vscnt null, 0x0
	s_barrier
	buffer_gl0_inv
	v_cmpx_gt_u32_e32 17, v0
	s_cbranch_execz .LBB91_351
; %bb.344:
	ds_read_b128 v[1:4], v62
	v_cmp_ne_u32_e32 vcc_lo, 1, v63
	s_cbranch_vccnz .LBB91_346
; %bb.345:
	s_clause 0x3
	buffer_load_dword v64, v61, s[0:3], 0 offen offset:8
	buffer_load_dword v65, v61, s[0:3], 0 offen offset:12
	buffer_load_dword v68, v61, s[0:3], 0 offen
	buffer_load_dword v69, v61, s[0:3], 0 offen offset:4
	s_waitcnt vmcnt(2) lgkmcnt(0)
	v_mul_f64 v[70:71], v[3:4], v[64:65]
	v_mul_f64 v[64:65], v[1:2], v[64:65]
	s_waitcnt vmcnt(0)
	v_fma_f64 v[1:2], v[1:2], v[68:69], -v[70:71]
	v_fma_f64 v[3:4], v[3:4], v[68:69], v[64:65]
.LBB91_346:
	s_mov_b32 s6, exec_lo
	v_cmpx_ne_u32_e32 16, v0
	s_cbranch_execz .LBB91_350
; %bb.347:
	v_add_nc_u32_e32 v64, 0x1d0, v67
	v_add3_u32 v65, 0, v67, 16
	v_mov_b32_e32 v66, v0
	s_mov_b32 s8, 0
	.p2align	6
.LBB91_348:                             ; =>This Inner Loop Header: Depth=1
	s_clause 0x3
	buffer_load_dword v72, v65, s[0:3], 0 offen offset:8
	buffer_load_dword v73, v65, s[0:3], 0 offen offset:12
	buffer_load_dword v74, v65, s[0:3], 0 offen
	buffer_load_dword v75, v65, s[0:3], 0 offen offset:4
	ds_read_b128 v[68:71], v64
	v_add_nc_u32_e32 v66, 1, v66
	v_add_nc_u32_e32 v64, 16, v64
	;; [unrolled: 1-line block ×3, first 2 shown]
	v_cmp_lt_u32_e32 vcc_lo, 15, v66
	s_or_b32 s8, vcc_lo, s8
	s_waitcnt vmcnt(2) lgkmcnt(0)
	v_mul_f64 v[76:77], v[70:71], v[72:73]
	v_mul_f64 v[72:73], v[68:69], v[72:73]
	s_waitcnt vmcnt(0)
	v_fma_f64 v[68:69], v[68:69], v[74:75], -v[76:77]
	v_fma_f64 v[70:71], v[70:71], v[74:75], v[72:73]
	v_add_f64 v[1:2], v[1:2], v[68:69]
	v_add_f64 v[3:4], v[3:4], v[70:71]
	s_andn2_b32 exec_lo, exec_lo, s8
	s_cbranch_execnz .LBB91_348
; %bb.349:
	s_or_b32 exec_lo, exec_lo, s8
.LBB91_350:
	s_or_b32 exec_lo, exec_lo, s6
	v_mov_b32_e32 v64, 0
	ds_read_b128 v[68:71], v64 offset:272
	s_waitcnt lgkmcnt(0)
	v_mul_f64 v[64:65], v[3:4], v[70:71]
	v_mul_f64 v[70:71], v[1:2], v[70:71]
	v_fma_f64 v[1:2], v[1:2], v[68:69], -v[64:65]
	v_fma_f64 v[3:4], v[3:4], v[68:69], v[70:71]
	buffer_store_dword v2, off, s[0:3], 0 offset:276
	buffer_store_dword v1, off, s[0:3], 0 offset:272
	;; [unrolled: 1-line block ×4, first 2 shown]
.LBB91_351:
	s_or_b32 exec_lo, exec_lo, s4
	v_mov_b32_e32 v4, s17
	s_mov_b32 s4, exec_lo
	s_clause 0x3
	buffer_load_dword v1, v4, s[0:3], 0 offen
	buffer_load_dword v2, v4, s[0:3], 0 offen offset:4
	buffer_load_dword v3, v4, s[0:3], 0 offen offset:8
	;; [unrolled: 1-line block ×3, first 2 shown]
	s_waitcnt vmcnt(0)
	ds_write_b128 v62, v[1:4]
	s_waitcnt lgkmcnt(0)
	s_waitcnt_vscnt null, 0x0
	s_barrier
	buffer_gl0_inv
	v_cmpx_gt_u32_e32 18, v0
	s_cbranch_execz .LBB91_359
; %bb.352:
	ds_read_b128 v[1:4], v62
	v_cmp_ne_u32_e32 vcc_lo, 1, v63
	s_cbranch_vccnz .LBB91_354
; %bb.353:
	s_clause 0x3
	buffer_load_dword v64, v61, s[0:3], 0 offen offset:8
	buffer_load_dword v65, v61, s[0:3], 0 offen offset:12
	buffer_load_dword v68, v61, s[0:3], 0 offen
	buffer_load_dword v69, v61, s[0:3], 0 offen offset:4
	s_waitcnt vmcnt(2) lgkmcnt(0)
	v_mul_f64 v[70:71], v[3:4], v[64:65]
	v_mul_f64 v[64:65], v[1:2], v[64:65]
	s_waitcnt vmcnt(0)
	v_fma_f64 v[1:2], v[1:2], v[68:69], -v[70:71]
	v_fma_f64 v[3:4], v[3:4], v[68:69], v[64:65]
.LBB91_354:
	s_mov_b32 s6, exec_lo
	v_cmpx_ne_u32_e32 17, v0
	s_cbranch_execz .LBB91_358
; %bb.355:
	v_add_nc_u32_e32 v64, 0x1d0, v67
	v_add3_u32 v65, 0, v67, 16
	v_mov_b32_e32 v66, v0
	s_mov_b32 s8, 0
	.p2align	6
.LBB91_356:                             ; =>This Inner Loop Header: Depth=1
	s_clause 0x3
	buffer_load_dword v72, v65, s[0:3], 0 offen offset:8
	buffer_load_dword v73, v65, s[0:3], 0 offen offset:12
	buffer_load_dword v74, v65, s[0:3], 0 offen
	buffer_load_dword v75, v65, s[0:3], 0 offen offset:4
	ds_read_b128 v[68:71], v64
	v_add_nc_u32_e32 v66, 1, v66
	v_add_nc_u32_e32 v64, 16, v64
	;; [unrolled: 1-line block ×3, first 2 shown]
	v_cmp_lt_u32_e32 vcc_lo, 16, v66
	s_or_b32 s8, vcc_lo, s8
	s_waitcnt vmcnt(2) lgkmcnt(0)
	v_mul_f64 v[76:77], v[70:71], v[72:73]
	v_mul_f64 v[72:73], v[68:69], v[72:73]
	s_waitcnt vmcnt(0)
	v_fma_f64 v[68:69], v[68:69], v[74:75], -v[76:77]
	v_fma_f64 v[70:71], v[70:71], v[74:75], v[72:73]
	v_add_f64 v[1:2], v[1:2], v[68:69]
	v_add_f64 v[3:4], v[3:4], v[70:71]
	s_andn2_b32 exec_lo, exec_lo, s8
	s_cbranch_execnz .LBB91_356
; %bb.357:
	s_or_b32 exec_lo, exec_lo, s8
.LBB91_358:
	s_or_b32 exec_lo, exec_lo, s6
	v_mov_b32_e32 v64, 0
	ds_read_b128 v[68:71], v64 offset:288
	s_waitcnt lgkmcnt(0)
	v_mul_f64 v[64:65], v[3:4], v[70:71]
	v_mul_f64 v[70:71], v[1:2], v[70:71]
	v_fma_f64 v[1:2], v[1:2], v[68:69], -v[64:65]
	v_fma_f64 v[3:4], v[3:4], v[68:69], v[70:71]
	buffer_store_dword v2, off, s[0:3], 0 offset:292
	buffer_store_dword v1, off, s[0:3], 0 offset:288
	buffer_store_dword v4, off, s[0:3], 0 offset:300
	buffer_store_dword v3, off, s[0:3], 0 offset:296
.LBB91_359:
	s_or_b32 exec_lo, exec_lo, s4
	v_mov_b32_e32 v4, s16
	s_mov_b32 s4, exec_lo
	s_clause 0x3
	buffer_load_dword v1, v4, s[0:3], 0 offen
	buffer_load_dword v2, v4, s[0:3], 0 offen offset:4
	buffer_load_dword v3, v4, s[0:3], 0 offen offset:8
	buffer_load_dword v4, v4, s[0:3], 0 offen offset:12
	s_waitcnt vmcnt(0)
	ds_write_b128 v62, v[1:4]
	s_waitcnt lgkmcnt(0)
	s_waitcnt_vscnt null, 0x0
	s_barrier
	buffer_gl0_inv
	v_cmpx_gt_u32_e32 19, v0
	s_cbranch_execz .LBB91_367
; %bb.360:
	ds_read_b128 v[1:4], v62
	v_cmp_ne_u32_e32 vcc_lo, 1, v63
	s_cbranch_vccnz .LBB91_362
; %bb.361:
	s_clause 0x3
	buffer_load_dword v64, v61, s[0:3], 0 offen offset:8
	buffer_load_dword v65, v61, s[0:3], 0 offen offset:12
	buffer_load_dword v68, v61, s[0:3], 0 offen
	buffer_load_dword v69, v61, s[0:3], 0 offen offset:4
	s_waitcnt vmcnt(2) lgkmcnt(0)
	v_mul_f64 v[70:71], v[3:4], v[64:65]
	v_mul_f64 v[64:65], v[1:2], v[64:65]
	s_waitcnt vmcnt(0)
	v_fma_f64 v[1:2], v[1:2], v[68:69], -v[70:71]
	v_fma_f64 v[3:4], v[3:4], v[68:69], v[64:65]
.LBB91_362:
	s_mov_b32 s6, exec_lo
	v_cmpx_ne_u32_e32 18, v0
	s_cbranch_execz .LBB91_366
; %bb.363:
	v_add_nc_u32_e32 v64, 0x1d0, v67
	v_add3_u32 v65, 0, v67, 16
	v_mov_b32_e32 v66, v0
	s_mov_b32 s8, 0
	.p2align	6
.LBB91_364:                             ; =>This Inner Loop Header: Depth=1
	s_clause 0x3
	buffer_load_dword v72, v65, s[0:3], 0 offen offset:8
	buffer_load_dword v73, v65, s[0:3], 0 offen offset:12
	buffer_load_dword v74, v65, s[0:3], 0 offen
	buffer_load_dword v75, v65, s[0:3], 0 offen offset:4
	ds_read_b128 v[68:71], v64
	v_add_nc_u32_e32 v66, 1, v66
	v_add_nc_u32_e32 v64, 16, v64
	;; [unrolled: 1-line block ×3, first 2 shown]
	v_cmp_lt_u32_e32 vcc_lo, 17, v66
	s_or_b32 s8, vcc_lo, s8
	s_waitcnt vmcnt(2) lgkmcnt(0)
	v_mul_f64 v[76:77], v[70:71], v[72:73]
	v_mul_f64 v[72:73], v[68:69], v[72:73]
	s_waitcnt vmcnt(0)
	v_fma_f64 v[68:69], v[68:69], v[74:75], -v[76:77]
	v_fma_f64 v[70:71], v[70:71], v[74:75], v[72:73]
	v_add_f64 v[1:2], v[1:2], v[68:69]
	v_add_f64 v[3:4], v[3:4], v[70:71]
	s_andn2_b32 exec_lo, exec_lo, s8
	s_cbranch_execnz .LBB91_364
; %bb.365:
	s_or_b32 exec_lo, exec_lo, s8
.LBB91_366:
	s_or_b32 exec_lo, exec_lo, s6
	v_mov_b32_e32 v64, 0
	ds_read_b128 v[68:71], v64 offset:304
	s_waitcnt lgkmcnt(0)
	v_mul_f64 v[64:65], v[3:4], v[70:71]
	v_mul_f64 v[70:71], v[1:2], v[70:71]
	v_fma_f64 v[1:2], v[1:2], v[68:69], -v[64:65]
	v_fma_f64 v[3:4], v[3:4], v[68:69], v[70:71]
	buffer_store_dword v2, off, s[0:3], 0 offset:308
	buffer_store_dword v1, off, s[0:3], 0 offset:304
	;; [unrolled: 1-line block ×4, first 2 shown]
.LBB91_367:
	s_or_b32 exec_lo, exec_lo, s4
	v_mov_b32_e32 v4, s15
	s_mov_b32 s4, exec_lo
	s_clause 0x3
	buffer_load_dword v1, v4, s[0:3], 0 offen
	buffer_load_dword v2, v4, s[0:3], 0 offen offset:4
	buffer_load_dword v3, v4, s[0:3], 0 offen offset:8
	;; [unrolled: 1-line block ×3, first 2 shown]
	s_waitcnt vmcnt(0)
	ds_write_b128 v62, v[1:4]
	s_waitcnt lgkmcnt(0)
	s_waitcnt_vscnt null, 0x0
	s_barrier
	buffer_gl0_inv
	v_cmpx_gt_u32_e32 20, v0
	s_cbranch_execz .LBB91_375
; %bb.368:
	ds_read_b128 v[1:4], v62
	v_cmp_ne_u32_e32 vcc_lo, 1, v63
	s_cbranch_vccnz .LBB91_370
; %bb.369:
	s_clause 0x3
	buffer_load_dword v64, v61, s[0:3], 0 offen offset:8
	buffer_load_dword v65, v61, s[0:3], 0 offen offset:12
	buffer_load_dword v68, v61, s[0:3], 0 offen
	buffer_load_dword v69, v61, s[0:3], 0 offen offset:4
	s_waitcnt vmcnt(2) lgkmcnt(0)
	v_mul_f64 v[70:71], v[3:4], v[64:65]
	v_mul_f64 v[64:65], v[1:2], v[64:65]
	s_waitcnt vmcnt(0)
	v_fma_f64 v[1:2], v[1:2], v[68:69], -v[70:71]
	v_fma_f64 v[3:4], v[3:4], v[68:69], v[64:65]
.LBB91_370:
	s_mov_b32 s6, exec_lo
	v_cmpx_ne_u32_e32 19, v0
	s_cbranch_execz .LBB91_374
; %bb.371:
	v_add_nc_u32_e32 v64, 0x1d0, v67
	v_add3_u32 v65, 0, v67, 16
	v_mov_b32_e32 v66, v0
	s_mov_b32 s8, 0
	.p2align	6
.LBB91_372:                             ; =>This Inner Loop Header: Depth=1
	s_clause 0x3
	buffer_load_dword v72, v65, s[0:3], 0 offen offset:8
	buffer_load_dword v73, v65, s[0:3], 0 offen offset:12
	buffer_load_dword v74, v65, s[0:3], 0 offen
	buffer_load_dword v75, v65, s[0:3], 0 offen offset:4
	ds_read_b128 v[68:71], v64
	v_add_nc_u32_e32 v66, 1, v66
	v_add_nc_u32_e32 v64, 16, v64
	;; [unrolled: 1-line block ×3, first 2 shown]
	v_cmp_lt_u32_e32 vcc_lo, 18, v66
	s_or_b32 s8, vcc_lo, s8
	s_waitcnt vmcnt(2) lgkmcnt(0)
	v_mul_f64 v[76:77], v[70:71], v[72:73]
	v_mul_f64 v[72:73], v[68:69], v[72:73]
	s_waitcnt vmcnt(0)
	v_fma_f64 v[68:69], v[68:69], v[74:75], -v[76:77]
	v_fma_f64 v[70:71], v[70:71], v[74:75], v[72:73]
	v_add_f64 v[1:2], v[1:2], v[68:69]
	v_add_f64 v[3:4], v[3:4], v[70:71]
	s_andn2_b32 exec_lo, exec_lo, s8
	s_cbranch_execnz .LBB91_372
; %bb.373:
	s_or_b32 exec_lo, exec_lo, s8
.LBB91_374:
	s_or_b32 exec_lo, exec_lo, s6
	v_mov_b32_e32 v64, 0
	ds_read_b128 v[68:71], v64 offset:320
	s_waitcnt lgkmcnt(0)
	v_mul_f64 v[64:65], v[3:4], v[70:71]
	v_mul_f64 v[70:71], v[1:2], v[70:71]
	v_fma_f64 v[1:2], v[1:2], v[68:69], -v[64:65]
	v_fma_f64 v[3:4], v[3:4], v[68:69], v[70:71]
	buffer_store_dword v2, off, s[0:3], 0 offset:324
	buffer_store_dword v1, off, s[0:3], 0 offset:320
	;; [unrolled: 1-line block ×4, first 2 shown]
.LBB91_375:
	s_or_b32 exec_lo, exec_lo, s4
	v_mov_b32_e32 v4, s14
	s_mov_b32 s4, exec_lo
	s_clause 0x3
	buffer_load_dword v1, v4, s[0:3], 0 offen
	buffer_load_dword v2, v4, s[0:3], 0 offen offset:4
	buffer_load_dword v3, v4, s[0:3], 0 offen offset:8
	;; [unrolled: 1-line block ×3, first 2 shown]
	s_waitcnt vmcnt(0)
	ds_write_b128 v62, v[1:4]
	s_waitcnt lgkmcnt(0)
	s_waitcnt_vscnt null, 0x0
	s_barrier
	buffer_gl0_inv
	v_cmpx_gt_u32_e32 21, v0
	s_cbranch_execz .LBB91_383
; %bb.376:
	ds_read_b128 v[1:4], v62
	v_cmp_ne_u32_e32 vcc_lo, 1, v63
	s_cbranch_vccnz .LBB91_378
; %bb.377:
	s_clause 0x3
	buffer_load_dword v64, v61, s[0:3], 0 offen offset:8
	buffer_load_dword v65, v61, s[0:3], 0 offen offset:12
	buffer_load_dword v68, v61, s[0:3], 0 offen
	buffer_load_dword v69, v61, s[0:3], 0 offen offset:4
	s_waitcnt vmcnt(2) lgkmcnt(0)
	v_mul_f64 v[70:71], v[3:4], v[64:65]
	v_mul_f64 v[64:65], v[1:2], v[64:65]
	s_waitcnt vmcnt(0)
	v_fma_f64 v[1:2], v[1:2], v[68:69], -v[70:71]
	v_fma_f64 v[3:4], v[3:4], v[68:69], v[64:65]
.LBB91_378:
	s_mov_b32 s6, exec_lo
	v_cmpx_ne_u32_e32 20, v0
	s_cbranch_execz .LBB91_382
; %bb.379:
	v_add_nc_u32_e32 v64, 0x1d0, v67
	v_add3_u32 v65, 0, v67, 16
	v_mov_b32_e32 v66, v0
	s_mov_b32 s8, 0
	.p2align	6
.LBB91_380:                             ; =>This Inner Loop Header: Depth=1
	s_clause 0x3
	buffer_load_dword v72, v65, s[0:3], 0 offen offset:8
	buffer_load_dword v73, v65, s[0:3], 0 offen offset:12
	buffer_load_dword v74, v65, s[0:3], 0 offen
	buffer_load_dword v75, v65, s[0:3], 0 offen offset:4
	ds_read_b128 v[68:71], v64
	v_add_nc_u32_e32 v66, 1, v66
	v_add_nc_u32_e32 v64, 16, v64
	;; [unrolled: 1-line block ×3, first 2 shown]
	v_cmp_lt_u32_e32 vcc_lo, 19, v66
	s_or_b32 s8, vcc_lo, s8
	s_waitcnt vmcnt(2) lgkmcnt(0)
	v_mul_f64 v[76:77], v[70:71], v[72:73]
	v_mul_f64 v[72:73], v[68:69], v[72:73]
	s_waitcnt vmcnt(0)
	v_fma_f64 v[68:69], v[68:69], v[74:75], -v[76:77]
	v_fma_f64 v[70:71], v[70:71], v[74:75], v[72:73]
	v_add_f64 v[1:2], v[1:2], v[68:69]
	v_add_f64 v[3:4], v[3:4], v[70:71]
	s_andn2_b32 exec_lo, exec_lo, s8
	s_cbranch_execnz .LBB91_380
; %bb.381:
	s_or_b32 exec_lo, exec_lo, s8
.LBB91_382:
	s_or_b32 exec_lo, exec_lo, s6
	v_mov_b32_e32 v64, 0
	ds_read_b128 v[68:71], v64 offset:336
	s_waitcnt lgkmcnt(0)
	v_mul_f64 v[64:65], v[3:4], v[70:71]
	v_mul_f64 v[70:71], v[1:2], v[70:71]
	v_fma_f64 v[1:2], v[1:2], v[68:69], -v[64:65]
	v_fma_f64 v[3:4], v[3:4], v[68:69], v[70:71]
	buffer_store_dword v2, off, s[0:3], 0 offset:340
	buffer_store_dword v1, off, s[0:3], 0 offset:336
	;; [unrolled: 1-line block ×4, first 2 shown]
.LBB91_383:
	s_or_b32 exec_lo, exec_lo, s4
	v_mov_b32_e32 v4, s13
	s_mov_b32 s4, exec_lo
	s_clause 0x3
	buffer_load_dword v1, v4, s[0:3], 0 offen
	buffer_load_dword v2, v4, s[0:3], 0 offen offset:4
	buffer_load_dword v3, v4, s[0:3], 0 offen offset:8
	buffer_load_dword v4, v4, s[0:3], 0 offen offset:12
	s_waitcnt vmcnt(0)
	ds_write_b128 v62, v[1:4]
	s_waitcnt lgkmcnt(0)
	s_waitcnt_vscnt null, 0x0
	s_barrier
	buffer_gl0_inv
	v_cmpx_gt_u32_e32 22, v0
	s_cbranch_execz .LBB91_391
; %bb.384:
	ds_read_b128 v[1:4], v62
	v_cmp_ne_u32_e32 vcc_lo, 1, v63
	s_cbranch_vccnz .LBB91_386
; %bb.385:
	s_clause 0x3
	buffer_load_dword v64, v61, s[0:3], 0 offen offset:8
	buffer_load_dword v65, v61, s[0:3], 0 offen offset:12
	buffer_load_dword v68, v61, s[0:3], 0 offen
	buffer_load_dword v69, v61, s[0:3], 0 offen offset:4
	s_waitcnt vmcnt(2) lgkmcnt(0)
	v_mul_f64 v[70:71], v[3:4], v[64:65]
	v_mul_f64 v[64:65], v[1:2], v[64:65]
	s_waitcnt vmcnt(0)
	v_fma_f64 v[1:2], v[1:2], v[68:69], -v[70:71]
	v_fma_f64 v[3:4], v[3:4], v[68:69], v[64:65]
.LBB91_386:
	s_mov_b32 s6, exec_lo
	v_cmpx_ne_u32_e32 21, v0
	s_cbranch_execz .LBB91_390
; %bb.387:
	v_add_nc_u32_e32 v64, 0x1d0, v67
	v_add3_u32 v65, 0, v67, 16
	v_mov_b32_e32 v66, v0
	s_mov_b32 s8, 0
	.p2align	6
.LBB91_388:                             ; =>This Inner Loop Header: Depth=1
	s_clause 0x3
	buffer_load_dword v72, v65, s[0:3], 0 offen offset:8
	buffer_load_dword v73, v65, s[0:3], 0 offen offset:12
	buffer_load_dword v74, v65, s[0:3], 0 offen
	buffer_load_dword v75, v65, s[0:3], 0 offen offset:4
	ds_read_b128 v[68:71], v64
	v_add_nc_u32_e32 v66, 1, v66
	v_add_nc_u32_e32 v64, 16, v64
	;; [unrolled: 1-line block ×3, first 2 shown]
	v_cmp_lt_u32_e32 vcc_lo, 20, v66
	s_or_b32 s8, vcc_lo, s8
	s_waitcnt vmcnt(2) lgkmcnt(0)
	v_mul_f64 v[76:77], v[70:71], v[72:73]
	v_mul_f64 v[72:73], v[68:69], v[72:73]
	s_waitcnt vmcnt(0)
	v_fma_f64 v[68:69], v[68:69], v[74:75], -v[76:77]
	v_fma_f64 v[70:71], v[70:71], v[74:75], v[72:73]
	v_add_f64 v[1:2], v[1:2], v[68:69]
	v_add_f64 v[3:4], v[3:4], v[70:71]
	s_andn2_b32 exec_lo, exec_lo, s8
	s_cbranch_execnz .LBB91_388
; %bb.389:
	s_or_b32 exec_lo, exec_lo, s8
.LBB91_390:
	s_or_b32 exec_lo, exec_lo, s6
	v_mov_b32_e32 v64, 0
	ds_read_b128 v[68:71], v64 offset:352
	s_waitcnt lgkmcnt(0)
	v_mul_f64 v[64:65], v[3:4], v[70:71]
	v_mul_f64 v[70:71], v[1:2], v[70:71]
	v_fma_f64 v[1:2], v[1:2], v[68:69], -v[64:65]
	v_fma_f64 v[3:4], v[3:4], v[68:69], v[70:71]
	buffer_store_dword v2, off, s[0:3], 0 offset:356
	buffer_store_dword v1, off, s[0:3], 0 offset:352
	;; [unrolled: 1-line block ×4, first 2 shown]
.LBB91_391:
	s_or_b32 exec_lo, exec_lo, s4
	v_mov_b32_e32 v4, s12
	s_mov_b32 s4, exec_lo
	s_clause 0x3
	buffer_load_dword v1, v4, s[0:3], 0 offen
	buffer_load_dword v2, v4, s[0:3], 0 offen offset:4
	buffer_load_dword v3, v4, s[0:3], 0 offen offset:8
	;; [unrolled: 1-line block ×3, first 2 shown]
	s_waitcnt vmcnt(0)
	ds_write_b128 v62, v[1:4]
	s_waitcnt lgkmcnt(0)
	s_waitcnt_vscnt null, 0x0
	s_barrier
	buffer_gl0_inv
	v_cmpx_gt_u32_e32 23, v0
	s_cbranch_execz .LBB91_399
; %bb.392:
	ds_read_b128 v[1:4], v62
	v_cmp_ne_u32_e32 vcc_lo, 1, v63
	s_cbranch_vccnz .LBB91_394
; %bb.393:
	s_clause 0x3
	buffer_load_dword v64, v61, s[0:3], 0 offen offset:8
	buffer_load_dword v65, v61, s[0:3], 0 offen offset:12
	buffer_load_dword v68, v61, s[0:3], 0 offen
	buffer_load_dword v69, v61, s[0:3], 0 offen offset:4
	s_waitcnt vmcnt(2) lgkmcnt(0)
	v_mul_f64 v[70:71], v[3:4], v[64:65]
	v_mul_f64 v[64:65], v[1:2], v[64:65]
	s_waitcnt vmcnt(0)
	v_fma_f64 v[1:2], v[1:2], v[68:69], -v[70:71]
	v_fma_f64 v[3:4], v[3:4], v[68:69], v[64:65]
.LBB91_394:
	s_mov_b32 s6, exec_lo
	v_cmpx_ne_u32_e32 22, v0
	s_cbranch_execz .LBB91_398
; %bb.395:
	v_add_nc_u32_e32 v64, 0x1d0, v67
	v_add3_u32 v65, 0, v67, 16
	v_mov_b32_e32 v66, v0
	s_mov_b32 s8, 0
	.p2align	6
.LBB91_396:                             ; =>This Inner Loop Header: Depth=1
	s_clause 0x3
	buffer_load_dword v72, v65, s[0:3], 0 offen offset:8
	buffer_load_dword v73, v65, s[0:3], 0 offen offset:12
	buffer_load_dword v74, v65, s[0:3], 0 offen
	buffer_load_dword v75, v65, s[0:3], 0 offen offset:4
	ds_read_b128 v[68:71], v64
	v_add_nc_u32_e32 v66, 1, v66
	v_add_nc_u32_e32 v64, 16, v64
	;; [unrolled: 1-line block ×3, first 2 shown]
	v_cmp_lt_u32_e32 vcc_lo, 21, v66
	s_or_b32 s8, vcc_lo, s8
	s_waitcnt vmcnt(2) lgkmcnt(0)
	v_mul_f64 v[76:77], v[70:71], v[72:73]
	v_mul_f64 v[72:73], v[68:69], v[72:73]
	s_waitcnt vmcnt(0)
	v_fma_f64 v[68:69], v[68:69], v[74:75], -v[76:77]
	v_fma_f64 v[70:71], v[70:71], v[74:75], v[72:73]
	v_add_f64 v[1:2], v[1:2], v[68:69]
	v_add_f64 v[3:4], v[3:4], v[70:71]
	s_andn2_b32 exec_lo, exec_lo, s8
	s_cbranch_execnz .LBB91_396
; %bb.397:
	s_or_b32 exec_lo, exec_lo, s8
.LBB91_398:
	s_or_b32 exec_lo, exec_lo, s6
	v_mov_b32_e32 v64, 0
	ds_read_b128 v[68:71], v64 offset:368
	s_waitcnt lgkmcnt(0)
	v_mul_f64 v[64:65], v[3:4], v[70:71]
	v_mul_f64 v[70:71], v[1:2], v[70:71]
	v_fma_f64 v[1:2], v[1:2], v[68:69], -v[64:65]
	v_fma_f64 v[3:4], v[3:4], v[68:69], v[70:71]
	buffer_store_dword v2, off, s[0:3], 0 offset:372
	buffer_store_dword v1, off, s[0:3], 0 offset:368
	;; [unrolled: 1-line block ×4, first 2 shown]
.LBB91_399:
	s_or_b32 exec_lo, exec_lo, s4
	v_mov_b32_e32 v4, s11
	s_mov_b32 s4, exec_lo
	s_clause 0x3
	buffer_load_dword v1, v4, s[0:3], 0 offen
	buffer_load_dword v2, v4, s[0:3], 0 offen offset:4
	buffer_load_dword v3, v4, s[0:3], 0 offen offset:8
	;; [unrolled: 1-line block ×3, first 2 shown]
	s_waitcnt vmcnt(0)
	ds_write_b128 v62, v[1:4]
	s_waitcnt lgkmcnt(0)
	s_waitcnt_vscnt null, 0x0
	s_barrier
	buffer_gl0_inv
	v_cmpx_gt_u32_e32 24, v0
	s_cbranch_execz .LBB91_407
; %bb.400:
	ds_read_b128 v[1:4], v62
	v_cmp_ne_u32_e32 vcc_lo, 1, v63
	s_cbranch_vccnz .LBB91_402
; %bb.401:
	s_clause 0x3
	buffer_load_dword v64, v61, s[0:3], 0 offen offset:8
	buffer_load_dword v65, v61, s[0:3], 0 offen offset:12
	buffer_load_dword v68, v61, s[0:3], 0 offen
	buffer_load_dword v69, v61, s[0:3], 0 offen offset:4
	s_waitcnt vmcnt(2) lgkmcnt(0)
	v_mul_f64 v[70:71], v[3:4], v[64:65]
	v_mul_f64 v[64:65], v[1:2], v[64:65]
	s_waitcnt vmcnt(0)
	v_fma_f64 v[1:2], v[1:2], v[68:69], -v[70:71]
	v_fma_f64 v[3:4], v[3:4], v[68:69], v[64:65]
.LBB91_402:
	s_mov_b32 s6, exec_lo
	v_cmpx_ne_u32_e32 23, v0
	s_cbranch_execz .LBB91_406
; %bb.403:
	v_add_nc_u32_e32 v64, 0x1d0, v67
	v_add3_u32 v65, 0, v67, 16
	v_mov_b32_e32 v66, v0
	s_mov_b32 s8, 0
	.p2align	6
.LBB91_404:                             ; =>This Inner Loop Header: Depth=1
	s_clause 0x3
	buffer_load_dword v72, v65, s[0:3], 0 offen offset:8
	buffer_load_dword v73, v65, s[0:3], 0 offen offset:12
	buffer_load_dword v74, v65, s[0:3], 0 offen
	buffer_load_dword v75, v65, s[0:3], 0 offen offset:4
	ds_read_b128 v[68:71], v64
	v_add_nc_u32_e32 v66, 1, v66
	v_add_nc_u32_e32 v64, 16, v64
	;; [unrolled: 1-line block ×3, first 2 shown]
	v_cmp_lt_u32_e32 vcc_lo, 22, v66
	s_or_b32 s8, vcc_lo, s8
	s_waitcnt vmcnt(2) lgkmcnt(0)
	v_mul_f64 v[76:77], v[70:71], v[72:73]
	v_mul_f64 v[72:73], v[68:69], v[72:73]
	s_waitcnt vmcnt(0)
	v_fma_f64 v[68:69], v[68:69], v[74:75], -v[76:77]
	v_fma_f64 v[70:71], v[70:71], v[74:75], v[72:73]
	v_add_f64 v[1:2], v[1:2], v[68:69]
	v_add_f64 v[3:4], v[3:4], v[70:71]
	s_andn2_b32 exec_lo, exec_lo, s8
	s_cbranch_execnz .LBB91_404
; %bb.405:
	s_or_b32 exec_lo, exec_lo, s8
.LBB91_406:
	s_or_b32 exec_lo, exec_lo, s6
	v_mov_b32_e32 v64, 0
	ds_read_b128 v[68:71], v64 offset:384
	s_waitcnt lgkmcnt(0)
	v_mul_f64 v[64:65], v[3:4], v[70:71]
	v_mul_f64 v[70:71], v[1:2], v[70:71]
	v_fma_f64 v[1:2], v[1:2], v[68:69], -v[64:65]
	v_fma_f64 v[3:4], v[3:4], v[68:69], v[70:71]
	buffer_store_dword v2, off, s[0:3], 0 offset:388
	buffer_store_dword v1, off, s[0:3], 0 offset:384
	;; [unrolled: 1-line block ×4, first 2 shown]
.LBB91_407:
	s_or_b32 exec_lo, exec_lo, s4
	v_mov_b32_e32 v4, s10
	s_mov_b32 s4, exec_lo
	s_clause 0x3
	buffer_load_dword v1, v4, s[0:3], 0 offen
	buffer_load_dword v2, v4, s[0:3], 0 offen offset:4
	buffer_load_dword v3, v4, s[0:3], 0 offen offset:8
	;; [unrolled: 1-line block ×3, first 2 shown]
	s_waitcnt vmcnt(0)
	ds_write_b128 v62, v[1:4]
	s_waitcnt lgkmcnt(0)
	s_waitcnt_vscnt null, 0x0
	s_barrier
	buffer_gl0_inv
	v_cmpx_gt_u32_e32 25, v0
	s_cbranch_execz .LBB91_415
; %bb.408:
	ds_read_b128 v[1:4], v62
	v_cmp_ne_u32_e32 vcc_lo, 1, v63
	s_cbranch_vccnz .LBB91_410
; %bb.409:
	s_clause 0x3
	buffer_load_dword v64, v61, s[0:3], 0 offen offset:8
	buffer_load_dword v65, v61, s[0:3], 0 offen offset:12
	buffer_load_dword v68, v61, s[0:3], 0 offen
	buffer_load_dword v69, v61, s[0:3], 0 offen offset:4
	s_waitcnt vmcnt(2) lgkmcnt(0)
	v_mul_f64 v[70:71], v[3:4], v[64:65]
	v_mul_f64 v[64:65], v[1:2], v[64:65]
	s_waitcnt vmcnt(0)
	v_fma_f64 v[1:2], v[1:2], v[68:69], -v[70:71]
	v_fma_f64 v[3:4], v[3:4], v[68:69], v[64:65]
.LBB91_410:
	s_mov_b32 s6, exec_lo
	v_cmpx_ne_u32_e32 24, v0
	s_cbranch_execz .LBB91_414
; %bb.411:
	v_add_nc_u32_e32 v64, 0x1d0, v67
	v_add3_u32 v65, 0, v67, 16
	v_mov_b32_e32 v66, v0
	s_mov_b32 s8, 0
	.p2align	6
.LBB91_412:                             ; =>This Inner Loop Header: Depth=1
	s_clause 0x3
	buffer_load_dword v72, v65, s[0:3], 0 offen offset:8
	buffer_load_dword v73, v65, s[0:3], 0 offen offset:12
	buffer_load_dword v74, v65, s[0:3], 0 offen
	buffer_load_dword v75, v65, s[0:3], 0 offen offset:4
	ds_read_b128 v[68:71], v64
	v_add_nc_u32_e32 v66, 1, v66
	v_add_nc_u32_e32 v64, 16, v64
	;; [unrolled: 1-line block ×3, first 2 shown]
	v_cmp_lt_u32_e32 vcc_lo, 23, v66
	s_or_b32 s8, vcc_lo, s8
	s_waitcnt vmcnt(2) lgkmcnt(0)
	v_mul_f64 v[76:77], v[70:71], v[72:73]
	v_mul_f64 v[72:73], v[68:69], v[72:73]
	s_waitcnt vmcnt(0)
	v_fma_f64 v[68:69], v[68:69], v[74:75], -v[76:77]
	v_fma_f64 v[70:71], v[70:71], v[74:75], v[72:73]
	v_add_f64 v[1:2], v[1:2], v[68:69]
	v_add_f64 v[3:4], v[3:4], v[70:71]
	s_andn2_b32 exec_lo, exec_lo, s8
	s_cbranch_execnz .LBB91_412
; %bb.413:
	s_or_b32 exec_lo, exec_lo, s8
.LBB91_414:
	s_or_b32 exec_lo, exec_lo, s6
	v_mov_b32_e32 v64, 0
	ds_read_b128 v[68:71], v64 offset:400
	s_waitcnt lgkmcnt(0)
	v_mul_f64 v[64:65], v[3:4], v[70:71]
	v_mul_f64 v[70:71], v[1:2], v[70:71]
	v_fma_f64 v[1:2], v[1:2], v[68:69], -v[64:65]
	v_fma_f64 v[3:4], v[3:4], v[68:69], v[70:71]
	buffer_store_dword v2, off, s[0:3], 0 offset:404
	buffer_store_dword v1, off, s[0:3], 0 offset:400
	;; [unrolled: 1-line block ×4, first 2 shown]
.LBB91_415:
	s_or_b32 exec_lo, exec_lo, s4
	v_mov_b32_e32 v4, s9
	v_cmp_gt_u32_e64 s4, 26, v0
	s_clause 0x3
	buffer_load_dword v1, v4, s[0:3], 0 offen
	buffer_load_dword v2, v4, s[0:3], 0 offen offset:4
	buffer_load_dword v3, v4, s[0:3], 0 offen offset:8
	;; [unrolled: 1-line block ×3, first 2 shown]
	s_waitcnt vmcnt(0)
	ds_write_b128 v62, v[1:4]
	s_waitcnt lgkmcnt(0)
	s_waitcnt_vscnt null, 0x0
	s_barrier
	buffer_gl0_inv
	s_and_saveexec_b32 s6, s4
	s_cbranch_execz .LBB91_423
; %bb.416:
	ds_read_b128 v[1:4], v62
	v_cmp_ne_u32_e32 vcc_lo, 1, v63
	s_cbranch_vccnz .LBB91_418
; %bb.417:
	s_clause 0x3
	buffer_load_dword v64, v61, s[0:3], 0 offen offset:8
	buffer_load_dword v65, v61, s[0:3], 0 offen offset:12
	buffer_load_dword v68, v61, s[0:3], 0 offen
	buffer_load_dword v69, v61, s[0:3], 0 offen offset:4
	s_waitcnt vmcnt(2) lgkmcnt(0)
	v_mul_f64 v[70:71], v[3:4], v[64:65]
	v_mul_f64 v[64:65], v[1:2], v[64:65]
	s_waitcnt vmcnt(0)
	v_fma_f64 v[1:2], v[1:2], v[68:69], -v[70:71]
	v_fma_f64 v[3:4], v[3:4], v[68:69], v[64:65]
.LBB91_418:
	s_mov_b32 s8, exec_lo
	v_cmpx_ne_u32_e32 25, v0
	s_cbranch_execz .LBB91_422
; %bb.419:
	v_add_nc_u32_e32 v64, 0x1d0, v67
	v_add3_u32 v65, 0, v67, 16
	v_mov_b32_e32 v66, v0
	s_mov_b32 s36, 0
	.p2align	6
.LBB91_420:                             ; =>This Inner Loop Header: Depth=1
	s_clause 0x3
	buffer_load_dword v72, v65, s[0:3], 0 offen offset:8
	buffer_load_dword v73, v65, s[0:3], 0 offen offset:12
	buffer_load_dword v74, v65, s[0:3], 0 offen
	buffer_load_dword v75, v65, s[0:3], 0 offen offset:4
	ds_read_b128 v[68:71], v64
	v_add_nc_u32_e32 v66, 1, v66
	v_add_nc_u32_e32 v64, 16, v64
	;; [unrolled: 1-line block ×3, first 2 shown]
	v_cmp_lt_u32_e32 vcc_lo, 24, v66
	s_or_b32 s36, vcc_lo, s36
	s_waitcnt vmcnt(2) lgkmcnt(0)
	v_mul_f64 v[76:77], v[70:71], v[72:73]
	v_mul_f64 v[72:73], v[68:69], v[72:73]
	s_waitcnt vmcnt(0)
	v_fma_f64 v[68:69], v[68:69], v[74:75], -v[76:77]
	v_fma_f64 v[70:71], v[70:71], v[74:75], v[72:73]
	v_add_f64 v[1:2], v[1:2], v[68:69]
	v_add_f64 v[3:4], v[3:4], v[70:71]
	s_andn2_b32 exec_lo, exec_lo, s36
	s_cbranch_execnz .LBB91_420
; %bb.421:
	s_or_b32 exec_lo, exec_lo, s36
.LBB91_422:
	s_or_b32 exec_lo, exec_lo, s8
	v_mov_b32_e32 v64, 0
	ds_read_b128 v[68:71], v64 offset:416
	s_waitcnt lgkmcnt(0)
	v_mul_f64 v[64:65], v[3:4], v[70:71]
	v_mul_f64 v[70:71], v[1:2], v[70:71]
	v_fma_f64 v[1:2], v[1:2], v[68:69], -v[64:65]
	v_fma_f64 v[3:4], v[3:4], v[68:69], v[70:71]
	buffer_store_dword v2, off, s[0:3], 0 offset:420
	buffer_store_dword v1, off, s[0:3], 0 offset:416
	;; [unrolled: 1-line block ×4, first 2 shown]
.LBB91_423:
	s_or_b32 exec_lo, exec_lo, s6
	v_mov_b32_e32 v4, s7
	s_mov_b32 s6, exec_lo
                                        ; implicit-def: $sgpr37
	s_clause 0x3
	buffer_load_dword v1, v4, s[0:3], 0 offen
	buffer_load_dword v2, v4, s[0:3], 0 offen offset:4
	buffer_load_dword v3, v4, s[0:3], 0 offen offset:8
	;; [unrolled: 1-line block ×3, first 2 shown]
	s_waitcnt vmcnt(0)
	ds_write_b128 v62, v[1:4]
	s_waitcnt lgkmcnt(0)
	s_waitcnt_vscnt null, 0x0
	s_barrier
	buffer_gl0_inv
                                        ; implicit-def: $vgpr1_vgpr2
	v_cmpx_ne_u32_e32 27, v0
	s_cbranch_execz .LBB91_431
; %bb.424:
	ds_read_b128 v[1:4], v62
	v_cmp_ne_u32_e32 vcc_lo, 1, v63
	s_cbranch_vccnz .LBB91_426
; %bb.425:
	s_clause 0x3
	buffer_load_dword v62, v61, s[0:3], 0 offen offset:8
	buffer_load_dword v63, v61, s[0:3], 0 offen offset:12
	buffer_load_dword v64, v61, s[0:3], 0 offen
	buffer_load_dword v65, v61, s[0:3], 0 offen offset:4
	s_waitcnt vmcnt(2) lgkmcnt(0)
	v_mul_f64 v[68:69], v[3:4], v[62:63]
	v_mul_f64 v[61:62], v[1:2], v[62:63]
	s_waitcnt vmcnt(0)
	v_fma_f64 v[1:2], v[1:2], v[64:65], -v[68:69]
	v_fma_f64 v[3:4], v[3:4], v[64:65], v[61:62]
.LBB91_426:
	s_and_saveexec_b32 s8, s4
	s_cbranch_execz .LBB91_430
; %bb.427:
	v_add_nc_u32_e32 v61, 0x1d0, v67
	v_add3_u32 v62, 0, v67, 16
	s_mov_b32 s4, 0
	.p2align	6
.LBB91_428:                             ; =>This Inner Loop Header: Depth=1
	s_clause 0x3
	buffer_load_dword v67, v62, s[0:3], 0 offen offset:8
	buffer_load_dword v68, v62, s[0:3], 0 offen offset:12
	buffer_load_dword v69, v62, s[0:3], 0 offen
	buffer_load_dword v70, v62, s[0:3], 0 offen offset:4
	ds_read_b128 v[63:66], v61
	v_add_nc_u32_e32 v0, 1, v0
	v_add_nc_u32_e32 v61, 16, v61
	;; [unrolled: 1-line block ×3, first 2 shown]
	v_cmp_lt_u32_e32 vcc_lo, 25, v0
	s_or_b32 s4, vcc_lo, s4
	s_waitcnt vmcnt(2) lgkmcnt(0)
	v_mul_f64 v[71:72], v[65:66], v[67:68]
	v_mul_f64 v[67:68], v[63:64], v[67:68]
	s_waitcnt vmcnt(0)
	v_fma_f64 v[63:64], v[63:64], v[69:70], -v[71:72]
	v_fma_f64 v[65:66], v[65:66], v[69:70], v[67:68]
	v_add_f64 v[1:2], v[1:2], v[63:64]
	v_add_f64 v[3:4], v[3:4], v[65:66]
	s_andn2_b32 exec_lo, exec_lo, s4
	s_cbranch_execnz .LBB91_428
; %bb.429:
	s_or_b32 exec_lo, exec_lo, s4
.LBB91_430:
	s_or_b32 exec_lo, exec_lo, s8
	v_mov_b32_e32 v0, 0
	s_movk_i32 s37, 0x1b8
	s_or_b32 s5, s5, exec_lo
	ds_read_b128 v[61:64], v0 offset:432
	s_waitcnt lgkmcnt(0)
	v_mul_f64 v[65:66], v[3:4], v[63:64]
	v_mul_f64 v[63:64], v[1:2], v[63:64]
	v_fma_f64 v[65:66], v[1:2], v[61:62], -v[65:66]
	v_fma_f64 v[1:2], v[3:4], v[61:62], v[63:64]
	buffer_store_dword v66, off, s[0:3], 0 offset:436
	buffer_store_dword v65, off, s[0:3], 0 offset:432
.LBB91_431:
	s_or_b32 exec_lo, exec_lo, s6
.LBB91_432:
	s_and_saveexec_b32 s4, s5
	s_cbranch_execz .LBB91_434
; %bb.433:
	v_mov_b32_e32 v0, s37
	buffer_store_dword v2, v0, s[0:3], 0 offen offset:4
	buffer_store_dword v1, v0, s[0:3], 0 offen
.LBB91_434:
	s_or_b32 exec_lo, exec_lo, s4
	s_clause 0x3
	buffer_load_dword v0, off, s[0:3], 0
	buffer_load_dword v1, off, s[0:3], 0 offset:4
	buffer_load_dword v2, off, s[0:3], 0 offset:8
	;; [unrolled: 1-line block ×3, first 2 shown]
	v_mov_b32_e32 v4, s35
	s_waitcnt vmcnt(0)
	flat_store_dwordx4 v[5:6], v[0:3]
	s_clause 0x3
	buffer_load_dword v0, v4, s[0:3], 0 offen
	buffer_load_dword v1, v4, s[0:3], 0 offen offset:4
	buffer_load_dword v2, v4, s[0:3], 0 offen offset:8
	buffer_load_dword v3, v4, s[0:3], 0 offen offset:12
	v_mov_b32_e32 v4, s34
	s_waitcnt vmcnt(0)
	flat_store_dwordx4 v[59:60], v[0:3]
	s_clause 0x3
	buffer_load_dword v0, v4, s[0:3], 0 offen
	buffer_load_dword v1, v4, s[0:3], 0 offen offset:4
	buffer_load_dword v2, v4, s[0:3], 0 offen offset:8
	buffer_load_dword v3, v4, s[0:3], 0 offen offset:12
	;; [unrolled: 8-line block ×27, first 2 shown]
	s_waitcnt vmcnt(0)
	flat_store_dwordx4 v[55:56], v[0:3]
.LBB91_435:
	s_endpgm
	.section	.rodata,"a",@progbits
	.p2align	6, 0x0
	.amdhsa_kernel _ZN9rocsolver6v33100L18trti2_kernel_smallILi28E19rocblas_complex_numIdEPKPS3_EEv13rocblas_fill_17rocblas_diagonal_T1_iil
		.amdhsa_group_segment_fixed_size 896
		.amdhsa_private_segment_fixed_size 464
		.amdhsa_kernarg_size 32
		.amdhsa_user_sgpr_count 6
		.amdhsa_user_sgpr_private_segment_buffer 1
		.amdhsa_user_sgpr_dispatch_ptr 0
		.amdhsa_user_sgpr_queue_ptr 0
		.amdhsa_user_sgpr_kernarg_segment_ptr 1
		.amdhsa_user_sgpr_dispatch_id 0
		.amdhsa_user_sgpr_flat_scratch_init 0
		.amdhsa_user_sgpr_private_segment_size 0
		.amdhsa_wavefront_size32 1
		.amdhsa_uses_dynamic_stack 0
		.amdhsa_system_sgpr_private_segment_wavefront_offset 1
		.amdhsa_system_sgpr_workgroup_id_x 1
		.amdhsa_system_sgpr_workgroup_id_y 0
		.amdhsa_system_sgpr_workgroup_id_z 0
		.amdhsa_system_sgpr_workgroup_info 0
		.amdhsa_system_vgpr_workitem_id 0
		.amdhsa_next_free_vgpr 78
		.amdhsa_next_free_sgpr 47
		.amdhsa_reserve_vcc 1
		.amdhsa_reserve_flat_scratch 0
		.amdhsa_float_round_mode_32 0
		.amdhsa_float_round_mode_16_64 0
		.amdhsa_float_denorm_mode_32 3
		.amdhsa_float_denorm_mode_16_64 3
		.amdhsa_dx10_clamp 1
		.amdhsa_ieee_mode 1
		.amdhsa_fp16_overflow 0
		.amdhsa_workgroup_processor_mode 1
		.amdhsa_memory_ordered 1
		.amdhsa_forward_progress 1
		.amdhsa_shared_vgpr_count 0
		.amdhsa_exception_fp_ieee_invalid_op 0
		.amdhsa_exception_fp_denorm_src 0
		.amdhsa_exception_fp_ieee_div_zero 0
		.amdhsa_exception_fp_ieee_overflow 0
		.amdhsa_exception_fp_ieee_underflow 0
		.amdhsa_exception_fp_ieee_inexact 0
		.amdhsa_exception_int_div_zero 0
	.end_amdhsa_kernel
	.section	.text._ZN9rocsolver6v33100L18trti2_kernel_smallILi28E19rocblas_complex_numIdEPKPS3_EEv13rocblas_fill_17rocblas_diagonal_T1_iil,"axG",@progbits,_ZN9rocsolver6v33100L18trti2_kernel_smallILi28E19rocblas_complex_numIdEPKPS3_EEv13rocblas_fill_17rocblas_diagonal_T1_iil,comdat
.Lfunc_end91:
	.size	_ZN9rocsolver6v33100L18trti2_kernel_smallILi28E19rocblas_complex_numIdEPKPS3_EEv13rocblas_fill_17rocblas_diagonal_T1_iil, .Lfunc_end91-_ZN9rocsolver6v33100L18trti2_kernel_smallILi28E19rocblas_complex_numIdEPKPS3_EEv13rocblas_fill_17rocblas_diagonal_T1_iil
                                        ; -- End function
	.set _ZN9rocsolver6v33100L18trti2_kernel_smallILi28E19rocblas_complex_numIdEPKPS3_EEv13rocblas_fill_17rocblas_diagonal_T1_iil.num_vgpr, 78
	.set _ZN9rocsolver6v33100L18trti2_kernel_smallILi28E19rocblas_complex_numIdEPKPS3_EEv13rocblas_fill_17rocblas_diagonal_T1_iil.num_agpr, 0
	.set _ZN9rocsolver6v33100L18trti2_kernel_smallILi28E19rocblas_complex_numIdEPKPS3_EEv13rocblas_fill_17rocblas_diagonal_T1_iil.numbered_sgpr, 47
	.set _ZN9rocsolver6v33100L18trti2_kernel_smallILi28E19rocblas_complex_numIdEPKPS3_EEv13rocblas_fill_17rocblas_diagonal_T1_iil.num_named_barrier, 0
	.set _ZN9rocsolver6v33100L18trti2_kernel_smallILi28E19rocblas_complex_numIdEPKPS3_EEv13rocblas_fill_17rocblas_diagonal_T1_iil.private_seg_size, 464
	.set _ZN9rocsolver6v33100L18trti2_kernel_smallILi28E19rocblas_complex_numIdEPKPS3_EEv13rocblas_fill_17rocblas_diagonal_T1_iil.uses_vcc, 1
	.set _ZN9rocsolver6v33100L18trti2_kernel_smallILi28E19rocblas_complex_numIdEPKPS3_EEv13rocblas_fill_17rocblas_diagonal_T1_iil.uses_flat_scratch, 0
	.set _ZN9rocsolver6v33100L18trti2_kernel_smallILi28E19rocblas_complex_numIdEPKPS3_EEv13rocblas_fill_17rocblas_diagonal_T1_iil.has_dyn_sized_stack, 0
	.set _ZN9rocsolver6v33100L18trti2_kernel_smallILi28E19rocblas_complex_numIdEPKPS3_EEv13rocblas_fill_17rocblas_diagonal_T1_iil.has_recursion, 0
	.set _ZN9rocsolver6v33100L18trti2_kernel_smallILi28E19rocblas_complex_numIdEPKPS3_EEv13rocblas_fill_17rocblas_diagonal_T1_iil.has_indirect_call, 0
	.section	.AMDGPU.csdata,"",@progbits
; Kernel info:
; codeLenInByte = 28196
; TotalNumSgprs: 49
; NumVgprs: 78
; ScratchSize: 464
; MemoryBound: 0
; FloatMode: 240
; IeeeMode: 1
; LDSByteSize: 896 bytes/workgroup (compile time only)
; SGPRBlocks: 0
; VGPRBlocks: 9
; NumSGPRsForWavesPerEU: 49
; NumVGPRsForWavesPerEU: 78
; Occupancy: 12
; WaveLimiterHint : 1
; COMPUTE_PGM_RSRC2:SCRATCH_EN: 1
; COMPUTE_PGM_RSRC2:USER_SGPR: 6
; COMPUTE_PGM_RSRC2:TRAP_HANDLER: 0
; COMPUTE_PGM_RSRC2:TGID_X_EN: 1
; COMPUTE_PGM_RSRC2:TGID_Y_EN: 0
; COMPUTE_PGM_RSRC2:TGID_Z_EN: 0
; COMPUTE_PGM_RSRC2:TIDIG_COMP_CNT: 0
	.section	.text._ZN9rocsolver6v33100L18trti2_kernel_smallILi29E19rocblas_complex_numIdEPKPS3_EEv13rocblas_fill_17rocblas_diagonal_T1_iil,"axG",@progbits,_ZN9rocsolver6v33100L18trti2_kernel_smallILi29E19rocblas_complex_numIdEPKPS3_EEv13rocblas_fill_17rocblas_diagonal_T1_iil,comdat
	.globl	_ZN9rocsolver6v33100L18trti2_kernel_smallILi29E19rocblas_complex_numIdEPKPS3_EEv13rocblas_fill_17rocblas_diagonal_T1_iil ; -- Begin function _ZN9rocsolver6v33100L18trti2_kernel_smallILi29E19rocblas_complex_numIdEPKPS3_EEv13rocblas_fill_17rocblas_diagonal_T1_iil
	.p2align	8
	.type	_ZN9rocsolver6v33100L18trti2_kernel_smallILi29E19rocblas_complex_numIdEPKPS3_EEv13rocblas_fill_17rocblas_diagonal_T1_iil,@function
_ZN9rocsolver6v33100L18trti2_kernel_smallILi29E19rocblas_complex_numIdEPKPS3_EEv13rocblas_fill_17rocblas_diagonal_T1_iil: ; @_ZN9rocsolver6v33100L18trti2_kernel_smallILi29E19rocblas_complex_numIdEPKPS3_EEv13rocblas_fill_17rocblas_diagonal_T1_iil
; %bb.0:
	s_add_u32 s0, s0, s7
	s_addc_u32 s1, s1, 0
	s_mov_b32 s7, exec_lo
	v_cmpx_gt_u32_e32 29, v0
	s_cbranch_execz .LBB92_451
; %bb.1:
	s_clause 0x1
	s_load_dwordx2 s[12:13], s[4:5], 0x10
	s_load_dwordx4 s[8:11], s[4:5], 0x0
	s_ashr_i32 s7, s6, 31
	v_lshlrev_b32_e32 v69, 4, v0
	s_lshl_b64 s[4:5], s[6:7], 3
	s_movk_i32 s14, 0xd0
	s_movk_i32 s15, 0xe0
	;; [unrolled: 1-line block ×15, first 2 shown]
	s_waitcnt lgkmcnt(0)
	s_ashr_i32 s7, s12, 31
	s_add_u32 s4, s10, s4
	s_addc_u32 s5, s11, s5
	s_mov_b32 s6, s12
	s_load_dwordx2 s[4:5], s[4:5], 0x0
	s_lshl_b64 s[6:7], s[6:7], 4
	v_add3_u32 v7, s13, s13, v0
	s_movk_i32 s10, 0x90
	s_movk_i32 s11, 0xa0
	;; [unrolled: 1-line block ×4, first 2 shown]
	v_ashrrev_i32_e32 v8, 31, v7
	v_lshlrev_b64 v[8:9], 4, v[7:8]
	v_add_nc_u32_e32 v7, s13, v7
	s_waitcnt lgkmcnt(0)
	s_add_u32 s6, s4, s6
	s_addc_u32 s7, s5, s7
	v_add_co_u32 v5, s4, s6, v69
	v_add_co_ci_u32_e64 v6, null, s7, 0, s4
	s_mov_b32 s4, s13
	s_ashr_i32 s5, s13, 31
	s_lshl_b64 s[4:5], s[4:5], 4
	flat_load_dwordx4 v[1:4], v[5:6]
	v_add_co_u32 v59, vcc_lo, v5, s4
	v_add_co_ci_u32_e64 v60, null, s5, v6, vcc_lo
	v_add_co_u32 v57, vcc_lo, s6, v8
	v_add_co_ci_u32_e64 v58, null, s7, v9, vcc_lo
	v_ashrrev_i32_e32 v8, 31, v7
	s_cmpk_lg_i32 s9, 0x84
	s_movk_i32 s4, 0x50
	s_movk_i32 s5, 0x60
	s_cselect_b32 s36, -1, 0
	v_lshlrev_b64 v[8:9], 4, v[7:8]
	v_add_nc_u32_e32 v7, s13, v7
	s_cmpk_eq_i32 s9, 0x84
	s_waitcnt vmcnt(0) lgkmcnt(0)
	buffer_store_dword v4, off, s[0:3], 0 offset:12
	buffer_store_dword v3, off, s[0:3], 0 offset:8
	;; [unrolled: 1-line block ×3, first 2 shown]
	buffer_store_dword v1, off, s[0:3], 0
	flat_load_dwordx4 v[1:4], v[59:60]
	v_add_co_u32 v55, vcc_lo, s6, v8
	v_add_co_ci_u32_e64 v56, null, s7, v9, vcc_lo
	v_ashrrev_i32_e32 v8, 31, v7
	s_waitcnt vmcnt(0) lgkmcnt(0)
	buffer_store_dword v4, off, s[0:3], 0 offset:28
	buffer_store_dword v3, off, s[0:3], 0 offset:24
	;; [unrolled: 1-line block ×4, first 2 shown]
	flat_load_dwordx4 v[1:4], v[57:58]
	v_lshlrev_b64 v[8:9], 4, v[7:8]
	v_add_nc_u32_e32 v7, s13, v7
	s_waitcnt vmcnt(0) lgkmcnt(0)
	buffer_store_dword v4, off, s[0:3], 0 offset:44
	buffer_store_dword v3, off, s[0:3], 0 offset:40
	;; [unrolled: 1-line block ×4, first 2 shown]
	flat_load_dwordx4 v[1:4], v[55:56]
	v_add_co_u32 v53, vcc_lo, s6, v8
	v_add_co_ci_u32_e64 v54, null, s7, v9, vcc_lo
	v_ashrrev_i32_e32 v8, 31, v7
	s_waitcnt vmcnt(0) lgkmcnt(0)
	buffer_store_dword v4, off, s[0:3], 0 offset:60
	buffer_store_dword v3, off, s[0:3], 0 offset:56
	;; [unrolled: 1-line block ×4, first 2 shown]
	flat_load_dwordx4 v[1:4], v[53:54]
	v_lshlrev_b64 v[8:9], 4, v[7:8]
	v_add_nc_u32_e32 v7, s13, v7
	s_waitcnt vmcnt(0) lgkmcnt(0)
	buffer_store_dword v4, off, s[0:3], 0 offset:76
	buffer_store_dword v3, off, s[0:3], 0 offset:72
	;; [unrolled: 1-line block ×4, first 2 shown]
	v_add_co_u32 v49, vcc_lo, s6, v8
	v_add_co_ci_u32_e64 v50, null, s7, v9, vcc_lo
	v_ashrrev_i32_e32 v8, 31, v7
	flat_load_dwordx4 v[1:4], v[49:50]
	s_waitcnt vmcnt(0) lgkmcnt(0)
	buffer_store_dword v4, off, s[0:3], 0 offset:92
	buffer_store_dword v3, off, s[0:3], 0 offset:88
	buffer_store_dword v2, off, s[0:3], 0 offset:84
	buffer_store_dword v1, off, s[0:3], 0 offset:80
	v_lshlrev_b64 v[8:9], 4, v[7:8]
	v_add_nc_u32_e32 v7, s13, v7
	v_add_co_u32 v47, vcc_lo, s6, v8
	v_add_co_ci_u32_e64 v48, null, s7, v9, vcc_lo
	v_ashrrev_i32_e32 v8, 31, v7
	flat_load_dwordx4 v[1:4], v[47:48]
	s_waitcnt vmcnt(0) lgkmcnt(0)
	buffer_store_dword v4, off, s[0:3], 0 offset:108
	buffer_store_dword v3, off, s[0:3], 0 offset:104
	buffer_store_dword v2, off, s[0:3], 0 offset:100
	buffer_store_dword v1, off, s[0:3], 0 offset:96
	v_lshlrev_b64 v[8:9], 4, v[7:8]
	v_add_nc_u32_e32 v7, s13, v7
	v_add_co_u32 v45, vcc_lo, s6, v8
	v_add_co_ci_u32_e64 v46, null, s7, v9, vcc_lo
	v_ashrrev_i32_e32 v8, 31, v7
	flat_load_dwordx4 v[1:4], v[45:46]
	s_waitcnt vmcnt(0) lgkmcnt(0)
	buffer_store_dword v4, off, s[0:3], 0 offset:124
	buffer_store_dword v3, off, s[0:3], 0 offset:120
	buffer_store_dword v2, off, s[0:3], 0 offset:116
	buffer_store_dword v1, off, s[0:3], 0 offset:112
	v_lshlrev_b64 v[8:9], 4, v[7:8]
	v_add_nc_u32_e32 v7, s13, v7
	v_add_co_u32 v43, vcc_lo, s6, v8
	v_add_co_ci_u32_e64 v44, null, s7, v9, vcc_lo
	v_ashrrev_i32_e32 v8, 31, v7
	flat_load_dwordx4 v[1:4], v[43:44]
	s_waitcnt vmcnt(0) lgkmcnt(0)
	buffer_store_dword v4, off, s[0:3], 0 offset:140
	buffer_store_dword v3, off, s[0:3], 0 offset:136
	buffer_store_dword v2, off, s[0:3], 0 offset:132
	buffer_store_dword v1, off, s[0:3], 0 offset:128
	v_lshlrev_b64 v[8:9], 4, v[7:8]
	v_add_nc_u32_e32 v7, s13, v7
	v_add_co_u32 v41, vcc_lo, s6, v8
	v_add_co_ci_u32_e64 v42, null, s7, v9, vcc_lo
	v_ashrrev_i32_e32 v8, 31, v7
	flat_load_dwordx4 v[1:4], v[41:42]
	s_waitcnt vmcnt(0) lgkmcnt(0)
	buffer_store_dword v4, off, s[0:3], 0 offset:156
	buffer_store_dword v3, off, s[0:3], 0 offset:152
	buffer_store_dword v2, off, s[0:3], 0 offset:148
	buffer_store_dword v1, off, s[0:3], 0 offset:144
	v_lshlrev_b64 v[8:9], 4, v[7:8]
	v_add_nc_u32_e32 v7, s13, v7
	v_add_co_u32 v39, vcc_lo, s6, v8
	v_add_co_ci_u32_e64 v40, null, s7, v9, vcc_lo
	v_ashrrev_i32_e32 v8, 31, v7
	flat_load_dwordx4 v[1:4], v[39:40]
	s_waitcnt vmcnt(0) lgkmcnt(0)
	buffer_store_dword v4, off, s[0:3], 0 offset:172
	buffer_store_dword v3, off, s[0:3], 0 offset:168
	buffer_store_dword v2, off, s[0:3], 0 offset:164
	buffer_store_dword v1, off, s[0:3], 0 offset:160
	v_lshlrev_b64 v[8:9], 4, v[7:8]
	v_add_nc_u32_e32 v7, s13, v7
	v_add_co_u32 v37, vcc_lo, s6, v8
	v_add_co_ci_u32_e64 v38, null, s7, v9, vcc_lo
	v_ashrrev_i32_e32 v8, 31, v7
	flat_load_dwordx4 v[1:4], v[37:38]
	s_waitcnt vmcnt(0) lgkmcnt(0)
	buffer_store_dword v4, off, s[0:3], 0 offset:188
	buffer_store_dword v3, off, s[0:3], 0 offset:184
	buffer_store_dword v2, off, s[0:3], 0 offset:180
	buffer_store_dword v1, off, s[0:3], 0 offset:176
	v_lshlrev_b64 v[8:9], 4, v[7:8]
	v_add_nc_u32_e32 v7, s13, v7
	v_add_co_u32 v35, vcc_lo, s6, v8
	v_add_co_ci_u32_e64 v36, null, s7, v9, vcc_lo
	v_ashrrev_i32_e32 v8, 31, v7
	flat_load_dwordx4 v[1:4], v[35:36]
	s_waitcnt vmcnt(0) lgkmcnt(0)
	buffer_store_dword v4, off, s[0:3], 0 offset:204
	buffer_store_dword v3, off, s[0:3], 0 offset:200
	buffer_store_dword v2, off, s[0:3], 0 offset:196
	buffer_store_dword v1, off, s[0:3], 0 offset:192
	v_lshlrev_b64 v[8:9], 4, v[7:8]
	v_add_nc_u32_e32 v7, s13, v7
	v_add_co_u32 v31, vcc_lo, s6, v8
	v_add_co_ci_u32_e64 v32, null, s7, v9, vcc_lo
	v_ashrrev_i32_e32 v8, 31, v7
	flat_load_dwordx4 v[1:4], v[31:32]
	s_waitcnt vmcnt(0) lgkmcnt(0)
	buffer_store_dword v4, off, s[0:3], 0 offset:220
	buffer_store_dword v3, off, s[0:3], 0 offset:216
	buffer_store_dword v2, off, s[0:3], 0 offset:212
	buffer_store_dword v1, off, s[0:3], 0 offset:208
	v_lshlrev_b64 v[8:9], 4, v[7:8]
	v_add_nc_u32_e32 v7, s13, v7
	v_add_co_u32 v29, vcc_lo, s6, v8
	v_add_co_ci_u32_e64 v30, null, s7, v9, vcc_lo
	v_ashrrev_i32_e32 v8, 31, v7
	flat_load_dwordx4 v[1:4], v[29:30]
	s_waitcnt vmcnt(0) lgkmcnt(0)
	buffer_store_dword v4, off, s[0:3], 0 offset:236
	buffer_store_dword v3, off, s[0:3], 0 offset:232
	buffer_store_dword v2, off, s[0:3], 0 offset:228
	buffer_store_dword v1, off, s[0:3], 0 offset:224
	v_lshlrev_b64 v[8:9], 4, v[7:8]
	v_add_nc_u32_e32 v7, s13, v7
	v_add_co_u32 v27, vcc_lo, s6, v8
	v_add_co_ci_u32_e64 v28, null, s7, v9, vcc_lo
	v_ashrrev_i32_e32 v8, 31, v7
	flat_load_dwordx4 v[1:4], v[27:28]
	s_waitcnt vmcnt(0) lgkmcnt(0)
	buffer_store_dword v4, off, s[0:3], 0 offset:252
	buffer_store_dword v3, off, s[0:3], 0 offset:248
	buffer_store_dword v2, off, s[0:3], 0 offset:244
	buffer_store_dword v1, off, s[0:3], 0 offset:240
	v_lshlrev_b64 v[8:9], 4, v[7:8]
	v_add_nc_u32_e32 v7, s13, v7
	v_add_co_u32 v25, vcc_lo, s6, v8
	v_add_co_ci_u32_e64 v26, null, s7, v9, vcc_lo
	v_ashrrev_i32_e32 v8, 31, v7
	flat_load_dwordx4 v[1:4], v[25:26]
	s_waitcnt vmcnt(0) lgkmcnt(0)
	buffer_store_dword v4, off, s[0:3], 0 offset:268
	buffer_store_dword v3, off, s[0:3], 0 offset:264
	buffer_store_dword v2, off, s[0:3], 0 offset:260
	buffer_store_dword v1, off, s[0:3], 0 offset:256
	v_lshlrev_b64 v[8:9], 4, v[7:8]
	v_add_nc_u32_e32 v7, s13, v7
	v_add_co_u32 v23, vcc_lo, s6, v8
	v_add_co_ci_u32_e64 v24, null, s7, v9, vcc_lo
	v_ashrrev_i32_e32 v8, 31, v7
	flat_load_dwordx4 v[1:4], v[23:24]
	s_waitcnt vmcnt(0) lgkmcnt(0)
	buffer_store_dword v4, off, s[0:3], 0 offset:284
	buffer_store_dword v3, off, s[0:3], 0 offset:280
	buffer_store_dword v2, off, s[0:3], 0 offset:276
	buffer_store_dword v1, off, s[0:3], 0 offset:272
	v_lshlrev_b64 v[8:9], 4, v[7:8]
	v_add_nc_u32_e32 v7, s13, v7
	v_add_co_u32 v21, vcc_lo, s6, v8
	v_add_co_ci_u32_e64 v22, null, s7, v9, vcc_lo
	v_ashrrev_i32_e32 v8, 31, v7
	flat_load_dwordx4 v[1:4], v[21:22]
	s_waitcnt vmcnt(0) lgkmcnt(0)
	buffer_store_dword v4, off, s[0:3], 0 offset:300
	buffer_store_dword v3, off, s[0:3], 0 offset:296
	buffer_store_dword v2, off, s[0:3], 0 offset:292
	buffer_store_dword v1, off, s[0:3], 0 offset:288
	v_lshlrev_b64 v[8:9], 4, v[7:8]
	v_add_nc_u32_e32 v7, s13, v7
	v_add_co_u32 v19, vcc_lo, s6, v8
	v_add_co_ci_u32_e64 v20, null, s7, v9, vcc_lo
	v_ashrrev_i32_e32 v8, 31, v7
	flat_load_dwordx4 v[1:4], v[19:20]
	s_waitcnt vmcnt(0) lgkmcnt(0)
	buffer_store_dword v4, off, s[0:3], 0 offset:316
	buffer_store_dword v3, off, s[0:3], 0 offset:312
	buffer_store_dword v2, off, s[0:3], 0 offset:308
	buffer_store_dword v1, off, s[0:3], 0 offset:304
	v_lshlrev_b64 v[8:9], 4, v[7:8]
	v_add_nc_u32_e32 v7, s13, v7
	v_add_co_u32 v17, vcc_lo, s6, v8
	v_add_co_ci_u32_e64 v18, null, s7, v9, vcc_lo
	v_ashrrev_i32_e32 v8, 31, v7
	flat_load_dwordx4 v[1:4], v[17:18]
	s_waitcnt vmcnt(0) lgkmcnt(0)
	buffer_store_dword v4, off, s[0:3], 0 offset:332
	buffer_store_dword v3, off, s[0:3], 0 offset:328
	buffer_store_dword v2, off, s[0:3], 0 offset:324
	buffer_store_dword v1, off, s[0:3], 0 offset:320
	v_lshlrev_b64 v[8:9], 4, v[7:8]
	v_add_nc_u32_e32 v7, s13, v7
	v_add_co_u32 v15, vcc_lo, s6, v8
	v_add_co_ci_u32_e64 v16, null, s7, v9, vcc_lo
	v_ashrrev_i32_e32 v8, 31, v7
	flat_load_dwordx4 v[1:4], v[15:16]
	s_waitcnt vmcnt(0) lgkmcnt(0)
	buffer_store_dword v4, off, s[0:3], 0 offset:348
	buffer_store_dword v3, off, s[0:3], 0 offset:344
	buffer_store_dword v2, off, s[0:3], 0 offset:340
	buffer_store_dword v1, off, s[0:3], 0 offset:336
	v_lshlrev_b64 v[8:9], 4, v[7:8]
	v_add_nc_u32_e32 v7, s13, v7
	v_add_co_u32 v13, vcc_lo, s6, v8
	v_add_co_ci_u32_e64 v14, null, s7, v9, vcc_lo
	v_ashrrev_i32_e32 v8, 31, v7
	flat_load_dwordx4 v[1:4], v[13:14]
	s_waitcnt vmcnt(0) lgkmcnt(0)
	buffer_store_dword v4, off, s[0:3], 0 offset:364
	buffer_store_dword v3, off, s[0:3], 0 offset:360
	buffer_store_dword v2, off, s[0:3], 0 offset:356
	buffer_store_dword v1, off, s[0:3], 0 offset:352
	v_lshlrev_b64 v[8:9], 4, v[7:8]
	v_add_nc_u32_e32 v7, s13, v7
	v_add_co_u32 v11, vcc_lo, s6, v8
	v_add_co_ci_u32_e64 v12, null, s7, v9, vcc_lo
	v_ashrrev_i32_e32 v8, 31, v7
	v_add_nc_u32_e32 v33, s13, v7
	flat_load_dwordx4 v[1:4], v[11:12]
	s_waitcnt vmcnt(0) lgkmcnt(0)
	buffer_store_dword v4, off, s[0:3], 0 offset:380
	buffer_store_dword v3, off, s[0:3], 0 offset:376
	;; [unrolled: 1-line block ×4, first 2 shown]
	v_lshlrev_b64 v[9:10], 4, v[7:8]
	v_ashrrev_i32_e32 v34, 31, v33
	v_add_nc_u32_e32 v51, s13, v33
	v_add_co_u32 v9, vcc_lo, s6, v9
	v_add_co_ci_u32_e64 v10, null, s7, v10, vcc_lo
	v_lshlrev_b64 v[7:8], 4, v[33:34]
	v_ashrrev_i32_e32 v52, 31, v51
	v_add_nc_u32_e32 v61, s13, v51
	flat_load_dwordx4 v[1:4], v[9:10]
	s_waitcnt vmcnt(0) lgkmcnt(0)
	buffer_store_dword v4, off, s[0:3], 0 offset:396
	buffer_store_dword v3, off, s[0:3], 0 offset:392
	;; [unrolled: 1-line block ×4, first 2 shown]
	v_add_co_u32 v7, vcc_lo, s6, v7
	v_add_co_ci_u32_e64 v8, null, s7, v8, vcc_lo
	v_lshlrev_b64 v[33:34], 4, v[51:52]
	v_ashrrev_i32_e32 v62, 31, v61
	flat_load_dwordx4 v[1:4], v[7:8]
	s_waitcnt vmcnt(0) lgkmcnt(0)
	buffer_store_dword v4, off, s[0:3], 0 offset:412
	buffer_store_dword v3, off, s[0:3], 0 offset:408
	;; [unrolled: 1-line block ×4, first 2 shown]
	v_add_co_u32 v33, vcc_lo, s6, v33
	v_add_co_ci_u32_e64 v34, null, s7, v34, vcc_lo
	v_lshlrev_b64 v[51:52], 4, v[61:62]
	v_add_nc_u32_e32 v61, s13, v61
	s_movk_i32 s13, 0xc0
	flat_load_dwordx4 v[1:4], v[33:34]
	s_waitcnt vmcnt(0) lgkmcnt(0)
	buffer_store_dword v4, off, s[0:3], 0 offset:428
	buffer_store_dword v3, off, s[0:3], 0 offset:424
	;; [unrolled: 1-line block ×4, first 2 shown]
	v_add_co_u32 v51, vcc_lo, s6, v51
	v_add_co_ci_u32_e64 v52, null, s7, v52, vcc_lo
	v_ashrrev_i32_e32 v62, 31, v61
	flat_load_dwordx4 v[1:4], v[51:52]
	s_waitcnt vmcnt(0) lgkmcnt(0)
	buffer_store_dword v4, off, s[0:3], 0 offset:444
	buffer_store_dword v3, off, s[0:3], 0 offset:440
	;; [unrolled: 1-line block ×4, first 2 shown]
	v_lshlrev_b64 v[61:62], 4, v[61:62]
	v_add_co_u32 v61, vcc_lo, s6, v61
	v_add_co_ci_u32_e64 v62, null, s7, v62, vcc_lo
	s_movk_i32 s6, 0x70
	s_movk_i32 s7, 0x80
	flat_load_dwordx4 v[1:4], v[61:62]
	s_waitcnt vmcnt(0) lgkmcnt(0)
	buffer_store_dword v4, off, s[0:3], 0 offset:460
	buffer_store_dword v3, off, s[0:3], 0 offset:456
	;; [unrolled: 1-line block ×4, first 2 shown]
	s_cbranch_scc1 .LBB92_7
; %bb.2:
	v_lshl_add_u32 v70, v0, 4, 0
                                        ; implicit-def: $vgpr65_vgpr66
                                        ; implicit-def: $vgpr3_vgpr4
	s_clause 0x3
	buffer_load_dword v63, v70, s[0:3], 0 offen
	buffer_load_dword v64, v70, s[0:3], 0 offen offset:4
	buffer_load_dword v67, v70, s[0:3], 0 offen offset:8
	;; [unrolled: 1-line block ×3, first 2 shown]
	s_waitcnt vmcnt(0)
	v_cmp_ngt_f64_e64 s9, |v[63:64]|, |v[67:68]|
	s_and_saveexec_b32 s19, s9
	s_xor_b32 s9, exec_lo, s19
	s_cbranch_execz .LBB92_4
; %bb.3:
	v_div_scale_f64 v[1:2], null, v[67:68], v[67:68], v[63:64]
	v_div_scale_f64 v[71:72], vcc_lo, v[63:64], v[67:68], v[63:64]
	v_rcp_f64_e32 v[3:4], v[1:2]
	v_fma_f64 v[65:66], -v[1:2], v[3:4], 1.0
	v_fma_f64 v[3:4], v[3:4], v[65:66], v[3:4]
	v_fma_f64 v[65:66], -v[1:2], v[3:4], 1.0
	v_fma_f64 v[3:4], v[3:4], v[65:66], v[3:4]
	v_mul_f64 v[65:66], v[71:72], v[3:4]
	v_fma_f64 v[1:2], -v[1:2], v[65:66], v[71:72]
	v_div_fmas_f64 v[1:2], v[1:2], v[3:4], v[65:66]
	v_div_fixup_f64 v[1:2], v[1:2], v[67:68], v[63:64]
	v_fma_f64 v[3:4], v[63:64], v[1:2], v[67:68]
	v_div_scale_f64 v[63:64], null, v[3:4], v[3:4], 1.0
	v_div_scale_f64 v[71:72], vcc_lo, 1.0, v[3:4], 1.0
	v_rcp_f64_e32 v[65:66], v[63:64]
	v_fma_f64 v[67:68], -v[63:64], v[65:66], 1.0
	v_fma_f64 v[65:66], v[65:66], v[67:68], v[65:66]
	v_fma_f64 v[67:68], -v[63:64], v[65:66], 1.0
	v_fma_f64 v[65:66], v[65:66], v[67:68], v[65:66]
	v_mul_f64 v[67:68], v[71:72], v[65:66]
	v_fma_f64 v[63:64], -v[63:64], v[67:68], v[71:72]
	v_div_fmas_f64 v[63:64], v[63:64], v[65:66], v[67:68]
                                        ; implicit-def: $vgpr67_vgpr68
	v_div_fixup_f64 v[3:4], v[63:64], v[3:4], 1.0
                                        ; implicit-def: $vgpr63_vgpr64
	v_mul_f64 v[65:66], v[1:2], v[3:4]
	v_xor_b32_e32 v4, 0x80000000, v4
	v_xor_b32_e32 v2, 0x80000000, v66
	v_mov_b32_e32 v1, v65
.LBB92_4:
	s_andn2_saveexec_b32 s9, s9
	s_cbranch_execz .LBB92_6
; %bb.5:
	v_div_scale_f64 v[1:2], null, v[63:64], v[63:64], v[67:68]
	v_div_scale_f64 v[71:72], vcc_lo, v[67:68], v[63:64], v[67:68]
	v_rcp_f64_e32 v[3:4], v[1:2]
	v_fma_f64 v[65:66], -v[1:2], v[3:4], 1.0
	v_fma_f64 v[3:4], v[3:4], v[65:66], v[3:4]
	v_fma_f64 v[65:66], -v[1:2], v[3:4], 1.0
	v_fma_f64 v[3:4], v[3:4], v[65:66], v[3:4]
	v_mul_f64 v[65:66], v[71:72], v[3:4]
	v_fma_f64 v[1:2], -v[1:2], v[65:66], v[71:72]
	v_div_fmas_f64 v[1:2], v[1:2], v[3:4], v[65:66]
	v_div_fixup_f64 v[1:2], v[1:2], v[63:64], v[67:68]
	v_fma_f64 v[3:4], v[67:68], v[1:2], v[63:64]
	v_div_scale_f64 v[63:64], null, v[3:4], v[3:4], 1.0
	v_rcp_f64_e32 v[65:66], v[63:64]
	v_fma_f64 v[67:68], -v[63:64], v[65:66], 1.0
	v_fma_f64 v[65:66], v[65:66], v[67:68], v[65:66]
	v_fma_f64 v[67:68], -v[63:64], v[65:66], 1.0
	v_fma_f64 v[65:66], v[65:66], v[67:68], v[65:66]
	v_div_scale_f64 v[67:68], vcc_lo, 1.0, v[3:4], 1.0
	v_mul_f64 v[71:72], v[67:68], v[65:66]
	v_fma_f64 v[63:64], -v[63:64], v[71:72], v[67:68]
	v_div_fmas_f64 v[63:64], v[63:64], v[65:66], v[71:72]
	v_div_fixup_f64 v[65:66], v[63:64], v[3:4], 1.0
	v_mul_f64 v[3:4], v[1:2], -v[65:66]
	v_xor_b32_e32 v2, 0x80000000, v66
	v_mov_b32_e32 v1, v65
.LBB92_6:
	s_or_b32 exec_lo, exec_lo, s9
	buffer_store_dword v4, v70, s[0:3], 0 offen offset:12
	v_xor_b32_e32 v4, 0x80000000, v4
	buffer_store_dword v66, v70, s[0:3], 0 offen offset:4
	buffer_store_dword v65, v70, s[0:3], 0 offen
	buffer_store_dword v3, v70, s[0:3], 0 offen offset:8
	s_branch .LBB92_8
.LBB92_7:
	v_mov_b32_e32 v1, 0
	v_mov_b32_e32 v3, 0
	;; [unrolled: 1-line block ×4, first 2 shown]
.LBB92_8:
	v_add_nc_u32_e32 v64, 0x1d0, v69
	v_mov_b32_e32 v63, v69
	s_mov_b32 s35, 16
	s_mov_b32 s34, 32
	;; [unrolled: 1-line block ×27, first 2 shown]
	s_cmpk_eq_i32 s8, 0x79
	ds_write_b128 v69, v[1:4]
	s_cbranch_scc1 .LBB92_228
; %bb.9:
	v_mov_b32_e32 v4, s7
	v_cmp_eq_u32_e64 s4, 28, v0
	s_clause 0x3
	buffer_load_dword v1, v4, s[0:3], 0 offen
	buffer_load_dword v2, v4, s[0:3], 0 offen offset:4
	buffer_load_dword v3, v4, s[0:3], 0 offen offset:8
	;; [unrolled: 1-line block ×3, first 2 shown]
	s_waitcnt vmcnt(0)
	ds_write_b128 v64, v[1:4]
	s_waitcnt lgkmcnt(0)
	s_waitcnt_vscnt null, 0x0
	s_barrier
	buffer_gl0_inv
	s_and_saveexec_b32 s5, s4
	s_cbranch_execz .LBB92_13
; %bb.10:
	ds_read_b128 v[1:4], v64
	s_andn2_b32 vcc_lo, exec_lo, s36
	s_cbranch_vccnz .LBB92_12
; %bb.11:
	s_clause 0x3
	buffer_load_dword v65, v63, s[0:3], 0 offen offset:8
	buffer_load_dword v66, v63, s[0:3], 0 offen offset:12
	buffer_load_dword v67, v63, s[0:3], 0 offen
	buffer_load_dword v68, v63, s[0:3], 0 offen offset:4
	s_waitcnt vmcnt(2) lgkmcnt(0)
	v_mul_f64 v[70:71], v[3:4], v[65:66]
	v_mul_f64 v[65:66], v[1:2], v[65:66]
	s_waitcnt vmcnt(0)
	v_fma_f64 v[1:2], v[1:2], v[67:68], -v[70:71]
	v_fma_f64 v[3:4], v[3:4], v[67:68], v[65:66]
.LBB92_12:
	v_mov_b32_e32 v65, 0
	ds_read_b128 v[65:68], v65 offset:432
	s_waitcnt lgkmcnt(0)
	v_mul_f64 v[70:71], v[3:4], v[67:68]
	v_mul_f64 v[67:68], v[1:2], v[67:68]
	v_fma_f64 v[1:2], v[1:2], v[65:66], -v[70:71]
	v_fma_f64 v[3:4], v[3:4], v[65:66], v[67:68]
	buffer_store_dword v2, off, s[0:3], 0 offset:436
	buffer_store_dword v1, off, s[0:3], 0 offset:432
	;; [unrolled: 1-line block ×4, first 2 shown]
.LBB92_13:
	s_or_b32 exec_lo, exec_lo, s5
	v_mov_b32_e32 v4, s9
	v_cmp_lt_u32_e64 s5, 26, v0
	s_clause 0x3
	buffer_load_dword v1, v4, s[0:3], 0 offen
	buffer_load_dword v2, v4, s[0:3], 0 offen offset:4
	buffer_load_dword v3, v4, s[0:3], 0 offen offset:8
	;; [unrolled: 1-line block ×3, first 2 shown]
	s_waitcnt vmcnt(0)
	ds_write_b128 v64, v[1:4]
	s_waitcnt lgkmcnt(0)
	s_waitcnt_vscnt null, 0x0
	s_barrier
	buffer_gl0_inv
	s_and_saveexec_b32 s8, s5
	s_cbranch_execz .LBB92_19
; %bb.14:
	ds_read_b128 v[1:4], v64
	s_andn2_b32 vcc_lo, exec_lo, s36
	s_cbranch_vccnz .LBB92_16
; %bb.15:
	s_clause 0x3
	buffer_load_dword v65, v63, s[0:3], 0 offen offset:8
	buffer_load_dword v66, v63, s[0:3], 0 offen offset:12
	buffer_load_dword v67, v63, s[0:3], 0 offen
	buffer_load_dword v68, v63, s[0:3], 0 offen offset:4
	s_waitcnt vmcnt(2) lgkmcnt(0)
	v_mul_f64 v[70:71], v[3:4], v[65:66]
	v_mul_f64 v[65:66], v[1:2], v[65:66]
	s_waitcnt vmcnt(0)
	v_fma_f64 v[1:2], v[1:2], v[67:68], -v[70:71]
	v_fma_f64 v[3:4], v[3:4], v[67:68], v[65:66]
.LBB92_16:
	s_and_saveexec_b32 s37, s4
	s_cbranch_execz .LBB92_18
; %bb.17:
	s_clause 0x3
	buffer_load_dword v70, off, s[0:3], 0 offset:440
	buffer_load_dword v71, off, s[0:3], 0 offset:444
	;; [unrolled: 1-line block ×4, first 2 shown]
	v_mov_b32_e32 v65, 0
	ds_read_b128 v[65:68], v65 offset:896
	s_waitcnt vmcnt(2) lgkmcnt(0)
	v_mul_f64 v[74:75], v[65:66], v[70:71]
	v_mul_f64 v[70:71], v[67:68], v[70:71]
	s_waitcnt vmcnt(0)
	v_fma_f64 v[67:68], v[67:68], v[72:73], v[74:75]
	v_fma_f64 v[65:66], v[65:66], v[72:73], -v[70:71]
	v_add_f64 v[3:4], v[3:4], v[67:68]
	v_add_f64 v[1:2], v[1:2], v[65:66]
.LBB92_18:
	s_or_b32 exec_lo, exec_lo, s37
	v_mov_b32_e32 v65, 0
	ds_read_b128 v[65:68], v65 offset:416
	s_waitcnt lgkmcnt(0)
	v_mul_f64 v[70:71], v[3:4], v[67:68]
	v_mul_f64 v[67:68], v[1:2], v[67:68]
	v_fma_f64 v[1:2], v[1:2], v[65:66], -v[70:71]
	v_fma_f64 v[3:4], v[3:4], v[65:66], v[67:68]
	buffer_store_dword v2, off, s[0:3], 0 offset:420
	buffer_store_dword v1, off, s[0:3], 0 offset:416
	;; [unrolled: 1-line block ×4, first 2 shown]
.LBB92_19:
	s_or_b32 exec_lo, exec_lo, s8
	v_mov_b32_e32 v4, s10
	v_cmp_lt_u32_e64 s4, 25, v0
	s_clause 0x3
	buffer_load_dword v1, v4, s[0:3], 0 offen
	buffer_load_dword v2, v4, s[0:3], 0 offen offset:4
	buffer_load_dword v3, v4, s[0:3], 0 offen offset:8
	buffer_load_dword v4, v4, s[0:3], 0 offen offset:12
	s_waitcnt vmcnt(0)
	ds_write_b128 v64, v[1:4]
	s_waitcnt lgkmcnt(0)
	s_waitcnt_vscnt null, 0x0
	s_barrier
	buffer_gl0_inv
	s_and_saveexec_b32 s8, s4
	s_cbranch_execz .LBB92_27
; %bb.20:
	ds_read_b128 v[1:4], v64
	s_andn2_b32 vcc_lo, exec_lo, s36
	s_cbranch_vccnz .LBB92_22
; %bb.21:
	s_clause 0x3
	buffer_load_dword v65, v63, s[0:3], 0 offen offset:8
	buffer_load_dword v66, v63, s[0:3], 0 offen offset:12
	buffer_load_dword v67, v63, s[0:3], 0 offen
	buffer_load_dword v68, v63, s[0:3], 0 offen offset:4
	s_waitcnt vmcnt(2) lgkmcnt(0)
	v_mul_f64 v[70:71], v[3:4], v[65:66]
	v_mul_f64 v[65:66], v[1:2], v[65:66]
	s_waitcnt vmcnt(0)
	v_fma_f64 v[1:2], v[1:2], v[67:68], -v[70:71]
	v_fma_f64 v[3:4], v[3:4], v[67:68], v[65:66]
.LBB92_22:
	s_and_saveexec_b32 s37, s5
	s_cbranch_execz .LBB92_26
; %bb.23:
	v_subrev_nc_u32_e32 v65, 26, v0
	s_movk_i32 s38, 0x370
	s_mov_b32 s5, 0
	s_mov_b32 s39, s9
	.p2align	6
.LBB92_24:                              ; =>This Inner Loop Header: Depth=1
	v_mov_b32_e32 v68, s39
	v_add_nc_u32_e32 v65, -1, v65
	s_add_i32 s39, s39, 16
	s_clause 0x3
	buffer_load_dword v66, v68, s[0:3], 0 offen offset:8
	buffer_load_dword v67, v68, s[0:3], 0 offen offset:12
	buffer_load_dword v74, v68, s[0:3], 0 offen
	buffer_load_dword v75, v68, s[0:3], 0 offen offset:4
	v_mov_b32_e32 v68, s38
	v_cmp_eq_u32_e32 vcc_lo, 0, v65
	s_add_i32 s38, s38, 16
	ds_read_b128 v[70:73], v68
	s_or_b32 s5, vcc_lo, s5
	s_waitcnt vmcnt(2) lgkmcnt(0)
	v_mul_f64 v[76:77], v[72:73], v[66:67]
	v_mul_f64 v[66:67], v[70:71], v[66:67]
	s_waitcnt vmcnt(0)
	v_fma_f64 v[70:71], v[70:71], v[74:75], -v[76:77]
	v_fma_f64 v[66:67], v[72:73], v[74:75], v[66:67]
	v_add_f64 v[1:2], v[1:2], v[70:71]
	v_add_f64 v[3:4], v[3:4], v[66:67]
	s_andn2_b32 exec_lo, exec_lo, s5
	s_cbranch_execnz .LBB92_24
; %bb.25:
	s_or_b32 exec_lo, exec_lo, s5
.LBB92_26:
	s_or_b32 exec_lo, exec_lo, s37
	v_mov_b32_e32 v65, 0
	ds_read_b128 v[65:68], v65 offset:400
	s_waitcnt lgkmcnt(0)
	v_mul_f64 v[70:71], v[3:4], v[67:68]
	v_mul_f64 v[67:68], v[1:2], v[67:68]
	v_fma_f64 v[1:2], v[1:2], v[65:66], -v[70:71]
	v_fma_f64 v[3:4], v[3:4], v[65:66], v[67:68]
	buffer_store_dword v2, off, s[0:3], 0 offset:404
	buffer_store_dword v1, off, s[0:3], 0 offset:400
	;; [unrolled: 1-line block ×4, first 2 shown]
.LBB92_27:
	s_or_b32 exec_lo, exec_lo, s8
	v_mov_b32_e32 v4, s11
	v_cmp_lt_u32_e64 s5, 24, v0
	s_clause 0x3
	buffer_load_dword v1, v4, s[0:3], 0 offen
	buffer_load_dword v2, v4, s[0:3], 0 offen offset:4
	buffer_load_dword v3, v4, s[0:3], 0 offen offset:8
	;; [unrolled: 1-line block ×3, first 2 shown]
	s_waitcnt vmcnt(0)
	ds_write_b128 v64, v[1:4]
	s_waitcnt lgkmcnt(0)
	s_waitcnt_vscnt null, 0x0
	s_barrier
	buffer_gl0_inv
	s_and_saveexec_b32 s8, s5
	s_cbranch_execz .LBB92_35
; %bb.28:
	ds_read_b128 v[1:4], v64
	s_andn2_b32 vcc_lo, exec_lo, s36
	s_cbranch_vccnz .LBB92_30
; %bb.29:
	s_clause 0x3
	buffer_load_dword v65, v63, s[0:3], 0 offen offset:8
	buffer_load_dword v66, v63, s[0:3], 0 offen offset:12
	buffer_load_dword v67, v63, s[0:3], 0 offen
	buffer_load_dword v68, v63, s[0:3], 0 offen offset:4
	s_waitcnt vmcnt(2) lgkmcnt(0)
	v_mul_f64 v[70:71], v[3:4], v[65:66]
	v_mul_f64 v[65:66], v[1:2], v[65:66]
	s_waitcnt vmcnt(0)
	v_fma_f64 v[1:2], v[1:2], v[67:68], -v[70:71]
	v_fma_f64 v[3:4], v[3:4], v[67:68], v[65:66]
.LBB92_30:
	s_and_saveexec_b32 s37, s4
	s_cbranch_execz .LBB92_34
; %bb.31:
	v_subrev_nc_u32_e32 v65, 25, v0
	s_movk_i32 s38, 0x360
	s_mov_b32 s4, 0
	s_mov_b32 s39, s10
	.p2align	6
.LBB92_32:                              ; =>This Inner Loop Header: Depth=1
	v_mov_b32_e32 v68, s39
	v_add_nc_u32_e32 v65, -1, v65
	s_add_i32 s39, s39, 16
	s_clause 0x3
	buffer_load_dword v66, v68, s[0:3], 0 offen offset:8
	buffer_load_dword v67, v68, s[0:3], 0 offen offset:12
	buffer_load_dword v74, v68, s[0:3], 0 offen
	buffer_load_dword v75, v68, s[0:3], 0 offen offset:4
	v_mov_b32_e32 v68, s38
	v_cmp_eq_u32_e32 vcc_lo, 0, v65
	s_add_i32 s38, s38, 16
	ds_read_b128 v[70:73], v68
	s_or_b32 s4, vcc_lo, s4
	s_waitcnt vmcnt(2) lgkmcnt(0)
	v_mul_f64 v[76:77], v[72:73], v[66:67]
	v_mul_f64 v[66:67], v[70:71], v[66:67]
	s_waitcnt vmcnt(0)
	v_fma_f64 v[70:71], v[70:71], v[74:75], -v[76:77]
	v_fma_f64 v[66:67], v[72:73], v[74:75], v[66:67]
	v_add_f64 v[1:2], v[1:2], v[70:71]
	v_add_f64 v[3:4], v[3:4], v[66:67]
	s_andn2_b32 exec_lo, exec_lo, s4
	s_cbranch_execnz .LBB92_32
; %bb.33:
	s_or_b32 exec_lo, exec_lo, s4
.LBB92_34:
	s_or_b32 exec_lo, exec_lo, s37
	v_mov_b32_e32 v65, 0
	ds_read_b128 v[65:68], v65 offset:384
	s_waitcnt lgkmcnt(0)
	v_mul_f64 v[70:71], v[3:4], v[67:68]
	v_mul_f64 v[67:68], v[1:2], v[67:68]
	v_fma_f64 v[1:2], v[1:2], v[65:66], -v[70:71]
	v_fma_f64 v[3:4], v[3:4], v[65:66], v[67:68]
	buffer_store_dword v2, off, s[0:3], 0 offset:388
	buffer_store_dword v1, off, s[0:3], 0 offset:384
	;; [unrolled: 1-line block ×4, first 2 shown]
.LBB92_35:
	s_or_b32 exec_lo, exec_lo, s8
	v_mov_b32_e32 v4, s12
	v_cmp_lt_u32_e64 s4, 23, v0
	s_clause 0x3
	buffer_load_dword v1, v4, s[0:3], 0 offen
	buffer_load_dword v2, v4, s[0:3], 0 offen offset:4
	buffer_load_dword v3, v4, s[0:3], 0 offen offset:8
	;; [unrolled: 1-line block ×3, first 2 shown]
	s_waitcnt vmcnt(0)
	ds_write_b128 v64, v[1:4]
	s_waitcnt lgkmcnt(0)
	s_waitcnt_vscnt null, 0x0
	s_barrier
	buffer_gl0_inv
	s_and_saveexec_b32 s8, s4
	s_cbranch_execz .LBB92_43
; %bb.36:
	ds_read_b128 v[1:4], v64
	s_andn2_b32 vcc_lo, exec_lo, s36
	s_cbranch_vccnz .LBB92_38
; %bb.37:
	s_clause 0x3
	buffer_load_dword v65, v63, s[0:3], 0 offen offset:8
	buffer_load_dword v66, v63, s[0:3], 0 offen offset:12
	buffer_load_dword v67, v63, s[0:3], 0 offen
	buffer_load_dword v68, v63, s[0:3], 0 offen offset:4
	s_waitcnt vmcnt(2) lgkmcnt(0)
	v_mul_f64 v[70:71], v[3:4], v[65:66]
	v_mul_f64 v[65:66], v[1:2], v[65:66]
	s_waitcnt vmcnt(0)
	v_fma_f64 v[1:2], v[1:2], v[67:68], -v[70:71]
	v_fma_f64 v[3:4], v[3:4], v[67:68], v[65:66]
.LBB92_38:
	s_and_saveexec_b32 s37, s5
	s_cbranch_execz .LBB92_42
; %bb.39:
	v_subrev_nc_u32_e32 v65, 24, v0
	s_movk_i32 s38, 0x350
	s_mov_b32 s5, 0
	s_mov_b32 s39, s11
	.p2align	6
.LBB92_40:                              ; =>This Inner Loop Header: Depth=1
	v_mov_b32_e32 v68, s39
	v_add_nc_u32_e32 v65, -1, v65
	s_add_i32 s39, s39, 16
	s_clause 0x3
	buffer_load_dword v66, v68, s[0:3], 0 offen offset:8
	buffer_load_dword v67, v68, s[0:3], 0 offen offset:12
	buffer_load_dword v74, v68, s[0:3], 0 offen
	buffer_load_dword v75, v68, s[0:3], 0 offen offset:4
	v_mov_b32_e32 v68, s38
	v_cmp_eq_u32_e32 vcc_lo, 0, v65
	s_add_i32 s38, s38, 16
	ds_read_b128 v[70:73], v68
	s_or_b32 s5, vcc_lo, s5
	s_waitcnt vmcnt(2) lgkmcnt(0)
	v_mul_f64 v[76:77], v[72:73], v[66:67]
	v_mul_f64 v[66:67], v[70:71], v[66:67]
	s_waitcnt vmcnt(0)
	v_fma_f64 v[70:71], v[70:71], v[74:75], -v[76:77]
	v_fma_f64 v[66:67], v[72:73], v[74:75], v[66:67]
	v_add_f64 v[1:2], v[1:2], v[70:71]
	v_add_f64 v[3:4], v[3:4], v[66:67]
	s_andn2_b32 exec_lo, exec_lo, s5
	s_cbranch_execnz .LBB92_40
; %bb.41:
	s_or_b32 exec_lo, exec_lo, s5
.LBB92_42:
	s_or_b32 exec_lo, exec_lo, s37
	v_mov_b32_e32 v65, 0
	ds_read_b128 v[65:68], v65 offset:368
	s_waitcnt lgkmcnt(0)
	v_mul_f64 v[70:71], v[3:4], v[67:68]
	v_mul_f64 v[67:68], v[1:2], v[67:68]
	v_fma_f64 v[1:2], v[1:2], v[65:66], -v[70:71]
	v_fma_f64 v[3:4], v[3:4], v[65:66], v[67:68]
	buffer_store_dword v2, off, s[0:3], 0 offset:372
	buffer_store_dword v1, off, s[0:3], 0 offset:368
	;; [unrolled: 1-line block ×4, first 2 shown]
.LBB92_43:
	s_or_b32 exec_lo, exec_lo, s8
	v_mov_b32_e32 v4, s13
	v_cmp_lt_u32_e64 s5, 22, v0
	s_clause 0x3
	buffer_load_dword v1, v4, s[0:3], 0 offen
	buffer_load_dword v2, v4, s[0:3], 0 offen offset:4
	buffer_load_dword v3, v4, s[0:3], 0 offen offset:8
	;; [unrolled: 1-line block ×3, first 2 shown]
	s_waitcnt vmcnt(0)
	ds_write_b128 v64, v[1:4]
	s_waitcnt lgkmcnt(0)
	s_waitcnt_vscnt null, 0x0
	s_barrier
	buffer_gl0_inv
	s_and_saveexec_b32 s8, s5
	s_cbranch_execz .LBB92_51
; %bb.44:
	ds_read_b128 v[1:4], v64
	s_andn2_b32 vcc_lo, exec_lo, s36
	s_cbranch_vccnz .LBB92_46
; %bb.45:
	s_clause 0x3
	buffer_load_dword v65, v63, s[0:3], 0 offen offset:8
	buffer_load_dword v66, v63, s[0:3], 0 offen offset:12
	buffer_load_dword v67, v63, s[0:3], 0 offen
	buffer_load_dword v68, v63, s[0:3], 0 offen offset:4
	s_waitcnt vmcnt(2) lgkmcnt(0)
	v_mul_f64 v[70:71], v[3:4], v[65:66]
	v_mul_f64 v[65:66], v[1:2], v[65:66]
	s_waitcnt vmcnt(0)
	v_fma_f64 v[1:2], v[1:2], v[67:68], -v[70:71]
	v_fma_f64 v[3:4], v[3:4], v[67:68], v[65:66]
.LBB92_46:
	s_and_saveexec_b32 s37, s4
	s_cbranch_execz .LBB92_50
; %bb.47:
	v_subrev_nc_u32_e32 v65, 23, v0
	s_movk_i32 s38, 0x340
	s_mov_b32 s4, 0
	s_mov_b32 s39, s12
	.p2align	6
.LBB92_48:                              ; =>This Inner Loop Header: Depth=1
	v_mov_b32_e32 v68, s39
	v_add_nc_u32_e32 v65, -1, v65
	s_add_i32 s39, s39, 16
	s_clause 0x3
	buffer_load_dword v66, v68, s[0:3], 0 offen offset:8
	buffer_load_dword v67, v68, s[0:3], 0 offen offset:12
	buffer_load_dword v74, v68, s[0:3], 0 offen
	buffer_load_dword v75, v68, s[0:3], 0 offen offset:4
	v_mov_b32_e32 v68, s38
	v_cmp_eq_u32_e32 vcc_lo, 0, v65
	s_add_i32 s38, s38, 16
	ds_read_b128 v[70:73], v68
	s_or_b32 s4, vcc_lo, s4
	s_waitcnt vmcnt(2) lgkmcnt(0)
	v_mul_f64 v[76:77], v[72:73], v[66:67]
	v_mul_f64 v[66:67], v[70:71], v[66:67]
	s_waitcnt vmcnt(0)
	v_fma_f64 v[70:71], v[70:71], v[74:75], -v[76:77]
	v_fma_f64 v[66:67], v[72:73], v[74:75], v[66:67]
	v_add_f64 v[1:2], v[1:2], v[70:71]
	v_add_f64 v[3:4], v[3:4], v[66:67]
	s_andn2_b32 exec_lo, exec_lo, s4
	s_cbranch_execnz .LBB92_48
; %bb.49:
	s_or_b32 exec_lo, exec_lo, s4
.LBB92_50:
	s_or_b32 exec_lo, exec_lo, s37
	v_mov_b32_e32 v65, 0
	ds_read_b128 v[65:68], v65 offset:352
	s_waitcnt lgkmcnt(0)
	v_mul_f64 v[70:71], v[3:4], v[67:68]
	v_mul_f64 v[67:68], v[1:2], v[67:68]
	v_fma_f64 v[1:2], v[1:2], v[65:66], -v[70:71]
	v_fma_f64 v[3:4], v[3:4], v[65:66], v[67:68]
	buffer_store_dword v2, off, s[0:3], 0 offset:356
	buffer_store_dword v1, off, s[0:3], 0 offset:352
	;; [unrolled: 1-line block ×4, first 2 shown]
.LBB92_51:
	s_or_b32 exec_lo, exec_lo, s8
	v_mov_b32_e32 v4, s14
	v_cmp_lt_u32_e64 s4, 21, v0
	s_clause 0x3
	buffer_load_dword v1, v4, s[0:3], 0 offen
	buffer_load_dword v2, v4, s[0:3], 0 offen offset:4
	buffer_load_dword v3, v4, s[0:3], 0 offen offset:8
	;; [unrolled: 1-line block ×3, first 2 shown]
	s_waitcnt vmcnt(0)
	ds_write_b128 v64, v[1:4]
	s_waitcnt lgkmcnt(0)
	s_waitcnt_vscnt null, 0x0
	s_barrier
	buffer_gl0_inv
	s_and_saveexec_b32 s8, s4
	s_cbranch_execz .LBB92_59
; %bb.52:
	ds_read_b128 v[1:4], v64
	s_andn2_b32 vcc_lo, exec_lo, s36
	s_cbranch_vccnz .LBB92_54
; %bb.53:
	s_clause 0x3
	buffer_load_dword v65, v63, s[0:3], 0 offen offset:8
	buffer_load_dword v66, v63, s[0:3], 0 offen offset:12
	buffer_load_dword v67, v63, s[0:3], 0 offen
	buffer_load_dword v68, v63, s[0:3], 0 offen offset:4
	s_waitcnt vmcnt(2) lgkmcnt(0)
	v_mul_f64 v[70:71], v[3:4], v[65:66]
	v_mul_f64 v[65:66], v[1:2], v[65:66]
	s_waitcnt vmcnt(0)
	v_fma_f64 v[1:2], v[1:2], v[67:68], -v[70:71]
	v_fma_f64 v[3:4], v[3:4], v[67:68], v[65:66]
.LBB92_54:
	s_and_saveexec_b32 s37, s5
	s_cbranch_execz .LBB92_58
; %bb.55:
	v_subrev_nc_u32_e32 v65, 22, v0
	s_movk_i32 s38, 0x330
	s_mov_b32 s5, 0
	s_mov_b32 s39, s13
	.p2align	6
.LBB92_56:                              ; =>This Inner Loop Header: Depth=1
	v_mov_b32_e32 v68, s39
	v_add_nc_u32_e32 v65, -1, v65
	s_add_i32 s39, s39, 16
	s_clause 0x3
	buffer_load_dword v66, v68, s[0:3], 0 offen offset:8
	buffer_load_dword v67, v68, s[0:3], 0 offen offset:12
	buffer_load_dword v74, v68, s[0:3], 0 offen
	buffer_load_dword v75, v68, s[0:3], 0 offen offset:4
	v_mov_b32_e32 v68, s38
	v_cmp_eq_u32_e32 vcc_lo, 0, v65
	s_add_i32 s38, s38, 16
	ds_read_b128 v[70:73], v68
	s_or_b32 s5, vcc_lo, s5
	s_waitcnt vmcnt(2) lgkmcnt(0)
	v_mul_f64 v[76:77], v[72:73], v[66:67]
	v_mul_f64 v[66:67], v[70:71], v[66:67]
	s_waitcnt vmcnt(0)
	v_fma_f64 v[70:71], v[70:71], v[74:75], -v[76:77]
	v_fma_f64 v[66:67], v[72:73], v[74:75], v[66:67]
	v_add_f64 v[1:2], v[1:2], v[70:71]
	v_add_f64 v[3:4], v[3:4], v[66:67]
	s_andn2_b32 exec_lo, exec_lo, s5
	s_cbranch_execnz .LBB92_56
; %bb.57:
	s_or_b32 exec_lo, exec_lo, s5
.LBB92_58:
	s_or_b32 exec_lo, exec_lo, s37
	v_mov_b32_e32 v65, 0
	ds_read_b128 v[65:68], v65 offset:336
	s_waitcnt lgkmcnt(0)
	v_mul_f64 v[70:71], v[3:4], v[67:68]
	v_mul_f64 v[67:68], v[1:2], v[67:68]
	v_fma_f64 v[1:2], v[1:2], v[65:66], -v[70:71]
	v_fma_f64 v[3:4], v[3:4], v[65:66], v[67:68]
	buffer_store_dword v2, off, s[0:3], 0 offset:340
	buffer_store_dword v1, off, s[0:3], 0 offset:336
	;; [unrolled: 1-line block ×4, first 2 shown]
.LBB92_59:
	s_or_b32 exec_lo, exec_lo, s8
	v_mov_b32_e32 v4, s15
	v_cmp_lt_u32_e64 s5, 20, v0
	s_clause 0x3
	buffer_load_dword v1, v4, s[0:3], 0 offen
	buffer_load_dword v2, v4, s[0:3], 0 offen offset:4
	buffer_load_dword v3, v4, s[0:3], 0 offen offset:8
	;; [unrolled: 1-line block ×3, first 2 shown]
	s_waitcnt vmcnt(0)
	ds_write_b128 v64, v[1:4]
	s_waitcnt lgkmcnt(0)
	s_waitcnt_vscnt null, 0x0
	s_barrier
	buffer_gl0_inv
	s_and_saveexec_b32 s8, s5
	s_cbranch_execz .LBB92_67
; %bb.60:
	ds_read_b128 v[1:4], v64
	s_andn2_b32 vcc_lo, exec_lo, s36
	s_cbranch_vccnz .LBB92_62
; %bb.61:
	s_clause 0x3
	buffer_load_dword v65, v63, s[0:3], 0 offen offset:8
	buffer_load_dword v66, v63, s[0:3], 0 offen offset:12
	buffer_load_dword v67, v63, s[0:3], 0 offen
	buffer_load_dword v68, v63, s[0:3], 0 offen offset:4
	s_waitcnt vmcnt(2) lgkmcnt(0)
	v_mul_f64 v[70:71], v[3:4], v[65:66]
	v_mul_f64 v[65:66], v[1:2], v[65:66]
	s_waitcnt vmcnt(0)
	v_fma_f64 v[1:2], v[1:2], v[67:68], -v[70:71]
	v_fma_f64 v[3:4], v[3:4], v[67:68], v[65:66]
.LBB92_62:
	s_and_saveexec_b32 s37, s4
	s_cbranch_execz .LBB92_66
; %bb.63:
	v_subrev_nc_u32_e32 v65, 21, v0
	s_movk_i32 s38, 0x320
	s_mov_b32 s4, 0
	s_mov_b32 s39, s14
	.p2align	6
.LBB92_64:                              ; =>This Inner Loop Header: Depth=1
	v_mov_b32_e32 v68, s39
	v_add_nc_u32_e32 v65, -1, v65
	s_add_i32 s39, s39, 16
	s_clause 0x3
	buffer_load_dword v66, v68, s[0:3], 0 offen offset:8
	buffer_load_dword v67, v68, s[0:3], 0 offen offset:12
	buffer_load_dword v74, v68, s[0:3], 0 offen
	buffer_load_dword v75, v68, s[0:3], 0 offen offset:4
	v_mov_b32_e32 v68, s38
	v_cmp_eq_u32_e32 vcc_lo, 0, v65
	s_add_i32 s38, s38, 16
	ds_read_b128 v[70:73], v68
	s_or_b32 s4, vcc_lo, s4
	s_waitcnt vmcnt(2) lgkmcnt(0)
	v_mul_f64 v[76:77], v[72:73], v[66:67]
	v_mul_f64 v[66:67], v[70:71], v[66:67]
	s_waitcnt vmcnt(0)
	v_fma_f64 v[70:71], v[70:71], v[74:75], -v[76:77]
	v_fma_f64 v[66:67], v[72:73], v[74:75], v[66:67]
	v_add_f64 v[1:2], v[1:2], v[70:71]
	v_add_f64 v[3:4], v[3:4], v[66:67]
	s_andn2_b32 exec_lo, exec_lo, s4
	s_cbranch_execnz .LBB92_64
; %bb.65:
	s_or_b32 exec_lo, exec_lo, s4
.LBB92_66:
	s_or_b32 exec_lo, exec_lo, s37
	v_mov_b32_e32 v65, 0
	ds_read_b128 v[65:68], v65 offset:320
	s_waitcnt lgkmcnt(0)
	v_mul_f64 v[70:71], v[3:4], v[67:68]
	v_mul_f64 v[67:68], v[1:2], v[67:68]
	v_fma_f64 v[1:2], v[1:2], v[65:66], -v[70:71]
	v_fma_f64 v[3:4], v[3:4], v[65:66], v[67:68]
	buffer_store_dword v2, off, s[0:3], 0 offset:324
	buffer_store_dword v1, off, s[0:3], 0 offset:320
	;; [unrolled: 1-line block ×4, first 2 shown]
.LBB92_67:
	s_or_b32 exec_lo, exec_lo, s8
	v_mov_b32_e32 v4, s16
	v_cmp_lt_u32_e64 s4, 19, v0
	s_clause 0x3
	buffer_load_dword v1, v4, s[0:3], 0 offen
	buffer_load_dword v2, v4, s[0:3], 0 offen offset:4
	buffer_load_dword v3, v4, s[0:3], 0 offen offset:8
	;; [unrolled: 1-line block ×3, first 2 shown]
	s_waitcnt vmcnt(0)
	ds_write_b128 v64, v[1:4]
	s_waitcnt lgkmcnt(0)
	s_waitcnt_vscnt null, 0x0
	s_barrier
	buffer_gl0_inv
	s_and_saveexec_b32 s8, s4
	s_cbranch_execz .LBB92_75
; %bb.68:
	ds_read_b128 v[1:4], v64
	s_andn2_b32 vcc_lo, exec_lo, s36
	s_cbranch_vccnz .LBB92_70
; %bb.69:
	s_clause 0x3
	buffer_load_dword v65, v63, s[0:3], 0 offen offset:8
	buffer_load_dword v66, v63, s[0:3], 0 offen offset:12
	buffer_load_dword v67, v63, s[0:3], 0 offen
	buffer_load_dword v68, v63, s[0:3], 0 offen offset:4
	s_waitcnt vmcnt(2) lgkmcnt(0)
	v_mul_f64 v[70:71], v[3:4], v[65:66]
	v_mul_f64 v[65:66], v[1:2], v[65:66]
	s_waitcnt vmcnt(0)
	v_fma_f64 v[1:2], v[1:2], v[67:68], -v[70:71]
	v_fma_f64 v[3:4], v[3:4], v[67:68], v[65:66]
.LBB92_70:
	s_and_saveexec_b32 s37, s5
	s_cbranch_execz .LBB92_74
; %bb.71:
	v_subrev_nc_u32_e32 v65, 20, v0
	s_movk_i32 s38, 0x310
	s_mov_b32 s5, 0
	s_mov_b32 s39, s15
	.p2align	6
.LBB92_72:                              ; =>This Inner Loop Header: Depth=1
	v_mov_b32_e32 v68, s39
	v_add_nc_u32_e32 v65, -1, v65
	s_add_i32 s39, s39, 16
	s_clause 0x3
	buffer_load_dword v66, v68, s[0:3], 0 offen offset:8
	buffer_load_dword v67, v68, s[0:3], 0 offen offset:12
	buffer_load_dword v74, v68, s[0:3], 0 offen
	buffer_load_dword v75, v68, s[0:3], 0 offen offset:4
	v_mov_b32_e32 v68, s38
	v_cmp_eq_u32_e32 vcc_lo, 0, v65
	s_add_i32 s38, s38, 16
	ds_read_b128 v[70:73], v68
	s_or_b32 s5, vcc_lo, s5
	s_waitcnt vmcnt(2) lgkmcnt(0)
	v_mul_f64 v[76:77], v[72:73], v[66:67]
	v_mul_f64 v[66:67], v[70:71], v[66:67]
	s_waitcnt vmcnt(0)
	v_fma_f64 v[70:71], v[70:71], v[74:75], -v[76:77]
	v_fma_f64 v[66:67], v[72:73], v[74:75], v[66:67]
	v_add_f64 v[1:2], v[1:2], v[70:71]
	v_add_f64 v[3:4], v[3:4], v[66:67]
	s_andn2_b32 exec_lo, exec_lo, s5
	s_cbranch_execnz .LBB92_72
; %bb.73:
	s_or_b32 exec_lo, exec_lo, s5
.LBB92_74:
	s_or_b32 exec_lo, exec_lo, s37
	v_mov_b32_e32 v65, 0
	ds_read_b128 v[65:68], v65 offset:304
	s_waitcnt lgkmcnt(0)
	v_mul_f64 v[70:71], v[3:4], v[67:68]
	v_mul_f64 v[67:68], v[1:2], v[67:68]
	v_fma_f64 v[1:2], v[1:2], v[65:66], -v[70:71]
	v_fma_f64 v[3:4], v[3:4], v[65:66], v[67:68]
	buffer_store_dword v2, off, s[0:3], 0 offset:308
	buffer_store_dword v1, off, s[0:3], 0 offset:304
	;; [unrolled: 1-line block ×4, first 2 shown]
.LBB92_75:
	s_or_b32 exec_lo, exec_lo, s8
	v_mov_b32_e32 v4, s17
	v_cmp_lt_u32_e64 s5, 18, v0
	s_clause 0x3
	buffer_load_dword v1, v4, s[0:3], 0 offen
	buffer_load_dword v2, v4, s[0:3], 0 offen offset:4
	buffer_load_dword v3, v4, s[0:3], 0 offen offset:8
	;; [unrolled: 1-line block ×3, first 2 shown]
	s_waitcnt vmcnt(0)
	ds_write_b128 v64, v[1:4]
	s_waitcnt lgkmcnt(0)
	s_waitcnt_vscnt null, 0x0
	s_barrier
	buffer_gl0_inv
	s_and_saveexec_b32 s8, s5
	s_cbranch_execz .LBB92_83
; %bb.76:
	ds_read_b128 v[1:4], v64
	s_andn2_b32 vcc_lo, exec_lo, s36
	s_cbranch_vccnz .LBB92_78
; %bb.77:
	s_clause 0x3
	buffer_load_dword v65, v63, s[0:3], 0 offen offset:8
	buffer_load_dword v66, v63, s[0:3], 0 offen offset:12
	buffer_load_dword v67, v63, s[0:3], 0 offen
	buffer_load_dword v68, v63, s[0:3], 0 offen offset:4
	s_waitcnt vmcnt(2) lgkmcnt(0)
	v_mul_f64 v[70:71], v[3:4], v[65:66]
	v_mul_f64 v[65:66], v[1:2], v[65:66]
	s_waitcnt vmcnt(0)
	v_fma_f64 v[1:2], v[1:2], v[67:68], -v[70:71]
	v_fma_f64 v[3:4], v[3:4], v[67:68], v[65:66]
.LBB92_78:
	s_and_saveexec_b32 s37, s4
	s_cbranch_execz .LBB92_82
; %bb.79:
	v_subrev_nc_u32_e32 v65, 19, v0
	s_movk_i32 s38, 0x300
	s_mov_b32 s4, 0
	s_mov_b32 s39, s16
	.p2align	6
.LBB92_80:                              ; =>This Inner Loop Header: Depth=1
	v_mov_b32_e32 v68, s39
	v_add_nc_u32_e32 v65, -1, v65
	s_add_i32 s39, s39, 16
	s_clause 0x3
	buffer_load_dword v66, v68, s[0:3], 0 offen offset:8
	buffer_load_dword v67, v68, s[0:3], 0 offen offset:12
	buffer_load_dword v74, v68, s[0:3], 0 offen
	buffer_load_dword v75, v68, s[0:3], 0 offen offset:4
	v_mov_b32_e32 v68, s38
	v_cmp_eq_u32_e32 vcc_lo, 0, v65
	s_add_i32 s38, s38, 16
	ds_read_b128 v[70:73], v68
	s_or_b32 s4, vcc_lo, s4
	s_waitcnt vmcnt(2) lgkmcnt(0)
	v_mul_f64 v[76:77], v[72:73], v[66:67]
	v_mul_f64 v[66:67], v[70:71], v[66:67]
	s_waitcnt vmcnt(0)
	v_fma_f64 v[70:71], v[70:71], v[74:75], -v[76:77]
	v_fma_f64 v[66:67], v[72:73], v[74:75], v[66:67]
	v_add_f64 v[1:2], v[1:2], v[70:71]
	v_add_f64 v[3:4], v[3:4], v[66:67]
	s_andn2_b32 exec_lo, exec_lo, s4
	s_cbranch_execnz .LBB92_80
; %bb.81:
	s_or_b32 exec_lo, exec_lo, s4
.LBB92_82:
	s_or_b32 exec_lo, exec_lo, s37
	v_mov_b32_e32 v65, 0
	ds_read_b128 v[65:68], v65 offset:288
	s_waitcnt lgkmcnt(0)
	v_mul_f64 v[70:71], v[3:4], v[67:68]
	v_mul_f64 v[67:68], v[1:2], v[67:68]
	v_fma_f64 v[1:2], v[1:2], v[65:66], -v[70:71]
	v_fma_f64 v[3:4], v[3:4], v[65:66], v[67:68]
	buffer_store_dword v2, off, s[0:3], 0 offset:292
	buffer_store_dword v1, off, s[0:3], 0 offset:288
	;; [unrolled: 1-line block ×4, first 2 shown]
.LBB92_83:
	s_or_b32 exec_lo, exec_lo, s8
	v_mov_b32_e32 v4, s18
	v_cmp_lt_u32_e64 s4, 17, v0
	s_clause 0x3
	buffer_load_dword v1, v4, s[0:3], 0 offen
	buffer_load_dword v2, v4, s[0:3], 0 offen offset:4
	buffer_load_dword v3, v4, s[0:3], 0 offen offset:8
	;; [unrolled: 1-line block ×3, first 2 shown]
	s_waitcnt vmcnt(0)
	ds_write_b128 v64, v[1:4]
	s_waitcnt lgkmcnt(0)
	s_waitcnt_vscnt null, 0x0
	s_barrier
	buffer_gl0_inv
	s_and_saveexec_b32 s8, s4
	s_cbranch_execz .LBB92_91
; %bb.84:
	ds_read_b128 v[1:4], v64
	s_andn2_b32 vcc_lo, exec_lo, s36
	s_cbranch_vccnz .LBB92_86
; %bb.85:
	s_clause 0x3
	buffer_load_dword v65, v63, s[0:3], 0 offen offset:8
	buffer_load_dword v66, v63, s[0:3], 0 offen offset:12
	buffer_load_dword v67, v63, s[0:3], 0 offen
	buffer_load_dword v68, v63, s[0:3], 0 offen offset:4
	s_waitcnt vmcnt(2) lgkmcnt(0)
	v_mul_f64 v[70:71], v[3:4], v[65:66]
	v_mul_f64 v[65:66], v[1:2], v[65:66]
	s_waitcnt vmcnt(0)
	v_fma_f64 v[1:2], v[1:2], v[67:68], -v[70:71]
	v_fma_f64 v[3:4], v[3:4], v[67:68], v[65:66]
.LBB92_86:
	s_and_saveexec_b32 s37, s5
	s_cbranch_execz .LBB92_90
; %bb.87:
	v_subrev_nc_u32_e32 v65, 18, v0
	s_movk_i32 s38, 0x2f0
	s_mov_b32 s5, 0
	s_mov_b32 s39, s17
	.p2align	6
.LBB92_88:                              ; =>This Inner Loop Header: Depth=1
	v_mov_b32_e32 v68, s39
	v_add_nc_u32_e32 v65, -1, v65
	s_add_i32 s39, s39, 16
	s_clause 0x3
	buffer_load_dword v66, v68, s[0:3], 0 offen offset:8
	buffer_load_dword v67, v68, s[0:3], 0 offen offset:12
	buffer_load_dword v74, v68, s[0:3], 0 offen
	buffer_load_dword v75, v68, s[0:3], 0 offen offset:4
	v_mov_b32_e32 v68, s38
	v_cmp_eq_u32_e32 vcc_lo, 0, v65
	s_add_i32 s38, s38, 16
	ds_read_b128 v[70:73], v68
	s_or_b32 s5, vcc_lo, s5
	s_waitcnt vmcnt(2) lgkmcnt(0)
	v_mul_f64 v[76:77], v[72:73], v[66:67]
	v_mul_f64 v[66:67], v[70:71], v[66:67]
	s_waitcnt vmcnt(0)
	v_fma_f64 v[70:71], v[70:71], v[74:75], -v[76:77]
	v_fma_f64 v[66:67], v[72:73], v[74:75], v[66:67]
	v_add_f64 v[1:2], v[1:2], v[70:71]
	v_add_f64 v[3:4], v[3:4], v[66:67]
	s_andn2_b32 exec_lo, exec_lo, s5
	s_cbranch_execnz .LBB92_88
; %bb.89:
	s_or_b32 exec_lo, exec_lo, s5
.LBB92_90:
	s_or_b32 exec_lo, exec_lo, s37
	v_mov_b32_e32 v65, 0
	ds_read_b128 v[65:68], v65 offset:272
	s_waitcnt lgkmcnt(0)
	v_mul_f64 v[70:71], v[3:4], v[67:68]
	v_mul_f64 v[67:68], v[1:2], v[67:68]
	v_fma_f64 v[1:2], v[1:2], v[65:66], -v[70:71]
	v_fma_f64 v[3:4], v[3:4], v[65:66], v[67:68]
	buffer_store_dword v2, off, s[0:3], 0 offset:276
	buffer_store_dword v1, off, s[0:3], 0 offset:272
	;; [unrolled: 1-line block ×4, first 2 shown]
.LBB92_91:
	s_or_b32 exec_lo, exec_lo, s8
	v_mov_b32_e32 v4, s19
	v_cmp_lt_u32_e64 s5, 16, v0
	s_clause 0x3
	buffer_load_dword v1, v4, s[0:3], 0 offen
	buffer_load_dword v2, v4, s[0:3], 0 offen offset:4
	buffer_load_dword v3, v4, s[0:3], 0 offen offset:8
	;; [unrolled: 1-line block ×3, first 2 shown]
	s_waitcnt vmcnt(0)
	ds_write_b128 v64, v[1:4]
	s_waitcnt lgkmcnt(0)
	s_waitcnt_vscnt null, 0x0
	s_barrier
	buffer_gl0_inv
	s_and_saveexec_b32 s8, s5
	s_cbranch_execz .LBB92_99
; %bb.92:
	ds_read_b128 v[1:4], v64
	s_andn2_b32 vcc_lo, exec_lo, s36
	s_cbranch_vccnz .LBB92_94
; %bb.93:
	s_clause 0x3
	buffer_load_dword v65, v63, s[0:3], 0 offen offset:8
	buffer_load_dword v66, v63, s[0:3], 0 offen offset:12
	buffer_load_dword v67, v63, s[0:3], 0 offen
	buffer_load_dword v68, v63, s[0:3], 0 offen offset:4
	s_waitcnt vmcnt(2) lgkmcnt(0)
	v_mul_f64 v[70:71], v[3:4], v[65:66]
	v_mul_f64 v[65:66], v[1:2], v[65:66]
	s_waitcnt vmcnt(0)
	v_fma_f64 v[1:2], v[1:2], v[67:68], -v[70:71]
	v_fma_f64 v[3:4], v[3:4], v[67:68], v[65:66]
.LBB92_94:
	s_and_saveexec_b32 s37, s4
	s_cbranch_execz .LBB92_98
; %bb.95:
	v_subrev_nc_u32_e32 v65, 17, v0
	s_movk_i32 s38, 0x2e0
	s_mov_b32 s4, 0
	s_mov_b32 s39, s18
	.p2align	6
.LBB92_96:                              ; =>This Inner Loop Header: Depth=1
	v_mov_b32_e32 v68, s39
	v_add_nc_u32_e32 v65, -1, v65
	s_add_i32 s39, s39, 16
	s_clause 0x3
	buffer_load_dword v66, v68, s[0:3], 0 offen offset:8
	buffer_load_dword v67, v68, s[0:3], 0 offen offset:12
	buffer_load_dword v74, v68, s[0:3], 0 offen
	buffer_load_dword v75, v68, s[0:3], 0 offen offset:4
	v_mov_b32_e32 v68, s38
	v_cmp_eq_u32_e32 vcc_lo, 0, v65
	s_add_i32 s38, s38, 16
	ds_read_b128 v[70:73], v68
	s_or_b32 s4, vcc_lo, s4
	s_waitcnt vmcnt(2) lgkmcnt(0)
	v_mul_f64 v[76:77], v[72:73], v[66:67]
	v_mul_f64 v[66:67], v[70:71], v[66:67]
	s_waitcnt vmcnt(0)
	v_fma_f64 v[70:71], v[70:71], v[74:75], -v[76:77]
	v_fma_f64 v[66:67], v[72:73], v[74:75], v[66:67]
	v_add_f64 v[1:2], v[1:2], v[70:71]
	v_add_f64 v[3:4], v[3:4], v[66:67]
	s_andn2_b32 exec_lo, exec_lo, s4
	s_cbranch_execnz .LBB92_96
; %bb.97:
	s_or_b32 exec_lo, exec_lo, s4
.LBB92_98:
	s_or_b32 exec_lo, exec_lo, s37
	v_mov_b32_e32 v65, 0
	ds_read_b128 v[65:68], v65 offset:256
	s_waitcnt lgkmcnt(0)
	v_mul_f64 v[70:71], v[3:4], v[67:68]
	v_mul_f64 v[67:68], v[1:2], v[67:68]
	v_fma_f64 v[1:2], v[1:2], v[65:66], -v[70:71]
	v_fma_f64 v[3:4], v[3:4], v[65:66], v[67:68]
	buffer_store_dword v2, off, s[0:3], 0 offset:260
	buffer_store_dword v1, off, s[0:3], 0 offset:256
	;; [unrolled: 1-line block ×4, first 2 shown]
.LBB92_99:
	s_or_b32 exec_lo, exec_lo, s8
	v_mov_b32_e32 v4, s20
	v_cmp_lt_u32_e64 s4, 15, v0
	s_clause 0x3
	buffer_load_dword v1, v4, s[0:3], 0 offen
	buffer_load_dword v2, v4, s[0:3], 0 offen offset:4
	buffer_load_dword v3, v4, s[0:3], 0 offen offset:8
	;; [unrolled: 1-line block ×3, first 2 shown]
	s_waitcnt vmcnt(0)
	ds_write_b128 v64, v[1:4]
	s_waitcnt lgkmcnt(0)
	s_waitcnt_vscnt null, 0x0
	s_barrier
	buffer_gl0_inv
	s_and_saveexec_b32 s8, s4
	s_cbranch_execz .LBB92_107
; %bb.100:
	ds_read_b128 v[1:4], v64
	s_andn2_b32 vcc_lo, exec_lo, s36
	s_cbranch_vccnz .LBB92_102
; %bb.101:
	s_clause 0x3
	buffer_load_dword v65, v63, s[0:3], 0 offen offset:8
	buffer_load_dword v66, v63, s[0:3], 0 offen offset:12
	buffer_load_dword v67, v63, s[0:3], 0 offen
	buffer_load_dword v68, v63, s[0:3], 0 offen offset:4
	s_waitcnt vmcnt(2) lgkmcnt(0)
	v_mul_f64 v[70:71], v[3:4], v[65:66]
	v_mul_f64 v[65:66], v[1:2], v[65:66]
	s_waitcnt vmcnt(0)
	v_fma_f64 v[1:2], v[1:2], v[67:68], -v[70:71]
	v_fma_f64 v[3:4], v[3:4], v[67:68], v[65:66]
.LBB92_102:
	s_and_saveexec_b32 s37, s5
	s_cbranch_execz .LBB92_106
; %bb.103:
	v_add_nc_u32_e32 v65, -16, v0
	s_movk_i32 s38, 0x2d0
	s_mov_b32 s5, 0
	s_mov_b32 s39, s19
	.p2align	6
.LBB92_104:                             ; =>This Inner Loop Header: Depth=1
	v_mov_b32_e32 v68, s39
	v_add_nc_u32_e32 v65, -1, v65
	s_add_i32 s39, s39, 16
	s_clause 0x3
	buffer_load_dword v66, v68, s[0:3], 0 offen offset:8
	buffer_load_dword v67, v68, s[0:3], 0 offen offset:12
	buffer_load_dword v74, v68, s[0:3], 0 offen
	buffer_load_dword v75, v68, s[0:3], 0 offen offset:4
	v_mov_b32_e32 v68, s38
	v_cmp_eq_u32_e32 vcc_lo, 0, v65
	s_add_i32 s38, s38, 16
	ds_read_b128 v[70:73], v68
	s_or_b32 s5, vcc_lo, s5
	s_waitcnt vmcnt(2) lgkmcnt(0)
	v_mul_f64 v[76:77], v[72:73], v[66:67]
	v_mul_f64 v[66:67], v[70:71], v[66:67]
	s_waitcnt vmcnt(0)
	v_fma_f64 v[70:71], v[70:71], v[74:75], -v[76:77]
	v_fma_f64 v[66:67], v[72:73], v[74:75], v[66:67]
	v_add_f64 v[1:2], v[1:2], v[70:71]
	v_add_f64 v[3:4], v[3:4], v[66:67]
	s_andn2_b32 exec_lo, exec_lo, s5
	s_cbranch_execnz .LBB92_104
; %bb.105:
	s_or_b32 exec_lo, exec_lo, s5
.LBB92_106:
	s_or_b32 exec_lo, exec_lo, s37
	v_mov_b32_e32 v65, 0
	ds_read_b128 v[65:68], v65 offset:240
	s_waitcnt lgkmcnt(0)
	v_mul_f64 v[70:71], v[3:4], v[67:68]
	v_mul_f64 v[67:68], v[1:2], v[67:68]
	v_fma_f64 v[1:2], v[1:2], v[65:66], -v[70:71]
	v_fma_f64 v[3:4], v[3:4], v[65:66], v[67:68]
	buffer_store_dword v2, off, s[0:3], 0 offset:244
	buffer_store_dword v1, off, s[0:3], 0 offset:240
	;; [unrolled: 1-line block ×4, first 2 shown]
.LBB92_107:
	s_or_b32 exec_lo, exec_lo, s8
	v_mov_b32_e32 v4, s21
	v_cmp_lt_u32_e64 s5, 14, v0
	s_clause 0x3
	buffer_load_dword v1, v4, s[0:3], 0 offen
	buffer_load_dword v2, v4, s[0:3], 0 offen offset:4
	buffer_load_dword v3, v4, s[0:3], 0 offen offset:8
	;; [unrolled: 1-line block ×3, first 2 shown]
	s_waitcnt vmcnt(0)
	ds_write_b128 v64, v[1:4]
	s_waitcnt lgkmcnt(0)
	s_waitcnt_vscnt null, 0x0
	s_barrier
	buffer_gl0_inv
	s_and_saveexec_b32 s8, s5
	s_cbranch_execz .LBB92_115
; %bb.108:
	ds_read_b128 v[1:4], v64
	s_andn2_b32 vcc_lo, exec_lo, s36
	s_cbranch_vccnz .LBB92_110
; %bb.109:
	s_clause 0x3
	buffer_load_dword v65, v63, s[0:3], 0 offen offset:8
	buffer_load_dword v66, v63, s[0:3], 0 offen offset:12
	buffer_load_dword v67, v63, s[0:3], 0 offen
	buffer_load_dword v68, v63, s[0:3], 0 offen offset:4
	s_waitcnt vmcnt(2) lgkmcnt(0)
	v_mul_f64 v[70:71], v[3:4], v[65:66]
	v_mul_f64 v[65:66], v[1:2], v[65:66]
	s_waitcnt vmcnt(0)
	v_fma_f64 v[1:2], v[1:2], v[67:68], -v[70:71]
	v_fma_f64 v[3:4], v[3:4], v[67:68], v[65:66]
.LBB92_110:
	s_and_saveexec_b32 s37, s4
	s_cbranch_execz .LBB92_114
; %bb.111:
	v_add_nc_u32_e32 v65, -15, v0
	s_movk_i32 s38, 0x2c0
	s_mov_b32 s4, 0
	s_mov_b32 s39, s20
	.p2align	6
.LBB92_112:                             ; =>This Inner Loop Header: Depth=1
	v_mov_b32_e32 v68, s39
	v_add_nc_u32_e32 v65, -1, v65
	s_add_i32 s39, s39, 16
	s_clause 0x3
	buffer_load_dword v66, v68, s[0:3], 0 offen offset:8
	buffer_load_dword v67, v68, s[0:3], 0 offen offset:12
	buffer_load_dword v74, v68, s[0:3], 0 offen
	buffer_load_dword v75, v68, s[0:3], 0 offen offset:4
	v_mov_b32_e32 v68, s38
	v_cmp_eq_u32_e32 vcc_lo, 0, v65
	s_add_i32 s38, s38, 16
	ds_read_b128 v[70:73], v68
	s_or_b32 s4, vcc_lo, s4
	s_waitcnt vmcnt(2) lgkmcnt(0)
	v_mul_f64 v[76:77], v[72:73], v[66:67]
	v_mul_f64 v[66:67], v[70:71], v[66:67]
	s_waitcnt vmcnt(0)
	v_fma_f64 v[70:71], v[70:71], v[74:75], -v[76:77]
	v_fma_f64 v[66:67], v[72:73], v[74:75], v[66:67]
	v_add_f64 v[1:2], v[1:2], v[70:71]
	v_add_f64 v[3:4], v[3:4], v[66:67]
	s_andn2_b32 exec_lo, exec_lo, s4
	s_cbranch_execnz .LBB92_112
; %bb.113:
	s_or_b32 exec_lo, exec_lo, s4
.LBB92_114:
	s_or_b32 exec_lo, exec_lo, s37
	v_mov_b32_e32 v65, 0
	ds_read_b128 v[65:68], v65 offset:224
	s_waitcnt lgkmcnt(0)
	v_mul_f64 v[70:71], v[3:4], v[67:68]
	v_mul_f64 v[67:68], v[1:2], v[67:68]
	v_fma_f64 v[1:2], v[1:2], v[65:66], -v[70:71]
	v_fma_f64 v[3:4], v[3:4], v[65:66], v[67:68]
	buffer_store_dword v2, off, s[0:3], 0 offset:228
	buffer_store_dword v1, off, s[0:3], 0 offset:224
	;; [unrolled: 1-line block ×4, first 2 shown]
.LBB92_115:
	s_or_b32 exec_lo, exec_lo, s8
	v_mov_b32_e32 v4, s22
	v_cmp_lt_u32_e64 s4, 13, v0
	s_clause 0x3
	buffer_load_dword v1, v4, s[0:3], 0 offen
	buffer_load_dword v2, v4, s[0:3], 0 offen offset:4
	buffer_load_dword v3, v4, s[0:3], 0 offen offset:8
	;; [unrolled: 1-line block ×3, first 2 shown]
	s_waitcnt vmcnt(0)
	ds_write_b128 v64, v[1:4]
	s_waitcnt lgkmcnt(0)
	s_waitcnt_vscnt null, 0x0
	s_barrier
	buffer_gl0_inv
	s_and_saveexec_b32 s8, s4
	s_cbranch_execz .LBB92_123
; %bb.116:
	ds_read_b128 v[1:4], v64
	s_andn2_b32 vcc_lo, exec_lo, s36
	s_cbranch_vccnz .LBB92_118
; %bb.117:
	s_clause 0x3
	buffer_load_dword v65, v63, s[0:3], 0 offen offset:8
	buffer_load_dword v66, v63, s[0:3], 0 offen offset:12
	buffer_load_dword v67, v63, s[0:3], 0 offen
	buffer_load_dword v68, v63, s[0:3], 0 offen offset:4
	s_waitcnt vmcnt(2) lgkmcnt(0)
	v_mul_f64 v[70:71], v[3:4], v[65:66]
	v_mul_f64 v[65:66], v[1:2], v[65:66]
	s_waitcnt vmcnt(0)
	v_fma_f64 v[1:2], v[1:2], v[67:68], -v[70:71]
	v_fma_f64 v[3:4], v[3:4], v[67:68], v[65:66]
.LBB92_118:
	s_and_saveexec_b32 s37, s5
	s_cbranch_execz .LBB92_122
; %bb.119:
	v_add_nc_u32_e32 v65, -14, v0
	s_movk_i32 s38, 0x2b0
	s_mov_b32 s5, 0
	s_mov_b32 s39, s21
	.p2align	6
.LBB92_120:                             ; =>This Inner Loop Header: Depth=1
	v_mov_b32_e32 v68, s39
	v_add_nc_u32_e32 v65, -1, v65
	s_add_i32 s39, s39, 16
	s_clause 0x3
	buffer_load_dword v66, v68, s[0:3], 0 offen offset:8
	buffer_load_dword v67, v68, s[0:3], 0 offen offset:12
	buffer_load_dword v74, v68, s[0:3], 0 offen
	buffer_load_dword v75, v68, s[0:3], 0 offen offset:4
	v_mov_b32_e32 v68, s38
	v_cmp_eq_u32_e32 vcc_lo, 0, v65
	s_add_i32 s38, s38, 16
	ds_read_b128 v[70:73], v68
	s_or_b32 s5, vcc_lo, s5
	s_waitcnt vmcnt(2) lgkmcnt(0)
	v_mul_f64 v[76:77], v[72:73], v[66:67]
	v_mul_f64 v[66:67], v[70:71], v[66:67]
	s_waitcnt vmcnt(0)
	v_fma_f64 v[70:71], v[70:71], v[74:75], -v[76:77]
	v_fma_f64 v[66:67], v[72:73], v[74:75], v[66:67]
	v_add_f64 v[1:2], v[1:2], v[70:71]
	v_add_f64 v[3:4], v[3:4], v[66:67]
	s_andn2_b32 exec_lo, exec_lo, s5
	s_cbranch_execnz .LBB92_120
; %bb.121:
	s_or_b32 exec_lo, exec_lo, s5
.LBB92_122:
	s_or_b32 exec_lo, exec_lo, s37
	v_mov_b32_e32 v65, 0
	ds_read_b128 v[65:68], v65 offset:208
	s_waitcnt lgkmcnt(0)
	v_mul_f64 v[70:71], v[3:4], v[67:68]
	v_mul_f64 v[67:68], v[1:2], v[67:68]
	v_fma_f64 v[1:2], v[1:2], v[65:66], -v[70:71]
	v_fma_f64 v[3:4], v[3:4], v[65:66], v[67:68]
	buffer_store_dword v2, off, s[0:3], 0 offset:212
	buffer_store_dword v1, off, s[0:3], 0 offset:208
	;; [unrolled: 1-line block ×4, first 2 shown]
.LBB92_123:
	s_or_b32 exec_lo, exec_lo, s8
	v_mov_b32_e32 v4, s23
	v_cmp_lt_u32_e64 s5, 12, v0
	s_clause 0x3
	buffer_load_dword v1, v4, s[0:3], 0 offen
	buffer_load_dword v2, v4, s[0:3], 0 offen offset:4
	buffer_load_dword v3, v4, s[0:3], 0 offen offset:8
	;; [unrolled: 1-line block ×3, first 2 shown]
	s_waitcnt vmcnt(0)
	ds_write_b128 v64, v[1:4]
	s_waitcnt lgkmcnt(0)
	s_waitcnt_vscnt null, 0x0
	s_barrier
	buffer_gl0_inv
	s_and_saveexec_b32 s8, s5
	s_cbranch_execz .LBB92_131
; %bb.124:
	ds_read_b128 v[1:4], v64
	s_andn2_b32 vcc_lo, exec_lo, s36
	s_cbranch_vccnz .LBB92_126
; %bb.125:
	s_clause 0x3
	buffer_load_dword v65, v63, s[0:3], 0 offen offset:8
	buffer_load_dword v66, v63, s[0:3], 0 offen offset:12
	buffer_load_dword v67, v63, s[0:3], 0 offen
	buffer_load_dword v68, v63, s[0:3], 0 offen offset:4
	s_waitcnt vmcnt(2) lgkmcnt(0)
	v_mul_f64 v[70:71], v[3:4], v[65:66]
	v_mul_f64 v[65:66], v[1:2], v[65:66]
	s_waitcnt vmcnt(0)
	v_fma_f64 v[1:2], v[1:2], v[67:68], -v[70:71]
	v_fma_f64 v[3:4], v[3:4], v[67:68], v[65:66]
.LBB92_126:
	s_and_saveexec_b32 s37, s4
	s_cbranch_execz .LBB92_130
; %bb.127:
	v_add_nc_u32_e32 v65, -13, v0
	s_movk_i32 s38, 0x2a0
	s_mov_b32 s4, 0
	s_mov_b32 s39, s22
	.p2align	6
.LBB92_128:                             ; =>This Inner Loop Header: Depth=1
	v_mov_b32_e32 v68, s39
	v_add_nc_u32_e32 v65, -1, v65
	s_add_i32 s39, s39, 16
	s_clause 0x3
	buffer_load_dword v66, v68, s[0:3], 0 offen offset:8
	buffer_load_dword v67, v68, s[0:3], 0 offen offset:12
	buffer_load_dword v74, v68, s[0:3], 0 offen
	buffer_load_dword v75, v68, s[0:3], 0 offen offset:4
	v_mov_b32_e32 v68, s38
	v_cmp_eq_u32_e32 vcc_lo, 0, v65
	s_add_i32 s38, s38, 16
	ds_read_b128 v[70:73], v68
	s_or_b32 s4, vcc_lo, s4
	s_waitcnt vmcnt(2) lgkmcnt(0)
	v_mul_f64 v[76:77], v[72:73], v[66:67]
	v_mul_f64 v[66:67], v[70:71], v[66:67]
	s_waitcnt vmcnt(0)
	v_fma_f64 v[70:71], v[70:71], v[74:75], -v[76:77]
	v_fma_f64 v[66:67], v[72:73], v[74:75], v[66:67]
	v_add_f64 v[1:2], v[1:2], v[70:71]
	v_add_f64 v[3:4], v[3:4], v[66:67]
	s_andn2_b32 exec_lo, exec_lo, s4
	s_cbranch_execnz .LBB92_128
; %bb.129:
	s_or_b32 exec_lo, exec_lo, s4
.LBB92_130:
	s_or_b32 exec_lo, exec_lo, s37
	v_mov_b32_e32 v65, 0
	ds_read_b128 v[65:68], v65 offset:192
	s_waitcnt lgkmcnt(0)
	v_mul_f64 v[70:71], v[3:4], v[67:68]
	v_mul_f64 v[67:68], v[1:2], v[67:68]
	v_fma_f64 v[1:2], v[1:2], v[65:66], -v[70:71]
	v_fma_f64 v[3:4], v[3:4], v[65:66], v[67:68]
	buffer_store_dword v2, off, s[0:3], 0 offset:196
	buffer_store_dword v1, off, s[0:3], 0 offset:192
	;; [unrolled: 1-line block ×4, first 2 shown]
.LBB92_131:
	s_or_b32 exec_lo, exec_lo, s8
	v_mov_b32_e32 v4, s24
	v_cmp_lt_u32_e64 s4, 11, v0
	s_clause 0x3
	buffer_load_dword v1, v4, s[0:3], 0 offen
	buffer_load_dword v2, v4, s[0:3], 0 offen offset:4
	buffer_load_dword v3, v4, s[0:3], 0 offen offset:8
	;; [unrolled: 1-line block ×3, first 2 shown]
	s_waitcnt vmcnt(0)
	ds_write_b128 v64, v[1:4]
	s_waitcnt lgkmcnt(0)
	s_waitcnt_vscnt null, 0x0
	s_barrier
	buffer_gl0_inv
	s_and_saveexec_b32 s8, s4
	s_cbranch_execz .LBB92_139
; %bb.132:
	ds_read_b128 v[1:4], v64
	s_andn2_b32 vcc_lo, exec_lo, s36
	s_cbranch_vccnz .LBB92_134
; %bb.133:
	s_clause 0x3
	buffer_load_dword v65, v63, s[0:3], 0 offen offset:8
	buffer_load_dword v66, v63, s[0:3], 0 offen offset:12
	buffer_load_dword v67, v63, s[0:3], 0 offen
	buffer_load_dword v68, v63, s[0:3], 0 offen offset:4
	s_waitcnt vmcnt(2) lgkmcnt(0)
	v_mul_f64 v[70:71], v[3:4], v[65:66]
	v_mul_f64 v[65:66], v[1:2], v[65:66]
	s_waitcnt vmcnt(0)
	v_fma_f64 v[1:2], v[1:2], v[67:68], -v[70:71]
	v_fma_f64 v[3:4], v[3:4], v[67:68], v[65:66]
.LBB92_134:
	s_and_saveexec_b32 s37, s5
	s_cbranch_execz .LBB92_138
; %bb.135:
	v_add_nc_u32_e32 v65, -12, v0
	s_movk_i32 s38, 0x290
	s_mov_b32 s5, 0
	s_mov_b32 s39, s23
	.p2align	6
.LBB92_136:                             ; =>This Inner Loop Header: Depth=1
	v_mov_b32_e32 v68, s39
	v_add_nc_u32_e32 v65, -1, v65
	s_add_i32 s39, s39, 16
	s_clause 0x3
	buffer_load_dword v66, v68, s[0:3], 0 offen offset:8
	buffer_load_dword v67, v68, s[0:3], 0 offen offset:12
	buffer_load_dword v74, v68, s[0:3], 0 offen
	buffer_load_dword v75, v68, s[0:3], 0 offen offset:4
	v_mov_b32_e32 v68, s38
	v_cmp_eq_u32_e32 vcc_lo, 0, v65
	s_add_i32 s38, s38, 16
	ds_read_b128 v[70:73], v68
	s_or_b32 s5, vcc_lo, s5
	s_waitcnt vmcnt(2) lgkmcnt(0)
	v_mul_f64 v[76:77], v[72:73], v[66:67]
	v_mul_f64 v[66:67], v[70:71], v[66:67]
	s_waitcnt vmcnt(0)
	v_fma_f64 v[70:71], v[70:71], v[74:75], -v[76:77]
	v_fma_f64 v[66:67], v[72:73], v[74:75], v[66:67]
	v_add_f64 v[1:2], v[1:2], v[70:71]
	v_add_f64 v[3:4], v[3:4], v[66:67]
	s_andn2_b32 exec_lo, exec_lo, s5
	s_cbranch_execnz .LBB92_136
; %bb.137:
	s_or_b32 exec_lo, exec_lo, s5
.LBB92_138:
	s_or_b32 exec_lo, exec_lo, s37
	v_mov_b32_e32 v65, 0
	ds_read_b128 v[65:68], v65 offset:176
	s_waitcnt lgkmcnt(0)
	v_mul_f64 v[70:71], v[3:4], v[67:68]
	v_mul_f64 v[67:68], v[1:2], v[67:68]
	v_fma_f64 v[1:2], v[1:2], v[65:66], -v[70:71]
	v_fma_f64 v[3:4], v[3:4], v[65:66], v[67:68]
	buffer_store_dword v2, off, s[0:3], 0 offset:180
	buffer_store_dword v1, off, s[0:3], 0 offset:176
	;; [unrolled: 1-line block ×4, first 2 shown]
.LBB92_139:
	s_or_b32 exec_lo, exec_lo, s8
	v_mov_b32_e32 v4, s25
	v_cmp_lt_u32_e64 s5, 10, v0
	s_clause 0x3
	buffer_load_dword v1, v4, s[0:3], 0 offen
	buffer_load_dword v2, v4, s[0:3], 0 offen offset:4
	buffer_load_dword v3, v4, s[0:3], 0 offen offset:8
	;; [unrolled: 1-line block ×3, first 2 shown]
	s_waitcnt vmcnt(0)
	ds_write_b128 v64, v[1:4]
	s_waitcnt lgkmcnt(0)
	s_waitcnt_vscnt null, 0x0
	s_barrier
	buffer_gl0_inv
	s_and_saveexec_b32 s8, s5
	s_cbranch_execz .LBB92_147
; %bb.140:
	ds_read_b128 v[1:4], v64
	s_andn2_b32 vcc_lo, exec_lo, s36
	s_cbranch_vccnz .LBB92_142
; %bb.141:
	s_clause 0x3
	buffer_load_dword v65, v63, s[0:3], 0 offen offset:8
	buffer_load_dword v66, v63, s[0:3], 0 offen offset:12
	buffer_load_dword v67, v63, s[0:3], 0 offen
	buffer_load_dword v68, v63, s[0:3], 0 offen offset:4
	s_waitcnt vmcnt(2) lgkmcnt(0)
	v_mul_f64 v[70:71], v[3:4], v[65:66]
	v_mul_f64 v[65:66], v[1:2], v[65:66]
	s_waitcnt vmcnt(0)
	v_fma_f64 v[1:2], v[1:2], v[67:68], -v[70:71]
	v_fma_f64 v[3:4], v[3:4], v[67:68], v[65:66]
.LBB92_142:
	s_and_saveexec_b32 s37, s4
	s_cbranch_execz .LBB92_146
; %bb.143:
	v_add_nc_u32_e32 v65, -11, v0
	s_movk_i32 s38, 0x280
	s_mov_b32 s4, 0
	s_mov_b32 s39, s24
	.p2align	6
.LBB92_144:                             ; =>This Inner Loop Header: Depth=1
	v_mov_b32_e32 v68, s39
	v_add_nc_u32_e32 v65, -1, v65
	s_add_i32 s39, s39, 16
	s_clause 0x3
	buffer_load_dword v66, v68, s[0:3], 0 offen offset:8
	buffer_load_dword v67, v68, s[0:3], 0 offen offset:12
	buffer_load_dword v74, v68, s[0:3], 0 offen
	buffer_load_dword v75, v68, s[0:3], 0 offen offset:4
	v_mov_b32_e32 v68, s38
	v_cmp_eq_u32_e32 vcc_lo, 0, v65
	s_add_i32 s38, s38, 16
	ds_read_b128 v[70:73], v68
	s_or_b32 s4, vcc_lo, s4
	s_waitcnt vmcnt(2) lgkmcnt(0)
	v_mul_f64 v[76:77], v[72:73], v[66:67]
	v_mul_f64 v[66:67], v[70:71], v[66:67]
	s_waitcnt vmcnt(0)
	v_fma_f64 v[70:71], v[70:71], v[74:75], -v[76:77]
	v_fma_f64 v[66:67], v[72:73], v[74:75], v[66:67]
	v_add_f64 v[1:2], v[1:2], v[70:71]
	v_add_f64 v[3:4], v[3:4], v[66:67]
	s_andn2_b32 exec_lo, exec_lo, s4
	s_cbranch_execnz .LBB92_144
; %bb.145:
	s_or_b32 exec_lo, exec_lo, s4
.LBB92_146:
	s_or_b32 exec_lo, exec_lo, s37
	v_mov_b32_e32 v65, 0
	ds_read_b128 v[65:68], v65 offset:160
	s_waitcnt lgkmcnt(0)
	v_mul_f64 v[70:71], v[3:4], v[67:68]
	v_mul_f64 v[67:68], v[1:2], v[67:68]
	v_fma_f64 v[1:2], v[1:2], v[65:66], -v[70:71]
	v_fma_f64 v[3:4], v[3:4], v[65:66], v[67:68]
	buffer_store_dword v2, off, s[0:3], 0 offset:164
	buffer_store_dword v1, off, s[0:3], 0 offset:160
	;; [unrolled: 1-line block ×4, first 2 shown]
.LBB92_147:
	s_or_b32 exec_lo, exec_lo, s8
	v_mov_b32_e32 v4, s26
	v_cmp_lt_u32_e64 s4, 9, v0
	s_clause 0x3
	buffer_load_dword v1, v4, s[0:3], 0 offen
	buffer_load_dword v2, v4, s[0:3], 0 offen offset:4
	buffer_load_dword v3, v4, s[0:3], 0 offen offset:8
	;; [unrolled: 1-line block ×3, first 2 shown]
	s_waitcnt vmcnt(0)
	ds_write_b128 v64, v[1:4]
	s_waitcnt lgkmcnt(0)
	s_waitcnt_vscnt null, 0x0
	s_barrier
	buffer_gl0_inv
	s_and_saveexec_b32 s8, s4
	s_cbranch_execz .LBB92_155
; %bb.148:
	ds_read_b128 v[1:4], v64
	s_andn2_b32 vcc_lo, exec_lo, s36
	s_cbranch_vccnz .LBB92_150
; %bb.149:
	s_clause 0x3
	buffer_load_dword v65, v63, s[0:3], 0 offen offset:8
	buffer_load_dword v66, v63, s[0:3], 0 offen offset:12
	buffer_load_dword v67, v63, s[0:3], 0 offen
	buffer_load_dword v68, v63, s[0:3], 0 offen offset:4
	s_waitcnt vmcnt(2) lgkmcnt(0)
	v_mul_f64 v[70:71], v[3:4], v[65:66]
	v_mul_f64 v[65:66], v[1:2], v[65:66]
	s_waitcnt vmcnt(0)
	v_fma_f64 v[1:2], v[1:2], v[67:68], -v[70:71]
	v_fma_f64 v[3:4], v[3:4], v[67:68], v[65:66]
.LBB92_150:
	s_and_saveexec_b32 s37, s5
	s_cbranch_execz .LBB92_154
; %bb.151:
	v_add_nc_u32_e32 v65, -10, v0
	s_movk_i32 s38, 0x270
	s_mov_b32 s5, 0
	s_mov_b32 s39, s25
	.p2align	6
.LBB92_152:                             ; =>This Inner Loop Header: Depth=1
	v_mov_b32_e32 v68, s39
	v_add_nc_u32_e32 v65, -1, v65
	s_add_i32 s39, s39, 16
	s_clause 0x3
	buffer_load_dword v66, v68, s[0:3], 0 offen offset:8
	buffer_load_dword v67, v68, s[0:3], 0 offen offset:12
	buffer_load_dword v74, v68, s[0:3], 0 offen
	buffer_load_dword v75, v68, s[0:3], 0 offen offset:4
	v_mov_b32_e32 v68, s38
	v_cmp_eq_u32_e32 vcc_lo, 0, v65
	s_add_i32 s38, s38, 16
	ds_read_b128 v[70:73], v68
	s_or_b32 s5, vcc_lo, s5
	s_waitcnt vmcnt(2) lgkmcnt(0)
	v_mul_f64 v[76:77], v[72:73], v[66:67]
	v_mul_f64 v[66:67], v[70:71], v[66:67]
	s_waitcnt vmcnt(0)
	v_fma_f64 v[70:71], v[70:71], v[74:75], -v[76:77]
	v_fma_f64 v[66:67], v[72:73], v[74:75], v[66:67]
	v_add_f64 v[1:2], v[1:2], v[70:71]
	v_add_f64 v[3:4], v[3:4], v[66:67]
	s_andn2_b32 exec_lo, exec_lo, s5
	s_cbranch_execnz .LBB92_152
; %bb.153:
	s_or_b32 exec_lo, exec_lo, s5
.LBB92_154:
	s_or_b32 exec_lo, exec_lo, s37
	v_mov_b32_e32 v65, 0
	ds_read_b128 v[65:68], v65 offset:144
	s_waitcnt lgkmcnt(0)
	v_mul_f64 v[70:71], v[3:4], v[67:68]
	v_mul_f64 v[67:68], v[1:2], v[67:68]
	v_fma_f64 v[1:2], v[1:2], v[65:66], -v[70:71]
	v_fma_f64 v[3:4], v[3:4], v[65:66], v[67:68]
	buffer_store_dword v2, off, s[0:3], 0 offset:148
	buffer_store_dword v1, off, s[0:3], 0 offset:144
	;; [unrolled: 1-line block ×4, first 2 shown]
.LBB92_155:
	s_or_b32 exec_lo, exec_lo, s8
	v_mov_b32_e32 v4, s27
	v_cmp_lt_u32_e64 s5, 8, v0
	s_clause 0x3
	buffer_load_dword v1, v4, s[0:3], 0 offen
	buffer_load_dword v2, v4, s[0:3], 0 offen offset:4
	buffer_load_dword v3, v4, s[0:3], 0 offen offset:8
	;; [unrolled: 1-line block ×3, first 2 shown]
	s_waitcnt vmcnt(0)
	ds_write_b128 v64, v[1:4]
	s_waitcnt lgkmcnt(0)
	s_waitcnt_vscnt null, 0x0
	s_barrier
	buffer_gl0_inv
	s_and_saveexec_b32 s8, s5
	s_cbranch_execz .LBB92_163
; %bb.156:
	ds_read_b128 v[1:4], v64
	s_andn2_b32 vcc_lo, exec_lo, s36
	s_cbranch_vccnz .LBB92_158
; %bb.157:
	s_clause 0x3
	buffer_load_dword v65, v63, s[0:3], 0 offen offset:8
	buffer_load_dword v66, v63, s[0:3], 0 offen offset:12
	buffer_load_dword v67, v63, s[0:3], 0 offen
	buffer_load_dword v68, v63, s[0:3], 0 offen offset:4
	s_waitcnt vmcnt(2) lgkmcnt(0)
	v_mul_f64 v[70:71], v[3:4], v[65:66]
	v_mul_f64 v[65:66], v[1:2], v[65:66]
	s_waitcnt vmcnt(0)
	v_fma_f64 v[1:2], v[1:2], v[67:68], -v[70:71]
	v_fma_f64 v[3:4], v[3:4], v[67:68], v[65:66]
.LBB92_158:
	s_and_saveexec_b32 s37, s4
	s_cbranch_execz .LBB92_162
; %bb.159:
	v_add_nc_u32_e32 v65, -9, v0
	s_movk_i32 s38, 0x260
	s_mov_b32 s4, 0
	s_mov_b32 s39, s26
	.p2align	6
.LBB92_160:                             ; =>This Inner Loop Header: Depth=1
	v_mov_b32_e32 v68, s39
	v_add_nc_u32_e32 v65, -1, v65
	s_add_i32 s39, s39, 16
	s_clause 0x3
	buffer_load_dword v66, v68, s[0:3], 0 offen offset:8
	buffer_load_dword v67, v68, s[0:3], 0 offen offset:12
	buffer_load_dword v74, v68, s[0:3], 0 offen
	buffer_load_dword v75, v68, s[0:3], 0 offen offset:4
	v_mov_b32_e32 v68, s38
	v_cmp_eq_u32_e32 vcc_lo, 0, v65
	s_add_i32 s38, s38, 16
	ds_read_b128 v[70:73], v68
	s_or_b32 s4, vcc_lo, s4
	s_waitcnt vmcnt(2) lgkmcnt(0)
	v_mul_f64 v[76:77], v[72:73], v[66:67]
	v_mul_f64 v[66:67], v[70:71], v[66:67]
	s_waitcnt vmcnt(0)
	v_fma_f64 v[70:71], v[70:71], v[74:75], -v[76:77]
	v_fma_f64 v[66:67], v[72:73], v[74:75], v[66:67]
	v_add_f64 v[1:2], v[1:2], v[70:71]
	v_add_f64 v[3:4], v[3:4], v[66:67]
	s_andn2_b32 exec_lo, exec_lo, s4
	s_cbranch_execnz .LBB92_160
; %bb.161:
	s_or_b32 exec_lo, exec_lo, s4
.LBB92_162:
	s_or_b32 exec_lo, exec_lo, s37
	v_mov_b32_e32 v65, 0
	ds_read_b128 v[65:68], v65 offset:128
	s_waitcnt lgkmcnt(0)
	v_mul_f64 v[70:71], v[3:4], v[67:68]
	v_mul_f64 v[67:68], v[1:2], v[67:68]
	v_fma_f64 v[1:2], v[1:2], v[65:66], -v[70:71]
	v_fma_f64 v[3:4], v[3:4], v[65:66], v[67:68]
	buffer_store_dword v2, off, s[0:3], 0 offset:132
	buffer_store_dword v1, off, s[0:3], 0 offset:128
	buffer_store_dword v4, off, s[0:3], 0 offset:140
	buffer_store_dword v3, off, s[0:3], 0 offset:136
.LBB92_163:
	s_or_b32 exec_lo, exec_lo, s8
	v_mov_b32_e32 v4, s28
	v_cmp_lt_u32_e64 s4, 7, v0
	s_clause 0x3
	buffer_load_dword v1, v4, s[0:3], 0 offen
	buffer_load_dword v2, v4, s[0:3], 0 offen offset:4
	buffer_load_dword v3, v4, s[0:3], 0 offen offset:8
	;; [unrolled: 1-line block ×3, first 2 shown]
	s_waitcnt vmcnt(0)
	ds_write_b128 v64, v[1:4]
	s_waitcnt lgkmcnt(0)
	s_waitcnt_vscnt null, 0x0
	s_barrier
	buffer_gl0_inv
	s_and_saveexec_b32 s8, s4
	s_cbranch_execz .LBB92_171
; %bb.164:
	ds_read_b128 v[1:4], v64
	s_andn2_b32 vcc_lo, exec_lo, s36
	s_cbranch_vccnz .LBB92_166
; %bb.165:
	s_clause 0x3
	buffer_load_dword v65, v63, s[0:3], 0 offen offset:8
	buffer_load_dword v66, v63, s[0:3], 0 offen offset:12
	buffer_load_dword v67, v63, s[0:3], 0 offen
	buffer_load_dword v68, v63, s[0:3], 0 offen offset:4
	s_waitcnt vmcnt(2) lgkmcnt(0)
	v_mul_f64 v[70:71], v[3:4], v[65:66]
	v_mul_f64 v[65:66], v[1:2], v[65:66]
	s_waitcnt vmcnt(0)
	v_fma_f64 v[1:2], v[1:2], v[67:68], -v[70:71]
	v_fma_f64 v[3:4], v[3:4], v[67:68], v[65:66]
.LBB92_166:
	s_and_saveexec_b32 s37, s5
	s_cbranch_execz .LBB92_170
; %bb.167:
	v_add_nc_u32_e32 v65, -8, v0
	s_movk_i32 s38, 0x250
	s_mov_b32 s5, 0
	s_mov_b32 s39, s27
	.p2align	6
.LBB92_168:                             ; =>This Inner Loop Header: Depth=1
	v_mov_b32_e32 v68, s39
	v_add_nc_u32_e32 v65, -1, v65
	s_add_i32 s39, s39, 16
	s_clause 0x3
	buffer_load_dword v66, v68, s[0:3], 0 offen offset:8
	buffer_load_dword v67, v68, s[0:3], 0 offen offset:12
	buffer_load_dword v74, v68, s[0:3], 0 offen
	buffer_load_dword v75, v68, s[0:3], 0 offen offset:4
	v_mov_b32_e32 v68, s38
	v_cmp_eq_u32_e32 vcc_lo, 0, v65
	s_add_i32 s38, s38, 16
	ds_read_b128 v[70:73], v68
	s_or_b32 s5, vcc_lo, s5
	s_waitcnt vmcnt(2) lgkmcnt(0)
	v_mul_f64 v[76:77], v[72:73], v[66:67]
	v_mul_f64 v[66:67], v[70:71], v[66:67]
	s_waitcnt vmcnt(0)
	v_fma_f64 v[70:71], v[70:71], v[74:75], -v[76:77]
	v_fma_f64 v[66:67], v[72:73], v[74:75], v[66:67]
	v_add_f64 v[1:2], v[1:2], v[70:71]
	v_add_f64 v[3:4], v[3:4], v[66:67]
	s_andn2_b32 exec_lo, exec_lo, s5
	s_cbranch_execnz .LBB92_168
; %bb.169:
	s_or_b32 exec_lo, exec_lo, s5
.LBB92_170:
	s_or_b32 exec_lo, exec_lo, s37
	v_mov_b32_e32 v65, 0
	ds_read_b128 v[65:68], v65 offset:112
	s_waitcnt lgkmcnt(0)
	v_mul_f64 v[70:71], v[3:4], v[67:68]
	v_mul_f64 v[67:68], v[1:2], v[67:68]
	v_fma_f64 v[1:2], v[1:2], v[65:66], -v[70:71]
	v_fma_f64 v[3:4], v[3:4], v[65:66], v[67:68]
	buffer_store_dword v2, off, s[0:3], 0 offset:116
	buffer_store_dword v1, off, s[0:3], 0 offset:112
	;; [unrolled: 1-line block ×4, first 2 shown]
.LBB92_171:
	s_or_b32 exec_lo, exec_lo, s8
	v_mov_b32_e32 v4, s29
	v_cmp_lt_u32_e64 s5, 6, v0
	s_clause 0x3
	buffer_load_dword v1, v4, s[0:3], 0 offen
	buffer_load_dword v2, v4, s[0:3], 0 offen offset:4
	buffer_load_dword v3, v4, s[0:3], 0 offen offset:8
	;; [unrolled: 1-line block ×3, first 2 shown]
	s_waitcnt vmcnt(0)
	ds_write_b128 v64, v[1:4]
	s_waitcnt lgkmcnt(0)
	s_waitcnt_vscnt null, 0x0
	s_barrier
	buffer_gl0_inv
	s_and_saveexec_b32 s8, s5
	s_cbranch_execz .LBB92_179
; %bb.172:
	ds_read_b128 v[1:4], v64
	s_andn2_b32 vcc_lo, exec_lo, s36
	s_cbranch_vccnz .LBB92_174
; %bb.173:
	s_clause 0x3
	buffer_load_dword v65, v63, s[0:3], 0 offen offset:8
	buffer_load_dword v66, v63, s[0:3], 0 offen offset:12
	buffer_load_dword v67, v63, s[0:3], 0 offen
	buffer_load_dword v68, v63, s[0:3], 0 offen offset:4
	s_waitcnt vmcnt(2) lgkmcnt(0)
	v_mul_f64 v[70:71], v[3:4], v[65:66]
	v_mul_f64 v[65:66], v[1:2], v[65:66]
	s_waitcnt vmcnt(0)
	v_fma_f64 v[1:2], v[1:2], v[67:68], -v[70:71]
	v_fma_f64 v[3:4], v[3:4], v[67:68], v[65:66]
.LBB92_174:
	s_and_saveexec_b32 s37, s4
	s_cbranch_execz .LBB92_178
; %bb.175:
	v_add_nc_u32_e32 v65, -7, v0
	s_movk_i32 s38, 0x240
	s_mov_b32 s4, 0
	s_mov_b32 s39, s28
	.p2align	6
.LBB92_176:                             ; =>This Inner Loop Header: Depth=1
	v_mov_b32_e32 v68, s39
	v_add_nc_u32_e32 v65, -1, v65
	s_add_i32 s39, s39, 16
	s_clause 0x3
	buffer_load_dword v66, v68, s[0:3], 0 offen offset:8
	buffer_load_dword v67, v68, s[0:3], 0 offen offset:12
	buffer_load_dword v74, v68, s[0:3], 0 offen
	buffer_load_dword v75, v68, s[0:3], 0 offen offset:4
	v_mov_b32_e32 v68, s38
	v_cmp_eq_u32_e32 vcc_lo, 0, v65
	s_add_i32 s38, s38, 16
	ds_read_b128 v[70:73], v68
	s_or_b32 s4, vcc_lo, s4
	s_waitcnt vmcnt(2) lgkmcnt(0)
	v_mul_f64 v[76:77], v[72:73], v[66:67]
	v_mul_f64 v[66:67], v[70:71], v[66:67]
	s_waitcnt vmcnt(0)
	v_fma_f64 v[70:71], v[70:71], v[74:75], -v[76:77]
	v_fma_f64 v[66:67], v[72:73], v[74:75], v[66:67]
	v_add_f64 v[1:2], v[1:2], v[70:71]
	v_add_f64 v[3:4], v[3:4], v[66:67]
	s_andn2_b32 exec_lo, exec_lo, s4
	s_cbranch_execnz .LBB92_176
; %bb.177:
	s_or_b32 exec_lo, exec_lo, s4
.LBB92_178:
	s_or_b32 exec_lo, exec_lo, s37
	v_mov_b32_e32 v65, 0
	ds_read_b128 v[65:68], v65 offset:96
	s_waitcnt lgkmcnt(0)
	v_mul_f64 v[70:71], v[3:4], v[67:68]
	v_mul_f64 v[67:68], v[1:2], v[67:68]
	v_fma_f64 v[1:2], v[1:2], v[65:66], -v[70:71]
	v_fma_f64 v[3:4], v[3:4], v[65:66], v[67:68]
	buffer_store_dword v2, off, s[0:3], 0 offset:100
	buffer_store_dword v1, off, s[0:3], 0 offset:96
	;; [unrolled: 1-line block ×4, first 2 shown]
.LBB92_179:
	s_or_b32 exec_lo, exec_lo, s8
	v_mov_b32_e32 v4, s30
	v_cmp_lt_u32_e64 s4, 5, v0
	s_clause 0x3
	buffer_load_dword v1, v4, s[0:3], 0 offen
	buffer_load_dword v2, v4, s[0:3], 0 offen offset:4
	buffer_load_dword v3, v4, s[0:3], 0 offen offset:8
	;; [unrolled: 1-line block ×3, first 2 shown]
	s_waitcnt vmcnt(0)
	ds_write_b128 v64, v[1:4]
	s_waitcnt lgkmcnt(0)
	s_waitcnt_vscnt null, 0x0
	s_barrier
	buffer_gl0_inv
	s_and_saveexec_b32 s8, s4
	s_cbranch_execz .LBB92_187
; %bb.180:
	ds_read_b128 v[1:4], v64
	s_andn2_b32 vcc_lo, exec_lo, s36
	s_cbranch_vccnz .LBB92_182
; %bb.181:
	s_clause 0x3
	buffer_load_dword v65, v63, s[0:3], 0 offen offset:8
	buffer_load_dword v66, v63, s[0:3], 0 offen offset:12
	buffer_load_dword v67, v63, s[0:3], 0 offen
	buffer_load_dword v68, v63, s[0:3], 0 offen offset:4
	s_waitcnt vmcnt(2) lgkmcnt(0)
	v_mul_f64 v[70:71], v[3:4], v[65:66]
	v_mul_f64 v[65:66], v[1:2], v[65:66]
	s_waitcnt vmcnt(0)
	v_fma_f64 v[1:2], v[1:2], v[67:68], -v[70:71]
	v_fma_f64 v[3:4], v[3:4], v[67:68], v[65:66]
.LBB92_182:
	s_and_saveexec_b32 s37, s5
	s_cbranch_execz .LBB92_186
; %bb.183:
	v_add_nc_u32_e32 v65, -6, v0
	s_movk_i32 s38, 0x230
	s_mov_b32 s5, 0
	s_mov_b32 s39, s29
	.p2align	6
.LBB92_184:                             ; =>This Inner Loop Header: Depth=1
	v_mov_b32_e32 v68, s39
	v_add_nc_u32_e32 v65, -1, v65
	s_add_i32 s39, s39, 16
	s_clause 0x3
	buffer_load_dword v66, v68, s[0:3], 0 offen offset:8
	buffer_load_dword v67, v68, s[0:3], 0 offen offset:12
	buffer_load_dword v74, v68, s[0:3], 0 offen
	buffer_load_dword v75, v68, s[0:3], 0 offen offset:4
	v_mov_b32_e32 v68, s38
	v_cmp_eq_u32_e32 vcc_lo, 0, v65
	s_add_i32 s38, s38, 16
	ds_read_b128 v[70:73], v68
	s_or_b32 s5, vcc_lo, s5
	s_waitcnt vmcnt(2) lgkmcnt(0)
	v_mul_f64 v[76:77], v[72:73], v[66:67]
	v_mul_f64 v[66:67], v[70:71], v[66:67]
	s_waitcnt vmcnt(0)
	v_fma_f64 v[70:71], v[70:71], v[74:75], -v[76:77]
	v_fma_f64 v[66:67], v[72:73], v[74:75], v[66:67]
	v_add_f64 v[1:2], v[1:2], v[70:71]
	v_add_f64 v[3:4], v[3:4], v[66:67]
	s_andn2_b32 exec_lo, exec_lo, s5
	s_cbranch_execnz .LBB92_184
; %bb.185:
	s_or_b32 exec_lo, exec_lo, s5
.LBB92_186:
	s_or_b32 exec_lo, exec_lo, s37
	v_mov_b32_e32 v65, 0
	ds_read_b128 v[65:68], v65 offset:80
	s_waitcnt lgkmcnt(0)
	v_mul_f64 v[70:71], v[3:4], v[67:68]
	v_mul_f64 v[67:68], v[1:2], v[67:68]
	v_fma_f64 v[1:2], v[1:2], v[65:66], -v[70:71]
	v_fma_f64 v[3:4], v[3:4], v[65:66], v[67:68]
	buffer_store_dword v2, off, s[0:3], 0 offset:84
	buffer_store_dword v1, off, s[0:3], 0 offset:80
	;; [unrolled: 1-line block ×4, first 2 shown]
.LBB92_187:
	s_or_b32 exec_lo, exec_lo, s8
	v_mov_b32_e32 v4, s31
	v_cmp_lt_u32_e64 s5, 4, v0
	s_clause 0x3
	buffer_load_dword v1, v4, s[0:3], 0 offen
	buffer_load_dword v2, v4, s[0:3], 0 offen offset:4
	buffer_load_dword v3, v4, s[0:3], 0 offen offset:8
	;; [unrolled: 1-line block ×3, first 2 shown]
	s_waitcnt vmcnt(0)
	ds_write_b128 v64, v[1:4]
	s_waitcnt lgkmcnt(0)
	s_waitcnt_vscnt null, 0x0
	s_barrier
	buffer_gl0_inv
	s_and_saveexec_b32 s8, s5
	s_cbranch_execz .LBB92_195
; %bb.188:
	ds_read_b128 v[1:4], v64
	s_andn2_b32 vcc_lo, exec_lo, s36
	s_cbranch_vccnz .LBB92_190
; %bb.189:
	s_clause 0x3
	buffer_load_dword v65, v63, s[0:3], 0 offen offset:8
	buffer_load_dword v66, v63, s[0:3], 0 offen offset:12
	buffer_load_dword v67, v63, s[0:3], 0 offen
	buffer_load_dword v68, v63, s[0:3], 0 offen offset:4
	s_waitcnt vmcnt(2) lgkmcnt(0)
	v_mul_f64 v[70:71], v[3:4], v[65:66]
	v_mul_f64 v[65:66], v[1:2], v[65:66]
	s_waitcnt vmcnt(0)
	v_fma_f64 v[1:2], v[1:2], v[67:68], -v[70:71]
	v_fma_f64 v[3:4], v[3:4], v[67:68], v[65:66]
.LBB92_190:
	s_and_saveexec_b32 s37, s4
	s_cbranch_execz .LBB92_194
; %bb.191:
	v_add_nc_u32_e32 v65, -5, v0
	s_movk_i32 s38, 0x220
	s_mov_b32 s4, 0
	s_mov_b32 s39, s30
	.p2align	6
.LBB92_192:                             ; =>This Inner Loop Header: Depth=1
	v_mov_b32_e32 v68, s39
	v_add_nc_u32_e32 v65, -1, v65
	s_add_i32 s39, s39, 16
	s_clause 0x3
	buffer_load_dword v66, v68, s[0:3], 0 offen offset:8
	buffer_load_dword v67, v68, s[0:3], 0 offen offset:12
	buffer_load_dword v74, v68, s[0:3], 0 offen
	buffer_load_dword v75, v68, s[0:3], 0 offen offset:4
	v_mov_b32_e32 v68, s38
	v_cmp_eq_u32_e32 vcc_lo, 0, v65
	s_add_i32 s38, s38, 16
	ds_read_b128 v[70:73], v68
	s_or_b32 s4, vcc_lo, s4
	s_waitcnt vmcnt(2) lgkmcnt(0)
	v_mul_f64 v[76:77], v[72:73], v[66:67]
	v_mul_f64 v[66:67], v[70:71], v[66:67]
	s_waitcnt vmcnt(0)
	v_fma_f64 v[70:71], v[70:71], v[74:75], -v[76:77]
	v_fma_f64 v[66:67], v[72:73], v[74:75], v[66:67]
	v_add_f64 v[1:2], v[1:2], v[70:71]
	v_add_f64 v[3:4], v[3:4], v[66:67]
	s_andn2_b32 exec_lo, exec_lo, s4
	s_cbranch_execnz .LBB92_192
; %bb.193:
	s_or_b32 exec_lo, exec_lo, s4
.LBB92_194:
	s_or_b32 exec_lo, exec_lo, s37
	v_mov_b32_e32 v65, 0
	ds_read_b128 v[65:68], v65 offset:64
	s_waitcnt lgkmcnt(0)
	v_mul_f64 v[70:71], v[3:4], v[67:68]
	v_mul_f64 v[67:68], v[1:2], v[67:68]
	v_fma_f64 v[1:2], v[1:2], v[65:66], -v[70:71]
	v_fma_f64 v[3:4], v[3:4], v[65:66], v[67:68]
	buffer_store_dword v2, off, s[0:3], 0 offset:68
	buffer_store_dword v1, off, s[0:3], 0 offset:64
	;; [unrolled: 1-line block ×4, first 2 shown]
.LBB92_195:
	s_or_b32 exec_lo, exec_lo, s8
	v_mov_b32_e32 v4, s33
	v_cmp_lt_u32_e64 s4, 3, v0
	s_clause 0x3
	buffer_load_dword v1, v4, s[0:3], 0 offen
	buffer_load_dword v2, v4, s[0:3], 0 offen offset:4
	buffer_load_dword v3, v4, s[0:3], 0 offen offset:8
	;; [unrolled: 1-line block ×3, first 2 shown]
	s_waitcnt vmcnt(0)
	ds_write_b128 v64, v[1:4]
	s_waitcnt lgkmcnt(0)
	s_waitcnt_vscnt null, 0x0
	s_barrier
	buffer_gl0_inv
	s_and_saveexec_b32 s8, s4
	s_cbranch_execz .LBB92_203
; %bb.196:
	ds_read_b128 v[1:4], v64
	s_andn2_b32 vcc_lo, exec_lo, s36
	s_cbranch_vccnz .LBB92_198
; %bb.197:
	s_clause 0x3
	buffer_load_dword v65, v63, s[0:3], 0 offen offset:8
	buffer_load_dword v66, v63, s[0:3], 0 offen offset:12
	buffer_load_dword v67, v63, s[0:3], 0 offen
	buffer_load_dword v68, v63, s[0:3], 0 offen offset:4
	s_waitcnt vmcnt(2) lgkmcnt(0)
	v_mul_f64 v[70:71], v[3:4], v[65:66]
	v_mul_f64 v[65:66], v[1:2], v[65:66]
	s_waitcnt vmcnt(0)
	v_fma_f64 v[1:2], v[1:2], v[67:68], -v[70:71]
	v_fma_f64 v[3:4], v[3:4], v[67:68], v[65:66]
.LBB92_198:
	s_and_saveexec_b32 s37, s5
	s_cbranch_execz .LBB92_202
; %bb.199:
	v_add_nc_u32_e32 v65, -4, v0
	s_movk_i32 s38, 0x210
	s_mov_b32 s5, 0
	s_mov_b32 s39, s31
	.p2align	6
.LBB92_200:                             ; =>This Inner Loop Header: Depth=1
	v_mov_b32_e32 v68, s39
	v_add_nc_u32_e32 v65, -1, v65
	s_add_i32 s39, s39, 16
	s_clause 0x3
	buffer_load_dword v66, v68, s[0:3], 0 offen offset:8
	buffer_load_dword v67, v68, s[0:3], 0 offen offset:12
	buffer_load_dword v74, v68, s[0:3], 0 offen
	buffer_load_dword v75, v68, s[0:3], 0 offen offset:4
	v_mov_b32_e32 v68, s38
	v_cmp_eq_u32_e32 vcc_lo, 0, v65
	s_add_i32 s38, s38, 16
	ds_read_b128 v[70:73], v68
	s_or_b32 s5, vcc_lo, s5
	s_waitcnt vmcnt(2) lgkmcnt(0)
	v_mul_f64 v[76:77], v[72:73], v[66:67]
	v_mul_f64 v[66:67], v[70:71], v[66:67]
	s_waitcnt vmcnt(0)
	v_fma_f64 v[70:71], v[70:71], v[74:75], -v[76:77]
	v_fma_f64 v[66:67], v[72:73], v[74:75], v[66:67]
	v_add_f64 v[1:2], v[1:2], v[70:71]
	v_add_f64 v[3:4], v[3:4], v[66:67]
	s_andn2_b32 exec_lo, exec_lo, s5
	s_cbranch_execnz .LBB92_200
; %bb.201:
	s_or_b32 exec_lo, exec_lo, s5
.LBB92_202:
	s_or_b32 exec_lo, exec_lo, s37
	v_mov_b32_e32 v65, 0
	ds_read_b128 v[65:68], v65 offset:48
	s_waitcnt lgkmcnt(0)
	v_mul_f64 v[70:71], v[3:4], v[67:68]
	v_mul_f64 v[67:68], v[1:2], v[67:68]
	v_fma_f64 v[1:2], v[1:2], v[65:66], -v[70:71]
	v_fma_f64 v[3:4], v[3:4], v[65:66], v[67:68]
	buffer_store_dword v2, off, s[0:3], 0 offset:52
	buffer_store_dword v1, off, s[0:3], 0 offset:48
	;; [unrolled: 1-line block ×4, first 2 shown]
.LBB92_203:
	s_or_b32 exec_lo, exec_lo, s8
	v_mov_b32_e32 v4, s34
	v_cmp_lt_u32_e64 s5, 2, v0
	s_clause 0x3
	buffer_load_dword v1, v4, s[0:3], 0 offen
	buffer_load_dword v2, v4, s[0:3], 0 offen offset:4
	buffer_load_dword v3, v4, s[0:3], 0 offen offset:8
	buffer_load_dword v4, v4, s[0:3], 0 offen offset:12
	s_waitcnt vmcnt(0)
	ds_write_b128 v64, v[1:4]
	s_waitcnt lgkmcnt(0)
	s_waitcnt_vscnt null, 0x0
	s_barrier
	buffer_gl0_inv
	s_and_saveexec_b32 s8, s5
	s_cbranch_execz .LBB92_211
; %bb.204:
	ds_read_b128 v[1:4], v64
	s_andn2_b32 vcc_lo, exec_lo, s36
	s_cbranch_vccnz .LBB92_206
; %bb.205:
	s_clause 0x3
	buffer_load_dword v65, v63, s[0:3], 0 offen offset:8
	buffer_load_dword v66, v63, s[0:3], 0 offen offset:12
	buffer_load_dword v67, v63, s[0:3], 0 offen
	buffer_load_dword v68, v63, s[0:3], 0 offen offset:4
	s_waitcnt vmcnt(2) lgkmcnt(0)
	v_mul_f64 v[70:71], v[3:4], v[65:66]
	v_mul_f64 v[65:66], v[1:2], v[65:66]
	s_waitcnt vmcnt(0)
	v_fma_f64 v[1:2], v[1:2], v[67:68], -v[70:71]
	v_fma_f64 v[3:4], v[3:4], v[67:68], v[65:66]
.LBB92_206:
	s_and_saveexec_b32 s37, s4
	s_cbranch_execz .LBB92_210
; %bb.207:
	v_add_nc_u32_e32 v65, -3, v0
	s_movk_i32 s38, 0x200
	s_mov_b32 s4, 0
	s_mov_b32 s39, s33
	.p2align	6
.LBB92_208:                             ; =>This Inner Loop Header: Depth=1
	v_mov_b32_e32 v68, s39
	v_add_nc_u32_e32 v65, -1, v65
	s_add_i32 s39, s39, 16
	s_clause 0x3
	buffer_load_dword v66, v68, s[0:3], 0 offen offset:8
	buffer_load_dword v67, v68, s[0:3], 0 offen offset:12
	buffer_load_dword v74, v68, s[0:3], 0 offen
	buffer_load_dword v75, v68, s[0:3], 0 offen offset:4
	v_mov_b32_e32 v68, s38
	v_cmp_eq_u32_e32 vcc_lo, 0, v65
	s_add_i32 s38, s38, 16
	ds_read_b128 v[70:73], v68
	s_or_b32 s4, vcc_lo, s4
	s_waitcnt vmcnt(2) lgkmcnt(0)
	v_mul_f64 v[76:77], v[72:73], v[66:67]
	v_mul_f64 v[66:67], v[70:71], v[66:67]
	s_waitcnt vmcnt(0)
	v_fma_f64 v[70:71], v[70:71], v[74:75], -v[76:77]
	v_fma_f64 v[66:67], v[72:73], v[74:75], v[66:67]
	v_add_f64 v[1:2], v[1:2], v[70:71]
	v_add_f64 v[3:4], v[3:4], v[66:67]
	s_andn2_b32 exec_lo, exec_lo, s4
	s_cbranch_execnz .LBB92_208
; %bb.209:
	s_or_b32 exec_lo, exec_lo, s4
.LBB92_210:
	s_or_b32 exec_lo, exec_lo, s37
	v_mov_b32_e32 v65, 0
	ds_read_b128 v[65:68], v65 offset:32
	s_waitcnt lgkmcnt(0)
	v_mul_f64 v[70:71], v[3:4], v[67:68]
	v_mul_f64 v[67:68], v[1:2], v[67:68]
	v_fma_f64 v[1:2], v[1:2], v[65:66], -v[70:71]
	v_fma_f64 v[3:4], v[3:4], v[65:66], v[67:68]
	buffer_store_dword v2, off, s[0:3], 0 offset:36
	buffer_store_dword v1, off, s[0:3], 0 offset:32
	;; [unrolled: 1-line block ×4, first 2 shown]
.LBB92_211:
	s_or_b32 exec_lo, exec_lo, s8
	v_mov_b32_e32 v4, s35
	v_cmp_lt_u32_e64 s4, 1, v0
	s_clause 0x3
	buffer_load_dword v1, v4, s[0:3], 0 offen
	buffer_load_dword v2, v4, s[0:3], 0 offen offset:4
	buffer_load_dword v3, v4, s[0:3], 0 offen offset:8
	;; [unrolled: 1-line block ×3, first 2 shown]
	s_waitcnt vmcnt(0)
	ds_write_b128 v64, v[1:4]
	s_waitcnt lgkmcnt(0)
	s_waitcnt_vscnt null, 0x0
	s_barrier
	buffer_gl0_inv
	s_and_saveexec_b32 s8, s4
	s_cbranch_execz .LBB92_219
; %bb.212:
	ds_read_b128 v[1:4], v64
	s_andn2_b32 vcc_lo, exec_lo, s36
	s_cbranch_vccnz .LBB92_214
; %bb.213:
	s_clause 0x3
	buffer_load_dword v65, v63, s[0:3], 0 offen offset:8
	buffer_load_dword v66, v63, s[0:3], 0 offen offset:12
	buffer_load_dword v67, v63, s[0:3], 0 offen
	buffer_load_dword v68, v63, s[0:3], 0 offen offset:4
	s_waitcnt vmcnt(2) lgkmcnt(0)
	v_mul_f64 v[70:71], v[3:4], v[65:66]
	v_mul_f64 v[65:66], v[1:2], v[65:66]
	s_waitcnt vmcnt(0)
	v_fma_f64 v[1:2], v[1:2], v[67:68], -v[70:71]
	v_fma_f64 v[3:4], v[3:4], v[67:68], v[65:66]
.LBB92_214:
	s_and_saveexec_b32 s37, s5
	s_cbranch_execz .LBB92_218
; %bb.215:
	v_add_nc_u32_e32 v65, -2, v0
	s_movk_i32 s38, 0x1f0
	s_mov_b32 s5, 0
	s_mov_b32 s39, s34
	.p2align	6
.LBB92_216:                             ; =>This Inner Loop Header: Depth=1
	v_mov_b32_e32 v68, s39
	v_add_nc_u32_e32 v65, -1, v65
	s_add_i32 s39, s39, 16
	s_clause 0x3
	buffer_load_dword v66, v68, s[0:3], 0 offen offset:8
	buffer_load_dword v67, v68, s[0:3], 0 offen offset:12
	buffer_load_dword v74, v68, s[0:3], 0 offen
	buffer_load_dword v75, v68, s[0:3], 0 offen offset:4
	v_mov_b32_e32 v68, s38
	v_cmp_eq_u32_e32 vcc_lo, 0, v65
	s_add_i32 s38, s38, 16
	ds_read_b128 v[70:73], v68
	s_or_b32 s5, vcc_lo, s5
	s_waitcnt vmcnt(2) lgkmcnt(0)
	v_mul_f64 v[76:77], v[72:73], v[66:67]
	v_mul_f64 v[66:67], v[70:71], v[66:67]
	s_waitcnt vmcnt(0)
	v_fma_f64 v[70:71], v[70:71], v[74:75], -v[76:77]
	v_fma_f64 v[66:67], v[72:73], v[74:75], v[66:67]
	v_add_f64 v[1:2], v[1:2], v[70:71]
	v_add_f64 v[3:4], v[3:4], v[66:67]
	s_andn2_b32 exec_lo, exec_lo, s5
	s_cbranch_execnz .LBB92_216
; %bb.217:
	s_or_b32 exec_lo, exec_lo, s5
.LBB92_218:
	s_or_b32 exec_lo, exec_lo, s37
	v_mov_b32_e32 v65, 0
	ds_read_b128 v[65:68], v65 offset:16
	s_waitcnt lgkmcnt(0)
	v_mul_f64 v[70:71], v[3:4], v[67:68]
	v_mul_f64 v[67:68], v[1:2], v[67:68]
	v_fma_f64 v[1:2], v[1:2], v[65:66], -v[70:71]
	v_fma_f64 v[3:4], v[3:4], v[65:66], v[67:68]
	buffer_store_dword v2, off, s[0:3], 0 offset:20
	buffer_store_dword v1, off, s[0:3], 0 offset:16
	;; [unrolled: 1-line block ×4, first 2 shown]
.LBB92_219:
	s_or_b32 exec_lo, exec_lo, s8
	s_clause 0x3
	buffer_load_dword v1, off, s[0:3], 0
	buffer_load_dword v2, off, s[0:3], 0 offset:4
	buffer_load_dword v3, off, s[0:3], 0 offset:8
	;; [unrolled: 1-line block ×3, first 2 shown]
	s_mov_b32 s8, 0
	s_mov_b32 s5, 0
	s_mov_b32 s37, exec_lo
                                        ; implicit-def: $sgpr38
	s_waitcnt vmcnt(0)
	ds_write_b128 v64, v[1:4]
	s_waitcnt lgkmcnt(0)
	s_waitcnt_vscnt null, 0x0
	s_barrier
	buffer_gl0_inv
                                        ; implicit-def: $vgpr1_vgpr2
	v_cmpx_ne_u32_e32 0, v0
	s_cbranch_execz .LBB92_227
; %bb.220:
	ds_read_b128 v[1:4], v64
	s_andn2_b32 vcc_lo, exec_lo, s36
	s_cbranch_vccnz .LBB92_222
; %bb.221:
	s_clause 0x3
	buffer_load_dword v65, v63, s[0:3], 0 offen offset:8
	buffer_load_dword v66, v63, s[0:3], 0 offen offset:12
	buffer_load_dword v67, v63, s[0:3], 0 offen
	buffer_load_dword v68, v63, s[0:3], 0 offen offset:4
	s_waitcnt vmcnt(2) lgkmcnt(0)
	v_mul_f64 v[70:71], v[3:4], v[65:66]
	v_mul_f64 v[65:66], v[1:2], v[65:66]
	s_waitcnt vmcnt(0)
	v_fma_f64 v[1:2], v[1:2], v[67:68], -v[70:71]
	v_fma_f64 v[3:4], v[3:4], v[67:68], v[65:66]
.LBB92_222:
	s_and_saveexec_b32 s5, s4
	s_cbranch_execz .LBB92_226
; %bb.223:
	v_add_nc_u32_e32 v65, -1, v0
	s_movk_i32 s38, 0x1e0
	s_mov_b32 s4, 0
	s_mov_b32 s39, s35
	.p2align	6
.LBB92_224:                             ; =>This Inner Loop Header: Depth=1
	v_mov_b32_e32 v68, s39
	v_add_nc_u32_e32 v65, -1, v65
	s_add_i32 s39, s39, 16
	s_clause 0x3
	buffer_load_dword v66, v68, s[0:3], 0 offen offset:8
	buffer_load_dword v67, v68, s[0:3], 0 offen offset:12
	buffer_load_dword v74, v68, s[0:3], 0 offen
	buffer_load_dword v75, v68, s[0:3], 0 offen offset:4
	v_mov_b32_e32 v68, s38
	v_cmp_eq_u32_e32 vcc_lo, 0, v65
	s_add_i32 s38, s38, 16
	ds_read_b128 v[70:73], v68
	s_or_b32 s4, vcc_lo, s4
	s_waitcnt vmcnt(2) lgkmcnt(0)
	v_mul_f64 v[76:77], v[72:73], v[66:67]
	v_mul_f64 v[66:67], v[70:71], v[66:67]
	s_waitcnt vmcnt(0)
	v_fma_f64 v[70:71], v[70:71], v[74:75], -v[76:77]
	v_fma_f64 v[66:67], v[72:73], v[74:75], v[66:67]
	v_add_f64 v[1:2], v[1:2], v[70:71]
	v_add_f64 v[3:4], v[3:4], v[66:67]
	s_andn2_b32 exec_lo, exec_lo, s4
	s_cbranch_execnz .LBB92_224
; %bb.225:
	s_or_b32 exec_lo, exec_lo, s4
.LBB92_226:
	s_or_b32 exec_lo, exec_lo, s5
	v_mov_b32_e32 v65, 0
	s_mov_b32 s5, exec_lo
	s_or_b32 s38, 0, 8
	ds_read_b128 v[65:68], v65
	s_waitcnt lgkmcnt(0)
	v_mul_f64 v[70:71], v[3:4], v[67:68]
	v_mul_f64 v[67:68], v[1:2], v[67:68]
	v_fma_f64 v[70:71], v[1:2], v[65:66], -v[70:71]
	v_fma_f64 v[1:2], v[3:4], v[65:66], v[67:68]
	buffer_store_dword v71, off, s[0:3], 0 offset:4
	buffer_store_dword v70, off, s[0:3], 0
.LBB92_227:
	s_or_b32 exec_lo, exec_lo, s37
	s_and_b32 vcc_lo, exec_lo, s8
	s_cbranch_vccnz .LBB92_229
	s_branch .LBB92_448
.LBB92_228:
	s_mov_b32 s5, 0
                                        ; implicit-def: $vgpr1_vgpr2
                                        ; implicit-def: $sgpr38
	s_cbranch_execz .LBB92_448
.LBB92_229:
	v_mov_b32_e32 v4, s35
	v_cmp_eq_u32_e64 s4, 0, v0
	v_cndmask_b32_e64 v65, 0, 1, s36
	s_clause 0x3
	buffer_load_dword v1, v4, s[0:3], 0 offen
	buffer_load_dword v2, v4, s[0:3], 0 offen offset:4
	buffer_load_dword v3, v4, s[0:3], 0 offen offset:8
	;; [unrolled: 1-line block ×3, first 2 shown]
	s_waitcnt vmcnt(0)
	ds_write_b128 v64, v[1:4]
	s_waitcnt lgkmcnt(0)
	s_waitcnt_vscnt null, 0x0
	s_barrier
	buffer_gl0_inv
	s_and_saveexec_b32 s8, s4
	s_cbranch_execz .LBB92_233
; %bb.230:
	ds_read_b128 v[1:4], v64
	s_andn2_b32 vcc_lo, exec_lo, s36
	s_cbranch_vccnz .LBB92_232
; %bb.231:
	s_clause 0x3
	buffer_load_dword v66, v63, s[0:3], 0 offen offset:8
	buffer_load_dword v67, v63, s[0:3], 0 offen offset:12
	buffer_load_dword v70, v63, s[0:3], 0 offen
	buffer_load_dword v71, v63, s[0:3], 0 offen offset:4
	s_waitcnt vmcnt(2) lgkmcnt(0)
	v_mul_f64 v[72:73], v[3:4], v[66:67]
	v_mul_f64 v[66:67], v[1:2], v[66:67]
	s_waitcnt vmcnt(0)
	v_fma_f64 v[1:2], v[1:2], v[70:71], -v[72:73]
	v_fma_f64 v[3:4], v[3:4], v[70:71], v[66:67]
.LBB92_232:
	v_mov_b32_e32 v66, 0
	ds_read_b128 v[70:73], v66 offset:16
	s_waitcnt lgkmcnt(0)
	v_mul_f64 v[66:67], v[3:4], v[72:73]
	v_mul_f64 v[72:73], v[1:2], v[72:73]
	v_fma_f64 v[1:2], v[1:2], v[70:71], -v[66:67]
	v_fma_f64 v[3:4], v[3:4], v[70:71], v[72:73]
	buffer_store_dword v2, off, s[0:3], 0 offset:20
	buffer_store_dword v1, off, s[0:3], 0 offset:16
	;; [unrolled: 1-line block ×4, first 2 shown]
.LBB92_233:
	s_or_b32 exec_lo, exec_lo, s8
	v_mov_b32_e32 v4, s34
	s_mov_b32 s8, exec_lo
	s_clause 0x3
	buffer_load_dword v1, v4, s[0:3], 0 offen
	buffer_load_dword v2, v4, s[0:3], 0 offen offset:4
	buffer_load_dword v3, v4, s[0:3], 0 offen offset:8
	;; [unrolled: 1-line block ×3, first 2 shown]
	s_waitcnt vmcnt(0)
	ds_write_b128 v64, v[1:4]
	s_waitcnt lgkmcnt(0)
	s_waitcnt_vscnt null, 0x0
	s_barrier
	buffer_gl0_inv
	v_cmpx_gt_u32_e32 2, v0
	s_cbranch_execz .LBB92_239
; %bb.234:
	ds_read_b128 v[1:4], v64
	v_cmp_ne_u32_e32 vcc_lo, 1, v65
	s_cbranch_vccnz .LBB92_236
; %bb.235:
	s_clause 0x3
	buffer_load_dword v66, v63, s[0:3], 0 offen offset:8
	buffer_load_dword v67, v63, s[0:3], 0 offen offset:12
	buffer_load_dword v70, v63, s[0:3], 0 offen
	buffer_load_dword v71, v63, s[0:3], 0 offen offset:4
	s_waitcnt vmcnt(2) lgkmcnt(0)
	v_mul_f64 v[72:73], v[3:4], v[66:67]
	v_mul_f64 v[66:67], v[1:2], v[66:67]
	s_waitcnt vmcnt(0)
	v_fma_f64 v[1:2], v[1:2], v[70:71], -v[72:73]
	v_fma_f64 v[3:4], v[3:4], v[70:71], v[66:67]
.LBB92_236:
	s_and_saveexec_b32 s36, s4
	s_cbranch_execz .LBB92_238
; %bb.237:
	s_clause 0x3
	buffer_load_dword v66, off, s[0:3], 0 offset:24
	buffer_load_dword v67, off, s[0:3], 0 offset:28
	;; [unrolled: 1-line block ×4, first 2 shown]
	v_mov_b32_e32 v68, 0
	ds_read_b128 v[70:73], v68 offset:480
	s_waitcnt vmcnt(2) lgkmcnt(0)
	v_mul_f64 v[76:77], v[72:73], v[66:67]
	v_mul_f64 v[66:67], v[70:71], v[66:67]
	s_waitcnt vmcnt(0)
	v_fma_f64 v[70:71], v[70:71], v[74:75], -v[76:77]
	v_fma_f64 v[66:67], v[72:73], v[74:75], v[66:67]
	v_add_f64 v[1:2], v[1:2], v[70:71]
	v_add_f64 v[3:4], v[3:4], v[66:67]
.LBB92_238:
	s_or_b32 exec_lo, exec_lo, s36
	v_mov_b32_e32 v66, 0
	ds_read_b128 v[70:73], v66 offset:32
	s_waitcnt lgkmcnt(0)
	v_mul_f64 v[66:67], v[3:4], v[72:73]
	v_mul_f64 v[72:73], v[1:2], v[72:73]
	v_fma_f64 v[1:2], v[1:2], v[70:71], -v[66:67]
	v_fma_f64 v[3:4], v[3:4], v[70:71], v[72:73]
	buffer_store_dword v2, off, s[0:3], 0 offset:36
	buffer_store_dword v1, off, s[0:3], 0 offset:32
	;; [unrolled: 1-line block ×4, first 2 shown]
.LBB92_239:
	s_or_b32 exec_lo, exec_lo, s8
	v_mov_b32_e32 v4, s33
	s_mov_b32 s8, exec_lo
	s_clause 0x3
	buffer_load_dword v1, v4, s[0:3], 0 offen
	buffer_load_dword v2, v4, s[0:3], 0 offen offset:4
	buffer_load_dword v3, v4, s[0:3], 0 offen offset:8
	;; [unrolled: 1-line block ×3, first 2 shown]
	s_waitcnt vmcnt(0)
	ds_write_b128 v64, v[1:4]
	s_waitcnt lgkmcnt(0)
	s_waitcnt_vscnt null, 0x0
	s_barrier
	buffer_gl0_inv
	v_cmpx_gt_u32_e32 3, v0
	s_cbranch_execz .LBB92_247
; %bb.240:
	ds_read_b128 v[1:4], v64
	v_cmp_ne_u32_e32 vcc_lo, 1, v65
	s_cbranch_vccnz .LBB92_242
; %bb.241:
	s_clause 0x3
	buffer_load_dword v66, v63, s[0:3], 0 offen offset:8
	buffer_load_dword v67, v63, s[0:3], 0 offen offset:12
	buffer_load_dword v70, v63, s[0:3], 0 offen
	buffer_load_dword v71, v63, s[0:3], 0 offen offset:4
	s_waitcnt vmcnt(2) lgkmcnt(0)
	v_mul_f64 v[72:73], v[3:4], v[66:67]
	v_mul_f64 v[66:67], v[1:2], v[66:67]
	s_waitcnt vmcnt(0)
	v_fma_f64 v[1:2], v[1:2], v[70:71], -v[72:73]
	v_fma_f64 v[3:4], v[3:4], v[70:71], v[66:67]
.LBB92_242:
	s_mov_b32 s36, exec_lo
	v_cmpx_ne_u32_e32 2, v0
	s_cbranch_execz .LBB92_246
; %bb.243:
	s_clause 0x3
	buffer_load_dword v66, v63, s[0:3], 0 offen offset:24
	buffer_load_dword v67, v63, s[0:3], 0 offen offset:28
	;; [unrolled: 1-line block ×4, first 2 shown]
	ds_read_b128 v[70:73], v64 offset:16
	s_waitcnt vmcnt(2) lgkmcnt(0)
	v_mul_f64 v[76:77], v[72:73], v[66:67]
	v_mul_f64 v[66:67], v[70:71], v[66:67]
	s_waitcnt vmcnt(0)
	v_fma_f64 v[70:71], v[70:71], v[74:75], -v[76:77]
	v_fma_f64 v[66:67], v[72:73], v[74:75], v[66:67]
	v_add_f64 v[1:2], v[1:2], v[70:71]
	v_add_f64 v[3:4], v[3:4], v[66:67]
	s_and_saveexec_b32 s37, s4
	s_cbranch_execz .LBB92_245
; %bb.244:
	s_clause 0x3
	buffer_load_dword v66, off, s[0:3], 0 offset:40
	buffer_load_dword v67, off, s[0:3], 0 offset:44
	;; [unrolled: 1-line block ×4, first 2 shown]
	v_mov_b32_e32 v68, 0
	ds_read_b128 v[70:73], v68 offset:496
	s_waitcnt vmcnt(2) lgkmcnt(0)
	v_mul_f64 v[76:77], v[70:71], v[66:67]
	v_mul_f64 v[66:67], v[72:73], v[66:67]
	s_waitcnt vmcnt(0)
	v_fma_f64 v[72:73], v[72:73], v[74:75], v[76:77]
	v_fma_f64 v[66:67], v[70:71], v[74:75], -v[66:67]
	v_add_f64 v[3:4], v[3:4], v[72:73]
	v_add_f64 v[1:2], v[1:2], v[66:67]
.LBB92_245:
	s_or_b32 exec_lo, exec_lo, s37
.LBB92_246:
	s_or_b32 exec_lo, exec_lo, s36
	v_mov_b32_e32 v66, 0
	ds_read_b128 v[70:73], v66 offset:48
	s_waitcnt lgkmcnt(0)
	v_mul_f64 v[66:67], v[3:4], v[72:73]
	v_mul_f64 v[72:73], v[1:2], v[72:73]
	v_fma_f64 v[1:2], v[1:2], v[70:71], -v[66:67]
	v_fma_f64 v[3:4], v[3:4], v[70:71], v[72:73]
	buffer_store_dword v2, off, s[0:3], 0 offset:52
	buffer_store_dword v1, off, s[0:3], 0 offset:48
	;; [unrolled: 1-line block ×4, first 2 shown]
.LBB92_247:
	s_or_b32 exec_lo, exec_lo, s8
	v_mov_b32_e32 v4, s31
	s_mov_b32 s4, exec_lo
	s_clause 0x3
	buffer_load_dword v1, v4, s[0:3], 0 offen
	buffer_load_dword v2, v4, s[0:3], 0 offen offset:4
	buffer_load_dword v3, v4, s[0:3], 0 offen offset:8
	buffer_load_dword v4, v4, s[0:3], 0 offen offset:12
	s_waitcnt vmcnt(0)
	ds_write_b128 v64, v[1:4]
	s_waitcnt lgkmcnt(0)
	s_waitcnt_vscnt null, 0x0
	s_barrier
	buffer_gl0_inv
	v_cmpx_gt_u32_e32 4, v0
	s_cbranch_execz .LBB92_255
; %bb.248:
	ds_read_b128 v[1:4], v64
	v_cmp_ne_u32_e32 vcc_lo, 1, v65
	s_cbranch_vccnz .LBB92_250
; %bb.249:
	s_clause 0x3
	buffer_load_dword v66, v63, s[0:3], 0 offen offset:8
	buffer_load_dword v67, v63, s[0:3], 0 offen offset:12
	buffer_load_dword v70, v63, s[0:3], 0 offen
	buffer_load_dword v71, v63, s[0:3], 0 offen offset:4
	s_waitcnt vmcnt(2) lgkmcnt(0)
	v_mul_f64 v[72:73], v[3:4], v[66:67]
	v_mul_f64 v[66:67], v[1:2], v[66:67]
	s_waitcnt vmcnt(0)
	v_fma_f64 v[1:2], v[1:2], v[70:71], -v[72:73]
	v_fma_f64 v[3:4], v[3:4], v[70:71], v[66:67]
.LBB92_250:
	s_mov_b32 s8, exec_lo
	v_cmpx_ne_u32_e32 3, v0
	s_cbranch_execz .LBB92_254
; %bb.251:
	v_add_nc_u32_e32 v66, 0x1e0, v69
	v_add3_u32 v67, 0, v69, 16
	v_mov_b32_e32 v68, v0
	s_mov_b32 s36, 0
	.p2align	6
.LBB92_252:                             ; =>This Inner Loop Header: Depth=1
	s_clause 0x3
	buffer_load_dword v74, v67, s[0:3], 0 offen offset:8
	buffer_load_dword v75, v67, s[0:3], 0 offen offset:12
	buffer_load_dword v76, v67, s[0:3], 0 offen
	buffer_load_dword v77, v67, s[0:3], 0 offen offset:4
	ds_read_b128 v[70:73], v66
	v_add_nc_u32_e32 v68, 1, v68
	v_add_nc_u32_e32 v66, 16, v66
	;; [unrolled: 1-line block ×3, first 2 shown]
	v_cmp_lt_u32_e32 vcc_lo, 2, v68
	s_or_b32 s36, vcc_lo, s36
	s_waitcnt vmcnt(2) lgkmcnt(0)
	v_mul_f64 v[78:79], v[72:73], v[74:75]
	v_mul_f64 v[74:75], v[70:71], v[74:75]
	s_waitcnt vmcnt(0)
	v_fma_f64 v[70:71], v[70:71], v[76:77], -v[78:79]
	v_fma_f64 v[72:73], v[72:73], v[76:77], v[74:75]
	v_add_f64 v[1:2], v[1:2], v[70:71]
	v_add_f64 v[3:4], v[3:4], v[72:73]
	s_andn2_b32 exec_lo, exec_lo, s36
	s_cbranch_execnz .LBB92_252
; %bb.253:
	s_or_b32 exec_lo, exec_lo, s36
.LBB92_254:
	s_or_b32 exec_lo, exec_lo, s8
	v_mov_b32_e32 v66, 0
	ds_read_b128 v[70:73], v66 offset:64
	s_waitcnt lgkmcnt(0)
	v_mul_f64 v[66:67], v[3:4], v[72:73]
	v_mul_f64 v[72:73], v[1:2], v[72:73]
	v_fma_f64 v[1:2], v[1:2], v[70:71], -v[66:67]
	v_fma_f64 v[3:4], v[3:4], v[70:71], v[72:73]
	buffer_store_dword v2, off, s[0:3], 0 offset:68
	buffer_store_dword v1, off, s[0:3], 0 offset:64
	;; [unrolled: 1-line block ×4, first 2 shown]
.LBB92_255:
	s_or_b32 exec_lo, exec_lo, s4
	v_mov_b32_e32 v4, s30
	s_mov_b32 s4, exec_lo
	s_clause 0x3
	buffer_load_dword v1, v4, s[0:3], 0 offen
	buffer_load_dword v2, v4, s[0:3], 0 offen offset:4
	buffer_load_dword v3, v4, s[0:3], 0 offen offset:8
	;; [unrolled: 1-line block ×3, first 2 shown]
	s_waitcnt vmcnt(0)
	ds_write_b128 v64, v[1:4]
	s_waitcnt lgkmcnt(0)
	s_waitcnt_vscnt null, 0x0
	s_barrier
	buffer_gl0_inv
	v_cmpx_gt_u32_e32 5, v0
	s_cbranch_execz .LBB92_263
; %bb.256:
	ds_read_b128 v[1:4], v64
	v_cmp_ne_u32_e32 vcc_lo, 1, v65
	s_cbranch_vccnz .LBB92_258
; %bb.257:
	s_clause 0x3
	buffer_load_dword v66, v63, s[0:3], 0 offen offset:8
	buffer_load_dword v67, v63, s[0:3], 0 offen offset:12
	buffer_load_dword v70, v63, s[0:3], 0 offen
	buffer_load_dword v71, v63, s[0:3], 0 offen offset:4
	s_waitcnt vmcnt(2) lgkmcnt(0)
	v_mul_f64 v[72:73], v[3:4], v[66:67]
	v_mul_f64 v[66:67], v[1:2], v[66:67]
	s_waitcnt vmcnt(0)
	v_fma_f64 v[1:2], v[1:2], v[70:71], -v[72:73]
	v_fma_f64 v[3:4], v[3:4], v[70:71], v[66:67]
.LBB92_258:
	s_mov_b32 s8, exec_lo
	v_cmpx_ne_u32_e32 4, v0
	s_cbranch_execz .LBB92_262
; %bb.259:
	v_add_nc_u32_e32 v66, 0x1e0, v69
	v_add3_u32 v67, 0, v69, 16
	v_mov_b32_e32 v68, v0
	s_mov_b32 s36, 0
	.p2align	6
.LBB92_260:                             ; =>This Inner Loop Header: Depth=1
	s_clause 0x3
	buffer_load_dword v74, v67, s[0:3], 0 offen offset:8
	buffer_load_dword v75, v67, s[0:3], 0 offen offset:12
	buffer_load_dword v76, v67, s[0:3], 0 offen
	buffer_load_dword v77, v67, s[0:3], 0 offen offset:4
	ds_read_b128 v[70:73], v66
	v_add_nc_u32_e32 v68, 1, v68
	v_add_nc_u32_e32 v66, 16, v66
	;; [unrolled: 1-line block ×3, first 2 shown]
	v_cmp_lt_u32_e32 vcc_lo, 3, v68
	s_or_b32 s36, vcc_lo, s36
	s_waitcnt vmcnt(2) lgkmcnt(0)
	v_mul_f64 v[78:79], v[72:73], v[74:75]
	v_mul_f64 v[74:75], v[70:71], v[74:75]
	s_waitcnt vmcnt(0)
	v_fma_f64 v[70:71], v[70:71], v[76:77], -v[78:79]
	v_fma_f64 v[72:73], v[72:73], v[76:77], v[74:75]
	v_add_f64 v[1:2], v[1:2], v[70:71]
	v_add_f64 v[3:4], v[3:4], v[72:73]
	s_andn2_b32 exec_lo, exec_lo, s36
	s_cbranch_execnz .LBB92_260
; %bb.261:
	s_or_b32 exec_lo, exec_lo, s36
.LBB92_262:
	s_or_b32 exec_lo, exec_lo, s8
	v_mov_b32_e32 v66, 0
	ds_read_b128 v[70:73], v66 offset:80
	s_waitcnt lgkmcnt(0)
	v_mul_f64 v[66:67], v[3:4], v[72:73]
	v_mul_f64 v[72:73], v[1:2], v[72:73]
	v_fma_f64 v[1:2], v[1:2], v[70:71], -v[66:67]
	v_fma_f64 v[3:4], v[3:4], v[70:71], v[72:73]
	buffer_store_dword v2, off, s[0:3], 0 offset:84
	buffer_store_dword v1, off, s[0:3], 0 offset:80
	;; [unrolled: 1-line block ×4, first 2 shown]
.LBB92_263:
	s_or_b32 exec_lo, exec_lo, s4
	v_mov_b32_e32 v4, s29
	s_mov_b32 s4, exec_lo
	s_clause 0x3
	buffer_load_dword v1, v4, s[0:3], 0 offen
	buffer_load_dword v2, v4, s[0:3], 0 offen offset:4
	buffer_load_dword v3, v4, s[0:3], 0 offen offset:8
	;; [unrolled: 1-line block ×3, first 2 shown]
	s_waitcnt vmcnt(0)
	ds_write_b128 v64, v[1:4]
	s_waitcnt lgkmcnt(0)
	s_waitcnt_vscnt null, 0x0
	s_barrier
	buffer_gl0_inv
	v_cmpx_gt_u32_e32 6, v0
	s_cbranch_execz .LBB92_271
; %bb.264:
	ds_read_b128 v[1:4], v64
	v_cmp_ne_u32_e32 vcc_lo, 1, v65
	s_cbranch_vccnz .LBB92_266
; %bb.265:
	s_clause 0x3
	buffer_load_dword v66, v63, s[0:3], 0 offen offset:8
	buffer_load_dword v67, v63, s[0:3], 0 offen offset:12
	buffer_load_dword v70, v63, s[0:3], 0 offen
	buffer_load_dword v71, v63, s[0:3], 0 offen offset:4
	s_waitcnt vmcnt(2) lgkmcnt(0)
	v_mul_f64 v[72:73], v[3:4], v[66:67]
	v_mul_f64 v[66:67], v[1:2], v[66:67]
	s_waitcnt vmcnt(0)
	v_fma_f64 v[1:2], v[1:2], v[70:71], -v[72:73]
	v_fma_f64 v[3:4], v[3:4], v[70:71], v[66:67]
.LBB92_266:
	s_mov_b32 s8, exec_lo
	v_cmpx_ne_u32_e32 5, v0
	s_cbranch_execz .LBB92_270
; %bb.267:
	v_add_nc_u32_e32 v66, 0x1e0, v69
	v_add3_u32 v67, 0, v69, 16
	v_mov_b32_e32 v68, v0
	s_mov_b32 s36, 0
	.p2align	6
.LBB92_268:                             ; =>This Inner Loop Header: Depth=1
	s_clause 0x3
	buffer_load_dword v74, v67, s[0:3], 0 offen offset:8
	buffer_load_dword v75, v67, s[0:3], 0 offen offset:12
	buffer_load_dword v76, v67, s[0:3], 0 offen
	buffer_load_dword v77, v67, s[0:3], 0 offen offset:4
	ds_read_b128 v[70:73], v66
	v_add_nc_u32_e32 v68, 1, v68
	v_add_nc_u32_e32 v66, 16, v66
	;; [unrolled: 1-line block ×3, first 2 shown]
	v_cmp_lt_u32_e32 vcc_lo, 4, v68
	s_or_b32 s36, vcc_lo, s36
	s_waitcnt vmcnt(2) lgkmcnt(0)
	v_mul_f64 v[78:79], v[72:73], v[74:75]
	v_mul_f64 v[74:75], v[70:71], v[74:75]
	s_waitcnt vmcnt(0)
	v_fma_f64 v[70:71], v[70:71], v[76:77], -v[78:79]
	v_fma_f64 v[72:73], v[72:73], v[76:77], v[74:75]
	v_add_f64 v[1:2], v[1:2], v[70:71]
	v_add_f64 v[3:4], v[3:4], v[72:73]
	s_andn2_b32 exec_lo, exec_lo, s36
	s_cbranch_execnz .LBB92_268
; %bb.269:
	s_or_b32 exec_lo, exec_lo, s36
.LBB92_270:
	s_or_b32 exec_lo, exec_lo, s8
	v_mov_b32_e32 v66, 0
	ds_read_b128 v[70:73], v66 offset:96
	s_waitcnt lgkmcnt(0)
	v_mul_f64 v[66:67], v[3:4], v[72:73]
	v_mul_f64 v[72:73], v[1:2], v[72:73]
	v_fma_f64 v[1:2], v[1:2], v[70:71], -v[66:67]
	v_fma_f64 v[3:4], v[3:4], v[70:71], v[72:73]
	buffer_store_dword v2, off, s[0:3], 0 offset:100
	buffer_store_dword v1, off, s[0:3], 0 offset:96
	;; [unrolled: 1-line block ×4, first 2 shown]
.LBB92_271:
	s_or_b32 exec_lo, exec_lo, s4
	v_mov_b32_e32 v4, s28
	s_mov_b32 s4, exec_lo
	s_clause 0x3
	buffer_load_dword v1, v4, s[0:3], 0 offen
	buffer_load_dword v2, v4, s[0:3], 0 offen offset:4
	buffer_load_dword v3, v4, s[0:3], 0 offen offset:8
	;; [unrolled: 1-line block ×3, first 2 shown]
	s_waitcnt vmcnt(0)
	ds_write_b128 v64, v[1:4]
	s_waitcnt lgkmcnt(0)
	s_waitcnt_vscnt null, 0x0
	s_barrier
	buffer_gl0_inv
	v_cmpx_gt_u32_e32 7, v0
	s_cbranch_execz .LBB92_279
; %bb.272:
	ds_read_b128 v[1:4], v64
	v_cmp_ne_u32_e32 vcc_lo, 1, v65
	s_cbranch_vccnz .LBB92_274
; %bb.273:
	s_clause 0x3
	buffer_load_dword v66, v63, s[0:3], 0 offen offset:8
	buffer_load_dword v67, v63, s[0:3], 0 offen offset:12
	buffer_load_dword v70, v63, s[0:3], 0 offen
	buffer_load_dword v71, v63, s[0:3], 0 offen offset:4
	s_waitcnt vmcnt(2) lgkmcnt(0)
	v_mul_f64 v[72:73], v[3:4], v[66:67]
	v_mul_f64 v[66:67], v[1:2], v[66:67]
	s_waitcnt vmcnt(0)
	v_fma_f64 v[1:2], v[1:2], v[70:71], -v[72:73]
	v_fma_f64 v[3:4], v[3:4], v[70:71], v[66:67]
.LBB92_274:
	s_mov_b32 s8, exec_lo
	v_cmpx_ne_u32_e32 6, v0
	s_cbranch_execz .LBB92_278
; %bb.275:
	v_add_nc_u32_e32 v66, 0x1e0, v69
	v_add3_u32 v67, 0, v69, 16
	v_mov_b32_e32 v68, v0
	s_mov_b32 s36, 0
	.p2align	6
.LBB92_276:                             ; =>This Inner Loop Header: Depth=1
	s_clause 0x3
	buffer_load_dword v74, v67, s[0:3], 0 offen offset:8
	buffer_load_dword v75, v67, s[0:3], 0 offen offset:12
	buffer_load_dword v76, v67, s[0:3], 0 offen
	buffer_load_dword v77, v67, s[0:3], 0 offen offset:4
	ds_read_b128 v[70:73], v66
	v_add_nc_u32_e32 v68, 1, v68
	v_add_nc_u32_e32 v66, 16, v66
	;; [unrolled: 1-line block ×3, first 2 shown]
	v_cmp_lt_u32_e32 vcc_lo, 5, v68
	s_or_b32 s36, vcc_lo, s36
	s_waitcnt vmcnt(2) lgkmcnt(0)
	v_mul_f64 v[78:79], v[72:73], v[74:75]
	v_mul_f64 v[74:75], v[70:71], v[74:75]
	s_waitcnt vmcnt(0)
	v_fma_f64 v[70:71], v[70:71], v[76:77], -v[78:79]
	v_fma_f64 v[72:73], v[72:73], v[76:77], v[74:75]
	v_add_f64 v[1:2], v[1:2], v[70:71]
	v_add_f64 v[3:4], v[3:4], v[72:73]
	s_andn2_b32 exec_lo, exec_lo, s36
	s_cbranch_execnz .LBB92_276
; %bb.277:
	s_or_b32 exec_lo, exec_lo, s36
.LBB92_278:
	s_or_b32 exec_lo, exec_lo, s8
	v_mov_b32_e32 v66, 0
	ds_read_b128 v[70:73], v66 offset:112
	s_waitcnt lgkmcnt(0)
	v_mul_f64 v[66:67], v[3:4], v[72:73]
	v_mul_f64 v[72:73], v[1:2], v[72:73]
	v_fma_f64 v[1:2], v[1:2], v[70:71], -v[66:67]
	v_fma_f64 v[3:4], v[3:4], v[70:71], v[72:73]
	buffer_store_dword v2, off, s[0:3], 0 offset:116
	buffer_store_dword v1, off, s[0:3], 0 offset:112
	;; [unrolled: 1-line block ×4, first 2 shown]
.LBB92_279:
	s_or_b32 exec_lo, exec_lo, s4
	v_mov_b32_e32 v4, s27
	s_mov_b32 s4, exec_lo
	s_clause 0x3
	buffer_load_dword v1, v4, s[0:3], 0 offen
	buffer_load_dword v2, v4, s[0:3], 0 offen offset:4
	buffer_load_dword v3, v4, s[0:3], 0 offen offset:8
	;; [unrolled: 1-line block ×3, first 2 shown]
	s_waitcnt vmcnt(0)
	ds_write_b128 v64, v[1:4]
	s_waitcnt lgkmcnt(0)
	s_waitcnt_vscnt null, 0x0
	s_barrier
	buffer_gl0_inv
	v_cmpx_gt_u32_e32 8, v0
	s_cbranch_execz .LBB92_287
; %bb.280:
	ds_read_b128 v[1:4], v64
	v_cmp_ne_u32_e32 vcc_lo, 1, v65
	s_cbranch_vccnz .LBB92_282
; %bb.281:
	s_clause 0x3
	buffer_load_dword v66, v63, s[0:3], 0 offen offset:8
	buffer_load_dword v67, v63, s[0:3], 0 offen offset:12
	buffer_load_dword v70, v63, s[0:3], 0 offen
	buffer_load_dword v71, v63, s[0:3], 0 offen offset:4
	s_waitcnt vmcnt(2) lgkmcnt(0)
	v_mul_f64 v[72:73], v[3:4], v[66:67]
	v_mul_f64 v[66:67], v[1:2], v[66:67]
	s_waitcnt vmcnt(0)
	v_fma_f64 v[1:2], v[1:2], v[70:71], -v[72:73]
	v_fma_f64 v[3:4], v[3:4], v[70:71], v[66:67]
.LBB92_282:
	s_mov_b32 s8, exec_lo
	v_cmpx_ne_u32_e32 7, v0
	s_cbranch_execz .LBB92_286
; %bb.283:
	v_add_nc_u32_e32 v66, 0x1e0, v69
	v_add3_u32 v67, 0, v69, 16
	v_mov_b32_e32 v68, v0
	s_mov_b32 s36, 0
	.p2align	6
.LBB92_284:                             ; =>This Inner Loop Header: Depth=1
	s_clause 0x3
	buffer_load_dword v74, v67, s[0:3], 0 offen offset:8
	buffer_load_dword v75, v67, s[0:3], 0 offen offset:12
	buffer_load_dword v76, v67, s[0:3], 0 offen
	buffer_load_dword v77, v67, s[0:3], 0 offen offset:4
	ds_read_b128 v[70:73], v66
	v_add_nc_u32_e32 v68, 1, v68
	v_add_nc_u32_e32 v66, 16, v66
	;; [unrolled: 1-line block ×3, first 2 shown]
	v_cmp_lt_u32_e32 vcc_lo, 6, v68
	s_or_b32 s36, vcc_lo, s36
	s_waitcnt vmcnt(2) lgkmcnt(0)
	v_mul_f64 v[78:79], v[72:73], v[74:75]
	v_mul_f64 v[74:75], v[70:71], v[74:75]
	s_waitcnt vmcnt(0)
	v_fma_f64 v[70:71], v[70:71], v[76:77], -v[78:79]
	v_fma_f64 v[72:73], v[72:73], v[76:77], v[74:75]
	v_add_f64 v[1:2], v[1:2], v[70:71]
	v_add_f64 v[3:4], v[3:4], v[72:73]
	s_andn2_b32 exec_lo, exec_lo, s36
	s_cbranch_execnz .LBB92_284
; %bb.285:
	s_or_b32 exec_lo, exec_lo, s36
.LBB92_286:
	s_or_b32 exec_lo, exec_lo, s8
	v_mov_b32_e32 v66, 0
	ds_read_b128 v[70:73], v66 offset:128
	s_waitcnt lgkmcnt(0)
	v_mul_f64 v[66:67], v[3:4], v[72:73]
	v_mul_f64 v[72:73], v[1:2], v[72:73]
	v_fma_f64 v[1:2], v[1:2], v[70:71], -v[66:67]
	v_fma_f64 v[3:4], v[3:4], v[70:71], v[72:73]
	buffer_store_dword v2, off, s[0:3], 0 offset:132
	buffer_store_dword v1, off, s[0:3], 0 offset:128
	;; [unrolled: 1-line block ×4, first 2 shown]
.LBB92_287:
	s_or_b32 exec_lo, exec_lo, s4
	v_mov_b32_e32 v4, s26
	s_mov_b32 s4, exec_lo
	s_clause 0x3
	buffer_load_dword v1, v4, s[0:3], 0 offen
	buffer_load_dword v2, v4, s[0:3], 0 offen offset:4
	buffer_load_dword v3, v4, s[0:3], 0 offen offset:8
	;; [unrolled: 1-line block ×3, first 2 shown]
	s_waitcnt vmcnt(0)
	ds_write_b128 v64, v[1:4]
	s_waitcnt lgkmcnt(0)
	s_waitcnt_vscnt null, 0x0
	s_barrier
	buffer_gl0_inv
	v_cmpx_gt_u32_e32 9, v0
	s_cbranch_execz .LBB92_295
; %bb.288:
	ds_read_b128 v[1:4], v64
	v_cmp_ne_u32_e32 vcc_lo, 1, v65
	s_cbranch_vccnz .LBB92_290
; %bb.289:
	s_clause 0x3
	buffer_load_dword v66, v63, s[0:3], 0 offen offset:8
	buffer_load_dword v67, v63, s[0:3], 0 offen offset:12
	buffer_load_dword v70, v63, s[0:3], 0 offen
	buffer_load_dword v71, v63, s[0:3], 0 offen offset:4
	s_waitcnt vmcnt(2) lgkmcnt(0)
	v_mul_f64 v[72:73], v[3:4], v[66:67]
	v_mul_f64 v[66:67], v[1:2], v[66:67]
	s_waitcnt vmcnt(0)
	v_fma_f64 v[1:2], v[1:2], v[70:71], -v[72:73]
	v_fma_f64 v[3:4], v[3:4], v[70:71], v[66:67]
.LBB92_290:
	s_mov_b32 s8, exec_lo
	v_cmpx_ne_u32_e32 8, v0
	s_cbranch_execz .LBB92_294
; %bb.291:
	v_add_nc_u32_e32 v66, 0x1e0, v69
	v_add3_u32 v67, 0, v69, 16
	v_mov_b32_e32 v68, v0
	s_mov_b32 s36, 0
	.p2align	6
.LBB92_292:                             ; =>This Inner Loop Header: Depth=1
	s_clause 0x3
	buffer_load_dword v74, v67, s[0:3], 0 offen offset:8
	buffer_load_dword v75, v67, s[0:3], 0 offen offset:12
	buffer_load_dword v76, v67, s[0:3], 0 offen
	buffer_load_dword v77, v67, s[0:3], 0 offen offset:4
	ds_read_b128 v[70:73], v66
	v_add_nc_u32_e32 v68, 1, v68
	v_add_nc_u32_e32 v66, 16, v66
	;; [unrolled: 1-line block ×3, first 2 shown]
	v_cmp_lt_u32_e32 vcc_lo, 7, v68
	s_or_b32 s36, vcc_lo, s36
	s_waitcnt vmcnt(2) lgkmcnt(0)
	v_mul_f64 v[78:79], v[72:73], v[74:75]
	v_mul_f64 v[74:75], v[70:71], v[74:75]
	s_waitcnt vmcnt(0)
	v_fma_f64 v[70:71], v[70:71], v[76:77], -v[78:79]
	v_fma_f64 v[72:73], v[72:73], v[76:77], v[74:75]
	v_add_f64 v[1:2], v[1:2], v[70:71]
	v_add_f64 v[3:4], v[3:4], v[72:73]
	s_andn2_b32 exec_lo, exec_lo, s36
	s_cbranch_execnz .LBB92_292
; %bb.293:
	s_or_b32 exec_lo, exec_lo, s36
.LBB92_294:
	s_or_b32 exec_lo, exec_lo, s8
	v_mov_b32_e32 v66, 0
	ds_read_b128 v[70:73], v66 offset:144
	s_waitcnt lgkmcnt(0)
	v_mul_f64 v[66:67], v[3:4], v[72:73]
	v_mul_f64 v[72:73], v[1:2], v[72:73]
	v_fma_f64 v[1:2], v[1:2], v[70:71], -v[66:67]
	v_fma_f64 v[3:4], v[3:4], v[70:71], v[72:73]
	buffer_store_dword v2, off, s[0:3], 0 offset:148
	buffer_store_dword v1, off, s[0:3], 0 offset:144
	;; [unrolled: 1-line block ×4, first 2 shown]
.LBB92_295:
	s_or_b32 exec_lo, exec_lo, s4
	v_mov_b32_e32 v4, s25
	s_mov_b32 s4, exec_lo
	s_clause 0x3
	buffer_load_dword v1, v4, s[0:3], 0 offen
	buffer_load_dword v2, v4, s[0:3], 0 offen offset:4
	buffer_load_dword v3, v4, s[0:3], 0 offen offset:8
	;; [unrolled: 1-line block ×3, first 2 shown]
	s_waitcnt vmcnt(0)
	ds_write_b128 v64, v[1:4]
	s_waitcnt lgkmcnt(0)
	s_waitcnt_vscnt null, 0x0
	s_barrier
	buffer_gl0_inv
	v_cmpx_gt_u32_e32 10, v0
	s_cbranch_execz .LBB92_303
; %bb.296:
	ds_read_b128 v[1:4], v64
	v_cmp_ne_u32_e32 vcc_lo, 1, v65
	s_cbranch_vccnz .LBB92_298
; %bb.297:
	s_clause 0x3
	buffer_load_dword v66, v63, s[0:3], 0 offen offset:8
	buffer_load_dword v67, v63, s[0:3], 0 offen offset:12
	buffer_load_dword v70, v63, s[0:3], 0 offen
	buffer_load_dword v71, v63, s[0:3], 0 offen offset:4
	s_waitcnt vmcnt(2) lgkmcnt(0)
	v_mul_f64 v[72:73], v[3:4], v[66:67]
	v_mul_f64 v[66:67], v[1:2], v[66:67]
	s_waitcnt vmcnt(0)
	v_fma_f64 v[1:2], v[1:2], v[70:71], -v[72:73]
	v_fma_f64 v[3:4], v[3:4], v[70:71], v[66:67]
.LBB92_298:
	s_mov_b32 s8, exec_lo
	v_cmpx_ne_u32_e32 9, v0
	s_cbranch_execz .LBB92_302
; %bb.299:
	v_add_nc_u32_e32 v66, 0x1e0, v69
	v_add3_u32 v67, 0, v69, 16
	v_mov_b32_e32 v68, v0
	s_mov_b32 s36, 0
	.p2align	6
.LBB92_300:                             ; =>This Inner Loop Header: Depth=1
	s_clause 0x3
	buffer_load_dword v74, v67, s[0:3], 0 offen offset:8
	buffer_load_dword v75, v67, s[0:3], 0 offen offset:12
	buffer_load_dword v76, v67, s[0:3], 0 offen
	buffer_load_dword v77, v67, s[0:3], 0 offen offset:4
	ds_read_b128 v[70:73], v66
	v_add_nc_u32_e32 v68, 1, v68
	v_add_nc_u32_e32 v66, 16, v66
	;; [unrolled: 1-line block ×3, first 2 shown]
	v_cmp_lt_u32_e32 vcc_lo, 8, v68
	s_or_b32 s36, vcc_lo, s36
	s_waitcnt vmcnt(2) lgkmcnt(0)
	v_mul_f64 v[78:79], v[72:73], v[74:75]
	v_mul_f64 v[74:75], v[70:71], v[74:75]
	s_waitcnt vmcnt(0)
	v_fma_f64 v[70:71], v[70:71], v[76:77], -v[78:79]
	v_fma_f64 v[72:73], v[72:73], v[76:77], v[74:75]
	v_add_f64 v[1:2], v[1:2], v[70:71]
	v_add_f64 v[3:4], v[3:4], v[72:73]
	s_andn2_b32 exec_lo, exec_lo, s36
	s_cbranch_execnz .LBB92_300
; %bb.301:
	s_or_b32 exec_lo, exec_lo, s36
.LBB92_302:
	s_or_b32 exec_lo, exec_lo, s8
	v_mov_b32_e32 v66, 0
	ds_read_b128 v[70:73], v66 offset:160
	s_waitcnt lgkmcnt(0)
	v_mul_f64 v[66:67], v[3:4], v[72:73]
	v_mul_f64 v[72:73], v[1:2], v[72:73]
	v_fma_f64 v[1:2], v[1:2], v[70:71], -v[66:67]
	v_fma_f64 v[3:4], v[3:4], v[70:71], v[72:73]
	buffer_store_dword v2, off, s[0:3], 0 offset:164
	buffer_store_dword v1, off, s[0:3], 0 offset:160
	;; [unrolled: 1-line block ×4, first 2 shown]
.LBB92_303:
	s_or_b32 exec_lo, exec_lo, s4
	v_mov_b32_e32 v4, s24
	s_mov_b32 s4, exec_lo
	s_clause 0x3
	buffer_load_dword v1, v4, s[0:3], 0 offen
	buffer_load_dword v2, v4, s[0:3], 0 offen offset:4
	buffer_load_dword v3, v4, s[0:3], 0 offen offset:8
	;; [unrolled: 1-line block ×3, first 2 shown]
	s_waitcnt vmcnt(0)
	ds_write_b128 v64, v[1:4]
	s_waitcnt lgkmcnt(0)
	s_waitcnt_vscnt null, 0x0
	s_barrier
	buffer_gl0_inv
	v_cmpx_gt_u32_e32 11, v0
	s_cbranch_execz .LBB92_311
; %bb.304:
	ds_read_b128 v[1:4], v64
	v_cmp_ne_u32_e32 vcc_lo, 1, v65
	s_cbranch_vccnz .LBB92_306
; %bb.305:
	s_clause 0x3
	buffer_load_dword v66, v63, s[0:3], 0 offen offset:8
	buffer_load_dword v67, v63, s[0:3], 0 offen offset:12
	buffer_load_dword v70, v63, s[0:3], 0 offen
	buffer_load_dword v71, v63, s[0:3], 0 offen offset:4
	s_waitcnt vmcnt(2) lgkmcnt(0)
	v_mul_f64 v[72:73], v[3:4], v[66:67]
	v_mul_f64 v[66:67], v[1:2], v[66:67]
	s_waitcnt vmcnt(0)
	v_fma_f64 v[1:2], v[1:2], v[70:71], -v[72:73]
	v_fma_f64 v[3:4], v[3:4], v[70:71], v[66:67]
.LBB92_306:
	s_mov_b32 s8, exec_lo
	v_cmpx_ne_u32_e32 10, v0
	s_cbranch_execz .LBB92_310
; %bb.307:
	v_add_nc_u32_e32 v66, 0x1e0, v69
	v_add3_u32 v67, 0, v69, 16
	v_mov_b32_e32 v68, v0
	s_mov_b32 s36, 0
	.p2align	6
.LBB92_308:                             ; =>This Inner Loop Header: Depth=1
	s_clause 0x3
	buffer_load_dword v74, v67, s[0:3], 0 offen offset:8
	buffer_load_dword v75, v67, s[0:3], 0 offen offset:12
	buffer_load_dword v76, v67, s[0:3], 0 offen
	buffer_load_dword v77, v67, s[0:3], 0 offen offset:4
	ds_read_b128 v[70:73], v66
	v_add_nc_u32_e32 v68, 1, v68
	v_add_nc_u32_e32 v66, 16, v66
	;; [unrolled: 1-line block ×3, first 2 shown]
	v_cmp_lt_u32_e32 vcc_lo, 9, v68
	s_or_b32 s36, vcc_lo, s36
	s_waitcnt vmcnt(2) lgkmcnt(0)
	v_mul_f64 v[78:79], v[72:73], v[74:75]
	v_mul_f64 v[74:75], v[70:71], v[74:75]
	s_waitcnt vmcnt(0)
	v_fma_f64 v[70:71], v[70:71], v[76:77], -v[78:79]
	v_fma_f64 v[72:73], v[72:73], v[76:77], v[74:75]
	v_add_f64 v[1:2], v[1:2], v[70:71]
	v_add_f64 v[3:4], v[3:4], v[72:73]
	s_andn2_b32 exec_lo, exec_lo, s36
	s_cbranch_execnz .LBB92_308
; %bb.309:
	s_or_b32 exec_lo, exec_lo, s36
.LBB92_310:
	s_or_b32 exec_lo, exec_lo, s8
	v_mov_b32_e32 v66, 0
	ds_read_b128 v[70:73], v66 offset:176
	s_waitcnt lgkmcnt(0)
	v_mul_f64 v[66:67], v[3:4], v[72:73]
	v_mul_f64 v[72:73], v[1:2], v[72:73]
	v_fma_f64 v[1:2], v[1:2], v[70:71], -v[66:67]
	v_fma_f64 v[3:4], v[3:4], v[70:71], v[72:73]
	buffer_store_dword v2, off, s[0:3], 0 offset:180
	buffer_store_dword v1, off, s[0:3], 0 offset:176
	;; [unrolled: 1-line block ×4, first 2 shown]
.LBB92_311:
	s_or_b32 exec_lo, exec_lo, s4
	v_mov_b32_e32 v4, s23
	s_mov_b32 s4, exec_lo
	s_clause 0x3
	buffer_load_dword v1, v4, s[0:3], 0 offen
	buffer_load_dword v2, v4, s[0:3], 0 offen offset:4
	buffer_load_dword v3, v4, s[0:3], 0 offen offset:8
	;; [unrolled: 1-line block ×3, first 2 shown]
	s_waitcnt vmcnt(0)
	ds_write_b128 v64, v[1:4]
	s_waitcnt lgkmcnt(0)
	s_waitcnt_vscnt null, 0x0
	s_barrier
	buffer_gl0_inv
	v_cmpx_gt_u32_e32 12, v0
	s_cbranch_execz .LBB92_319
; %bb.312:
	ds_read_b128 v[1:4], v64
	v_cmp_ne_u32_e32 vcc_lo, 1, v65
	s_cbranch_vccnz .LBB92_314
; %bb.313:
	s_clause 0x3
	buffer_load_dword v66, v63, s[0:3], 0 offen offset:8
	buffer_load_dword v67, v63, s[0:3], 0 offen offset:12
	buffer_load_dword v70, v63, s[0:3], 0 offen
	buffer_load_dword v71, v63, s[0:3], 0 offen offset:4
	s_waitcnt vmcnt(2) lgkmcnt(0)
	v_mul_f64 v[72:73], v[3:4], v[66:67]
	v_mul_f64 v[66:67], v[1:2], v[66:67]
	s_waitcnt vmcnt(0)
	v_fma_f64 v[1:2], v[1:2], v[70:71], -v[72:73]
	v_fma_f64 v[3:4], v[3:4], v[70:71], v[66:67]
.LBB92_314:
	s_mov_b32 s8, exec_lo
	v_cmpx_ne_u32_e32 11, v0
	s_cbranch_execz .LBB92_318
; %bb.315:
	v_add_nc_u32_e32 v66, 0x1e0, v69
	v_add3_u32 v67, 0, v69, 16
	v_mov_b32_e32 v68, v0
	s_mov_b32 s36, 0
	.p2align	6
.LBB92_316:                             ; =>This Inner Loop Header: Depth=1
	s_clause 0x3
	buffer_load_dword v74, v67, s[0:3], 0 offen offset:8
	buffer_load_dword v75, v67, s[0:3], 0 offen offset:12
	buffer_load_dword v76, v67, s[0:3], 0 offen
	buffer_load_dword v77, v67, s[0:3], 0 offen offset:4
	ds_read_b128 v[70:73], v66
	v_add_nc_u32_e32 v68, 1, v68
	v_add_nc_u32_e32 v66, 16, v66
	;; [unrolled: 1-line block ×3, first 2 shown]
	v_cmp_lt_u32_e32 vcc_lo, 10, v68
	s_or_b32 s36, vcc_lo, s36
	s_waitcnt vmcnt(2) lgkmcnt(0)
	v_mul_f64 v[78:79], v[72:73], v[74:75]
	v_mul_f64 v[74:75], v[70:71], v[74:75]
	s_waitcnt vmcnt(0)
	v_fma_f64 v[70:71], v[70:71], v[76:77], -v[78:79]
	v_fma_f64 v[72:73], v[72:73], v[76:77], v[74:75]
	v_add_f64 v[1:2], v[1:2], v[70:71]
	v_add_f64 v[3:4], v[3:4], v[72:73]
	s_andn2_b32 exec_lo, exec_lo, s36
	s_cbranch_execnz .LBB92_316
; %bb.317:
	s_or_b32 exec_lo, exec_lo, s36
.LBB92_318:
	s_or_b32 exec_lo, exec_lo, s8
	v_mov_b32_e32 v66, 0
	ds_read_b128 v[70:73], v66 offset:192
	s_waitcnt lgkmcnt(0)
	v_mul_f64 v[66:67], v[3:4], v[72:73]
	v_mul_f64 v[72:73], v[1:2], v[72:73]
	v_fma_f64 v[1:2], v[1:2], v[70:71], -v[66:67]
	v_fma_f64 v[3:4], v[3:4], v[70:71], v[72:73]
	buffer_store_dword v2, off, s[0:3], 0 offset:196
	buffer_store_dword v1, off, s[0:3], 0 offset:192
	;; [unrolled: 1-line block ×4, first 2 shown]
.LBB92_319:
	s_or_b32 exec_lo, exec_lo, s4
	v_mov_b32_e32 v4, s22
	s_mov_b32 s4, exec_lo
	s_clause 0x3
	buffer_load_dword v1, v4, s[0:3], 0 offen
	buffer_load_dword v2, v4, s[0:3], 0 offen offset:4
	buffer_load_dword v3, v4, s[0:3], 0 offen offset:8
	;; [unrolled: 1-line block ×3, first 2 shown]
	s_waitcnt vmcnt(0)
	ds_write_b128 v64, v[1:4]
	s_waitcnt lgkmcnt(0)
	s_waitcnt_vscnt null, 0x0
	s_barrier
	buffer_gl0_inv
	v_cmpx_gt_u32_e32 13, v0
	s_cbranch_execz .LBB92_327
; %bb.320:
	ds_read_b128 v[1:4], v64
	v_cmp_ne_u32_e32 vcc_lo, 1, v65
	s_cbranch_vccnz .LBB92_322
; %bb.321:
	s_clause 0x3
	buffer_load_dword v66, v63, s[0:3], 0 offen offset:8
	buffer_load_dword v67, v63, s[0:3], 0 offen offset:12
	buffer_load_dword v70, v63, s[0:3], 0 offen
	buffer_load_dword v71, v63, s[0:3], 0 offen offset:4
	s_waitcnt vmcnt(2) lgkmcnt(0)
	v_mul_f64 v[72:73], v[3:4], v[66:67]
	v_mul_f64 v[66:67], v[1:2], v[66:67]
	s_waitcnt vmcnt(0)
	v_fma_f64 v[1:2], v[1:2], v[70:71], -v[72:73]
	v_fma_f64 v[3:4], v[3:4], v[70:71], v[66:67]
.LBB92_322:
	s_mov_b32 s8, exec_lo
	v_cmpx_ne_u32_e32 12, v0
	s_cbranch_execz .LBB92_326
; %bb.323:
	v_add_nc_u32_e32 v66, 0x1e0, v69
	v_add3_u32 v67, 0, v69, 16
	v_mov_b32_e32 v68, v0
	s_mov_b32 s36, 0
	.p2align	6
.LBB92_324:                             ; =>This Inner Loop Header: Depth=1
	s_clause 0x3
	buffer_load_dword v74, v67, s[0:3], 0 offen offset:8
	buffer_load_dword v75, v67, s[0:3], 0 offen offset:12
	buffer_load_dword v76, v67, s[0:3], 0 offen
	buffer_load_dword v77, v67, s[0:3], 0 offen offset:4
	ds_read_b128 v[70:73], v66
	v_add_nc_u32_e32 v68, 1, v68
	v_add_nc_u32_e32 v66, 16, v66
	;; [unrolled: 1-line block ×3, first 2 shown]
	v_cmp_lt_u32_e32 vcc_lo, 11, v68
	s_or_b32 s36, vcc_lo, s36
	s_waitcnt vmcnt(2) lgkmcnt(0)
	v_mul_f64 v[78:79], v[72:73], v[74:75]
	v_mul_f64 v[74:75], v[70:71], v[74:75]
	s_waitcnt vmcnt(0)
	v_fma_f64 v[70:71], v[70:71], v[76:77], -v[78:79]
	v_fma_f64 v[72:73], v[72:73], v[76:77], v[74:75]
	v_add_f64 v[1:2], v[1:2], v[70:71]
	v_add_f64 v[3:4], v[3:4], v[72:73]
	s_andn2_b32 exec_lo, exec_lo, s36
	s_cbranch_execnz .LBB92_324
; %bb.325:
	s_or_b32 exec_lo, exec_lo, s36
.LBB92_326:
	s_or_b32 exec_lo, exec_lo, s8
	v_mov_b32_e32 v66, 0
	ds_read_b128 v[70:73], v66 offset:208
	s_waitcnt lgkmcnt(0)
	v_mul_f64 v[66:67], v[3:4], v[72:73]
	v_mul_f64 v[72:73], v[1:2], v[72:73]
	v_fma_f64 v[1:2], v[1:2], v[70:71], -v[66:67]
	v_fma_f64 v[3:4], v[3:4], v[70:71], v[72:73]
	buffer_store_dword v2, off, s[0:3], 0 offset:212
	buffer_store_dword v1, off, s[0:3], 0 offset:208
	;; [unrolled: 1-line block ×4, first 2 shown]
.LBB92_327:
	s_or_b32 exec_lo, exec_lo, s4
	v_mov_b32_e32 v4, s21
	s_mov_b32 s4, exec_lo
	s_clause 0x3
	buffer_load_dword v1, v4, s[0:3], 0 offen
	buffer_load_dword v2, v4, s[0:3], 0 offen offset:4
	buffer_load_dword v3, v4, s[0:3], 0 offen offset:8
	;; [unrolled: 1-line block ×3, first 2 shown]
	s_waitcnt vmcnt(0)
	ds_write_b128 v64, v[1:4]
	s_waitcnt lgkmcnt(0)
	s_waitcnt_vscnt null, 0x0
	s_barrier
	buffer_gl0_inv
	v_cmpx_gt_u32_e32 14, v0
	s_cbranch_execz .LBB92_335
; %bb.328:
	ds_read_b128 v[1:4], v64
	v_cmp_ne_u32_e32 vcc_lo, 1, v65
	s_cbranch_vccnz .LBB92_330
; %bb.329:
	s_clause 0x3
	buffer_load_dword v66, v63, s[0:3], 0 offen offset:8
	buffer_load_dword v67, v63, s[0:3], 0 offen offset:12
	buffer_load_dword v70, v63, s[0:3], 0 offen
	buffer_load_dword v71, v63, s[0:3], 0 offen offset:4
	s_waitcnt vmcnt(2) lgkmcnt(0)
	v_mul_f64 v[72:73], v[3:4], v[66:67]
	v_mul_f64 v[66:67], v[1:2], v[66:67]
	s_waitcnt vmcnt(0)
	v_fma_f64 v[1:2], v[1:2], v[70:71], -v[72:73]
	v_fma_f64 v[3:4], v[3:4], v[70:71], v[66:67]
.LBB92_330:
	s_mov_b32 s8, exec_lo
	v_cmpx_ne_u32_e32 13, v0
	s_cbranch_execz .LBB92_334
; %bb.331:
	v_add_nc_u32_e32 v66, 0x1e0, v69
	v_add3_u32 v67, 0, v69, 16
	v_mov_b32_e32 v68, v0
	s_mov_b32 s36, 0
	.p2align	6
.LBB92_332:                             ; =>This Inner Loop Header: Depth=1
	s_clause 0x3
	buffer_load_dword v74, v67, s[0:3], 0 offen offset:8
	buffer_load_dword v75, v67, s[0:3], 0 offen offset:12
	buffer_load_dword v76, v67, s[0:3], 0 offen
	buffer_load_dword v77, v67, s[0:3], 0 offen offset:4
	ds_read_b128 v[70:73], v66
	v_add_nc_u32_e32 v68, 1, v68
	v_add_nc_u32_e32 v66, 16, v66
	;; [unrolled: 1-line block ×3, first 2 shown]
	v_cmp_lt_u32_e32 vcc_lo, 12, v68
	s_or_b32 s36, vcc_lo, s36
	s_waitcnt vmcnt(2) lgkmcnt(0)
	v_mul_f64 v[78:79], v[72:73], v[74:75]
	v_mul_f64 v[74:75], v[70:71], v[74:75]
	s_waitcnt vmcnt(0)
	v_fma_f64 v[70:71], v[70:71], v[76:77], -v[78:79]
	v_fma_f64 v[72:73], v[72:73], v[76:77], v[74:75]
	v_add_f64 v[1:2], v[1:2], v[70:71]
	v_add_f64 v[3:4], v[3:4], v[72:73]
	s_andn2_b32 exec_lo, exec_lo, s36
	s_cbranch_execnz .LBB92_332
; %bb.333:
	s_or_b32 exec_lo, exec_lo, s36
.LBB92_334:
	s_or_b32 exec_lo, exec_lo, s8
	v_mov_b32_e32 v66, 0
	ds_read_b128 v[70:73], v66 offset:224
	s_waitcnt lgkmcnt(0)
	v_mul_f64 v[66:67], v[3:4], v[72:73]
	v_mul_f64 v[72:73], v[1:2], v[72:73]
	v_fma_f64 v[1:2], v[1:2], v[70:71], -v[66:67]
	v_fma_f64 v[3:4], v[3:4], v[70:71], v[72:73]
	buffer_store_dword v2, off, s[0:3], 0 offset:228
	buffer_store_dword v1, off, s[0:3], 0 offset:224
	;; [unrolled: 1-line block ×4, first 2 shown]
.LBB92_335:
	s_or_b32 exec_lo, exec_lo, s4
	v_mov_b32_e32 v4, s20
	s_mov_b32 s4, exec_lo
	s_clause 0x3
	buffer_load_dword v1, v4, s[0:3], 0 offen
	buffer_load_dword v2, v4, s[0:3], 0 offen offset:4
	buffer_load_dword v3, v4, s[0:3], 0 offen offset:8
	;; [unrolled: 1-line block ×3, first 2 shown]
	s_waitcnt vmcnt(0)
	ds_write_b128 v64, v[1:4]
	s_waitcnt lgkmcnt(0)
	s_waitcnt_vscnt null, 0x0
	s_barrier
	buffer_gl0_inv
	v_cmpx_gt_u32_e32 15, v0
	s_cbranch_execz .LBB92_343
; %bb.336:
	ds_read_b128 v[1:4], v64
	v_cmp_ne_u32_e32 vcc_lo, 1, v65
	s_cbranch_vccnz .LBB92_338
; %bb.337:
	s_clause 0x3
	buffer_load_dword v66, v63, s[0:3], 0 offen offset:8
	buffer_load_dword v67, v63, s[0:3], 0 offen offset:12
	buffer_load_dword v70, v63, s[0:3], 0 offen
	buffer_load_dword v71, v63, s[0:3], 0 offen offset:4
	s_waitcnt vmcnt(2) lgkmcnt(0)
	v_mul_f64 v[72:73], v[3:4], v[66:67]
	v_mul_f64 v[66:67], v[1:2], v[66:67]
	s_waitcnt vmcnt(0)
	v_fma_f64 v[1:2], v[1:2], v[70:71], -v[72:73]
	v_fma_f64 v[3:4], v[3:4], v[70:71], v[66:67]
.LBB92_338:
	s_mov_b32 s8, exec_lo
	v_cmpx_ne_u32_e32 14, v0
	s_cbranch_execz .LBB92_342
; %bb.339:
	v_add_nc_u32_e32 v66, 0x1e0, v69
	v_add3_u32 v67, 0, v69, 16
	v_mov_b32_e32 v68, v0
	s_mov_b32 s36, 0
	.p2align	6
.LBB92_340:                             ; =>This Inner Loop Header: Depth=1
	s_clause 0x3
	buffer_load_dword v74, v67, s[0:3], 0 offen offset:8
	buffer_load_dword v75, v67, s[0:3], 0 offen offset:12
	buffer_load_dword v76, v67, s[0:3], 0 offen
	buffer_load_dword v77, v67, s[0:3], 0 offen offset:4
	ds_read_b128 v[70:73], v66
	v_add_nc_u32_e32 v68, 1, v68
	v_add_nc_u32_e32 v66, 16, v66
	;; [unrolled: 1-line block ×3, first 2 shown]
	v_cmp_lt_u32_e32 vcc_lo, 13, v68
	s_or_b32 s36, vcc_lo, s36
	s_waitcnt vmcnt(2) lgkmcnt(0)
	v_mul_f64 v[78:79], v[72:73], v[74:75]
	v_mul_f64 v[74:75], v[70:71], v[74:75]
	s_waitcnt vmcnt(0)
	v_fma_f64 v[70:71], v[70:71], v[76:77], -v[78:79]
	v_fma_f64 v[72:73], v[72:73], v[76:77], v[74:75]
	v_add_f64 v[1:2], v[1:2], v[70:71]
	v_add_f64 v[3:4], v[3:4], v[72:73]
	s_andn2_b32 exec_lo, exec_lo, s36
	s_cbranch_execnz .LBB92_340
; %bb.341:
	s_or_b32 exec_lo, exec_lo, s36
.LBB92_342:
	s_or_b32 exec_lo, exec_lo, s8
	v_mov_b32_e32 v66, 0
	ds_read_b128 v[70:73], v66 offset:240
	s_waitcnt lgkmcnt(0)
	v_mul_f64 v[66:67], v[3:4], v[72:73]
	v_mul_f64 v[72:73], v[1:2], v[72:73]
	v_fma_f64 v[1:2], v[1:2], v[70:71], -v[66:67]
	v_fma_f64 v[3:4], v[3:4], v[70:71], v[72:73]
	buffer_store_dword v2, off, s[0:3], 0 offset:244
	buffer_store_dword v1, off, s[0:3], 0 offset:240
	;; [unrolled: 1-line block ×4, first 2 shown]
.LBB92_343:
	s_or_b32 exec_lo, exec_lo, s4
	v_mov_b32_e32 v4, s19
	s_mov_b32 s4, exec_lo
	s_clause 0x3
	buffer_load_dword v1, v4, s[0:3], 0 offen
	buffer_load_dword v2, v4, s[0:3], 0 offen offset:4
	buffer_load_dword v3, v4, s[0:3], 0 offen offset:8
	;; [unrolled: 1-line block ×3, first 2 shown]
	s_waitcnt vmcnt(0)
	ds_write_b128 v64, v[1:4]
	s_waitcnt lgkmcnt(0)
	s_waitcnt_vscnt null, 0x0
	s_barrier
	buffer_gl0_inv
	v_cmpx_gt_u32_e32 16, v0
	s_cbranch_execz .LBB92_351
; %bb.344:
	ds_read_b128 v[1:4], v64
	v_cmp_ne_u32_e32 vcc_lo, 1, v65
	s_cbranch_vccnz .LBB92_346
; %bb.345:
	s_clause 0x3
	buffer_load_dword v66, v63, s[0:3], 0 offen offset:8
	buffer_load_dword v67, v63, s[0:3], 0 offen offset:12
	buffer_load_dword v70, v63, s[0:3], 0 offen
	buffer_load_dword v71, v63, s[0:3], 0 offen offset:4
	s_waitcnt vmcnt(2) lgkmcnt(0)
	v_mul_f64 v[72:73], v[3:4], v[66:67]
	v_mul_f64 v[66:67], v[1:2], v[66:67]
	s_waitcnt vmcnt(0)
	v_fma_f64 v[1:2], v[1:2], v[70:71], -v[72:73]
	v_fma_f64 v[3:4], v[3:4], v[70:71], v[66:67]
.LBB92_346:
	s_mov_b32 s8, exec_lo
	v_cmpx_ne_u32_e32 15, v0
	s_cbranch_execz .LBB92_350
; %bb.347:
	v_add_nc_u32_e32 v66, 0x1e0, v69
	v_add3_u32 v67, 0, v69, 16
	v_mov_b32_e32 v68, v0
	s_mov_b32 s36, 0
	.p2align	6
.LBB92_348:                             ; =>This Inner Loop Header: Depth=1
	s_clause 0x3
	buffer_load_dword v74, v67, s[0:3], 0 offen offset:8
	buffer_load_dword v75, v67, s[0:3], 0 offen offset:12
	buffer_load_dword v76, v67, s[0:3], 0 offen
	buffer_load_dword v77, v67, s[0:3], 0 offen offset:4
	ds_read_b128 v[70:73], v66
	v_add_nc_u32_e32 v68, 1, v68
	v_add_nc_u32_e32 v66, 16, v66
	;; [unrolled: 1-line block ×3, first 2 shown]
	v_cmp_lt_u32_e32 vcc_lo, 14, v68
	s_or_b32 s36, vcc_lo, s36
	s_waitcnt vmcnt(2) lgkmcnt(0)
	v_mul_f64 v[78:79], v[72:73], v[74:75]
	v_mul_f64 v[74:75], v[70:71], v[74:75]
	s_waitcnt vmcnt(0)
	v_fma_f64 v[70:71], v[70:71], v[76:77], -v[78:79]
	v_fma_f64 v[72:73], v[72:73], v[76:77], v[74:75]
	v_add_f64 v[1:2], v[1:2], v[70:71]
	v_add_f64 v[3:4], v[3:4], v[72:73]
	s_andn2_b32 exec_lo, exec_lo, s36
	s_cbranch_execnz .LBB92_348
; %bb.349:
	s_or_b32 exec_lo, exec_lo, s36
.LBB92_350:
	s_or_b32 exec_lo, exec_lo, s8
	v_mov_b32_e32 v66, 0
	ds_read_b128 v[70:73], v66 offset:256
	s_waitcnt lgkmcnt(0)
	v_mul_f64 v[66:67], v[3:4], v[72:73]
	v_mul_f64 v[72:73], v[1:2], v[72:73]
	v_fma_f64 v[1:2], v[1:2], v[70:71], -v[66:67]
	v_fma_f64 v[3:4], v[3:4], v[70:71], v[72:73]
	buffer_store_dword v2, off, s[0:3], 0 offset:260
	buffer_store_dword v1, off, s[0:3], 0 offset:256
	;; [unrolled: 1-line block ×4, first 2 shown]
.LBB92_351:
	s_or_b32 exec_lo, exec_lo, s4
	v_mov_b32_e32 v4, s18
	s_mov_b32 s4, exec_lo
	s_clause 0x3
	buffer_load_dword v1, v4, s[0:3], 0 offen
	buffer_load_dword v2, v4, s[0:3], 0 offen offset:4
	buffer_load_dword v3, v4, s[0:3], 0 offen offset:8
	buffer_load_dword v4, v4, s[0:3], 0 offen offset:12
	s_waitcnt vmcnt(0)
	ds_write_b128 v64, v[1:4]
	s_waitcnt lgkmcnt(0)
	s_waitcnt_vscnt null, 0x0
	s_barrier
	buffer_gl0_inv
	v_cmpx_gt_u32_e32 17, v0
	s_cbranch_execz .LBB92_359
; %bb.352:
	ds_read_b128 v[1:4], v64
	v_cmp_ne_u32_e32 vcc_lo, 1, v65
	s_cbranch_vccnz .LBB92_354
; %bb.353:
	s_clause 0x3
	buffer_load_dword v66, v63, s[0:3], 0 offen offset:8
	buffer_load_dword v67, v63, s[0:3], 0 offen offset:12
	buffer_load_dword v70, v63, s[0:3], 0 offen
	buffer_load_dword v71, v63, s[0:3], 0 offen offset:4
	s_waitcnt vmcnt(2) lgkmcnt(0)
	v_mul_f64 v[72:73], v[3:4], v[66:67]
	v_mul_f64 v[66:67], v[1:2], v[66:67]
	s_waitcnt vmcnt(0)
	v_fma_f64 v[1:2], v[1:2], v[70:71], -v[72:73]
	v_fma_f64 v[3:4], v[3:4], v[70:71], v[66:67]
.LBB92_354:
	s_mov_b32 s8, exec_lo
	v_cmpx_ne_u32_e32 16, v0
	s_cbranch_execz .LBB92_358
; %bb.355:
	v_add_nc_u32_e32 v66, 0x1e0, v69
	v_add3_u32 v67, 0, v69, 16
	v_mov_b32_e32 v68, v0
	s_mov_b32 s36, 0
	.p2align	6
.LBB92_356:                             ; =>This Inner Loop Header: Depth=1
	s_clause 0x3
	buffer_load_dword v74, v67, s[0:3], 0 offen offset:8
	buffer_load_dword v75, v67, s[0:3], 0 offen offset:12
	buffer_load_dword v76, v67, s[0:3], 0 offen
	buffer_load_dword v77, v67, s[0:3], 0 offen offset:4
	ds_read_b128 v[70:73], v66
	v_add_nc_u32_e32 v68, 1, v68
	v_add_nc_u32_e32 v66, 16, v66
	;; [unrolled: 1-line block ×3, first 2 shown]
	v_cmp_lt_u32_e32 vcc_lo, 15, v68
	s_or_b32 s36, vcc_lo, s36
	s_waitcnt vmcnt(2) lgkmcnt(0)
	v_mul_f64 v[78:79], v[72:73], v[74:75]
	v_mul_f64 v[74:75], v[70:71], v[74:75]
	s_waitcnt vmcnt(0)
	v_fma_f64 v[70:71], v[70:71], v[76:77], -v[78:79]
	v_fma_f64 v[72:73], v[72:73], v[76:77], v[74:75]
	v_add_f64 v[1:2], v[1:2], v[70:71]
	v_add_f64 v[3:4], v[3:4], v[72:73]
	s_andn2_b32 exec_lo, exec_lo, s36
	s_cbranch_execnz .LBB92_356
; %bb.357:
	s_or_b32 exec_lo, exec_lo, s36
.LBB92_358:
	s_or_b32 exec_lo, exec_lo, s8
	v_mov_b32_e32 v66, 0
	ds_read_b128 v[70:73], v66 offset:272
	s_waitcnt lgkmcnt(0)
	v_mul_f64 v[66:67], v[3:4], v[72:73]
	v_mul_f64 v[72:73], v[1:2], v[72:73]
	v_fma_f64 v[1:2], v[1:2], v[70:71], -v[66:67]
	v_fma_f64 v[3:4], v[3:4], v[70:71], v[72:73]
	buffer_store_dword v2, off, s[0:3], 0 offset:276
	buffer_store_dword v1, off, s[0:3], 0 offset:272
	;; [unrolled: 1-line block ×4, first 2 shown]
.LBB92_359:
	s_or_b32 exec_lo, exec_lo, s4
	v_mov_b32_e32 v4, s17
	s_mov_b32 s4, exec_lo
	s_clause 0x3
	buffer_load_dword v1, v4, s[0:3], 0 offen
	buffer_load_dword v2, v4, s[0:3], 0 offen offset:4
	buffer_load_dword v3, v4, s[0:3], 0 offen offset:8
	;; [unrolled: 1-line block ×3, first 2 shown]
	s_waitcnt vmcnt(0)
	ds_write_b128 v64, v[1:4]
	s_waitcnt lgkmcnt(0)
	s_waitcnt_vscnt null, 0x0
	s_barrier
	buffer_gl0_inv
	v_cmpx_gt_u32_e32 18, v0
	s_cbranch_execz .LBB92_367
; %bb.360:
	ds_read_b128 v[1:4], v64
	v_cmp_ne_u32_e32 vcc_lo, 1, v65
	s_cbranch_vccnz .LBB92_362
; %bb.361:
	s_clause 0x3
	buffer_load_dword v66, v63, s[0:3], 0 offen offset:8
	buffer_load_dword v67, v63, s[0:3], 0 offen offset:12
	buffer_load_dword v70, v63, s[0:3], 0 offen
	buffer_load_dword v71, v63, s[0:3], 0 offen offset:4
	s_waitcnt vmcnt(2) lgkmcnt(0)
	v_mul_f64 v[72:73], v[3:4], v[66:67]
	v_mul_f64 v[66:67], v[1:2], v[66:67]
	s_waitcnt vmcnt(0)
	v_fma_f64 v[1:2], v[1:2], v[70:71], -v[72:73]
	v_fma_f64 v[3:4], v[3:4], v[70:71], v[66:67]
.LBB92_362:
	s_mov_b32 s8, exec_lo
	v_cmpx_ne_u32_e32 17, v0
	s_cbranch_execz .LBB92_366
; %bb.363:
	v_add_nc_u32_e32 v66, 0x1e0, v69
	v_add3_u32 v67, 0, v69, 16
	v_mov_b32_e32 v68, v0
	s_mov_b32 s36, 0
	.p2align	6
.LBB92_364:                             ; =>This Inner Loop Header: Depth=1
	s_clause 0x3
	buffer_load_dword v74, v67, s[0:3], 0 offen offset:8
	buffer_load_dword v75, v67, s[0:3], 0 offen offset:12
	buffer_load_dword v76, v67, s[0:3], 0 offen
	buffer_load_dword v77, v67, s[0:3], 0 offen offset:4
	ds_read_b128 v[70:73], v66
	v_add_nc_u32_e32 v68, 1, v68
	v_add_nc_u32_e32 v66, 16, v66
	;; [unrolled: 1-line block ×3, first 2 shown]
	v_cmp_lt_u32_e32 vcc_lo, 16, v68
	s_or_b32 s36, vcc_lo, s36
	s_waitcnt vmcnt(2) lgkmcnt(0)
	v_mul_f64 v[78:79], v[72:73], v[74:75]
	v_mul_f64 v[74:75], v[70:71], v[74:75]
	s_waitcnt vmcnt(0)
	v_fma_f64 v[70:71], v[70:71], v[76:77], -v[78:79]
	v_fma_f64 v[72:73], v[72:73], v[76:77], v[74:75]
	v_add_f64 v[1:2], v[1:2], v[70:71]
	v_add_f64 v[3:4], v[3:4], v[72:73]
	s_andn2_b32 exec_lo, exec_lo, s36
	s_cbranch_execnz .LBB92_364
; %bb.365:
	s_or_b32 exec_lo, exec_lo, s36
.LBB92_366:
	s_or_b32 exec_lo, exec_lo, s8
	v_mov_b32_e32 v66, 0
	ds_read_b128 v[70:73], v66 offset:288
	s_waitcnt lgkmcnt(0)
	v_mul_f64 v[66:67], v[3:4], v[72:73]
	v_mul_f64 v[72:73], v[1:2], v[72:73]
	v_fma_f64 v[1:2], v[1:2], v[70:71], -v[66:67]
	v_fma_f64 v[3:4], v[3:4], v[70:71], v[72:73]
	buffer_store_dword v2, off, s[0:3], 0 offset:292
	buffer_store_dword v1, off, s[0:3], 0 offset:288
	;; [unrolled: 1-line block ×4, first 2 shown]
.LBB92_367:
	s_or_b32 exec_lo, exec_lo, s4
	v_mov_b32_e32 v4, s16
	s_mov_b32 s4, exec_lo
	s_clause 0x3
	buffer_load_dword v1, v4, s[0:3], 0 offen
	buffer_load_dword v2, v4, s[0:3], 0 offen offset:4
	buffer_load_dword v3, v4, s[0:3], 0 offen offset:8
	;; [unrolled: 1-line block ×3, first 2 shown]
	s_waitcnt vmcnt(0)
	ds_write_b128 v64, v[1:4]
	s_waitcnt lgkmcnt(0)
	s_waitcnt_vscnt null, 0x0
	s_barrier
	buffer_gl0_inv
	v_cmpx_gt_u32_e32 19, v0
	s_cbranch_execz .LBB92_375
; %bb.368:
	ds_read_b128 v[1:4], v64
	v_cmp_ne_u32_e32 vcc_lo, 1, v65
	s_cbranch_vccnz .LBB92_370
; %bb.369:
	s_clause 0x3
	buffer_load_dword v66, v63, s[0:3], 0 offen offset:8
	buffer_load_dword v67, v63, s[0:3], 0 offen offset:12
	buffer_load_dword v70, v63, s[0:3], 0 offen
	buffer_load_dword v71, v63, s[0:3], 0 offen offset:4
	s_waitcnt vmcnt(2) lgkmcnt(0)
	v_mul_f64 v[72:73], v[3:4], v[66:67]
	v_mul_f64 v[66:67], v[1:2], v[66:67]
	s_waitcnt vmcnt(0)
	v_fma_f64 v[1:2], v[1:2], v[70:71], -v[72:73]
	v_fma_f64 v[3:4], v[3:4], v[70:71], v[66:67]
.LBB92_370:
	s_mov_b32 s8, exec_lo
	v_cmpx_ne_u32_e32 18, v0
	s_cbranch_execz .LBB92_374
; %bb.371:
	v_add_nc_u32_e32 v66, 0x1e0, v69
	v_add3_u32 v67, 0, v69, 16
	v_mov_b32_e32 v68, v0
	s_mov_b32 s36, 0
	.p2align	6
.LBB92_372:                             ; =>This Inner Loop Header: Depth=1
	s_clause 0x3
	buffer_load_dword v74, v67, s[0:3], 0 offen offset:8
	buffer_load_dword v75, v67, s[0:3], 0 offen offset:12
	buffer_load_dword v76, v67, s[0:3], 0 offen
	buffer_load_dword v77, v67, s[0:3], 0 offen offset:4
	ds_read_b128 v[70:73], v66
	v_add_nc_u32_e32 v68, 1, v68
	v_add_nc_u32_e32 v66, 16, v66
	;; [unrolled: 1-line block ×3, first 2 shown]
	v_cmp_lt_u32_e32 vcc_lo, 17, v68
	s_or_b32 s36, vcc_lo, s36
	s_waitcnt vmcnt(2) lgkmcnt(0)
	v_mul_f64 v[78:79], v[72:73], v[74:75]
	v_mul_f64 v[74:75], v[70:71], v[74:75]
	s_waitcnt vmcnt(0)
	v_fma_f64 v[70:71], v[70:71], v[76:77], -v[78:79]
	v_fma_f64 v[72:73], v[72:73], v[76:77], v[74:75]
	v_add_f64 v[1:2], v[1:2], v[70:71]
	v_add_f64 v[3:4], v[3:4], v[72:73]
	s_andn2_b32 exec_lo, exec_lo, s36
	s_cbranch_execnz .LBB92_372
; %bb.373:
	s_or_b32 exec_lo, exec_lo, s36
.LBB92_374:
	s_or_b32 exec_lo, exec_lo, s8
	v_mov_b32_e32 v66, 0
	ds_read_b128 v[70:73], v66 offset:304
	s_waitcnt lgkmcnt(0)
	v_mul_f64 v[66:67], v[3:4], v[72:73]
	v_mul_f64 v[72:73], v[1:2], v[72:73]
	v_fma_f64 v[1:2], v[1:2], v[70:71], -v[66:67]
	v_fma_f64 v[3:4], v[3:4], v[70:71], v[72:73]
	buffer_store_dword v2, off, s[0:3], 0 offset:308
	buffer_store_dword v1, off, s[0:3], 0 offset:304
	buffer_store_dword v4, off, s[0:3], 0 offset:316
	buffer_store_dword v3, off, s[0:3], 0 offset:312
.LBB92_375:
	s_or_b32 exec_lo, exec_lo, s4
	v_mov_b32_e32 v4, s15
	s_mov_b32 s4, exec_lo
	s_clause 0x3
	buffer_load_dword v1, v4, s[0:3], 0 offen
	buffer_load_dword v2, v4, s[0:3], 0 offen offset:4
	buffer_load_dword v3, v4, s[0:3], 0 offen offset:8
	;; [unrolled: 1-line block ×3, first 2 shown]
	s_waitcnt vmcnt(0)
	ds_write_b128 v64, v[1:4]
	s_waitcnt lgkmcnt(0)
	s_waitcnt_vscnt null, 0x0
	s_barrier
	buffer_gl0_inv
	v_cmpx_gt_u32_e32 20, v0
	s_cbranch_execz .LBB92_383
; %bb.376:
	ds_read_b128 v[1:4], v64
	v_cmp_ne_u32_e32 vcc_lo, 1, v65
	s_cbranch_vccnz .LBB92_378
; %bb.377:
	s_clause 0x3
	buffer_load_dword v66, v63, s[0:3], 0 offen offset:8
	buffer_load_dword v67, v63, s[0:3], 0 offen offset:12
	buffer_load_dword v70, v63, s[0:3], 0 offen
	buffer_load_dword v71, v63, s[0:3], 0 offen offset:4
	s_waitcnt vmcnt(2) lgkmcnt(0)
	v_mul_f64 v[72:73], v[3:4], v[66:67]
	v_mul_f64 v[66:67], v[1:2], v[66:67]
	s_waitcnt vmcnt(0)
	v_fma_f64 v[1:2], v[1:2], v[70:71], -v[72:73]
	v_fma_f64 v[3:4], v[3:4], v[70:71], v[66:67]
.LBB92_378:
	s_mov_b32 s8, exec_lo
	v_cmpx_ne_u32_e32 19, v0
	s_cbranch_execz .LBB92_382
; %bb.379:
	v_add_nc_u32_e32 v66, 0x1e0, v69
	v_add3_u32 v67, 0, v69, 16
	v_mov_b32_e32 v68, v0
	s_mov_b32 s36, 0
	.p2align	6
.LBB92_380:                             ; =>This Inner Loop Header: Depth=1
	s_clause 0x3
	buffer_load_dword v74, v67, s[0:3], 0 offen offset:8
	buffer_load_dword v75, v67, s[0:3], 0 offen offset:12
	buffer_load_dword v76, v67, s[0:3], 0 offen
	buffer_load_dword v77, v67, s[0:3], 0 offen offset:4
	ds_read_b128 v[70:73], v66
	v_add_nc_u32_e32 v68, 1, v68
	v_add_nc_u32_e32 v66, 16, v66
	;; [unrolled: 1-line block ×3, first 2 shown]
	v_cmp_lt_u32_e32 vcc_lo, 18, v68
	s_or_b32 s36, vcc_lo, s36
	s_waitcnt vmcnt(2) lgkmcnt(0)
	v_mul_f64 v[78:79], v[72:73], v[74:75]
	v_mul_f64 v[74:75], v[70:71], v[74:75]
	s_waitcnt vmcnt(0)
	v_fma_f64 v[70:71], v[70:71], v[76:77], -v[78:79]
	v_fma_f64 v[72:73], v[72:73], v[76:77], v[74:75]
	v_add_f64 v[1:2], v[1:2], v[70:71]
	v_add_f64 v[3:4], v[3:4], v[72:73]
	s_andn2_b32 exec_lo, exec_lo, s36
	s_cbranch_execnz .LBB92_380
; %bb.381:
	s_or_b32 exec_lo, exec_lo, s36
.LBB92_382:
	s_or_b32 exec_lo, exec_lo, s8
	v_mov_b32_e32 v66, 0
	ds_read_b128 v[70:73], v66 offset:320
	s_waitcnt lgkmcnt(0)
	v_mul_f64 v[66:67], v[3:4], v[72:73]
	v_mul_f64 v[72:73], v[1:2], v[72:73]
	v_fma_f64 v[1:2], v[1:2], v[70:71], -v[66:67]
	v_fma_f64 v[3:4], v[3:4], v[70:71], v[72:73]
	buffer_store_dword v2, off, s[0:3], 0 offset:324
	buffer_store_dword v1, off, s[0:3], 0 offset:320
	;; [unrolled: 1-line block ×4, first 2 shown]
.LBB92_383:
	s_or_b32 exec_lo, exec_lo, s4
	v_mov_b32_e32 v4, s14
	s_mov_b32 s4, exec_lo
	s_clause 0x3
	buffer_load_dword v1, v4, s[0:3], 0 offen
	buffer_load_dword v2, v4, s[0:3], 0 offen offset:4
	buffer_load_dword v3, v4, s[0:3], 0 offen offset:8
	;; [unrolled: 1-line block ×3, first 2 shown]
	s_waitcnt vmcnt(0)
	ds_write_b128 v64, v[1:4]
	s_waitcnt lgkmcnt(0)
	s_waitcnt_vscnt null, 0x0
	s_barrier
	buffer_gl0_inv
	v_cmpx_gt_u32_e32 21, v0
	s_cbranch_execz .LBB92_391
; %bb.384:
	ds_read_b128 v[1:4], v64
	v_cmp_ne_u32_e32 vcc_lo, 1, v65
	s_cbranch_vccnz .LBB92_386
; %bb.385:
	s_clause 0x3
	buffer_load_dword v66, v63, s[0:3], 0 offen offset:8
	buffer_load_dword v67, v63, s[0:3], 0 offen offset:12
	buffer_load_dword v70, v63, s[0:3], 0 offen
	buffer_load_dword v71, v63, s[0:3], 0 offen offset:4
	s_waitcnt vmcnt(2) lgkmcnt(0)
	v_mul_f64 v[72:73], v[3:4], v[66:67]
	v_mul_f64 v[66:67], v[1:2], v[66:67]
	s_waitcnt vmcnt(0)
	v_fma_f64 v[1:2], v[1:2], v[70:71], -v[72:73]
	v_fma_f64 v[3:4], v[3:4], v[70:71], v[66:67]
.LBB92_386:
	s_mov_b32 s8, exec_lo
	v_cmpx_ne_u32_e32 20, v0
	s_cbranch_execz .LBB92_390
; %bb.387:
	v_add_nc_u32_e32 v66, 0x1e0, v69
	v_add3_u32 v67, 0, v69, 16
	v_mov_b32_e32 v68, v0
	s_mov_b32 s36, 0
	.p2align	6
.LBB92_388:                             ; =>This Inner Loop Header: Depth=1
	s_clause 0x3
	buffer_load_dword v74, v67, s[0:3], 0 offen offset:8
	buffer_load_dword v75, v67, s[0:3], 0 offen offset:12
	buffer_load_dword v76, v67, s[0:3], 0 offen
	buffer_load_dword v77, v67, s[0:3], 0 offen offset:4
	ds_read_b128 v[70:73], v66
	v_add_nc_u32_e32 v68, 1, v68
	v_add_nc_u32_e32 v66, 16, v66
	v_add_nc_u32_e32 v67, 16, v67
	v_cmp_lt_u32_e32 vcc_lo, 19, v68
	s_or_b32 s36, vcc_lo, s36
	s_waitcnt vmcnt(2) lgkmcnt(0)
	v_mul_f64 v[78:79], v[72:73], v[74:75]
	v_mul_f64 v[74:75], v[70:71], v[74:75]
	s_waitcnt vmcnt(0)
	v_fma_f64 v[70:71], v[70:71], v[76:77], -v[78:79]
	v_fma_f64 v[72:73], v[72:73], v[76:77], v[74:75]
	v_add_f64 v[1:2], v[1:2], v[70:71]
	v_add_f64 v[3:4], v[3:4], v[72:73]
	s_andn2_b32 exec_lo, exec_lo, s36
	s_cbranch_execnz .LBB92_388
; %bb.389:
	s_or_b32 exec_lo, exec_lo, s36
.LBB92_390:
	s_or_b32 exec_lo, exec_lo, s8
	v_mov_b32_e32 v66, 0
	ds_read_b128 v[70:73], v66 offset:336
	s_waitcnt lgkmcnt(0)
	v_mul_f64 v[66:67], v[3:4], v[72:73]
	v_mul_f64 v[72:73], v[1:2], v[72:73]
	v_fma_f64 v[1:2], v[1:2], v[70:71], -v[66:67]
	v_fma_f64 v[3:4], v[3:4], v[70:71], v[72:73]
	buffer_store_dword v2, off, s[0:3], 0 offset:340
	buffer_store_dword v1, off, s[0:3], 0 offset:336
	;; [unrolled: 1-line block ×4, first 2 shown]
.LBB92_391:
	s_or_b32 exec_lo, exec_lo, s4
	v_mov_b32_e32 v4, s13
	s_mov_b32 s4, exec_lo
	s_clause 0x3
	buffer_load_dword v1, v4, s[0:3], 0 offen
	buffer_load_dword v2, v4, s[0:3], 0 offen offset:4
	buffer_load_dword v3, v4, s[0:3], 0 offen offset:8
	;; [unrolled: 1-line block ×3, first 2 shown]
	s_waitcnt vmcnt(0)
	ds_write_b128 v64, v[1:4]
	s_waitcnt lgkmcnt(0)
	s_waitcnt_vscnt null, 0x0
	s_barrier
	buffer_gl0_inv
	v_cmpx_gt_u32_e32 22, v0
	s_cbranch_execz .LBB92_399
; %bb.392:
	ds_read_b128 v[1:4], v64
	v_cmp_ne_u32_e32 vcc_lo, 1, v65
	s_cbranch_vccnz .LBB92_394
; %bb.393:
	s_clause 0x3
	buffer_load_dword v66, v63, s[0:3], 0 offen offset:8
	buffer_load_dword v67, v63, s[0:3], 0 offen offset:12
	buffer_load_dword v70, v63, s[0:3], 0 offen
	buffer_load_dword v71, v63, s[0:3], 0 offen offset:4
	s_waitcnt vmcnt(2) lgkmcnt(0)
	v_mul_f64 v[72:73], v[3:4], v[66:67]
	v_mul_f64 v[66:67], v[1:2], v[66:67]
	s_waitcnt vmcnt(0)
	v_fma_f64 v[1:2], v[1:2], v[70:71], -v[72:73]
	v_fma_f64 v[3:4], v[3:4], v[70:71], v[66:67]
.LBB92_394:
	s_mov_b32 s8, exec_lo
	v_cmpx_ne_u32_e32 21, v0
	s_cbranch_execz .LBB92_398
; %bb.395:
	v_add_nc_u32_e32 v66, 0x1e0, v69
	v_add3_u32 v67, 0, v69, 16
	v_mov_b32_e32 v68, v0
	s_mov_b32 s36, 0
	.p2align	6
.LBB92_396:                             ; =>This Inner Loop Header: Depth=1
	s_clause 0x3
	buffer_load_dword v74, v67, s[0:3], 0 offen offset:8
	buffer_load_dword v75, v67, s[0:3], 0 offen offset:12
	buffer_load_dword v76, v67, s[0:3], 0 offen
	buffer_load_dword v77, v67, s[0:3], 0 offen offset:4
	ds_read_b128 v[70:73], v66
	v_add_nc_u32_e32 v68, 1, v68
	v_add_nc_u32_e32 v66, 16, v66
	;; [unrolled: 1-line block ×3, first 2 shown]
	v_cmp_lt_u32_e32 vcc_lo, 20, v68
	s_or_b32 s36, vcc_lo, s36
	s_waitcnt vmcnt(2) lgkmcnt(0)
	v_mul_f64 v[78:79], v[72:73], v[74:75]
	v_mul_f64 v[74:75], v[70:71], v[74:75]
	s_waitcnt vmcnt(0)
	v_fma_f64 v[70:71], v[70:71], v[76:77], -v[78:79]
	v_fma_f64 v[72:73], v[72:73], v[76:77], v[74:75]
	v_add_f64 v[1:2], v[1:2], v[70:71]
	v_add_f64 v[3:4], v[3:4], v[72:73]
	s_andn2_b32 exec_lo, exec_lo, s36
	s_cbranch_execnz .LBB92_396
; %bb.397:
	s_or_b32 exec_lo, exec_lo, s36
.LBB92_398:
	s_or_b32 exec_lo, exec_lo, s8
	v_mov_b32_e32 v66, 0
	ds_read_b128 v[70:73], v66 offset:352
	s_waitcnt lgkmcnt(0)
	v_mul_f64 v[66:67], v[3:4], v[72:73]
	v_mul_f64 v[72:73], v[1:2], v[72:73]
	v_fma_f64 v[1:2], v[1:2], v[70:71], -v[66:67]
	v_fma_f64 v[3:4], v[3:4], v[70:71], v[72:73]
	buffer_store_dword v2, off, s[0:3], 0 offset:356
	buffer_store_dword v1, off, s[0:3], 0 offset:352
	;; [unrolled: 1-line block ×4, first 2 shown]
.LBB92_399:
	s_or_b32 exec_lo, exec_lo, s4
	v_mov_b32_e32 v4, s12
	s_mov_b32 s4, exec_lo
	s_clause 0x3
	buffer_load_dword v1, v4, s[0:3], 0 offen
	buffer_load_dword v2, v4, s[0:3], 0 offen offset:4
	buffer_load_dword v3, v4, s[0:3], 0 offen offset:8
	;; [unrolled: 1-line block ×3, first 2 shown]
	s_waitcnt vmcnt(0)
	ds_write_b128 v64, v[1:4]
	s_waitcnt lgkmcnt(0)
	s_waitcnt_vscnt null, 0x0
	s_barrier
	buffer_gl0_inv
	v_cmpx_gt_u32_e32 23, v0
	s_cbranch_execz .LBB92_407
; %bb.400:
	ds_read_b128 v[1:4], v64
	v_cmp_ne_u32_e32 vcc_lo, 1, v65
	s_cbranch_vccnz .LBB92_402
; %bb.401:
	s_clause 0x3
	buffer_load_dword v66, v63, s[0:3], 0 offen offset:8
	buffer_load_dword v67, v63, s[0:3], 0 offen offset:12
	buffer_load_dword v70, v63, s[0:3], 0 offen
	buffer_load_dword v71, v63, s[0:3], 0 offen offset:4
	s_waitcnt vmcnt(2) lgkmcnt(0)
	v_mul_f64 v[72:73], v[3:4], v[66:67]
	v_mul_f64 v[66:67], v[1:2], v[66:67]
	s_waitcnt vmcnt(0)
	v_fma_f64 v[1:2], v[1:2], v[70:71], -v[72:73]
	v_fma_f64 v[3:4], v[3:4], v[70:71], v[66:67]
.LBB92_402:
	s_mov_b32 s8, exec_lo
	v_cmpx_ne_u32_e32 22, v0
	s_cbranch_execz .LBB92_406
; %bb.403:
	v_add_nc_u32_e32 v66, 0x1e0, v69
	v_add3_u32 v67, 0, v69, 16
	v_mov_b32_e32 v68, v0
	s_mov_b32 s36, 0
	.p2align	6
.LBB92_404:                             ; =>This Inner Loop Header: Depth=1
	s_clause 0x3
	buffer_load_dword v74, v67, s[0:3], 0 offen offset:8
	buffer_load_dword v75, v67, s[0:3], 0 offen offset:12
	buffer_load_dword v76, v67, s[0:3], 0 offen
	buffer_load_dword v77, v67, s[0:3], 0 offen offset:4
	ds_read_b128 v[70:73], v66
	v_add_nc_u32_e32 v68, 1, v68
	v_add_nc_u32_e32 v66, 16, v66
	;; [unrolled: 1-line block ×3, first 2 shown]
	v_cmp_lt_u32_e32 vcc_lo, 21, v68
	s_or_b32 s36, vcc_lo, s36
	s_waitcnt vmcnt(2) lgkmcnt(0)
	v_mul_f64 v[78:79], v[72:73], v[74:75]
	v_mul_f64 v[74:75], v[70:71], v[74:75]
	s_waitcnt vmcnt(0)
	v_fma_f64 v[70:71], v[70:71], v[76:77], -v[78:79]
	v_fma_f64 v[72:73], v[72:73], v[76:77], v[74:75]
	v_add_f64 v[1:2], v[1:2], v[70:71]
	v_add_f64 v[3:4], v[3:4], v[72:73]
	s_andn2_b32 exec_lo, exec_lo, s36
	s_cbranch_execnz .LBB92_404
; %bb.405:
	s_or_b32 exec_lo, exec_lo, s36
.LBB92_406:
	s_or_b32 exec_lo, exec_lo, s8
	v_mov_b32_e32 v66, 0
	ds_read_b128 v[70:73], v66 offset:368
	s_waitcnt lgkmcnt(0)
	v_mul_f64 v[66:67], v[3:4], v[72:73]
	v_mul_f64 v[72:73], v[1:2], v[72:73]
	v_fma_f64 v[1:2], v[1:2], v[70:71], -v[66:67]
	v_fma_f64 v[3:4], v[3:4], v[70:71], v[72:73]
	buffer_store_dword v2, off, s[0:3], 0 offset:372
	buffer_store_dword v1, off, s[0:3], 0 offset:368
	;; [unrolled: 1-line block ×4, first 2 shown]
.LBB92_407:
	s_or_b32 exec_lo, exec_lo, s4
	v_mov_b32_e32 v4, s11
	s_mov_b32 s4, exec_lo
	s_clause 0x3
	buffer_load_dword v1, v4, s[0:3], 0 offen
	buffer_load_dword v2, v4, s[0:3], 0 offen offset:4
	buffer_load_dword v3, v4, s[0:3], 0 offen offset:8
	;; [unrolled: 1-line block ×3, first 2 shown]
	s_waitcnt vmcnt(0)
	ds_write_b128 v64, v[1:4]
	s_waitcnt lgkmcnt(0)
	s_waitcnt_vscnt null, 0x0
	s_barrier
	buffer_gl0_inv
	v_cmpx_gt_u32_e32 24, v0
	s_cbranch_execz .LBB92_415
; %bb.408:
	ds_read_b128 v[1:4], v64
	v_cmp_ne_u32_e32 vcc_lo, 1, v65
	s_cbranch_vccnz .LBB92_410
; %bb.409:
	s_clause 0x3
	buffer_load_dword v66, v63, s[0:3], 0 offen offset:8
	buffer_load_dword v67, v63, s[0:3], 0 offen offset:12
	buffer_load_dword v70, v63, s[0:3], 0 offen
	buffer_load_dword v71, v63, s[0:3], 0 offen offset:4
	s_waitcnt vmcnt(2) lgkmcnt(0)
	v_mul_f64 v[72:73], v[3:4], v[66:67]
	v_mul_f64 v[66:67], v[1:2], v[66:67]
	s_waitcnt vmcnt(0)
	v_fma_f64 v[1:2], v[1:2], v[70:71], -v[72:73]
	v_fma_f64 v[3:4], v[3:4], v[70:71], v[66:67]
.LBB92_410:
	s_mov_b32 s8, exec_lo
	v_cmpx_ne_u32_e32 23, v0
	s_cbranch_execz .LBB92_414
; %bb.411:
	v_add_nc_u32_e32 v66, 0x1e0, v69
	v_add3_u32 v67, 0, v69, 16
	v_mov_b32_e32 v68, v0
	s_mov_b32 s36, 0
	.p2align	6
.LBB92_412:                             ; =>This Inner Loop Header: Depth=1
	s_clause 0x3
	buffer_load_dword v74, v67, s[0:3], 0 offen offset:8
	buffer_load_dword v75, v67, s[0:3], 0 offen offset:12
	buffer_load_dword v76, v67, s[0:3], 0 offen
	buffer_load_dword v77, v67, s[0:3], 0 offen offset:4
	ds_read_b128 v[70:73], v66
	v_add_nc_u32_e32 v68, 1, v68
	v_add_nc_u32_e32 v66, 16, v66
	;; [unrolled: 1-line block ×3, first 2 shown]
	v_cmp_lt_u32_e32 vcc_lo, 22, v68
	s_or_b32 s36, vcc_lo, s36
	s_waitcnt vmcnt(2) lgkmcnt(0)
	v_mul_f64 v[78:79], v[72:73], v[74:75]
	v_mul_f64 v[74:75], v[70:71], v[74:75]
	s_waitcnt vmcnt(0)
	v_fma_f64 v[70:71], v[70:71], v[76:77], -v[78:79]
	v_fma_f64 v[72:73], v[72:73], v[76:77], v[74:75]
	v_add_f64 v[1:2], v[1:2], v[70:71]
	v_add_f64 v[3:4], v[3:4], v[72:73]
	s_andn2_b32 exec_lo, exec_lo, s36
	s_cbranch_execnz .LBB92_412
; %bb.413:
	s_or_b32 exec_lo, exec_lo, s36
.LBB92_414:
	s_or_b32 exec_lo, exec_lo, s8
	v_mov_b32_e32 v66, 0
	ds_read_b128 v[70:73], v66 offset:384
	s_waitcnt lgkmcnt(0)
	v_mul_f64 v[66:67], v[3:4], v[72:73]
	v_mul_f64 v[72:73], v[1:2], v[72:73]
	v_fma_f64 v[1:2], v[1:2], v[70:71], -v[66:67]
	v_fma_f64 v[3:4], v[3:4], v[70:71], v[72:73]
	buffer_store_dword v2, off, s[0:3], 0 offset:388
	buffer_store_dword v1, off, s[0:3], 0 offset:384
	;; [unrolled: 1-line block ×4, first 2 shown]
.LBB92_415:
	s_or_b32 exec_lo, exec_lo, s4
	v_mov_b32_e32 v4, s10
	s_mov_b32 s4, exec_lo
	s_clause 0x3
	buffer_load_dword v1, v4, s[0:3], 0 offen
	buffer_load_dword v2, v4, s[0:3], 0 offen offset:4
	buffer_load_dword v3, v4, s[0:3], 0 offen offset:8
	;; [unrolled: 1-line block ×3, first 2 shown]
	s_waitcnt vmcnt(0)
	ds_write_b128 v64, v[1:4]
	s_waitcnt lgkmcnt(0)
	s_waitcnt_vscnt null, 0x0
	s_barrier
	buffer_gl0_inv
	v_cmpx_gt_u32_e32 25, v0
	s_cbranch_execz .LBB92_423
; %bb.416:
	ds_read_b128 v[1:4], v64
	v_cmp_ne_u32_e32 vcc_lo, 1, v65
	s_cbranch_vccnz .LBB92_418
; %bb.417:
	s_clause 0x3
	buffer_load_dword v66, v63, s[0:3], 0 offen offset:8
	buffer_load_dword v67, v63, s[0:3], 0 offen offset:12
	buffer_load_dword v70, v63, s[0:3], 0 offen
	buffer_load_dword v71, v63, s[0:3], 0 offen offset:4
	s_waitcnt vmcnt(2) lgkmcnt(0)
	v_mul_f64 v[72:73], v[3:4], v[66:67]
	v_mul_f64 v[66:67], v[1:2], v[66:67]
	s_waitcnt vmcnt(0)
	v_fma_f64 v[1:2], v[1:2], v[70:71], -v[72:73]
	v_fma_f64 v[3:4], v[3:4], v[70:71], v[66:67]
.LBB92_418:
	s_mov_b32 s8, exec_lo
	v_cmpx_ne_u32_e32 24, v0
	s_cbranch_execz .LBB92_422
; %bb.419:
	v_add_nc_u32_e32 v66, 0x1e0, v69
	v_add3_u32 v67, 0, v69, 16
	v_mov_b32_e32 v68, v0
	s_mov_b32 s36, 0
	.p2align	6
.LBB92_420:                             ; =>This Inner Loop Header: Depth=1
	s_clause 0x3
	buffer_load_dword v74, v67, s[0:3], 0 offen offset:8
	buffer_load_dword v75, v67, s[0:3], 0 offen offset:12
	buffer_load_dword v76, v67, s[0:3], 0 offen
	buffer_load_dword v77, v67, s[0:3], 0 offen offset:4
	ds_read_b128 v[70:73], v66
	v_add_nc_u32_e32 v68, 1, v68
	v_add_nc_u32_e32 v66, 16, v66
	;; [unrolled: 1-line block ×3, first 2 shown]
	v_cmp_lt_u32_e32 vcc_lo, 23, v68
	s_or_b32 s36, vcc_lo, s36
	s_waitcnt vmcnt(2) lgkmcnt(0)
	v_mul_f64 v[78:79], v[72:73], v[74:75]
	v_mul_f64 v[74:75], v[70:71], v[74:75]
	s_waitcnt vmcnt(0)
	v_fma_f64 v[70:71], v[70:71], v[76:77], -v[78:79]
	v_fma_f64 v[72:73], v[72:73], v[76:77], v[74:75]
	v_add_f64 v[1:2], v[1:2], v[70:71]
	v_add_f64 v[3:4], v[3:4], v[72:73]
	s_andn2_b32 exec_lo, exec_lo, s36
	s_cbranch_execnz .LBB92_420
; %bb.421:
	s_or_b32 exec_lo, exec_lo, s36
.LBB92_422:
	s_or_b32 exec_lo, exec_lo, s8
	v_mov_b32_e32 v66, 0
	ds_read_b128 v[70:73], v66 offset:400
	s_waitcnt lgkmcnt(0)
	v_mul_f64 v[66:67], v[3:4], v[72:73]
	v_mul_f64 v[72:73], v[1:2], v[72:73]
	v_fma_f64 v[1:2], v[1:2], v[70:71], -v[66:67]
	v_fma_f64 v[3:4], v[3:4], v[70:71], v[72:73]
	buffer_store_dword v2, off, s[0:3], 0 offset:404
	buffer_store_dword v1, off, s[0:3], 0 offset:400
	;; [unrolled: 1-line block ×4, first 2 shown]
.LBB92_423:
	s_or_b32 exec_lo, exec_lo, s4
	v_mov_b32_e32 v4, s9
	s_mov_b32 s4, exec_lo
	s_clause 0x3
	buffer_load_dword v1, v4, s[0:3], 0 offen
	buffer_load_dword v2, v4, s[0:3], 0 offen offset:4
	buffer_load_dword v3, v4, s[0:3], 0 offen offset:8
	;; [unrolled: 1-line block ×3, first 2 shown]
	s_waitcnt vmcnt(0)
	ds_write_b128 v64, v[1:4]
	s_waitcnt lgkmcnt(0)
	s_waitcnt_vscnt null, 0x0
	s_barrier
	buffer_gl0_inv
	v_cmpx_gt_u32_e32 26, v0
	s_cbranch_execz .LBB92_431
; %bb.424:
	ds_read_b128 v[1:4], v64
	v_cmp_ne_u32_e32 vcc_lo, 1, v65
	s_cbranch_vccnz .LBB92_426
; %bb.425:
	s_clause 0x3
	buffer_load_dword v66, v63, s[0:3], 0 offen offset:8
	buffer_load_dword v67, v63, s[0:3], 0 offen offset:12
	buffer_load_dword v70, v63, s[0:3], 0 offen
	buffer_load_dword v71, v63, s[0:3], 0 offen offset:4
	s_waitcnt vmcnt(2) lgkmcnt(0)
	v_mul_f64 v[72:73], v[3:4], v[66:67]
	v_mul_f64 v[66:67], v[1:2], v[66:67]
	s_waitcnt vmcnt(0)
	v_fma_f64 v[1:2], v[1:2], v[70:71], -v[72:73]
	v_fma_f64 v[3:4], v[3:4], v[70:71], v[66:67]
.LBB92_426:
	s_mov_b32 s8, exec_lo
	v_cmpx_ne_u32_e32 25, v0
	s_cbranch_execz .LBB92_430
; %bb.427:
	v_add_nc_u32_e32 v66, 0x1e0, v69
	v_add3_u32 v67, 0, v69, 16
	v_mov_b32_e32 v68, v0
	s_mov_b32 s36, 0
	.p2align	6
.LBB92_428:                             ; =>This Inner Loop Header: Depth=1
	s_clause 0x3
	buffer_load_dword v74, v67, s[0:3], 0 offen offset:8
	buffer_load_dword v75, v67, s[0:3], 0 offen offset:12
	buffer_load_dword v76, v67, s[0:3], 0 offen
	buffer_load_dword v77, v67, s[0:3], 0 offen offset:4
	ds_read_b128 v[70:73], v66
	v_add_nc_u32_e32 v68, 1, v68
	v_add_nc_u32_e32 v66, 16, v66
	;; [unrolled: 1-line block ×3, first 2 shown]
	v_cmp_lt_u32_e32 vcc_lo, 24, v68
	s_or_b32 s36, vcc_lo, s36
	s_waitcnt vmcnt(2) lgkmcnt(0)
	v_mul_f64 v[78:79], v[72:73], v[74:75]
	v_mul_f64 v[74:75], v[70:71], v[74:75]
	s_waitcnt vmcnt(0)
	v_fma_f64 v[70:71], v[70:71], v[76:77], -v[78:79]
	v_fma_f64 v[72:73], v[72:73], v[76:77], v[74:75]
	v_add_f64 v[1:2], v[1:2], v[70:71]
	v_add_f64 v[3:4], v[3:4], v[72:73]
	s_andn2_b32 exec_lo, exec_lo, s36
	s_cbranch_execnz .LBB92_428
; %bb.429:
	s_or_b32 exec_lo, exec_lo, s36
.LBB92_430:
	s_or_b32 exec_lo, exec_lo, s8
	v_mov_b32_e32 v66, 0
	ds_read_b128 v[70:73], v66 offset:416
	s_waitcnt lgkmcnt(0)
	v_mul_f64 v[66:67], v[3:4], v[72:73]
	v_mul_f64 v[72:73], v[1:2], v[72:73]
	v_fma_f64 v[1:2], v[1:2], v[70:71], -v[66:67]
	v_fma_f64 v[3:4], v[3:4], v[70:71], v[72:73]
	buffer_store_dword v2, off, s[0:3], 0 offset:420
	buffer_store_dword v1, off, s[0:3], 0 offset:416
	;; [unrolled: 1-line block ×4, first 2 shown]
.LBB92_431:
	s_or_b32 exec_lo, exec_lo, s4
	v_mov_b32_e32 v4, s7
	v_cmp_gt_u32_e64 s4, 27, v0
	s_clause 0x3
	buffer_load_dword v1, v4, s[0:3], 0 offen
	buffer_load_dword v2, v4, s[0:3], 0 offen offset:4
	buffer_load_dword v3, v4, s[0:3], 0 offen offset:8
	;; [unrolled: 1-line block ×3, first 2 shown]
	s_waitcnt vmcnt(0)
	ds_write_b128 v64, v[1:4]
	s_waitcnt lgkmcnt(0)
	s_waitcnt_vscnt null, 0x0
	s_barrier
	buffer_gl0_inv
	s_and_saveexec_b32 s8, s4
	s_cbranch_execz .LBB92_439
; %bb.432:
	ds_read_b128 v[1:4], v64
	v_cmp_ne_u32_e32 vcc_lo, 1, v65
	s_cbranch_vccnz .LBB92_434
; %bb.433:
	s_clause 0x3
	buffer_load_dword v66, v63, s[0:3], 0 offen offset:8
	buffer_load_dword v67, v63, s[0:3], 0 offen offset:12
	buffer_load_dword v70, v63, s[0:3], 0 offen
	buffer_load_dword v71, v63, s[0:3], 0 offen offset:4
	s_waitcnt vmcnt(2) lgkmcnt(0)
	v_mul_f64 v[72:73], v[3:4], v[66:67]
	v_mul_f64 v[66:67], v[1:2], v[66:67]
	s_waitcnt vmcnt(0)
	v_fma_f64 v[1:2], v[1:2], v[70:71], -v[72:73]
	v_fma_f64 v[3:4], v[3:4], v[70:71], v[66:67]
.LBB92_434:
	s_mov_b32 s36, exec_lo
	v_cmpx_ne_u32_e32 26, v0
	s_cbranch_execz .LBB92_438
; %bb.435:
	v_add_nc_u32_e32 v66, 0x1e0, v69
	v_add3_u32 v67, 0, v69, 16
	v_mov_b32_e32 v68, v0
	s_mov_b32 s37, 0
	.p2align	6
.LBB92_436:                             ; =>This Inner Loop Header: Depth=1
	s_clause 0x3
	buffer_load_dword v74, v67, s[0:3], 0 offen offset:8
	buffer_load_dword v75, v67, s[0:3], 0 offen offset:12
	buffer_load_dword v76, v67, s[0:3], 0 offen
	buffer_load_dword v77, v67, s[0:3], 0 offen offset:4
	ds_read_b128 v[70:73], v66
	v_add_nc_u32_e32 v68, 1, v68
	v_add_nc_u32_e32 v66, 16, v66
	;; [unrolled: 1-line block ×3, first 2 shown]
	v_cmp_lt_u32_e32 vcc_lo, 25, v68
	s_or_b32 s37, vcc_lo, s37
	s_waitcnt vmcnt(2) lgkmcnt(0)
	v_mul_f64 v[78:79], v[72:73], v[74:75]
	v_mul_f64 v[74:75], v[70:71], v[74:75]
	s_waitcnt vmcnt(0)
	v_fma_f64 v[70:71], v[70:71], v[76:77], -v[78:79]
	v_fma_f64 v[72:73], v[72:73], v[76:77], v[74:75]
	v_add_f64 v[1:2], v[1:2], v[70:71]
	v_add_f64 v[3:4], v[3:4], v[72:73]
	s_andn2_b32 exec_lo, exec_lo, s37
	s_cbranch_execnz .LBB92_436
; %bb.437:
	s_or_b32 exec_lo, exec_lo, s37
.LBB92_438:
	s_or_b32 exec_lo, exec_lo, s36
	v_mov_b32_e32 v66, 0
	ds_read_b128 v[70:73], v66 offset:432
	s_waitcnt lgkmcnt(0)
	v_mul_f64 v[66:67], v[3:4], v[72:73]
	v_mul_f64 v[72:73], v[1:2], v[72:73]
	v_fma_f64 v[1:2], v[1:2], v[70:71], -v[66:67]
	v_fma_f64 v[3:4], v[3:4], v[70:71], v[72:73]
	buffer_store_dword v2, off, s[0:3], 0 offset:436
	buffer_store_dword v1, off, s[0:3], 0 offset:432
	;; [unrolled: 1-line block ×4, first 2 shown]
.LBB92_439:
	s_or_b32 exec_lo, exec_lo, s8
	v_mov_b32_e32 v4, s6
	s_mov_b32 s8, exec_lo
                                        ; implicit-def: $sgpr38
	s_clause 0x3
	buffer_load_dword v1, v4, s[0:3], 0 offen
	buffer_load_dword v2, v4, s[0:3], 0 offen offset:4
	buffer_load_dword v3, v4, s[0:3], 0 offen offset:8
	;; [unrolled: 1-line block ×3, first 2 shown]
	s_waitcnt vmcnt(0)
	ds_write_b128 v64, v[1:4]
	s_waitcnt lgkmcnt(0)
	s_waitcnt_vscnt null, 0x0
	s_barrier
	buffer_gl0_inv
                                        ; implicit-def: $vgpr1_vgpr2
	v_cmpx_ne_u32_e32 28, v0
	s_cbranch_execz .LBB92_447
; %bb.440:
	ds_read_b128 v[1:4], v64
	v_cmp_ne_u32_e32 vcc_lo, 1, v65
	s_cbranch_vccnz .LBB92_442
; %bb.441:
	s_clause 0x3
	buffer_load_dword v64, v63, s[0:3], 0 offen offset:8
	buffer_load_dword v65, v63, s[0:3], 0 offen offset:12
	buffer_load_dword v66, v63, s[0:3], 0 offen
	buffer_load_dword v67, v63, s[0:3], 0 offen offset:4
	s_waitcnt vmcnt(2) lgkmcnt(0)
	v_mul_f64 v[70:71], v[3:4], v[64:65]
	v_mul_f64 v[63:64], v[1:2], v[64:65]
	s_waitcnt vmcnt(0)
	v_fma_f64 v[1:2], v[1:2], v[66:67], -v[70:71]
	v_fma_f64 v[3:4], v[3:4], v[66:67], v[63:64]
.LBB92_442:
	s_and_saveexec_b32 s36, s4
	s_cbranch_execz .LBB92_446
; %bb.443:
	v_add_nc_u32_e32 v63, 0x1e0, v69
	v_add3_u32 v64, 0, v69, 16
	s_mov_b32 s4, 0
	.p2align	6
.LBB92_444:                             ; =>This Inner Loop Header: Depth=1
	s_clause 0x3
	buffer_load_dword v69, v64, s[0:3], 0 offen offset:8
	buffer_load_dword v70, v64, s[0:3], 0 offen offset:12
	buffer_load_dword v71, v64, s[0:3], 0 offen
	buffer_load_dword v72, v64, s[0:3], 0 offen offset:4
	ds_read_b128 v[65:68], v63
	v_add_nc_u32_e32 v0, 1, v0
	v_add_nc_u32_e32 v63, 16, v63
	;; [unrolled: 1-line block ×3, first 2 shown]
	v_cmp_lt_u32_e32 vcc_lo, 26, v0
	s_or_b32 s4, vcc_lo, s4
	s_waitcnt vmcnt(2) lgkmcnt(0)
	v_mul_f64 v[73:74], v[67:68], v[69:70]
	v_mul_f64 v[69:70], v[65:66], v[69:70]
	s_waitcnt vmcnt(0)
	v_fma_f64 v[65:66], v[65:66], v[71:72], -v[73:74]
	v_fma_f64 v[67:68], v[67:68], v[71:72], v[69:70]
	v_add_f64 v[1:2], v[1:2], v[65:66]
	v_add_f64 v[3:4], v[3:4], v[67:68]
	s_andn2_b32 exec_lo, exec_lo, s4
	s_cbranch_execnz .LBB92_444
; %bb.445:
	s_or_b32 exec_lo, exec_lo, s4
.LBB92_446:
	s_or_b32 exec_lo, exec_lo, s36
	v_mov_b32_e32 v0, 0
	s_movk_i32 s38, 0x1c8
	s_or_b32 s5, s5, exec_lo
	ds_read_b128 v[63:66], v0 offset:448
	s_waitcnt lgkmcnt(0)
	v_mul_f64 v[67:68], v[3:4], v[65:66]
	v_mul_f64 v[65:66], v[1:2], v[65:66]
	v_fma_f64 v[67:68], v[1:2], v[63:64], -v[67:68]
	v_fma_f64 v[1:2], v[3:4], v[63:64], v[65:66]
	buffer_store_dword v68, off, s[0:3], 0 offset:452
	buffer_store_dword v67, off, s[0:3], 0 offset:448
.LBB92_447:
	s_or_b32 exec_lo, exec_lo, s8
.LBB92_448:
	s_and_saveexec_b32 s4, s5
	s_cbranch_execz .LBB92_450
; %bb.449:
	v_mov_b32_e32 v0, s38
	buffer_store_dword v2, v0, s[0:3], 0 offen offset:4
	buffer_store_dword v1, v0, s[0:3], 0 offen
.LBB92_450:
	s_or_b32 exec_lo, exec_lo, s4
	s_clause 0x3
	buffer_load_dword v0, off, s[0:3], 0
	buffer_load_dword v1, off, s[0:3], 0 offset:4
	buffer_load_dword v2, off, s[0:3], 0 offset:8
	;; [unrolled: 1-line block ×3, first 2 shown]
	v_mov_b32_e32 v4, s35
	s_waitcnt vmcnt(0)
	flat_store_dwordx4 v[5:6], v[0:3]
	s_clause 0x3
	buffer_load_dword v0, v4, s[0:3], 0 offen
	buffer_load_dword v1, v4, s[0:3], 0 offen offset:4
	buffer_load_dword v2, v4, s[0:3], 0 offen offset:8
	buffer_load_dword v3, v4, s[0:3], 0 offen offset:12
	v_mov_b32_e32 v4, s34
	s_waitcnt vmcnt(0)
	flat_store_dwordx4 v[59:60], v[0:3]
	s_clause 0x3
	buffer_load_dword v0, v4, s[0:3], 0 offen
	buffer_load_dword v1, v4, s[0:3], 0 offen offset:4
	buffer_load_dword v2, v4, s[0:3], 0 offen offset:8
	buffer_load_dword v3, v4, s[0:3], 0 offen offset:12
	v_mov_b32_e32 v4, s33
	s_waitcnt vmcnt(0)
	flat_store_dwordx4 v[57:58], v[0:3]
	s_clause 0x3
	buffer_load_dword v0, v4, s[0:3], 0 offen
	buffer_load_dword v1, v4, s[0:3], 0 offen offset:4
	buffer_load_dword v2, v4, s[0:3], 0 offen offset:8
	buffer_load_dword v3, v4, s[0:3], 0 offen offset:12
	v_mov_b32_e32 v4, s31
	s_waitcnt vmcnt(0)
	flat_store_dwordx4 v[55:56], v[0:3]
	s_clause 0x3
	buffer_load_dword v0, v4, s[0:3], 0 offen
	buffer_load_dword v1, v4, s[0:3], 0 offen offset:4
	buffer_load_dword v2, v4, s[0:3], 0 offen offset:8
	buffer_load_dword v3, v4, s[0:3], 0 offen offset:12
	v_mov_b32_e32 v4, s30
	s_waitcnt vmcnt(0)
	flat_store_dwordx4 v[53:54], v[0:3]
	s_clause 0x3
	buffer_load_dword v0, v4, s[0:3], 0 offen
	buffer_load_dword v1, v4, s[0:3], 0 offen offset:4
	buffer_load_dword v2, v4, s[0:3], 0 offen offset:8
	buffer_load_dword v3, v4, s[0:3], 0 offen offset:12
	v_mov_b32_e32 v4, s29
	s_waitcnt vmcnt(0)
	flat_store_dwordx4 v[49:50], v[0:3]
	s_clause 0x3
	buffer_load_dword v0, v4, s[0:3], 0 offen
	buffer_load_dword v1, v4, s[0:3], 0 offen offset:4
	buffer_load_dword v2, v4, s[0:3], 0 offen offset:8
	buffer_load_dword v3, v4, s[0:3], 0 offen offset:12
	v_mov_b32_e32 v4, s28
	s_waitcnt vmcnt(0)
	flat_store_dwordx4 v[47:48], v[0:3]
	s_clause 0x3
	buffer_load_dword v0, v4, s[0:3], 0 offen
	buffer_load_dword v1, v4, s[0:3], 0 offen offset:4
	buffer_load_dword v2, v4, s[0:3], 0 offen offset:8
	buffer_load_dword v3, v4, s[0:3], 0 offen offset:12
	v_mov_b32_e32 v4, s27
	s_waitcnt vmcnt(0)
	flat_store_dwordx4 v[45:46], v[0:3]
	s_clause 0x3
	buffer_load_dword v0, v4, s[0:3], 0 offen
	buffer_load_dword v1, v4, s[0:3], 0 offen offset:4
	buffer_load_dword v2, v4, s[0:3], 0 offen offset:8
	buffer_load_dword v3, v4, s[0:3], 0 offen offset:12
	v_mov_b32_e32 v4, s26
	s_waitcnt vmcnt(0)
	flat_store_dwordx4 v[43:44], v[0:3]
	s_clause 0x3
	buffer_load_dword v0, v4, s[0:3], 0 offen
	buffer_load_dword v1, v4, s[0:3], 0 offen offset:4
	buffer_load_dword v2, v4, s[0:3], 0 offen offset:8
	buffer_load_dword v3, v4, s[0:3], 0 offen offset:12
	v_mov_b32_e32 v4, s25
	s_waitcnt vmcnt(0)
	flat_store_dwordx4 v[41:42], v[0:3]
	s_clause 0x3
	buffer_load_dword v0, v4, s[0:3], 0 offen
	buffer_load_dword v1, v4, s[0:3], 0 offen offset:4
	buffer_load_dword v2, v4, s[0:3], 0 offen offset:8
	buffer_load_dword v3, v4, s[0:3], 0 offen offset:12
	v_mov_b32_e32 v4, s24
	s_waitcnt vmcnt(0)
	flat_store_dwordx4 v[39:40], v[0:3]
	s_clause 0x3
	buffer_load_dword v0, v4, s[0:3], 0 offen
	buffer_load_dword v1, v4, s[0:3], 0 offen offset:4
	buffer_load_dword v2, v4, s[0:3], 0 offen offset:8
	buffer_load_dword v3, v4, s[0:3], 0 offen offset:12
	v_mov_b32_e32 v4, s23
	s_waitcnt vmcnt(0)
	flat_store_dwordx4 v[37:38], v[0:3]
	s_clause 0x3
	buffer_load_dword v0, v4, s[0:3], 0 offen
	buffer_load_dword v1, v4, s[0:3], 0 offen offset:4
	buffer_load_dword v2, v4, s[0:3], 0 offen offset:8
	buffer_load_dword v3, v4, s[0:3], 0 offen offset:12
	v_mov_b32_e32 v4, s22
	s_waitcnt vmcnt(0)
	flat_store_dwordx4 v[35:36], v[0:3]
	s_clause 0x3
	buffer_load_dword v0, v4, s[0:3], 0 offen
	buffer_load_dword v1, v4, s[0:3], 0 offen offset:4
	buffer_load_dword v2, v4, s[0:3], 0 offen offset:8
	buffer_load_dword v3, v4, s[0:3], 0 offen offset:12
	v_mov_b32_e32 v4, s21
	s_waitcnt vmcnt(0)
	flat_store_dwordx4 v[31:32], v[0:3]
	s_clause 0x3
	buffer_load_dword v0, v4, s[0:3], 0 offen
	buffer_load_dword v1, v4, s[0:3], 0 offen offset:4
	buffer_load_dword v2, v4, s[0:3], 0 offen offset:8
	buffer_load_dword v3, v4, s[0:3], 0 offen offset:12
	v_mov_b32_e32 v4, s20
	s_waitcnt vmcnt(0)
	flat_store_dwordx4 v[29:30], v[0:3]
	s_clause 0x3
	buffer_load_dword v0, v4, s[0:3], 0 offen
	buffer_load_dword v1, v4, s[0:3], 0 offen offset:4
	buffer_load_dword v2, v4, s[0:3], 0 offen offset:8
	buffer_load_dword v3, v4, s[0:3], 0 offen offset:12
	v_mov_b32_e32 v4, s19
	s_waitcnt vmcnt(0)
	flat_store_dwordx4 v[27:28], v[0:3]
	s_clause 0x3
	buffer_load_dword v0, v4, s[0:3], 0 offen
	buffer_load_dword v1, v4, s[0:3], 0 offen offset:4
	buffer_load_dword v2, v4, s[0:3], 0 offen offset:8
	buffer_load_dword v3, v4, s[0:3], 0 offen offset:12
	v_mov_b32_e32 v4, s18
	s_waitcnt vmcnt(0)
	flat_store_dwordx4 v[25:26], v[0:3]
	s_clause 0x3
	buffer_load_dword v0, v4, s[0:3], 0 offen
	buffer_load_dword v1, v4, s[0:3], 0 offen offset:4
	buffer_load_dword v2, v4, s[0:3], 0 offen offset:8
	buffer_load_dword v3, v4, s[0:3], 0 offen offset:12
	v_mov_b32_e32 v4, s17
	s_waitcnt vmcnt(0)
	flat_store_dwordx4 v[23:24], v[0:3]
	s_clause 0x3
	buffer_load_dword v0, v4, s[0:3], 0 offen
	buffer_load_dword v1, v4, s[0:3], 0 offen offset:4
	buffer_load_dword v2, v4, s[0:3], 0 offen offset:8
	buffer_load_dword v3, v4, s[0:3], 0 offen offset:12
	v_mov_b32_e32 v4, s16
	s_waitcnt vmcnt(0)
	flat_store_dwordx4 v[21:22], v[0:3]
	s_clause 0x3
	buffer_load_dword v0, v4, s[0:3], 0 offen
	buffer_load_dword v1, v4, s[0:3], 0 offen offset:4
	buffer_load_dword v2, v4, s[0:3], 0 offen offset:8
	buffer_load_dword v3, v4, s[0:3], 0 offen offset:12
	v_mov_b32_e32 v4, s15
	s_waitcnt vmcnt(0)
	flat_store_dwordx4 v[19:20], v[0:3]
	s_clause 0x3
	buffer_load_dword v0, v4, s[0:3], 0 offen
	buffer_load_dword v1, v4, s[0:3], 0 offen offset:4
	buffer_load_dword v2, v4, s[0:3], 0 offen offset:8
	buffer_load_dword v3, v4, s[0:3], 0 offen offset:12
	v_mov_b32_e32 v4, s14
	s_waitcnt vmcnt(0)
	flat_store_dwordx4 v[17:18], v[0:3]
	s_clause 0x3
	buffer_load_dword v0, v4, s[0:3], 0 offen
	buffer_load_dword v1, v4, s[0:3], 0 offen offset:4
	buffer_load_dword v2, v4, s[0:3], 0 offen offset:8
	buffer_load_dword v3, v4, s[0:3], 0 offen offset:12
	v_mov_b32_e32 v4, s13
	s_waitcnt vmcnt(0)
	flat_store_dwordx4 v[15:16], v[0:3]
	s_clause 0x3
	buffer_load_dword v0, v4, s[0:3], 0 offen
	buffer_load_dword v1, v4, s[0:3], 0 offen offset:4
	buffer_load_dword v2, v4, s[0:3], 0 offen offset:8
	buffer_load_dword v3, v4, s[0:3], 0 offen offset:12
	v_mov_b32_e32 v4, s12
	s_waitcnt vmcnt(0)
	flat_store_dwordx4 v[13:14], v[0:3]
	s_clause 0x3
	buffer_load_dword v0, v4, s[0:3], 0 offen
	buffer_load_dword v1, v4, s[0:3], 0 offen offset:4
	buffer_load_dword v2, v4, s[0:3], 0 offen offset:8
	buffer_load_dword v3, v4, s[0:3], 0 offen offset:12
	v_mov_b32_e32 v4, s11
	s_waitcnt vmcnt(0)
	flat_store_dwordx4 v[11:12], v[0:3]
	s_clause 0x3
	buffer_load_dword v0, v4, s[0:3], 0 offen
	buffer_load_dword v1, v4, s[0:3], 0 offen offset:4
	buffer_load_dword v2, v4, s[0:3], 0 offen offset:8
	buffer_load_dword v3, v4, s[0:3], 0 offen offset:12
	v_mov_b32_e32 v4, s10
	s_waitcnt vmcnt(0)
	flat_store_dwordx4 v[9:10], v[0:3]
	s_clause 0x3
	buffer_load_dword v0, v4, s[0:3], 0 offen
	buffer_load_dword v1, v4, s[0:3], 0 offen offset:4
	buffer_load_dword v2, v4, s[0:3], 0 offen offset:8
	buffer_load_dword v3, v4, s[0:3], 0 offen offset:12
	v_mov_b32_e32 v4, s9
	s_waitcnt vmcnt(0)
	flat_store_dwordx4 v[7:8], v[0:3]
	s_clause 0x3
	buffer_load_dword v0, v4, s[0:3], 0 offen
	buffer_load_dword v1, v4, s[0:3], 0 offen offset:4
	buffer_load_dword v2, v4, s[0:3], 0 offen offset:8
	buffer_load_dword v3, v4, s[0:3], 0 offen offset:12
	v_mov_b32_e32 v4, s7
	s_waitcnt vmcnt(0)
	flat_store_dwordx4 v[33:34], v[0:3]
	s_clause 0x3
	buffer_load_dword v0, v4, s[0:3], 0 offen
	buffer_load_dword v1, v4, s[0:3], 0 offen offset:4
	buffer_load_dword v2, v4, s[0:3], 0 offen offset:8
	buffer_load_dword v3, v4, s[0:3], 0 offen offset:12
	v_mov_b32_e32 v4, s6
	s_waitcnt vmcnt(0)
	flat_store_dwordx4 v[51:52], v[0:3]
	s_clause 0x3
	buffer_load_dword v0, v4, s[0:3], 0 offen
	buffer_load_dword v1, v4, s[0:3], 0 offen offset:4
	buffer_load_dword v2, v4, s[0:3], 0 offen offset:8
	buffer_load_dword v3, v4, s[0:3], 0 offen offset:12
	s_waitcnt vmcnt(0)
	flat_store_dwordx4 v[61:62], v[0:3]
.LBB92_451:
	s_endpgm
	.section	.rodata,"a",@progbits
	.p2align	6, 0x0
	.amdhsa_kernel _ZN9rocsolver6v33100L18trti2_kernel_smallILi29E19rocblas_complex_numIdEPKPS3_EEv13rocblas_fill_17rocblas_diagonal_T1_iil
		.amdhsa_group_segment_fixed_size 928
		.amdhsa_private_segment_fixed_size 480
		.amdhsa_kernarg_size 32
		.amdhsa_user_sgpr_count 6
		.amdhsa_user_sgpr_private_segment_buffer 1
		.amdhsa_user_sgpr_dispatch_ptr 0
		.amdhsa_user_sgpr_queue_ptr 0
		.amdhsa_user_sgpr_kernarg_segment_ptr 1
		.amdhsa_user_sgpr_dispatch_id 0
		.amdhsa_user_sgpr_flat_scratch_init 0
		.amdhsa_user_sgpr_private_segment_size 0
		.amdhsa_wavefront_size32 1
		.amdhsa_uses_dynamic_stack 0
		.amdhsa_system_sgpr_private_segment_wavefront_offset 1
		.amdhsa_system_sgpr_workgroup_id_x 1
		.amdhsa_system_sgpr_workgroup_id_y 0
		.amdhsa_system_sgpr_workgroup_id_z 0
		.amdhsa_system_sgpr_workgroup_info 0
		.amdhsa_system_vgpr_workitem_id 0
		.amdhsa_next_free_vgpr 80
		.amdhsa_next_free_sgpr 48
		.amdhsa_reserve_vcc 1
		.amdhsa_reserve_flat_scratch 0
		.amdhsa_float_round_mode_32 0
		.amdhsa_float_round_mode_16_64 0
		.amdhsa_float_denorm_mode_32 3
		.amdhsa_float_denorm_mode_16_64 3
		.amdhsa_dx10_clamp 1
		.amdhsa_ieee_mode 1
		.amdhsa_fp16_overflow 0
		.amdhsa_workgroup_processor_mode 1
		.amdhsa_memory_ordered 1
		.amdhsa_forward_progress 1
		.amdhsa_shared_vgpr_count 0
		.amdhsa_exception_fp_ieee_invalid_op 0
		.amdhsa_exception_fp_denorm_src 0
		.amdhsa_exception_fp_ieee_div_zero 0
		.amdhsa_exception_fp_ieee_overflow 0
		.amdhsa_exception_fp_ieee_underflow 0
		.amdhsa_exception_fp_ieee_inexact 0
		.amdhsa_exception_int_div_zero 0
	.end_amdhsa_kernel
	.section	.text._ZN9rocsolver6v33100L18trti2_kernel_smallILi29E19rocblas_complex_numIdEPKPS3_EEv13rocblas_fill_17rocblas_diagonal_T1_iil,"axG",@progbits,_ZN9rocsolver6v33100L18trti2_kernel_smallILi29E19rocblas_complex_numIdEPKPS3_EEv13rocblas_fill_17rocblas_diagonal_T1_iil,comdat
.Lfunc_end92:
	.size	_ZN9rocsolver6v33100L18trti2_kernel_smallILi29E19rocblas_complex_numIdEPKPS3_EEv13rocblas_fill_17rocblas_diagonal_T1_iil, .Lfunc_end92-_ZN9rocsolver6v33100L18trti2_kernel_smallILi29E19rocblas_complex_numIdEPKPS3_EEv13rocblas_fill_17rocblas_diagonal_T1_iil
                                        ; -- End function
	.set _ZN9rocsolver6v33100L18trti2_kernel_smallILi29E19rocblas_complex_numIdEPKPS3_EEv13rocblas_fill_17rocblas_diagonal_T1_iil.num_vgpr, 80
	.set _ZN9rocsolver6v33100L18trti2_kernel_smallILi29E19rocblas_complex_numIdEPKPS3_EEv13rocblas_fill_17rocblas_diagonal_T1_iil.num_agpr, 0
	.set _ZN9rocsolver6v33100L18trti2_kernel_smallILi29E19rocblas_complex_numIdEPKPS3_EEv13rocblas_fill_17rocblas_diagonal_T1_iil.numbered_sgpr, 48
	.set _ZN9rocsolver6v33100L18trti2_kernel_smallILi29E19rocblas_complex_numIdEPKPS3_EEv13rocblas_fill_17rocblas_diagonal_T1_iil.num_named_barrier, 0
	.set _ZN9rocsolver6v33100L18trti2_kernel_smallILi29E19rocblas_complex_numIdEPKPS3_EEv13rocblas_fill_17rocblas_diagonal_T1_iil.private_seg_size, 480
	.set _ZN9rocsolver6v33100L18trti2_kernel_smallILi29E19rocblas_complex_numIdEPKPS3_EEv13rocblas_fill_17rocblas_diagonal_T1_iil.uses_vcc, 1
	.set _ZN9rocsolver6v33100L18trti2_kernel_smallILi29E19rocblas_complex_numIdEPKPS3_EEv13rocblas_fill_17rocblas_diagonal_T1_iil.uses_flat_scratch, 0
	.set _ZN9rocsolver6v33100L18trti2_kernel_smallILi29E19rocblas_complex_numIdEPKPS3_EEv13rocblas_fill_17rocblas_diagonal_T1_iil.has_dyn_sized_stack, 0
	.set _ZN9rocsolver6v33100L18trti2_kernel_smallILi29E19rocblas_complex_numIdEPKPS3_EEv13rocblas_fill_17rocblas_diagonal_T1_iil.has_recursion, 0
	.set _ZN9rocsolver6v33100L18trti2_kernel_smallILi29E19rocblas_complex_numIdEPKPS3_EEv13rocblas_fill_17rocblas_diagonal_T1_iil.has_indirect_call, 0
	.section	.AMDGPU.csdata,"",@progbits
; Kernel info:
; codeLenInByte = 29272
; TotalNumSgprs: 50
; NumVgprs: 80
; ScratchSize: 480
; MemoryBound: 0
; FloatMode: 240
; IeeeMode: 1
; LDSByteSize: 928 bytes/workgroup (compile time only)
; SGPRBlocks: 0
; VGPRBlocks: 9
; NumSGPRsForWavesPerEU: 50
; NumVGPRsForWavesPerEU: 80
; Occupancy: 12
; WaveLimiterHint : 1
; COMPUTE_PGM_RSRC2:SCRATCH_EN: 1
; COMPUTE_PGM_RSRC2:USER_SGPR: 6
; COMPUTE_PGM_RSRC2:TRAP_HANDLER: 0
; COMPUTE_PGM_RSRC2:TGID_X_EN: 1
; COMPUTE_PGM_RSRC2:TGID_Y_EN: 0
; COMPUTE_PGM_RSRC2:TGID_Z_EN: 0
; COMPUTE_PGM_RSRC2:TIDIG_COMP_CNT: 0
	.section	.text._ZN9rocsolver6v33100L18trti2_kernel_smallILi30E19rocblas_complex_numIdEPKPS3_EEv13rocblas_fill_17rocblas_diagonal_T1_iil,"axG",@progbits,_ZN9rocsolver6v33100L18trti2_kernel_smallILi30E19rocblas_complex_numIdEPKPS3_EEv13rocblas_fill_17rocblas_diagonal_T1_iil,comdat
	.globl	_ZN9rocsolver6v33100L18trti2_kernel_smallILi30E19rocblas_complex_numIdEPKPS3_EEv13rocblas_fill_17rocblas_diagonal_T1_iil ; -- Begin function _ZN9rocsolver6v33100L18trti2_kernel_smallILi30E19rocblas_complex_numIdEPKPS3_EEv13rocblas_fill_17rocblas_diagonal_T1_iil
	.p2align	8
	.type	_ZN9rocsolver6v33100L18trti2_kernel_smallILi30E19rocblas_complex_numIdEPKPS3_EEv13rocblas_fill_17rocblas_diagonal_T1_iil,@function
_ZN9rocsolver6v33100L18trti2_kernel_smallILi30E19rocblas_complex_numIdEPKPS3_EEv13rocblas_fill_17rocblas_diagonal_T1_iil: ; @_ZN9rocsolver6v33100L18trti2_kernel_smallILi30E19rocblas_complex_numIdEPKPS3_EEv13rocblas_fill_17rocblas_diagonal_T1_iil
; %bb.0:
	s_add_u32 s0, s0, s7
	s_addc_u32 s1, s1, 0
	s_mov_b32 s7, exec_lo
	v_cmpx_gt_u32_e32 30, v0
	s_cbranch_execz .LBB93_467
; %bb.1:
	s_clause 0x1
	s_load_dwordx2 s[12:13], s[4:5], 0x10
	s_load_dwordx4 s[8:11], s[4:5], 0x0
	s_ashr_i32 s7, s6, 31
	v_lshlrev_b32_e32 v71, 4, v0
	s_lshl_b64 s[4:5], s[6:7], 3
	s_movk_i32 s14, 0xd0
	s_movk_i32 s15, 0xe0
	;; [unrolled: 1-line block ×15, first 2 shown]
	s_waitcnt lgkmcnt(0)
	s_ashr_i32 s7, s12, 31
	s_add_u32 s4, s10, s4
	s_addc_u32 s5, s11, s5
	s_mov_b32 s6, s12
	s_load_dwordx2 s[4:5], s[4:5], 0x0
	s_lshl_b64 s[6:7], s[6:7], 4
	v_add3_u32 v7, s13, s13, v0
	s_movk_i32 s10, 0x90
	s_movk_i32 s11, 0xa0
	;; [unrolled: 1-line block ×4, first 2 shown]
	v_ashrrev_i32_e32 v8, 31, v7
	s_movk_i32 s49, 0x1d0
	v_lshlrev_b64 v[8:9], 4, v[7:8]
	v_add_nc_u32_e32 v7, s13, v7
	s_waitcnt lgkmcnt(0)
	s_add_u32 s6, s4, s6
	s_addc_u32 s7, s5, s7
	v_add_co_u32 v5, s4, s6, v71
	v_add_co_ci_u32_e64 v6, null, s7, 0, s4
	s_mov_b32 s4, s13
	s_ashr_i32 s5, s13, 31
	s_lshl_b64 s[4:5], s[4:5], 4
	flat_load_dwordx4 v[1:4], v[5:6]
	v_add_co_u32 v59, vcc_lo, v5, s4
	v_add_co_ci_u32_e64 v60, null, s5, v6, vcc_lo
	v_add_co_u32 v57, vcc_lo, s6, v8
	v_add_co_ci_u32_e64 v58, null, s7, v9, vcc_lo
	v_ashrrev_i32_e32 v8, 31, v7
	s_cmpk_lg_i32 s9, 0x84
	s_movk_i32 s4, 0x50
	s_movk_i32 s5, 0x60
	s_cselect_b32 s38, -1, 0
	v_lshlrev_b64 v[8:9], 4, v[7:8]
	v_add_nc_u32_e32 v7, s13, v7
	s_cmpk_eq_i32 s9, 0x84
	s_waitcnt vmcnt(0) lgkmcnt(0)
	buffer_store_dword v4, off, s[0:3], 0 offset:12
	buffer_store_dword v3, off, s[0:3], 0 offset:8
	;; [unrolled: 1-line block ×3, first 2 shown]
	buffer_store_dword v1, off, s[0:3], 0
	flat_load_dwordx4 v[1:4], v[59:60]
	v_add_co_u32 v55, vcc_lo, s6, v8
	v_add_co_ci_u32_e64 v56, null, s7, v9, vcc_lo
	v_ashrrev_i32_e32 v8, 31, v7
	s_waitcnt vmcnt(0) lgkmcnt(0)
	buffer_store_dword v4, off, s[0:3], 0 offset:28
	buffer_store_dword v3, off, s[0:3], 0 offset:24
	;; [unrolled: 1-line block ×4, first 2 shown]
	flat_load_dwordx4 v[1:4], v[57:58]
	v_lshlrev_b64 v[8:9], 4, v[7:8]
	v_add_nc_u32_e32 v7, s13, v7
	s_waitcnt vmcnt(0) lgkmcnt(0)
	buffer_store_dword v4, off, s[0:3], 0 offset:44
	buffer_store_dword v3, off, s[0:3], 0 offset:40
	;; [unrolled: 1-line block ×4, first 2 shown]
	flat_load_dwordx4 v[1:4], v[55:56]
	v_add_co_u32 v53, vcc_lo, s6, v8
	v_add_co_ci_u32_e64 v54, null, s7, v9, vcc_lo
	v_ashrrev_i32_e32 v8, 31, v7
	s_waitcnt vmcnt(0) lgkmcnt(0)
	buffer_store_dword v4, off, s[0:3], 0 offset:60
	buffer_store_dword v3, off, s[0:3], 0 offset:56
	;; [unrolled: 1-line block ×4, first 2 shown]
	flat_load_dwordx4 v[1:4], v[53:54]
	v_lshlrev_b64 v[8:9], 4, v[7:8]
	v_add_nc_u32_e32 v7, s13, v7
	s_waitcnt vmcnt(0) lgkmcnt(0)
	buffer_store_dword v4, off, s[0:3], 0 offset:76
	buffer_store_dword v3, off, s[0:3], 0 offset:72
	;; [unrolled: 1-line block ×4, first 2 shown]
	v_add_co_u32 v49, vcc_lo, s6, v8
	v_add_co_ci_u32_e64 v50, null, s7, v9, vcc_lo
	v_ashrrev_i32_e32 v8, 31, v7
	flat_load_dwordx4 v[1:4], v[49:50]
	s_waitcnt vmcnt(0) lgkmcnt(0)
	buffer_store_dword v4, off, s[0:3], 0 offset:92
	buffer_store_dword v3, off, s[0:3], 0 offset:88
	buffer_store_dword v2, off, s[0:3], 0 offset:84
	buffer_store_dword v1, off, s[0:3], 0 offset:80
	v_lshlrev_b64 v[8:9], 4, v[7:8]
	v_add_nc_u32_e32 v7, s13, v7
	v_add_co_u32 v47, vcc_lo, s6, v8
	v_add_co_ci_u32_e64 v48, null, s7, v9, vcc_lo
	v_ashrrev_i32_e32 v8, 31, v7
	flat_load_dwordx4 v[1:4], v[47:48]
	s_waitcnt vmcnt(0) lgkmcnt(0)
	buffer_store_dword v4, off, s[0:3], 0 offset:108
	buffer_store_dword v3, off, s[0:3], 0 offset:104
	buffer_store_dword v2, off, s[0:3], 0 offset:100
	buffer_store_dword v1, off, s[0:3], 0 offset:96
	v_lshlrev_b64 v[8:9], 4, v[7:8]
	v_add_nc_u32_e32 v7, s13, v7
	;; [unrolled: 11-line block ×18, first 2 shown]
	v_add_co_u32 v11, vcc_lo, s6, v8
	v_add_co_ci_u32_e64 v12, null, s7, v9, vcc_lo
	v_ashrrev_i32_e32 v8, 31, v7
	v_add_nc_u32_e32 v33, s13, v7
	flat_load_dwordx4 v[1:4], v[11:12]
	s_waitcnt vmcnt(0) lgkmcnt(0)
	buffer_store_dword v4, off, s[0:3], 0 offset:380
	buffer_store_dword v3, off, s[0:3], 0 offset:376
	;; [unrolled: 1-line block ×4, first 2 shown]
	v_lshlrev_b64 v[9:10], 4, v[7:8]
	v_ashrrev_i32_e32 v34, 31, v33
	v_add_nc_u32_e32 v51, s13, v33
	v_add_co_u32 v9, vcc_lo, s6, v9
	v_add_co_ci_u32_e64 v10, null, s7, v10, vcc_lo
	v_lshlrev_b64 v[7:8], 4, v[33:34]
	v_ashrrev_i32_e32 v52, 31, v51
	v_add_nc_u32_e32 v61, s13, v51
	flat_load_dwordx4 v[1:4], v[9:10]
	s_waitcnt vmcnt(0) lgkmcnt(0)
	buffer_store_dword v4, off, s[0:3], 0 offset:396
	buffer_store_dword v3, off, s[0:3], 0 offset:392
	;; [unrolled: 1-line block ×4, first 2 shown]
	v_add_co_u32 v7, vcc_lo, s6, v7
	v_add_co_ci_u32_e64 v8, null, s7, v8, vcc_lo
	v_lshlrev_b64 v[33:34], 4, v[51:52]
	v_ashrrev_i32_e32 v62, 31, v61
	v_add_nc_u32_e32 v63, s13, v61
	flat_load_dwordx4 v[1:4], v[7:8]
	s_waitcnt vmcnt(0) lgkmcnt(0)
	buffer_store_dword v4, off, s[0:3], 0 offset:412
	buffer_store_dword v3, off, s[0:3], 0 offset:408
	;; [unrolled: 1-line block ×4, first 2 shown]
	v_add_co_u32 v33, vcc_lo, s6, v33
	v_add_co_ci_u32_e64 v34, null, s7, v34, vcc_lo
	v_lshlrev_b64 v[51:52], 4, v[61:62]
	v_ashrrev_i32_e32 v64, 31, v63
	flat_load_dwordx4 v[1:4], v[33:34]
	s_waitcnt vmcnt(0) lgkmcnt(0)
	buffer_store_dword v4, off, s[0:3], 0 offset:428
	buffer_store_dword v3, off, s[0:3], 0 offset:424
	;; [unrolled: 1-line block ×4, first 2 shown]
	v_add_co_u32 v51, vcc_lo, s6, v51
	v_add_co_ci_u32_e64 v52, null, s7, v52, vcc_lo
	v_lshlrev_b64 v[61:62], 4, v[63:64]
	v_add_nc_u32_e32 v63, s13, v63
	s_movk_i32 s13, 0xc0
	flat_load_dwordx4 v[1:4], v[51:52]
	s_waitcnt vmcnt(0) lgkmcnt(0)
	buffer_store_dword v4, off, s[0:3], 0 offset:444
	buffer_store_dword v3, off, s[0:3], 0 offset:440
	;; [unrolled: 1-line block ×4, first 2 shown]
	v_add_co_u32 v61, vcc_lo, s6, v61
	v_add_co_ci_u32_e64 v62, null, s7, v62, vcc_lo
	v_ashrrev_i32_e32 v64, 31, v63
	flat_load_dwordx4 v[1:4], v[61:62]
	s_waitcnt vmcnt(0) lgkmcnt(0)
	buffer_store_dword v4, off, s[0:3], 0 offset:460
	buffer_store_dword v3, off, s[0:3], 0 offset:456
	;; [unrolled: 1-line block ×4, first 2 shown]
	v_lshlrev_b64 v[63:64], 4, v[63:64]
	v_add_co_u32 v63, vcc_lo, s6, v63
	v_add_co_ci_u32_e64 v64, null, s7, v64, vcc_lo
	s_movk_i32 s6, 0x70
	s_movk_i32 s7, 0x80
	flat_load_dwordx4 v[1:4], v[63:64]
	s_waitcnt vmcnt(0) lgkmcnt(0)
	buffer_store_dword v4, off, s[0:3], 0 offset:476
	buffer_store_dword v3, off, s[0:3], 0 offset:472
	buffer_store_dword v2, off, s[0:3], 0 offset:468
	buffer_store_dword v1, off, s[0:3], 0 offset:464
	s_cbranch_scc1 .LBB93_7
; %bb.2:
	v_lshl_add_u32 v72, v0, 4, 0
                                        ; implicit-def: $vgpr67_vgpr68
                                        ; implicit-def: $vgpr3_vgpr4
	s_clause 0x3
	buffer_load_dword v65, v72, s[0:3], 0 offen
	buffer_load_dword v66, v72, s[0:3], 0 offen offset:4
	buffer_load_dword v69, v72, s[0:3], 0 offen offset:8
	;; [unrolled: 1-line block ×3, first 2 shown]
	s_waitcnt vmcnt(0)
	v_cmp_ngt_f64_e64 s9, |v[65:66]|, |v[69:70]|
	s_and_saveexec_b32 s20, s9
	s_xor_b32 s9, exec_lo, s20
	s_cbranch_execz .LBB93_4
; %bb.3:
	v_div_scale_f64 v[1:2], null, v[69:70], v[69:70], v[65:66]
	v_div_scale_f64 v[73:74], vcc_lo, v[65:66], v[69:70], v[65:66]
	v_rcp_f64_e32 v[3:4], v[1:2]
	v_fma_f64 v[67:68], -v[1:2], v[3:4], 1.0
	v_fma_f64 v[3:4], v[3:4], v[67:68], v[3:4]
	v_fma_f64 v[67:68], -v[1:2], v[3:4], 1.0
	v_fma_f64 v[3:4], v[3:4], v[67:68], v[3:4]
	v_mul_f64 v[67:68], v[73:74], v[3:4]
	v_fma_f64 v[1:2], -v[1:2], v[67:68], v[73:74]
	v_div_fmas_f64 v[1:2], v[1:2], v[3:4], v[67:68]
	v_div_fixup_f64 v[1:2], v[1:2], v[69:70], v[65:66]
	v_fma_f64 v[3:4], v[65:66], v[1:2], v[69:70]
	v_div_scale_f64 v[65:66], null, v[3:4], v[3:4], 1.0
	v_div_scale_f64 v[73:74], vcc_lo, 1.0, v[3:4], 1.0
	v_rcp_f64_e32 v[67:68], v[65:66]
	v_fma_f64 v[69:70], -v[65:66], v[67:68], 1.0
	v_fma_f64 v[67:68], v[67:68], v[69:70], v[67:68]
	v_fma_f64 v[69:70], -v[65:66], v[67:68], 1.0
	v_fma_f64 v[67:68], v[67:68], v[69:70], v[67:68]
	v_mul_f64 v[69:70], v[73:74], v[67:68]
	v_fma_f64 v[65:66], -v[65:66], v[69:70], v[73:74]
	v_div_fmas_f64 v[65:66], v[65:66], v[67:68], v[69:70]
                                        ; implicit-def: $vgpr69_vgpr70
	v_div_fixup_f64 v[3:4], v[65:66], v[3:4], 1.0
                                        ; implicit-def: $vgpr65_vgpr66
	v_mul_f64 v[67:68], v[1:2], v[3:4]
	v_xor_b32_e32 v4, 0x80000000, v4
	v_xor_b32_e32 v2, 0x80000000, v68
	v_mov_b32_e32 v1, v67
.LBB93_4:
	s_andn2_saveexec_b32 s9, s9
	s_cbranch_execz .LBB93_6
; %bb.5:
	v_div_scale_f64 v[1:2], null, v[65:66], v[65:66], v[69:70]
	v_div_scale_f64 v[73:74], vcc_lo, v[69:70], v[65:66], v[69:70]
	v_rcp_f64_e32 v[3:4], v[1:2]
	v_fma_f64 v[67:68], -v[1:2], v[3:4], 1.0
	v_fma_f64 v[3:4], v[3:4], v[67:68], v[3:4]
	v_fma_f64 v[67:68], -v[1:2], v[3:4], 1.0
	v_fma_f64 v[3:4], v[3:4], v[67:68], v[3:4]
	v_mul_f64 v[67:68], v[73:74], v[3:4]
	v_fma_f64 v[1:2], -v[1:2], v[67:68], v[73:74]
	v_div_fmas_f64 v[1:2], v[1:2], v[3:4], v[67:68]
	v_div_fixup_f64 v[1:2], v[1:2], v[65:66], v[69:70]
	v_fma_f64 v[3:4], v[69:70], v[1:2], v[65:66]
	v_div_scale_f64 v[65:66], null, v[3:4], v[3:4], 1.0
	v_rcp_f64_e32 v[67:68], v[65:66]
	v_fma_f64 v[69:70], -v[65:66], v[67:68], 1.0
	v_fma_f64 v[67:68], v[67:68], v[69:70], v[67:68]
	v_fma_f64 v[69:70], -v[65:66], v[67:68], 1.0
	v_fma_f64 v[67:68], v[67:68], v[69:70], v[67:68]
	v_div_scale_f64 v[69:70], vcc_lo, 1.0, v[3:4], 1.0
	v_mul_f64 v[73:74], v[69:70], v[67:68]
	v_fma_f64 v[65:66], -v[65:66], v[73:74], v[69:70]
	v_div_fmas_f64 v[65:66], v[65:66], v[67:68], v[73:74]
	v_div_fixup_f64 v[67:68], v[65:66], v[3:4], 1.0
	v_mul_f64 v[3:4], v[1:2], -v[67:68]
	v_xor_b32_e32 v2, 0x80000000, v68
	v_mov_b32_e32 v1, v67
.LBB93_6:
	s_or_b32 exec_lo, exec_lo, s9
	buffer_store_dword v4, v72, s[0:3], 0 offen offset:12
	v_xor_b32_e32 v4, 0x80000000, v4
	buffer_store_dword v68, v72, s[0:3], 0 offen offset:4
	buffer_store_dword v67, v72, s[0:3], 0 offen
	buffer_store_dword v3, v72, s[0:3], 0 offen offset:8
	s_branch .LBB93_8
.LBB93_7:
	v_mov_b32_e32 v1, 0
	v_mov_b32_e32 v3, 0
	;; [unrolled: 1-line block ×4, first 2 shown]
.LBB93_8:
	v_add_nc_u32_e32 v66, 0x1e0, v71
	v_mov_b32_e32 v65, v71
	s_mov_b32 s37, 16
	s_mov_b32 s36, 32
	;; [unrolled: 1-line block ×28, first 2 shown]
	s_cmpk_eq_i32 s8, 0x79
	ds_write_b128 v71, v[1:4]
	s_cbranch_scc1 .LBB93_236
; %bb.9:
	v_mov_b32_e32 v4, s9
	v_cmp_eq_u32_e64 s4, 29, v0
	s_clause 0x3
	buffer_load_dword v1, v4, s[0:3], 0 offen
	buffer_load_dword v2, v4, s[0:3], 0 offen offset:4
	buffer_load_dword v3, v4, s[0:3], 0 offen offset:8
	;; [unrolled: 1-line block ×3, first 2 shown]
	s_waitcnt vmcnt(0)
	ds_write_b128 v66, v[1:4]
	s_waitcnt lgkmcnt(0)
	s_waitcnt_vscnt null, 0x0
	s_barrier
	buffer_gl0_inv
	s_and_saveexec_b32 s5, s4
	s_cbranch_execz .LBB93_13
; %bb.10:
	ds_read_b128 v[1:4], v66
	s_andn2_b32 vcc_lo, exec_lo, s38
	s_cbranch_vccnz .LBB93_12
; %bb.11:
	s_clause 0x3
	buffer_load_dword v67, v65, s[0:3], 0 offen offset:8
	buffer_load_dword v68, v65, s[0:3], 0 offen offset:12
	buffer_load_dword v69, v65, s[0:3], 0 offen
	buffer_load_dword v70, v65, s[0:3], 0 offen offset:4
	s_waitcnt vmcnt(2) lgkmcnt(0)
	v_mul_f64 v[72:73], v[3:4], v[67:68]
	v_mul_f64 v[67:68], v[1:2], v[67:68]
	s_waitcnt vmcnt(0)
	v_fma_f64 v[1:2], v[1:2], v[69:70], -v[72:73]
	v_fma_f64 v[3:4], v[3:4], v[69:70], v[67:68]
.LBB93_12:
	v_mov_b32_e32 v67, 0
	ds_read_b128 v[67:70], v67 offset:448
	s_waitcnt lgkmcnt(0)
	v_mul_f64 v[72:73], v[3:4], v[69:70]
	v_mul_f64 v[69:70], v[1:2], v[69:70]
	v_fma_f64 v[1:2], v[1:2], v[67:68], -v[72:73]
	v_fma_f64 v[3:4], v[3:4], v[67:68], v[69:70]
	buffer_store_dword v2, off, s[0:3], 0 offset:452
	buffer_store_dword v1, off, s[0:3], 0 offset:448
	;; [unrolled: 1-line block ×4, first 2 shown]
.LBB93_13:
	s_or_b32 exec_lo, exec_lo, s5
	v_mov_b32_e32 v4, s10
	v_cmp_lt_u32_e64 s5, 27, v0
	s_clause 0x3
	buffer_load_dword v1, v4, s[0:3], 0 offen
	buffer_load_dword v2, v4, s[0:3], 0 offen offset:4
	buffer_load_dword v3, v4, s[0:3], 0 offen offset:8
	;; [unrolled: 1-line block ×3, first 2 shown]
	s_waitcnt vmcnt(0)
	ds_write_b128 v66, v[1:4]
	s_waitcnt lgkmcnt(0)
	s_waitcnt_vscnt null, 0x0
	s_barrier
	buffer_gl0_inv
	s_and_saveexec_b32 s6, s5
	s_cbranch_execz .LBB93_19
; %bb.14:
	ds_read_b128 v[1:4], v66
	s_andn2_b32 vcc_lo, exec_lo, s38
	s_cbranch_vccnz .LBB93_16
; %bb.15:
	s_clause 0x3
	buffer_load_dword v67, v65, s[0:3], 0 offen offset:8
	buffer_load_dword v68, v65, s[0:3], 0 offen offset:12
	buffer_load_dword v69, v65, s[0:3], 0 offen
	buffer_load_dword v70, v65, s[0:3], 0 offen offset:4
	s_waitcnt vmcnt(2) lgkmcnt(0)
	v_mul_f64 v[72:73], v[3:4], v[67:68]
	v_mul_f64 v[67:68], v[1:2], v[67:68]
	s_waitcnt vmcnt(0)
	v_fma_f64 v[1:2], v[1:2], v[69:70], -v[72:73]
	v_fma_f64 v[3:4], v[3:4], v[69:70], v[67:68]
.LBB93_16:
	s_and_saveexec_b32 s8, s4
	s_cbranch_execz .LBB93_18
; %bb.17:
	s_clause 0x3
	buffer_load_dword v72, off, s[0:3], 0 offset:456
	buffer_load_dword v73, off, s[0:3], 0 offset:460
	;; [unrolled: 1-line block ×4, first 2 shown]
	v_mov_b32_e32 v67, 0
	ds_read_b128 v[67:70], v67 offset:928
	s_waitcnt vmcnt(2) lgkmcnt(0)
	v_mul_f64 v[76:77], v[67:68], v[72:73]
	v_mul_f64 v[72:73], v[69:70], v[72:73]
	s_waitcnt vmcnt(0)
	v_fma_f64 v[69:70], v[69:70], v[74:75], v[76:77]
	v_fma_f64 v[67:68], v[67:68], v[74:75], -v[72:73]
	v_add_f64 v[3:4], v[3:4], v[69:70]
	v_add_f64 v[1:2], v[1:2], v[67:68]
.LBB93_18:
	s_or_b32 exec_lo, exec_lo, s8
	v_mov_b32_e32 v67, 0
	ds_read_b128 v[67:70], v67 offset:432
	s_waitcnt lgkmcnt(0)
	v_mul_f64 v[72:73], v[3:4], v[69:70]
	v_mul_f64 v[69:70], v[1:2], v[69:70]
	v_fma_f64 v[1:2], v[1:2], v[67:68], -v[72:73]
	v_fma_f64 v[3:4], v[3:4], v[67:68], v[69:70]
	buffer_store_dword v2, off, s[0:3], 0 offset:436
	buffer_store_dword v1, off, s[0:3], 0 offset:432
	;; [unrolled: 1-line block ×4, first 2 shown]
.LBB93_19:
	s_or_b32 exec_lo, exec_lo, s6
	v_mov_b32_e32 v4, s11
	v_cmp_lt_u32_e64 s4, 26, v0
	s_clause 0x3
	buffer_load_dword v1, v4, s[0:3], 0 offen
	buffer_load_dword v2, v4, s[0:3], 0 offen offset:4
	buffer_load_dword v3, v4, s[0:3], 0 offen offset:8
	;; [unrolled: 1-line block ×3, first 2 shown]
	s_waitcnt vmcnt(0)
	ds_write_b128 v66, v[1:4]
	s_waitcnt lgkmcnt(0)
	s_waitcnt_vscnt null, 0x0
	s_barrier
	buffer_gl0_inv
	s_and_saveexec_b32 s6, s4
	s_cbranch_execz .LBB93_27
; %bb.20:
	ds_read_b128 v[1:4], v66
	s_andn2_b32 vcc_lo, exec_lo, s38
	s_cbranch_vccnz .LBB93_22
; %bb.21:
	s_clause 0x3
	buffer_load_dword v67, v65, s[0:3], 0 offen offset:8
	buffer_load_dword v68, v65, s[0:3], 0 offen offset:12
	buffer_load_dword v69, v65, s[0:3], 0 offen
	buffer_load_dword v70, v65, s[0:3], 0 offen offset:4
	s_waitcnt vmcnt(2) lgkmcnt(0)
	v_mul_f64 v[72:73], v[3:4], v[67:68]
	v_mul_f64 v[67:68], v[1:2], v[67:68]
	s_waitcnt vmcnt(0)
	v_fma_f64 v[1:2], v[1:2], v[69:70], -v[72:73]
	v_fma_f64 v[3:4], v[3:4], v[69:70], v[67:68]
.LBB93_22:
	s_and_saveexec_b32 s8, s5
	s_cbranch_execz .LBB93_26
; %bb.23:
	v_subrev_nc_u32_e32 v67, 27, v0
	s_movk_i32 s39, 0x390
	s_mov_b32 s5, 0
	s_mov_b32 s40, s10
	.p2align	6
.LBB93_24:                              ; =>This Inner Loop Header: Depth=1
	v_mov_b32_e32 v70, s40
	v_add_nc_u32_e32 v67, -1, v67
	s_add_i32 s40, s40, 16
	s_clause 0x3
	buffer_load_dword v68, v70, s[0:3], 0 offen offset:8
	buffer_load_dword v69, v70, s[0:3], 0 offen offset:12
	buffer_load_dword v76, v70, s[0:3], 0 offen
	buffer_load_dword v77, v70, s[0:3], 0 offen offset:4
	v_mov_b32_e32 v70, s39
	v_cmp_eq_u32_e32 vcc_lo, 0, v67
	s_add_i32 s39, s39, 16
	ds_read_b128 v[72:75], v70
	s_or_b32 s5, vcc_lo, s5
	s_waitcnt vmcnt(2) lgkmcnt(0)
	v_mul_f64 v[78:79], v[74:75], v[68:69]
	v_mul_f64 v[68:69], v[72:73], v[68:69]
	s_waitcnt vmcnt(0)
	v_fma_f64 v[72:73], v[72:73], v[76:77], -v[78:79]
	v_fma_f64 v[68:69], v[74:75], v[76:77], v[68:69]
	v_add_f64 v[1:2], v[1:2], v[72:73]
	v_add_f64 v[3:4], v[3:4], v[68:69]
	s_andn2_b32 exec_lo, exec_lo, s5
	s_cbranch_execnz .LBB93_24
; %bb.25:
	s_or_b32 exec_lo, exec_lo, s5
.LBB93_26:
	s_or_b32 exec_lo, exec_lo, s8
	v_mov_b32_e32 v67, 0
	ds_read_b128 v[67:70], v67 offset:416
	s_waitcnt lgkmcnt(0)
	v_mul_f64 v[72:73], v[3:4], v[69:70]
	v_mul_f64 v[69:70], v[1:2], v[69:70]
	v_fma_f64 v[1:2], v[1:2], v[67:68], -v[72:73]
	v_fma_f64 v[3:4], v[3:4], v[67:68], v[69:70]
	buffer_store_dword v2, off, s[0:3], 0 offset:420
	buffer_store_dword v1, off, s[0:3], 0 offset:416
	;; [unrolled: 1-line block ×4, first 2 shown]
.LBB93_27:
	s_or_b32 exec_lo, exec_lo, s6
	v_mov_b32_e32 v4, s12
	v_cmp_lt_u32_e64 s5, 25, v0
	s_clause 0x3
	buffer_load_dword v1, v4, s[0:3], 0 offen
	buffer_load_dword v2, v4, s[0:3], 0 offen offset:4
	buffer_load_dword v3, v4, s[0:3], 0 offen offset:8
	;; [unrolled: 1-line block ×3, first 2 shown]
	s_waitcnt vmcnt(0)
	ds_write_b128 v66, v[1:4]
	s_waitcnt lgkmcnt(0)
	s_waitcnt_vscnt null, 0x0
	s_barrier
	buffer_gl0_inv
	s_and_saveexec_b32 s6, s5
	s_cbranch_execz .LBB93_35
; %bb.28:
	ds_read_b128 v[1:4], v66
	s_andn2_b32 vcc_lo, exec_lo, s38
	s_cbranch_vccnz .LBB93_30
; %bb.29:
	s_clause 0x3
	buffer_load_dword v67, v65, s[0:3], 0 offen offset:8
	buffer_load_dword v68, v65, s[0:3], 0 offen offset:12
	buffer_load_dword v69, v65, s[0:3], 0 offen
	buffer_load_dword v70, v65, s[0:3], 0 offen offset:4
	s_waitcnt vmcnt(2) lgkmcnt(0)
	v_mul_f64 v[72:73], v[3:4], v[67:68]
	v_mul_f64 v[67:68], v[1:2], v[67:68]
	s_waitcnt vmcnt(0)
	v_fma_f64 v[1:2], v[1:2], v[69:70], -v[72:73]
	v_fma_f64 v[3:4], v[3:4], v[69:70], v[67:68]
.LBB93_30:
	s_and_saveexec_b32 s8, s4
	s_cbranch_execz .LBB93_34
; %bb.31:
	v_subrev_nc_u32_e32 v67, 26, v0
	s_movk_i32 s39, 0x380
	s_mov_b32 s4, 0
	s_mov_b32 s40, s11
	.p2align	6
.LBB93_32:                              ; =>This Inner Loop Header: Depth=1
	v_mov_b32_e32 v70, s40
	v_add_nc_u32_e32 v67, -1, v67
	s_add_i32 s40, s40, 16
	s_clause 0x3
	buffer_load_dword v68, v70, s[0:3], 0 offen offset:8
	buffer_load_dword v69, v70, s[0:3], 0 offen offset:12
	buffer_load_dword v76, v70, s[0:3], 0 offen
	buffer_load_dword v77, v70, s[0:3], 0 offen offset:4
	v_mov_b32_e32 v70, s39
	v_cmp_eq_u32_e32 vcc_lo, 0, v67
	s_add_i32 s39, s39, 16
	ds_read_b128 v[72:75], v70
	s_or_b32 s4, vcc_lo, s4
	s_waitcnt vmcnt(2) lgkmcnt(0)
	v_mul_f64 v[78:79], v[74:75], v[68:69]
	v_mul_f64 v[68:69], v[72:73], v[68:69]
	s_waitcnt vmcnt(0)
	v_fma_f64 v[72:73], v[72:73], v[76:77], -v[78:79]
	v_fma_f64 v[68:69], v[74:75], v[76:77], v[68:69]
	v_add_f64 v[1:2], v[1:2], v[72:73]
	v_add_f64 v[3:4], v[3:4], v[68:69]
	s_andn2_b32 exec_lo, exec_lo, s4
	s_cbranch_execnz .LBB93_32
; %bb.33:
	s_or_b32 exec_lo, exec_lo, s4
.LBB93_34:
	s_or_b32 exec_lo, exec_lo, s8
	v_mov_b32_e32 v67, 0
	ds_read_b128 v[67:70], v67 offset:400
	s_waitcnt lgkmcnt(0)
	v_mul_f64 v[72:73], v[3:4], v[69:70]
	v_mul_f64 v[69:70], v[1:2], v[69:70]
	v_fma_f64 v[1:2], v[1:2], v[67:68], -v[72:73]
	v_fma_f64 v[3:4], v[3:4], v[67:68], v[69:70]
	buffer_store_dword v2, off, s[0:3], 0 offset:404
	buffer_store_dword v1, off, s[0:3], 0 offset:400
	;; [unrolled: 1-line block ×4, first 2 shown]
.LBB93_35:
	s_or_b32 exec_lo, exec_lo, s6
	v_mov_b32_e32 v4, s13
	v_cmp_lt_u32_e64 s4, 24, v0
	s_clause 0x3
	buffer_load_dword v1, v4, s[0:3], 0 offen
	buffer_load_dword v2, v4, s[0:3], 0 offen offset:4
	buffer_load_dword v3, v4, s[0:3], 0 offen offset:8
	;; [unrolled: 1-line block ×3, first 2 shown]
	s_waitcnt vmcnt(0)
	ds_write_b128 v66, v[1:4]
	s_waitcnt lgkmcnt(0)
	s_waitcnt_vscnt null, 0x0
	s_barrier
	buffer_gl0_inv
	s_and_saveexec_b32 s6, s4
	s_cbranch_execz .LBB93_43
; %bb.36:
	ds_read_b128 v[1:4], v66
	s_andn2_b32 vcc_lo, exec_lo, s38
	s_cbranch_vccnz .LBB93_38
; %bb.37:
	s_clause 0x3
	buffer_load_dword v67, v65, s[0:3], 0 offen offset:8
	buffer_load_dword v68, v65, s[0:3], 0 offen offset:12
	buffer_load_dword v69, v65, s[0:3], 0 offen
	buffer_load_dword v70, v65, s[0:3], 0 offen offset:4
	s_waitcnt vmcnt(2) lgkmcnt(0)
	v_mul_f64 v[72:73], v[3:4], v[67:68]
	v_mul_f64 v[67:68], v[1:2], v[67:68]
	s_waitcnt vmcnt(0)
	v_fma_f64 v[1:2], v[1:2], v[69:70], -v[72:73]
	v_fma_f64 v[3:4], v[3:4], v[69:70], v[67:68]
.LBB93_38:
	s_and_saveexec_b32 s8, s5
	s_cbranch_execz .LBB93_42
; %bb.39:
	v_subrev_nc_u32_e32 v67, 25, v0
	s_movk_i32 s39, 0x370
	s_mov_b32 s5, 0
	s_mov_b32 s40, s12
	.p2align	6
.LBB93_40:                              ; =>This Inner Loop Header: Depth=1
	v_mov_b32_e32 v70, s40
	v_add_nc_u32_e32 v67, -1, v67
	s_add_i32 s40, s40, 16
	s_clause 0x3
	buffer_load_dword v68, v70, s[0:3], 0 offen offset:8
	buffer_load_dword v69, v70, s[0:3], 0 offen offset:12
	buffer_load_dword v76, v70, s[0:3], 0 offen
	buffer_load_dword v77, v70, s[0:3], 0 offen offset:4
	v_mov_b32_e32 v70, s39
	v_cmp_eq_u32_e32 vcc_lo, 0, v67
	s_add_i32 s39, s39, 16
	ds_read_b128 v[72:75], v70
	s_or_b32 s5, vcc_lo, s5
	s_waitcnt vmcnt(2) lgkmcnt(0)
	v_mul_f64 v[78:79], v[74:75], v[68:69]
	v_mul_f64 v[68:69], v[72:73], v[68:69]
	s_waitcnt vmcnt(0)
	v_fma_f64 v[72:73], v[72:73], v[76:77], -v[78:79]
	v_fma_f64 v[68:69], v[74:75], v[76:77], v[68:69]
	v_add_f64 v[1:2], v[1:2], v[72:73]
	v_add_f64 v[3:4], v[3:4], v[68:69]
	s_andn2_b32 exec_lo, exec_lo, s5
	s_cbranch_execnz .LBB93_40
; %bb.41:
	s_or_b32 exec_lo, exec_lo, s5
.LBB93_42:
	s_or_b32 exec_lo, exec_lo, s8
	v_mov_b32_e32 v67, 0
	ds_read_b128 v[67:70], v67 offset:384
	s_waitcnt lgkmcnt(0)
	v_mul_f64 v[72:73], v[3:4], v[69:70]
	v_mul_f64 v[69:70], v[1:2], v[69:70]
	v_fma_f64 v[1:2], v[1:2], v[67:68], -v[72:73]
	v_fma_f64 v[3:4], v[3:4], v[67:68], v[69:70]
	buffer_store_dword v2, off, s[0:3], 0 offset:388
	buffer_store_dword v1, off, s[0:3], 0 offset:384
	;; [unrolled: 1-line block ×4, first 2 shown]
.LBB93_43:
	s_or_b32 exec_lo, exec_lo, s6
	v_mov_b32_e32 v4, s14
	v_cmp_lt_u32_e64 s5, 23, v0
	s_clause 0x3
	buffer_load_dword v1, v4, s[0:3], 0 offen
	buffer_load_dword v2, v4, s[0:3], 0 offen offset:4
	buffer_load_dword v3, v4, s[0:3], 0 offen offset:8
	;; [unrolled: 1-line block ×3, first 2 shown]
	s_waitcnt vmcnt(0)
	ds_write_b128 v66, v[1:4]
	s_waitcnt lgkmcnt(0)
	s_waitcnt_vscnt null, 0x0
	s_barrier
	buffer_gl0_inv
	s_and_saveexec_b32 s6, s5
	s_cbranch_execz .LBB93_51
; %bb.44:
	ds_read_b128 v[1:4], v66
	s_andn2_b32 vcc_lo, exec_lo, s38
	s_cbranch_vccnz .LBB93_46
; %bb.45:
	s_clause 0x3
	buffer_load_dword v67, v65, s[0:3], 0 offen offset:8
	buffer_load_dword v68, v65, s[0:3], 0 offen offset:12
	buffer_load_dword v69, v65, s[0:3], 0 offen
	buffer_load_dword v70, v65, s[0:3], 0 offen offset:4
	s_waitcnt vmcnt(2) lgkmcnt(0)
	v_mul_f64 v[72:73], v[3:4], v[67:68]
	v_mul_f64 v[67:68], v[1:2], v[67:68]
	s_waitcnt vmcnt(0)
	v_fma_f64 v[1:2], v[1:2], v[69:70], -v[72:73]
	v_fma_f64 v[3:4], v[3:4], v[69:70], v[67:68]
.LBB93_46:
	s_and_saveexec_b32 s8, s4
	s_cbranch_execz .LBB93_50
; %bb.47:
	v_subrev_nc_u32_e32 v67, 24, v0
	s_movk_i32 s39, 0x360
	s_mov_b32 s4, 0
	s_mov_b32 s40, s13
	.p2align	6
.LBB93_48:                              ; =>This Inner Loop Header: Depth=1
	v_mov_b32_e32 v70, s40
	v_add_nc_u32_e32 v67, -1, v67
	s_add_i32 s40, s40, 16
	s_clause 0x3
	buffer_load_dword v68, v70, s[0:3], 0 offen offset:8
	buffer_load_dword v69, v70, s[0:3], 0 offen offset:12
	buffer_load_dword v76, v70, s[0:3], 0 offen
	buffer_load_dword v77, v70, s[0:3], 0 offen offset:4
	v_mov_b32_e32 v70, s39
	v_cmp_eq_u32_e32 vcc_lo, 0, v67
	s_add_i32 s39, s39, 16
	ds_read_b128 v[72:75], v70
	s_or_b32 s4, vcc_lo, s4
	s_waitcnt vmcnt(2) lgkmcnt(0)
	v_mul_f64 v[78:79], v[74:75], v[68:69]
	v_mul_f64 v[68:69], v[72:73], v[68:69]
	s_waitcnt vmcnt(0)
	v_fma_f64 v[72:73], v[72:73], v[76:77], -v[78:79]
	v_fma_f64 v[68:69], v[74:75], v[76:77], v[68:69]
	v_add_f64 v[1:2], v[1:2], v[72:73]
	v_add_f64 v[3:4], v[3:4], v[68:69]
	s_andn2_b32 exec_lo, exec_lo, s4
	s_cbranch_execnz .LBB93_48
; %bb.49:
	s_or_b32 exec_lo, exec_lo, s4
.LBB93_50:
	s_or_b32 exec_lo, exec_lo, s8
	v_mov_b32_e32 v67, 0
	ds_read_b128 v[67:70], v67 offset:368
	s_waitcnt lgkmcnt(0)
	v_mul_f64 v[72:73], v[3:4], v[69:70]
	v_mul_f64 v[69:70], v[1:2], v[69:70]
	v_fma_f64 v[1:2], v[1:2], v[67:68], -v[72:73]
	v_fma_f64 v[3:4], v[3:4], v[67:68], v[69:70]
	buffer_store_dword v2, off, s[0:3], 0 offset:372
	buffer_store_dword v1, off, s[0:3], 0 offset:368
	;; [unrolled: 1-line block ×4, first 2 shown]
.LBB93_51:
	s_or_b32 exec_lo, exec_lo, s6
	v_mov_b32_e32 v4, s15
	v_cmp_lt_u32_e64 s4, 22, v0
	s_clause 0x3
	buffer_load_dword v1, v4, s[0:3], 0 offen
	buffer_load_dword v2, v4, s[0:3], 0 offen offset:4
	buffer_load_dword v3, v4, s[0:3], 0 offen offset:8
	;; [unrolled: 1-line block ×3, first 2 shown]
	s_waitcnt vmcnt(0)
	ds_write_b128 v66, v[1:4]
	s_waitcnt lgkmcnt(0)
	s_waitcnt_vscnt null, 0x0
	s_barrier
	buffer_gl0_inv
	s_and_saveexec_b32 s6, s4
	s_cbranch_execz .LBB93_59
; %bb.52:
	ds_read_b128 v[1:4], v66
	s_andn2_b32 vcc_lo, exec_lo, s38
	s_cbranch_vccnz .LBB93_54
; %bb.53:
	s_clause 0x3
	buffer_load_dword v67, v65, s[0:3], 0 offen offset:8
	buffer_load_dword v68, v65, s[0:3], 0 offen offset:12
	buffer_load_dword v69, v65, s[0:3], 0 offen
	buffer_load_dword v70, v65, s[0:3], 0 offen offset:4
	s_waitcnt vmcnt(2) lgkmcnt(0)
	v_mul_f64 v[72:73], v[3:4], v[67:68]
	v_mul_f64 v[67:68], v[1:2], v[67:68]
	s_waitcnt vmcnt(0)
	v_fma_f64 v[1:2], v[1:2], v[69:70], -v[72:73]
	v_fma_f64 v[3:4], v[3:4], v[69:70], v[67:68]
.LBB93_54:
	s_and_saveexec_b32 s8, s5
	s_cbranch_execz .LBB93_58
; %bb.55:
	v_subrev_nc_u32_e32 v67, 23, v0
	s_movk_i32 s39, 0x350
	s_mov_b32 s5, 0
	s_mov_b32 s40, s14
	.p2align	6
.LBB93_56:                              ; =>This Inner Loop Header: Depth=1
	v_mov_b32_e32 v70, s40
	v_add_nc_u32_e32 v67, -1, v67
	s_add_i32 s40, s40, 16
	s_clause 0x3
	buffer_load_dword v68, v70, s[0:3], 0 offen offset:8
	buffer_load_dword v69, v70, s[0:3], 0 offen offset:12
	buffer_load_dword v76, v70, s[0:3], 0 offen
	buffer_load_dword v77, v70, s[0:3], 0 offen offset:4
	v_mov_b32_e32 v70, s39
	v_cmp_eq_u32_e32 vcc_lo, 0, v67
	s_add_i32 s39, s39, 16
	ds_read_b128 v[72:75], v70
	s_or_b32 s5, vcc_lo, s5
	s_waitcnt vmcnt(2) lgkmcnt(0)
	v_mul_f64 v[78:79], v[74:75], v[68:69]
	v_mul_f64 v[68:69], v[72:73], v[68:69]
	s_waitcnt vmcnt(0)
	v_fma_f64 v[72:73], v[72:73], v[76:77], -v[78:79]
	v_fma_f64 v[68:69], v[74:75], v[76:77], v[68:69]
	v_add_f64 v[1:2], v[1:2], v[72:73]
	v_add_f64 v[3:4], v[3:4], v[68:69]
	s_andn2_b32 exec_lo, exec_lo, s5
	s_cbranch_execnz .LBB93_56
; %bb.57:
	s_or_b32 exec_lo, exec_lo, s5
.LBB93_58:
	s_or_b32 exec_lo, exec_lo, s8
	v_mov_b32_e32 v67, 0
	ds_read_b128 v[67:70], v67 offset:352
	s_waitcnt lgkmcnt(0)
	v_mul_f64 v[72:73], v[3:4], v[69:70]
	v_mul_f64 v[69:70], v[1:2], v[69:70]
	v_fma_f64 v[1:2], v[1:2], v[67:68], -v[72:73]
	v_fma_f64 v[3:4], v[3:4], v[67:68], v[69:70]
	buffer_store_dword v2, off, s[0:3], 0 offset:356
	buffer_store_dword v1, off, s[0:3], 0 offset:352
	;; [unrolled: 1-line block ×4, first 2 shown]
.LBB93_59:
	s_or_b32 exec_lo, exec_lo, s6
	v_mov_b32_e32 v4, s16
	v_cmp_lt_u32_e64 s5, 21, v0
	s_clause 0x3
	buffer_load_dword v1, v4, s[0:3], 0 offen
	buffer_load_dword v2, v4, s[0:3], 0 offen offset:4
	buffer_load_dword v3, v4, s[0:3], 0 offen offset:8
	;; [unrolled: 1-line block ×3, first 2 shown]
	s_waitcnt vmcnt(0)
	ds_write_b128 v66, v[1:4]
	s_waitcnt lgkmcnt(0)
	s_waitcnt_vscnt null, 0x0
	s_barrier
	buffer_gl0_inv
	s_and_saveexec_b32 s6, s5
	s_cbranch_execz .LBB93_67
; %bb.60:
	ds_read_b128 v[1:4], v66
	s_andn2_b32 vcc_lo, exec_lo, s38
	s_cbranch_vccnz .LBB93_62
; %bb.61:
	s_clause 0x3
	buffer_load_dword v67, v65, s[0:3], 0 offen offset:8
	buffer_load_dword v68, v65, s[0:3], 0 offen offset:12
	buffer_load_dword v69, v65, s[0:3], 0 offen
	buffer_load_dword v70, v65, s[0:3], 0 offen offset:4
	s_waitcnt vmcnt(2) lgkmcnt(0)
	v_mul_f64 v[72:73], v[3:4], v[67:68]
	v_mul_f64 v[67:68], v[1:2], v[67:68]
	s_waitcnt vmcnt(0)
	v_fma_f64 v[1:2], v[1:2], v[69:70], -v[72:73]
	v_fma_f64 v[3:4], v[3:4], v[69:70], v[67:68]
.LBB93_62:
	s_and_saveexec_b32 s8, s4
	s_cbranch_execz .LBB93_66
; %bb.63:
	v_subrev_nc_u32_e32 v67, 22, v0
	s_movk_i32 s39, 0x340
	s_mov_b32 s4, 0
	s_mov_b32 s40, s15
	.p2align	6
.LBB93_64:                              ; =>This Inner Loop Header: Depth=1
	v_mov_b32_e32 v70, s40
	v_add_nc_u32_e32 v67, -1, v67
	s_add_i32 s40, s40, 16
	s_clause 0x3
	buffer_load_dword v68, v70, s[0:3], 0 offen offset:8
	buffer_load_dword v69, v70, s[0:3], 0 offen offset:12
	buffer_load_dword v76, v70, s[0:3], 0 offen
	buffer_load_dword v77, v70, s[0:3], 0 offen offset:4
	v_mov_b32_e32 v70, s39
	v_cmp_eq_u32_e32 vcc_lo, 0, v67
	s_add_i32 s39, s39, 16
	ds_read_b128 v[72:75], v70
	s_or_b32 s4, vcc_lo, s4
	s_waitcnt vmcnt(2) lgkmcnt(0)
	v_mul_f64 v[78:79], v[74:75], v[68:69]
	v_mul_f64 v[68:69], v[72:73], v[68:69]
	s_waitcnt vmcnt(0)
	v_fma_f64 v[72:73], v[72:73], v[76:77], -v[78:79]
	v_fma_f64 v[68:69], v[74:75], v[76:77], v[68:69]
	v_add_f64 v[1:2], v[1:2], v[72:73]
	v_add_f64 v[3:4], v[3:4], v[68:69]
	s_andn2_b32 exec_lo, exec_lo, s4
	s_cbranch_execnz .LBB93_64
; %bb.65:
	s_or_b32 exec_lo, exec_lo, s4
.LBB93_66:
	s_or_b32 exec_lo, exec_lo, s8
	v_mov_b32_e32 v67, 0
	ds_read_b128 v[67:70], v67 offset:336
	s_waitcnt lgkmcnt(0)
	v_mul_f64 v[72:73], v[3:4], v[69:70]
	v_mul_f64 v[69:70], v[1:2], v[69:70]
	v_fma_f64 v[1:2], v[1:2], v[67:68], -v[72:73]
	v_fma_f64 v[3:4], v[3:4], v[67:68], v[69:70]
	buffer_store_dword v2, off, s[0:3], 0 offset:340
	buffer_store_dword v1, off, s[0:3], 0 offset:336
	;; [unrolled: 1-line block ×4, first 2 shown]
.LBB93_67:
	s_or_b32 exec_lo, exec_lo, s6
	v_mov_b32_e32 v4, s17
	v_cmp_lt_u32_e64 s4, 20, v0
	s_clause 0x3
	buffer_load_dword v1, v4, s[0:3], 0 offen
	buffer_load_dword v2, v4, s[0:3], 0 offen offset:4
	buffer_load_dword v3, v4, s[0:3], 0 offen offset:8
	;; [unrolled: 1-line block ×3, first 2 shown]
	s_waitcnt vmcnt(0)
	ds_write_b128 v66, v[1:4]
	s_waitcnt lgkmcnt(0)
	s_waitcnt_vscnt null, 0x0
	s_barrier
	buffer_gl0_inv
	s_and_saveexec_b32 s6, s4
	s_cbranch_execz .LBB93_75
; %bb.68:
	ds_read_b128 v[1:4], v66
	s_andn2_b32 vcc_lo, exec_lo, s38
	s_cbranch_vccnz .LBB93_70
; %bb.69:
	s_clause 0x3
	buffer_load_dword v67, v65, s[0:3], 0 offen offset:8
	buffer_load_dword v68, v65, s[0:3], 0 offen offset:12
	buffer_load_dword v69, v65, s[0:3], 0 offen
	buffer_load_dword v70, v65, s[0:3], 0 offen offset:4
	s_waitcnt vmcnt(2) lgkmcnt(0)
	v_mul_f64 v[72:73], v[3:4], v[67:68]
	v_mul_f64 v[67:68], v[1:2], v[67:68]
	s_waitcnt vmcnt(0)
	v_fma_f64 v[1:2], v[1:2], v[69:70], -v[72:73]
	v_fma_f64 v[3:4], v[3:4], v[69:70], v[67:68]
.LBB93_70:
	s_and_saveexec_b32 s8, s5
	s_cbranch_execz .LBB93_74
; %bb.71:
	v_subrev_nc_u32_e32 v67, 21, v0
	s_movk_i32 s39, 0x330
	s_mov_b32 s5, 0
	s_mov_b32 s40, s16
	.p2align	6
.LBB93_72:                              ; =>This Inner Loop Header: Depth=1
	v_mov_b32_e32 v70, s40
	v_add_nc_u32_e32 v67, -1, v67
	s_add_i32 s40, s40, 16
	s_clause 0x3
	buffer_load_dword v68, v70, s[0:3], 0 offen offset:8
	buffer_load_dword v69, v70, s[0:3], 0 offen offset:12
	buffer_load_dword v76, v70, s[0:3], 0 offen
	buffer_load_dword v77, v70, s[0:3], 0 offen offset:4
	v_mov_b32_e32 v70, s39
	v_cmp_eq_u32_e32 vcc_lo, 0, v67
	s_add_i32 s39, s39, 16
	ds_read_b128 v[72:75], v70
	s_or_b32 s5, vcc_lo, s5
	s_waitcnt vmcnt(2) lgkmcnt(0)
	v_mul_f64 v[78:79], v[74:75], v[68:69]
	v_mul_f64 v[68:69], v[72:73], v[68:69]
	s_waitcnt vmcnt(0)
	v_fma_f64 v[72:73], v[72:73], v[76:77], -v[78:79]
	v_fma_f64 v[68:69], v[74:75], v[76:77], v[68:69]
	v_add_f64 v[1:2], v[1:2], v[72:73]
	v_add_f64 v[3:4], v[3:4], v[68:69]
	s_andn2_b32 exec_lo, exec_lo, s5
	s_cbranch_execnz .LBB93_72
; %bb.73:
	s_or_b32 exec_lo, exec_lo, s5
.LBB93_74:
	s_or_b32 exec_lo, exec_lo, s8
	v_mov_b32_e32 v67, 0
	ds_read_b128 v[67:70], v67 offset:320
	s_waitcnt lgkmcnt(0)
	v_mul_f64 v[72:73], v[3:4], v[69:70]
	v_mul_f64 v[69:70], v[1:2], v[69:70]
	v_fma_f64 v[1:2], v[1:2], v[67:68], -v[72:73]
	v_fma_f64 v[3:4], v[3:4], v[67:68], v[69:70]
	buffer_store_dword v2, off, s[0:3], 0 offset:324
	buffer_store_dword v1, off, s[0:3], 0 offset:320
	;; [unrolled: 1-line block ×4, first 2 shown]
.LBB93_75:
	s_or_b32 exec_lo, exec_lo, s6
	v_mov_b32_e32 v4, s18
	v_cmp_lt_u32_e64 s5, 19, v0
	s_clause 0x3
	buffer_load_dword v1, v4, s[0:3], 0 offen
	buffer_load_dword v2, v4, s[0:3], 0 offen offset:4
	buffer_load_dword v3, v4, s[0:3], 0 offen offset:8
	;; [unrolled: 1-line block ×3, first 2 shown]
	s_waitcnt vmcnt(0)
	ds_write_b128 v66, v[1:4]
	s_waitcnt lgkmcnt(0)
	s_waitcnt_vscnt null, 0x0
	s_barrier
	buffer_gl0_inv
	s_and_saveexec_b32 s6, s5
	s_cbranch_execz .LBB93_83
; %bb.76:
	ds_read_b128 v[1:4], v66
	s_andn2_b32 vcc_lo, exec_lo, s38
	s_cbranch_vccnz .LBB93_78
; %bb.77:
	s_clause 0x3
	buffer_load_dword v67, v65, s[0:3], 0 offen offset:8
	buffer_load_dword v68, v65, s[0:3], 0 offen offset:12
	buffer_load_dword v69, v65, s[0:3], 0 offen
	buffer_load_dword v70, v65, s[0:3], 0 offen offset:4
	s_waitcnt vmcnt(2) lgkmcnt(0)
	v_mul_f64 v[72:73], v[3:4], v[67:68]
	v_mul_f64 v[67:68], v[1:2], v[67:68]
	s_waitcnt vmcnt(0)
	v_fma_f64 v[1:2], v[1:2], v[69:70], -v[72:73]
	v_fma_f64 v[3:4], v[3:4], v[69:70], v[67:68]
.LBB93_78:
	s_and_saveexec_b32 s8, s4
	s_cbranch_execz .LBB93_82
; %bb.79:
	v_subrev_nc_u32_e32 v67, 20, v0
	s_movk_i32 s39, 0x320
	s_mov_b32 s4, 0
	s_mov_b32 s40, s17
	.p2align	6
.LBB93_80:                              ; =>This Inner Loop Header: Depth=1
	v_mov_b32_e32 v70, s40
	v_add_nc_u32_e32 v67, -1, v67
	s_add_i32 s40, s40, 16
	s_clause 0x3
	buffer_load_dword v68, v70, s[0:3], 0 offen offset:8
	buffer_load_dword v69, v70, s[0:3], 0 offen offset:12
	buffer_load_dword v76, v70, s[0:3], 0 offen
	buffer_load_dword v77, v70, s[0:3], 0 offen offset:4
	v_mov_b32_e32 v70, s39
	v_cmp_eq_u32_e32 vcc_lo, 0, v67
	s_add_i32 s39, s39, 16
	ds_read_b128 v[72:75], v70
	s_or_b32 s4, vcc_lo, s4
	s_waitcnt vmcnt(2) lgkmcnt(0)
	v_mul_f64 v[78:79], v[74:75], v[68:69]
	v_mul_f64 v[68:69], v[72:73], v[68:69]
	s_waitcnt vmcnt(0)
	v_fma_f64 v[72:73], v[72:73], v[76:77], -v[78:79]
	v_fma_f64 v[68:69], v[74:75], v[76:77], v[68:69]
	v_add_f64 v[1:2], v[1:2], v[72:73]
	v_add_f64 v[3:4], v[3:4], v[68:69]
	s_andn2_b32 exec_lo, exec_lo, s4
	s_cbranch_execnz .LBB93_80
; %bb.81:
	s_or_b32 exec_lo, exec_lo, s4
.LBB93_82:
	s_or_b32 exec_lo, exec_lo, s8
	v_mov_b32_e32 v67, 0
	ds_read_b128 v[67:70], v67 offset:304
	s_waitcnt lgkmcnt(0)
	v_mul_f64 v[72:73], v[3:4], v[69:70]
	v_mul_f64 v[69:70], v[1:2], v[69:70]
	v_fma_f64 v[1:2], v[1:2], v[67:68], -v[72:73]
	v_fma_f64 v[3:4], v[3:4], v[67:68], v[69:70]
	buffer_store_dword v2, off, s[0:3], 0 offset:308
	buffer_store_dword v1, off, s[0:3], 0 offset:304
	;; [unrolled: 1-line block ×4, first 2 shown]
.LBB93_83:
	s_or_b32 exec_lo, exec_lo, s6
	v_mov_b32_e32 v4, s19
	v_cmp_lt_u32_e64 s4, 18, v0
	s_clause 0x3
	buffer_load_dword v1, v4, s[0:3], 0 offen
	buffer_load_dword v2, v4, s[0:3], 0 offen offset:4
	buffer_load_dword v3, v4, s[0:3], 0 offen offset:8
	;; [unrolled: 1-line block ×3, first 2 shown]
	s_waitcnt vmcnt(0)
	ds_write_b128 v66, v[1:4]
	s_waitcnt lgkmcnt(0)
	s_waitcnt_vscnt null, 0x0
	s_barrier
	buffer_gl0_inv
	s_and_saveexec_b32 s6, s4
	s_cbranch_execz .LBB93_91
; %bb.84:
	ds_read_b128 v[1:4], v66
	s_andn2_b32 vcc_lo, exec_lo, s38
	s_cbranch_vccnz .LBB93_86
; %bb.85:
	s_clause 0x3
	buffer_load_dword v67, v65, s[0:3], 0 offen offset:8
	buffer_load_dword v68, v65, s[0:3], 0 offen offset:12
	buffer_load_dword v69, v65, s[0:3], 0 offen
	buffer_load_dword v70, v65, s[0:3], 0 offen offset:4
	s_waitcnt vmcnt(2) lgkmcnt(0)
	v_mul_f64 v[72:73], v[3:4], v[67:68]
	v_mul_f64 v[67:68], v[1:2], v[67:68]
	s_waitcnt vmcnt(0)
	v_fma_f64 v[1:2], v[1:2], v[69:70], -v[72:73]
	v_fma_f64 v[3:4], v[3:4], v[69:70], v[67:68]
.LBB93_86:
	s_and_saveexec_b32 s8, s5
	s_cbranch_execz .LBB93_90
; %bb.87:
	v_subrev_nc_u32_e32 v67, 19, v0
	s_movk_i32 s39, 0x310
	s_mov_b32 s5, 0
	s_mov_b32 s40, s18
	.p2align	6
.LBB93_88:                              ; =>This Inner Loop Header: Depth=1
	v_mov_b32_e32 v70, s40
	v_add_nc_u32_e32 v67, -1, v67
	s_add_i32 s40, s40, 16
	s_clause 0x3
	buffer_load_dword v68, v70, s[0:3], 0 offen offset:8
	buffer_load_dword v69, v70, s[0:3], 0 offen offset:12
	buffer_load_dword v76, v70, s[0:3], 0 offen
	buffer_load_dword v77, v70, s[0:3], 0 offen offset:4
	v_mov_b32_e32 v70, s39
	v_cmp_eq_u32_e32 vcc_lo, 0, v67
	s_add_i32 s39, s39, 16
	ds_read_b128 v[72:75], v70
	s_or_b32 s5, vcc_lo, s5
	s_waitcnt vmcnt(2) lgkmcnt(0)
	v_mul_f64 v[78:79], v[74:75], v[68:69]
	v_mul_f64 v[68:69], v[72:73], v[68:69]
	s_waitcnt vmcnt(0)
	v_fma_f64 v[72:73], v[72:73], v[76:77], -v[78:79]
	v_fma_f64 v[68:69], v[74:75], v[76:77], v[68:69]
	v_add_f64 v[1:2], v[1:2], v[72:73]
	v_add_f64 v[3:4], v[3:4], v[68:69]
	s_andn2_b32 exec_lo, exec_lo, s5
	s_cbranch_execnz .LBB93_88
; %bb.89:
	s_or_b32 exec_lo, exec_lo, s5
.LBB93_90:
	s_or_b32 exec_lo, exec_lo, s8
	v_mov_b32_e32 v67, 0
	ds_read_b128 v[67:70], v67 offset:288
	s_waitcnt lgkmcnt(0)
	v_mul_f64 v[72:73], v[3:4], v[69:70]
	v_mul_f64 v[69:70], v[1:2], v[69:70]
	v_fma_f64 v[1:2], v[1:2], v[67:68], -v[72:73]
	v_fma_f64 v[3:4], v[3:4], v[67:68], v[69:70]
	buffer_store_dword v2, off, s[0:3], 0 offset:292
	buffer_store_dword v1, off, s[0:3], 0 offset:288
	;; [unrolled: 1-line block ×4, first 2 shown]
.LBB93_91:
	s_or_b32 exec_lo, exec_lo, s6
	v_mov_b32_e32 v4, s20
	v_cmp_lt_u32_e64 s5, 17, v0
	s_clause 0x3
	buffer_load_dword v1, v4, s[0:3], 0 offen
	buffer_load_dword v2, v4, s[0:3], 0 offen offset:4
	buffer_load_dword v3, v4, s[0:3], 0 offen offset:8
	;; [unrolled: 1-line block ×3, first 2 shown]
	s_waitcnt vmcnt(0)
	ds_write_b128 v66, v[1:4]
	s_waitcnt lgkmcnt(0)
	s_waitcnt_vscnt null, 0x0
	s_barrier
	buffer_gl0_inv
	s_and_saveexec_b32 s6, s5
	s_cbranch_execz .LBB93_99
; %bb.92:
	ds_read_b128 v[1:4], v66
	s_andn2_b32 vcc_lo, exec_lo, s38
	s_cbranch_vccnz .LBB93_94
; %bb.93:
	s_clause 0x3
	buffer_load_dword v67, v65, s[0:3], 0 offen offset:8
	buffer_load_dword v68, v65, s[0:3], 0 offen offset:12
	buffer_load_dword v69, v65, s[0:3], 0 offen
	buffer_load_dword v70, v65, s[0:3], 0 offen offset:4
	s_waitcnt vmcnt(2) lgkmcnt(0)
	v_mul_f64 v[72:73], v[3:4], v[67:68]
	v_mul_f64 v[67:68], v[1:2], v[67:68]
	s_waitcnt vmcnt(0)
	v_fma_f64 v[1:2], v[1:2], v[69:70], -v[72:73]
	v_fma_f64 v[3:4], v[3:4], v[69:70], v[67:68]
.LBB93_94:
	s_and_saveexec_b32 s8, s4
	s_cbranch_execz .LBB93_98
; %bb.95:
	v_subrev_nc_u32_e32 v67, 18, v0
	s_movk_i32 s39, 0x300
	s_mov_b32 s4, 0
	s_mov_b32 s40, s19
	.p2align	6
.LBB93_96:                              ; =>This Inner Loop Header: Depth=1
	v_mov_b32_e32 v70, s40
	v_add_nc_u32_e32 v67, -1, v67
	s_add_i32 s40, s40, 16
	s_clause 0x3
	buffer_load_dword v68, v70, s[0:3], 0 offen offset:8
	buffer_load_dword v69, v70, s[0:3], 0 offen offset:12
	buffer_load_dword v76, v70, s[0:3], 0 offen
	buffer_load_dword v77, v70, s[0:3], 0 offen offset:4
	v_mov_b32_e32 v70, s39
	v_cmp_eq_u32_e32 vcc_lo, 0, v67
	s_add_i32 s39, s39, 16
	ds_read_b128 v[72:75], v70
	s_or_b32 s4, vcc_lo, s4
	s_waitcnt vmcnt(2) lgkmcnt(0)
	v_mul_f64 v[78:79], v[74:75], v[68:69]
	v_mul_f64 v[68:69], v[72:73], v[68:69]
	s_waitcnt vmcnt(0)
	v_fma_f64 v[72:73], v[72:73], v[76:77], -v[78:79]
	v_fma_f64 v[68:69], v[74:75], v[76:77], v[68:69]
	v_add_f64 v[1:2], v[1:2], v[72:73]
	v_add_f64 v[3:4], v[3:4], v[68:69]
	s_andn2_b32 exec_lo, exec_lo, s4
	s_cbranch_execnz .LBB93_96
; %bb.97:
	s_or_b32 exec_lo, exec_lo, s4
.LBB93_98:
	s_or_b32 exec_lo, exec_lo, s8
	v_mov_b32_e32 v67, 0
	ds_read_b128 v[67:70], v67 offset:272
	s_waitcnt lgkmcnt(0)
	v_mul_f64 v[72:73], v[3:4], v[69:70]
	v_mul_f64 v[69:70], v[1:2], v[69:70]
	v_fma_f64 v[1:2], v[1:2], v[67:68], -v[72:73]
	v_fma_f64 v[3:4], v[3:4], v[67:68], v[69:70]
	buffer_store_dword v2, off, s[0:3], 0 offset:276
	buffer_store_dword v1, off, s[0:3], 0 offset:272
	;; [unrolled: 1-line block ×4, first 2 shown]
.LBB93_99:
	s_or_b32 exec_lo, exec_lo, s6
	v_mov_b32_e32 v4, s21
	v_cmp_lt_u32_e64 s4, 16, v0
	s_clause 0x3
	buffer_load_dword v1, v4, s[0:3], 0 offen
	buffer_load_dword v2, v4, s[0:3], 0 offen offset:4
	buffer_load_dword v3, v4, s[0:3], 0 offen offset:8
	;; [unrolled: 1-line block ×3, first 2 shown]
	s_waitcnt vmcnt(0)
	ds_write_b128 v66, v[1:4]
	s_waitcnt lgkmcnt(0)
	s_waitcnt_vscnt null, 0x0
	s_barrier
	buffer_gl0_inv
	s_and_saveexec_b32 s6, s4
	s_cbranch_execz .LBB93_107
; %bb.100:
	ds_read_b128 v[1:4], v66
	s_andn2_b32 vcc_lo, exec_lo, s38
	s_cbranch_vccnz .LBB93_102
; %bb.101:
	s_clause 0x3
	buffer_load_dword v67, v65, s[0:3], 0 offen offset:8
	buffer_load_dword v68, v65, s[0:3], 0 offen offset:12
	buffer_load_dword v69, v65, s[0:3], 0 offen
	buffer_load_dword v70, v65, s[0:3], 0 offen offset:4
	s_waitcnt vmcnt(2) lgkmcnt(0)
	v_mul_f64 v[72:73], v[3:4], v[67:68]
	v_mul_f64 v[67:68], v[1:2], v[67:68]
	s_waitcnt vmcnt(0)
	v_fma_f64 v[1:2], v[1:2], v[69:70], -v[72:73]
	v_fma_f64 v[3:4], v[3:4], v[69:70], v[67:68]
.LBB93_102:
	s_and_saveexec_b32 s8, s5
	s_cbranch_execz .LBB93_106
; %bb.103:
	v_subrev_nc_u32_e32 v67, 17, v0
	s_movk_i32 s39, 0x2f0
	s_mov_b32 s5, 0
	s_mov_b32 s40, s20
	.p2align	6
.LBB93_104:                             ; =>This Inner Loop Header: Depth=1
	v_mov_b32_e32 v70, s40
	v_add_nc_u32_e32 v67, -1, v67
	s_add_i32 s40, s40, 16
	s_clause 0x3
	buffer_load_dword v68, v70, s[0:3], 0 offen offset:8
	buffer_load_dword v69, v70, s[0:3], 0 offen offset:12
	buffer_load_dword v76, v70, s[0:3], 0 offen
	buffer_load_dword v77, v70, s[0:3], 0 offen offset:4
	v_mov_b32_e32 v70, s39
	v_cmp_eq_u32_e32 vcc_lo, 0, v67
	s_add_i32 s39, s39, 16
	ds_read_b128 v[72:75], v70
	s_or_b32 s5, vcc_lo, s5
	s_waitcnt vmcnt(2) lgkmcnt(0)
	v_mul_f64 v[78:79], v[74:75], v[68:69]
	v_mul_f64 v[68:69], v[72:73], v[68:69]
	s_waitcnt vmcnt(0)
	v_fma_f64 v[72:73], v[72:73], v[76:77], -v[78:79]
	v_fma_f64 v[68:69], v[74:75], v[76:77], v[68:69]
	v_add_f64 v[1:2], v[1:2], v[72:73]
	v_add_f64 v[3:4], v[3:4], v[68:69]
	s_andn2_b32 exec_lo, exec_lo, s5
	s_cbranch_execnz .LBB93_104
; %bb.105:
	s_or_b32 exec_lo, exec_lo, s5
.LBB93_106:
	s_or_b32 exec_lo, exec_lo, s8
	v_mov_b32_e32 v67, 0
	ds_read_b128 v[67:70], v67 offset:256
	s_waitcnt lgkmcnt(0)
	v_mul_f64 v[72:73], v[3:4], v[69:70]
	v_mul_f64 v[69:70], v[1:2], v[69:70]
	v_fma_f64 v[1:2], v[1:2], v[67:68], -v[72:73]
	v_fma_f64 v[3:4], v[3:4], v[67:68], v[69:70]
	buffer_store_dword v2, off, s[0:3], 0 offset:260
	buffer_store_dword v1, off, s[0:3], 0 offset:256
	;; [unrolled: 1-line block ×4, first 2 shown]
.LBB93_107:
	s_or_b32 exec_lo, exec_lo, s6
	v_mov_b32_e32 v4, s22
	v_cmp_lt_u32_e64 s5, 15, v0
	s_clause 0x3
	buffer_load_dword v1, v4, s[0:3], 0 offen
	buffer_load_dword v2, v4, s[0:3], 0 offen offset:4
	buffer_load_dword v3, v4, s[0:3], 0 offen offset:8
	;; [unrolled: 1-line block ×3, first 2 shown]
	s_waitcnt vmcnt(0)
	ds_write_b128 v66, v[1:4]
	s_waitcnt lgkmcnt(0)
	s_waitcnt_vscnt null, 0x0
	s_barrier
	buffer_gl0_inv
	s_and_saveexec_b32 s6, s5
	s_cbranch_execz .LBB93_115
; %bb.108:
	ds_read_b128 v[1:4], v66
	s_andn2_b32 vcc_lo, exec_lo, s38
	s_cbranch_vccnz .LBB93_110
; %bb.109:
	s_clause 0x3
	buffer_load_dword v67, v65, s[0:3], 0 offen offset:8
	buffer_load_dword v68, v65, s[0:3], 0 offen offset:12
	buffer_load_dword v69, v65, s[0:3], 0 offen
	buffer_load_dword v70, v65, s[0:3], 0 offen offset:4
	s_waitcnt vmcnt(2) lgkmcnt(0)
	v_mul_f64 v[72:73], v[3:4], v[67:68]
	v_mul_f64 v[67:68], v[1:2], v[67:68]
	s_waitcnt vmcnt(0)
	v_fma_f64 v[1:2], v[1:2], v[69:70], -v[72:73]
	v_fma_f64 v[3:4], v[3:4], v[69:70], v[67:68]
.LBB93_110:
	s_and_saveexec_b32 s8, s4
	s_cbranch_execz .LBB93_114
; %bb.111:
	v_add_nc_u32_e32 v67, -16, v0
	s_movk_i32 s39, 0x2e0
	s_mov_b32 s4, 0
	s_mov_b32 s40, s21
	.p2align	6
.LBB93_112:                             ; =>This Inner Loop Header: Depth=1
	v_mov_b32_e32 v70, s40
	v_add_nc_u32_e32 v67, -1, v67
	s_add_i32 s40, s40, 16
	s_clause 0x3
	buffer_load_dword v68, v70, s[0:3], 0 offen offset:8
	buffer_load_dword v69, v70, s[0:3], 0 offen offset:12
	buffer_load_dword v76, v70, s[0:3], 0 offen
	buffer_load_dword v77, v70, s[0:3], 0 offen offset:4
	v_mov_b32_e32 v70, s39
	v_cmp_eq_u32_e32 vcc_lo, 0, v67
	s_add_i32 s39, s39, 16
	ds_read_b128 v[72:75], v70
	s_or_b32 s4, vcc_lo, s4
	s_waitcnt vmcnt(2) lgkmcnt(0)
	v_mul_f64 v[78:79], v[74:75], v[68:69]
	v_mul_f64 v[68:69], v[72:73], v[68:69]
	s_waitcnt vmcnt(0)
	v_fma_f64 v[72:73], v[72:73], v[76:77], -v[78:79]
	v_fma_f64 v[68:69], v[74:75], v[76:77], v[68:69]
	v_add_f64 v[1:2], v[1:2], v[72:73]
	v_add_f64 v[3:4], v[3:4], v[68:69]
	s_andn2_b32 exec_lo, exec_lo, s4
	s_cbranch_execnz .LBB93_112
; %bb.113:
	s_or_b32 exec_lo, exec_lo, s4
.LBB93_114:
	s_or_b32 exec_lo, exec_lo, s8
	v_mov_b32_e32 v67, 0
	ds_read_b128 v[67:70], v67 offset:240
	s_waitcnt lgkmcnt(0)
	v_mul_f64 v[72:73], v[3:4], v[69:70]
	v_mul_f64 v[69:70], v[1:2], v[69:70]
	v_fma_f64 v[1:2], v[1:2], v[67:68], -v[72:73]
	v_fma_f64 v[3:4], v[3:4], v[67:68], v[69:70]
	buffer_store_dword v2, off, s[0:3], 0 offset:244
	buffer_store_dword v1, off, s[0:3], 0 offset:240
	;; [unrolled: 1-line block ×4, first 2 shown]
.LBB93_115:
	s_or_b32 exec_lo, exec_lo, s6
	v_mov_b32_e32 v4, s23
	v_cmp_lt_u32_e64 s4, 14, v0
	s_clause 0x3
	buffer_load_dword v1, v4, s[0:3], 0 offen
	buffer_load_dword v2, v4, s[0:3], 0 offen offset:4
	buffer_load_dword v3, v4, s[0:3], 0 offen offset:8
	;; [unrolled: 1-line block ×3, first 2 shown]
	s_waitcnt vmcnt(0)
	ds_write_b128 v66, v[1:4]
	s_waitcnt lgkmcnt(0)
	s_waitcnt_vscnt null, 0x0
	s_barrier
	buffer_gl0_inv
	s_and_saveexec_b32 s6, s4
	s_cbranch_execz .LBB93_123
; %bb.116:
	ds_read_b128 v[1:4], v66
	s_andn2_b32 vcc_lo, exec_lo, s38
	s_cbranch_vccnz .LBB93_118
; %bb.117:
	s_clause 0x3
	buffer_load_dword v67, v65, s[0:3], 0 offen offset:8
	buffer_load_dword v68, v65, s[0:3], 0 offen offset:12
	buffer_load_dword v69, v65, s[0:3], 0 offen
	buffer_load_dword v70, v65, s[0:3], 0 offen offset:4
	s_waitcnt vmcnt(2) lgkmcnt(0)
	v_mul_f64 v[72:73], v[3:4], v[67:68]
	v_mul_f64 v[67:68], v[1:2], v[67:68]
	s_waitcnt vmcnt(0)
	v_fma_f64 v[1:2], v[1:2], v[69:70], -v[72:73]
	v_fma_f64 v[3:4], v[3:4], v[69:70], v[67:68]
.LBB93_118:
	s_and_saveexec_b32 s8, s5
	s_cbranch_execz .LBB93_122
; %bb.119:
	v_add_nc_u32_e32 v67, -15, v0
	s_movk_i32 s39, 0x2d0
	s_mov_b32 s5, 0
	s_mov_b32 s40, s22
	.p2align	6
.LBB93_120:                             ; =>This Inner Loop Header: Depth=1
	v_mov_b32_e32 v70, s40
	v_add_nc_u32_e32 v67, -1, v67
	s_add_i32 s40, s40, 16
	s_clause 0x3
	buffer_load_dword v68, v70, s[0:3], 0 offen offset:8
	buffer_load_dword v69, v70, s[0:3], 0 offen offset:12
	buffer_load_dword v76, v70, s[0:3], 0 offen
	buffer_load_dword v77, v70, s[0:3], 0 offen offset:4
	v_mov_b32_e32 v70, s39
	v_cmp_eq_u32_e32 vcc_lo, 0, v67
	s_add_i32 s39, s39, 16
	ds_read_b128 v[72:75], v70
	s_or_b32 s5, vcc_lo, s5
	s_waitcnt vmcnt(2) lgkmcnt(0)
	v_mul_f64 v[78:79], v[74:75], v[68:69]
	v_mul_f64 v[68:69], v[72:73], v[68:69]
	s_waitcnt vmcnt(0)
	v_fma_f64 v[72:73], v[72:73], v[76:77], -v[78:79]
	v_fma_f64 v[68:69], v[74:75], v[76:77], v[68:69]
	v_add_f64 v[1:2], v[1:2], v[72:73]
	v_add_f64 v[3:4], v[3:4], v[68:69]
	s_andn2_b32 exec_lo, exec_lo, s5
	s_cbranch_execnz .LBB93_120
; %bb.121:
	s_or_b32 exec_lo, exec_lo, s5
.LBB93_122:
	s_or_b32 exec_lo, exec_lo, s8
	v_mov_b32_e32 v67, 0
	ds_read_b128 v[67:70], v67 offset:224
	s_waitcnt lgkmcnt(0)
	v_mul_f64 v[72:73], v[3:4], v[69:70]
	v_mul_f64 v[69:70], v[1:2], v[69:70]
	v_fma_f64 v[1:2], v[1:2], v[67:68], -v[72:73]
	v_fma_f64 v[3:4], v[3:4], v[67:68], v[69:70]
	buffer_store_dword v2, off, s[0:3], 0 offset:228
	buffer_store_dword v1, off, s[0:3], 0 offset:224
	;; [unrolled: 1-line block ×4, first 2 shown]
.LBB93_123:
	s_or_b32 exec_lo, exec_lo, s6
	v_mov_b32_e32 v4, s24
	v_cmp_lt_u32_e64 s5, 13, v0
	s_clause 0x3
	buffer_load_dword v1, v4, s[0:3], 0 offen
	buffer_load_dword v2, v4, s[0:3], 0 offen offset:4
	buffer_load_dword v3, v4, s[0:3], 0 offen offset:8
	;; [unrolled: 1-line block ×3, first 2 shown]
	s_waitcnt vmcnt(0)
	ds_write_b128 v66, v[1:4]
	s_waitcnt lgkmcnt(0)
	s_waitcnt_vscnt null, 0x0
	s_barrier
	buffer_gl0_inv
	s_and_saveexec_b32 s6, s5
	s_cbranch_execz .LBB93_131
; %bb.124:
	ds_read_b128 v[1:4], v66
	s_andn2_b32 vcc_lo, exec_lo, s38
	s_cbranch_vccnz .LBB93_126
; %bb.125:
	s_clause 0x3
	buffer_load_dword v67, v65, s[0:3], 0 offen offset:8
	buffer_load_dword v68, v65, s[0:3], 0 offen offset:12
	buffer_load_dword v69, v65, s[0:3], 0 offen
	buffer_load_dword v70, v65, s[0:3], 0 offen offset:4
	s_waitcnt vmcnt(2) lgkmcnt(0)
	v_mul_f64 v[72:73], v[3:4], v[67:68]
	v_mul_f64 v[67:68], v[1:2], v[67:68]
	s_waitcnt vmcnt(0)
	v_fma_f64 v[1:2], v[1:2], v[69:70], -v[72:73]
	v_fma_f64 v[3:4], v[3:4], v[69:70], v[67:68]
.LBB93_126:
	s_and_saveexec_b32 s8, s4
	s_cbranch_execz .LBB93_130
; %bb.127:
	v_add_nc_u32_e32 v67, -14, v0
	s_movk_i32 s39, 0x2c0
	s_mov_b32 s4, 0
	s_mov_b32 s40, s23
	.p2align	6
.LBB93_128:                             ; =>This Inner Loop Header: Depth=1
	v_mov_b32_e32 v70, s40
	v_add_nc_u32_e32 v67, -1, v67
	s_add_i32 s40, s40, 16
	s_clause 0x3
	buffer_load_dword v68, v70, s[0:3], 0 offen offset:8
	buffer_load_dword v69, v70, s[0:3], 0 offen offset:12
	buffer_load_dword v76, v70, s[0:3], 0 offen
	buffer_load_dword v77, v70, s[0:3], 0 offen offset:4
	v_mov_b32_e32 v70, s39
	v_cmp_eq_u32_e32 vcc_lo, 0, v67
	s_add_i32 s39, s39, 16
	ds_read_b128 v[72:75], v70
	s_or_b32 s4, vcc_lo, s4
	s_waitcnt vmcnt(2) lgkmcnt(0)
	v_mul_f64 v[78:79], v[74:75], v[68:69]
	v_mul_f64 v[68:69], v[72:73], v[68:69]
	s_waitcnt vmcnt(0)
	v_fma_f64 v[72:73], v[72:73], v[76:77], -v[78:79]
	v_fma_f64 v[68:69], v[74:75], v[76:77], v[68:69]
	v_add_f64 v[1:2], v[1:2], v[72:73]
	v_add_f64 v[3:4], v[3:4], v[68:69]
	s_andn2_b32 exec_lo, exec_lo, s4
	s_cbranch_execnz .LBB93_128
; %bb.129:
	s_or_b32 exec_lo, exec_lo, s4
.LBB93_130:
	s_or_b32 exec_lo, exec_lo, s8
	v_mov_b32_e32 v67, 0
	ds_read_b128 v[67:70], v67 offset:208
	s_waitcnt lgkmcnt(0)
	v_mul_f64 v[72:73], v[3:4], v[69:70]
	v_mul_f64 v[69:70], v[1:2], v[69:70]
	v_fma_f64 v[1:2], v[1:2], v[67:68], -v[72:73]
	v_fma_f64 v[3:4], v[3:4], v[67:68], v[69:70]
	buffer_store_dword v2, off, s[0:3], 0 offset:212
	buffer_store_dword v1, off, s[0:3], 0 offset:208
	;; [unrolled: 1-line block ×4, first 2 shown]
.LBB93_131:
	s_or_b32 exec_lo, exec_lo, s6
	v_mov_b32_e32 v4, s25
	v_cmp_lt_u32_e64 s4, 12, v0
	s_clause 0x3
	buffer_load_dword v1, v4, s[0:3], 0 offen
	buffer_load_dword v2, v4, s[0:3], 0 offen offset:4
	buffer_load_dword v3, v4, s[0:3], 0 offen offset:8
	;; [unrolled: 1-line block ×3, first 2 shown]
	s_waitcnt vmcnt(0)
	ds_write_b128 v66, v[1:4]
	s_waitcnt lgkmcnt(0)
	s_waitcnt_vscnt null, 0x0
	s_barrier
	buffer_gl0_inv
	s_and_saveexec_b32 s6, s4
	s_cbranch_execz .LBB93_139
; %bb.132:
	ds_read_b128 v[1:4], v66
	s_andn2_b32 vcc_lo, exec_lo, s38
	s_cbranch_vccnz .LBB93_134
; %bb.133:
	s_clause 0x3
	buffer_load_dword v67, v65, s[0:3], 0 offen offset:8
	buffer_load_dword v68, v65, s[0:3], 0 offen offset:12
	buffer_load_dword v69, v65, s[0:3], 0 offen
	buffer_load_dword v70, v65, s[0:3], 0 offen offset:4
	s_waitcnt vmcnt(2) lgkmcnt(0)
	v_mul_f64 v[72:73], v[3:4], v[67:68]
	v_mul_f64 v[67:68], v[1:2], v[67:68]
	s_waitcnt vmcnt(0)
	v_fma_f64 v[1:2], v[1:2], v[69:70], -v[72:73]
	v_fma_f64 v[3:4], v[3:4], v[69:70], v[67:68]
.LBB93_134:
	s_and_saveexec_b32 s8, s5
	s_cbranch_execz .LBB93_138
; %bb.135:
	v_add_nc_u32_e32 v67, -13, v0
	s_movk_i32 s39, 0x2b0
	s_mov_b32 s5, 0
	s_mov_b32 s40, s24
	.p2align	6
.LBB93_136:                             ; =>This Inner Loop Header: Depth=1
	v_mov_b32_e32 v70, s40
	v_add_nc_u32_e32 v67, -1, v67
	s_add_i32 s40, s40, 16
	s_clause 0x3
	buffer_load_dword v68, v70, s[0:3], 0 offen offset:8
	buffer_load_dword v69, v70, s[0:3], 0 offen offset:12
	buffer_load_dword v76, v70, s[0:3], 0 offen
	buffer_load_dword v77, v70, s[0:3], 0 offen offset:4
	v_mov_b32_e32 v70, s39
	v_cmp_eq_u32_e32 vcc_lo, 0, v67
	s_add_i32 s39, s39, 16
	ds_read_b128 v[72:75], v70
	s_or_b32 s5, vcc_lo, s5
	s_waitcnt vmcnt(2) lgkmcnt(0)
	v_mul_f64 v[78:79], v[74:75], v[68:69]
	v_mul_f64 v[68:69], v[72:73], v[68:69]
	s_waitcnt vmcnt(0)
	v_fma_f64 v[72:73], v[72:73], v[76:77], -v[78:79]
	v_fma_f64 v[68:69], v[74:75], v[76:77], v[68:69]
	v_add_f64 v[1:2], v[1:2], v[72:73]
	v_add_f64 v[3:4], v[3:4], v[68:69]
	s_andn2_b32 exec_lo, exec_lo, s5
	s_cbranch_execnz .LBB93_136
; %bb.137:
	s_or_b32 exec_lo, exec_lo, s5
.LBB93_138:
	s_or_b32 exec_lo, exec_lo, s8
	v_mov_b32_e32 v67, 0
	ds_read_b128 v[67:70], v67 offset:192
	s_waitcnt lgkmcnt(0)
	v_mul_f64 v[72:73], v[3:4], v[69:70]
	v_mul_f64 v[69:70], v[1:2], v[69:70]
	v_fma_f64 v[1:2], v[1:2], v[67:68], -v[72:73]
	v_fma_f64 v[3:4], v[3:4], v[67:68], v[69:70]
	buffer_store_dword v2, off, s[0:3], 0 offset:196
	buffer_store_dword v1, off, s[0:3], 0 offset:192
	;; [unrolled: 1-line block ×4, first 2 shown]
.LBB93_139:
	s_or_b32 exec_lo, exec_lo, s6
	v_mov_b32_e32 v4, s26
	v_cmp_lt_u32_e64 s5, 11, v0
	s_clause 0x3
	buffer_load_dword v1, v4, s[0:3], 0 offen
	buffer_load_dword v2, v4, s[0:3], 0 offen offset:4
	buffer_load_dword v3, v4, s[0:3], 0 offen offset:8
	;; [unrolled: 1-line block ×3, first 2 shown]
	s_waitcnt vmcnt(0)
	ds_write_b128 v66, v[1:4]
	s_waitcnt lgkmcnt(0)
	s_waitcnt_vscnt null, 0x0
	s_barrier
	buffer_gl0_inv
	s_and_saveexec_b32 s6, s5
	s_cbranch_execz .LBB93_147
; %bb.140:
	ds_read_b128 v[1:4], v66
	s_andn2_b32 vcc_lo, exec_lo, s38
	s_cbranch_vccnz .LBB93_142
; %bb.141:
	s_clause 0x3
	buffer_load_dword v67, v65, s[0:3], 0 offen offset:8
	buffer_load_dword v68, v65, s[0:3], 0 offen offset:12
	buffer_load_dword v69, v65, s[0:3], 0 offen
	buffer_load_dword v70, v65, s[0:3], 0 offen offset:4
	s_waitcnt vmcnt(2) lgkmcnt(0)
	v_mul_f64 v[72:73], v[3:4], v[67:68]
	v_mul_f64 v[67:68], v[1:2], v[67:68]
	s_waitcnt vmcnt(0)
	v_fma_f64 v[1:2], v[1:2], v[69:70], -v[72:73]
	v_fma_f64 v[3:4], v[3:4], v[69:70], v[67:68]
.LBB93_142:
	s_and_saveexec_b32 s8, s4
	s_cbranch_execz .LBB93_146
; %bb.143:
	v_add_nc_u32_e32 v67, -12, v0
	s_movk_i32 s39, 0x2a0
	s_mov_b32 s4, 0
	s_mov_b32 s40, s25
	.p2align	6
.LBB93_144:                             ; =>This Inner Loop Header: Depth=1
	v_mov_b32_e32 v70, s40
	v_add_nc_u32_e32 v67, -1, v67
	s_add_i32 s40, s40, 16
	s_clause 0x3
	buffer_load_dword v68, v70, s[0:3], 0 offen offset:8
	buffer_load_dword v69, v70, s[0:3], 0 offen offset:12
	buffer_load_dword v76, v70, s[0:3], 0 offen
	buffer_load_dword v77, v70, s[0:3], 0 offen offset:4
	v_mov_b32_e32 v70, s39
	v_cmp_eq_u32_e32 vcc_lo, 0, v67
	s_add_i32 s39, s39, 16
	ds_read_b128 v[72:75], v70
	s_or_b32 s4, vcc_lo, s4
	s_waitcnt vmcnt(2) lgkmcnt(0)
	v_mul_f64 v[78:79], v[74:75], v[68:69]
	v_mul_f64 v[68:69], v[72:73], v[68:69]
	s_waitcnt vmcnt(0)
	v_fma_f64 v[72:73], v[72:73], v[76:77], -v[78:79]
	v_fma_f64 v[68:69], v[74:75], v[76:77], v[68:69]
	v_add_f64 v[1:2], v[1:2], v[72:73]
	v_add_f64 v[3:4], v[3:4], v[68:69]
	s_andn2_b32 exec_lo, exec_lo, s4
	s_cbranch_execnz .LBB93_144
; %bb.145:
	s_or_b32 exec_lo, exec_lo, s4
.LBB93_146:
	s_or_b32 exec_lo, exec_lo, s8
	v_mov_b32_e32 v67, 0
	ds_read_b128 v[67:70], v67 offset:176
	s_waitcnt lgkmcnt(0)
	v_mul_f64 v[72:73], v[3:4], v[69:70]
	v_mul_f64 v[69:70], v[1:2], v[69:70]
	v_fma_f64 v[1:2], v[1:2], v[67:68], -v[72:73]
	v_fma_f64 v[3:4], v[3:4], v[67:68], v[69:70]
	buffer_store_dword v2, off, s[0:3], 0 offset:180
	buffer_store_dword v1, off, s[0:3], 0 offset:176
	buffer_store_dword v4, off, s[0:3], 0 offset:188
	buffer_store_dword v3, off, s[0:3], 0 offset:184
.LBB93_147:
	s_or_b32 exec_lo, exec_lo, s6
	v_mov_b32_e32 v4, s27
	v_cmp_lt_u32_e64 s4, 10, v0
	s_clause 0x3
	buffer_load_dword v1, v4, s[0:3], 0 offen
	buffer_load_dword v2, v4, s[0:3], 0 offen offset:4
	buffer_load_dword v3, v4, s[0:3], 0 offen offset:8
	;; [unrolled: 1-line block ×3, first 2 shown]
	s_waitcnt vmcnt(0)
	ds_write_b128 v66, v[1:4]
	s_waitcnt lgkmcnt(0)
	s_waitcnt_vscnt null, 0x0
	s_barrier
	buffer_gl0_inv
	s_and_saveexec_b32 s6, s4
	s_cbranch_execz .LBB93_155
; %bb.148:
	ds_read_b128 v[1:4], v66
	s_andn2_b32 vcc_lo, exec_lo, s38
	s_cbranch_vccnz .LBB93_150
; %bb.149:
	s_clause 0x3
	buffer_load_dword v67, v65, s[0:3], 0 offen offset:8
	buffer_load_dword v68, v65, s[0:3], 0 offen offset:12
	buffer_load_dword v69, v65, s[0:3], 0 offen
	buffer_load_dword v70, v65, s[0:3], 0 offen offset:4
	s_waitcnt vmcnt(2) lgkmcnt(0)
	v_mul_f64 v[72:73], v[3:4], v[67:68]
	v_mul_f64 v[67:68], v[1:2], v[67:68]
	s_waitcnt vmcnt(0)
	v_fma_f64 v[1:2], v[1:2], v[69:70], -v[72:73]
	v_fma_f64 v[3:4], v[3:4], v[69:70], v[67:68]
.LBB93_150:
	s_and_saveexec_b32 s8, s5
	s_cbranch_execz .LBB93_154
; %bb.151:
	v_add_nc_u32_e32 v67, -11, v0
	s_movk_i32 s39, 0x290
	s_mov_b32 s5, 0
	s_mov_b32 s40, s26
	.p2align	6
.LBB93_152:                             ; =>This Inner Loop Header: Depth=1
	v_mov_b32_e32 v70, s40
	v_add_nc_u32_e32 v67, -1, v67
	s_add_i32 s40, s40, 16
	s_clause 0x3
	buffer_load_dword v68, v70, s[0:3], 0 offen offset:8
	buffer_load_dword v69, v70, s[0:3], 0 offen offset:12
	buffer_load_dword v76, v70, s[0:3], 0 offen
	buffer_load_dword v77, v70, s[0:3], 0 offen offset:4
	v_mov_b32_e32 v70, s39
	v_cmp_eq_u32_e32 vcc_lo, 0, v67
	s_add_i32 s39, s39, 16
	ds_read_b128 v[72:75], v70
	s_or_b32 s5, vcc_lo, s5
	s_waitcnt vmcnt(2) lgkmcnt(0)
	v_mul_f64 v[78:79], v[74:75], v[68:69]
	v_mul_f64 v[68:69], v[72:73], v[68:69]
	s_waitcnt vmcnt(0)
	v_fma_f64 v[72:73], v[72:73], v[76:77], -v[78:79]
	v_fma_f64 v[68:69], v[74:75], v[76:77], v[68:69]
	v_add_f64 v[1:2], v[1:2], v[72:73]
	v_add_f64 v[3:4], v[3:4], v[68:69]
	s_andn2_b32 exec_lo, exec_lo, s5
	s_cbranch_execnz .LBB93_152
; %bb.153:
	s_or_b32 exec_lo, exec_lo, s5
.LBB93_154:
	s_or_b32 exec_lo, exec_lo, s8
	v_mov_b32_e32 v67, 0
	ds_read_b128 v[67:70], v67 offset:160
	s_waitcnt lgkmcnt(0)
	v_mul_f64 v[72:73], v[3:4], v[69:70]
	v_mul_f64 v[69:70], v[1:2], v[69:70]
	v_fma_f64 v[1:2], v[1:2], v[67:68], -v[72:73]
	v_fma_f64 v[3:4], v[3:4], v[67:68], v[69:70]
	buffer_store_dword v2, off, s[0:3], 0 offset:164
	buffer_store_dword v1, off, s[0:3], 0 offset:160
	;; [unrolled: 1-line block ×4, first 2 shown]
.LBB93_155:
	s_or_b32 exec_lo, exec_lo, s6
	v_mov_b32_e32 v4, s28
	v_cmp_lt_u32_e64 s5, 9, v0
	s_clause 0x3
	buffer_load_dword v1, v4, s[0:3], 0 offen
	buffer_load_dword v2, v4, s[0:3], 0 offen offset:4
	buffer_load_dword v3, v4, s[0:3], 0 offen offset:8
	;; [unrolled: 1-line block ×3, first 2 shown]
	s_waitcnt vmcnt(0)
	ds_write_b128 v66, v[1:4]
	s_waitcnt lgkmcnt(0)
	s_waitcnt_vscnt null, 0x0
	s_barrier
	buffer_gl0_inv
	s_and_saveexec_b32 s6, s5
	s_cbranch_execz .LBB93_163
; %bb.156:
	ds_read_b128 v[1:4], v66
	s_andn2_b32 vcc_lo, exec_lo, s38
	s_cbranch_vccnz .LBB93_158
; %bb.157:
	s_clause 0x3
	buffer_load_dword v67, v65, s[0:3], 0 offen offset:8
	buffer_load_dword v68, v65, s[0:3], 0 offen offset:12
	buffer_load_dword v69, v65, s[0:3], 0 offen
	buffer_load_dword v70, v65, s[0:3], 0 offen offset:4
	s_waitcnt vmcnt(2) lgkmcnt(0)
	v_mul_f64 v[72:73], v[3:4], v[67:68]
	v_mul_f64 v[67:68], v[1:2], v[67:68]
	s_waitcnt vmcnt(0)
	v_fma_f64 v[1:2], v[1:2], v[69:70], -v[72:73]
	v_fma_f64 v[3:4], v[3:4], v[69:70], v[67:68]
.LBB93_158:
	s_and_saveexec_b32 s8, s4
	s_cbranch_execz .LBB93_162
; %bb.159:
	v_add_nc_u32_e32 v67, -10, v0
	s_movk_i32 s39, 0x280
	s_mov_b32 s4, 0
	s_mov_b32 s40, s27
	.p2align	6
.LBB93_160:                             ; =>This Inner Loop Header: Depth=1
	v_mov_b32_e32 v70, s40
	v_add_nc_u32_e32 v67, -1, v67
	s_add_i32 s40, s40, 16
	s_clause 0x3
	buffer_load_dword v68, v70, s[0:3], 0 offen offset:8
	buffer_load_dword v69, v70, s[0:3], 0 offen offset:12
	buffer_load_dword v76, v70, s[0:3], 0 offen
	buffer_load_dword v77, v70, s[0:3], 0 offen offset:4
	v_mov_b32_e32 v70, s39
	v_cmp_eq_u32_e32 vcc_lo, 0, v67
	s_add_i32 s39, s39, 16
	ds_read_b128 v[72:75], v70
	s_or_b32 s4, vcc_lo, s4
	s_waitcnt vmcnt(2) lgkmcnt(0)
	v_mul_f64 v[78:79], v[74:75], v[68:69]
	v_mul_f64 v[68:69], v[72:73], v[68:69]
	s_waitcnt vmcnt(0)
	v_fma_f64 v[72:73], v[72:73], v[76:77], -v[78:79]
	v_fma_f64 v[68:69], v[74:75], v[76:77], v[68:69]
	v_add_f64 v[1:2], v[1:2], v[72:73]
	v_add_f64 v[3:4], v[3:4], v[68:69]
	s_andn2_b32 exec_lo, exec_lo, s4
	s_cbranch_execnz .LBB93_160
; %bb.161:
	s_or_b32 exec_lo, exec_lo, s4
.LBB93_162:
	s_or_b32 exec_lo, exec_lo, s8
	v_mov_b32_e32 v67, 0
	ds_read_b128 v[67:70], v67 offset:144
	s_waitcnt lgkmcnt(0)
	v_mul_f64 v[72:73], v[3:4], v[69:70]
	v_mul_f64 v[69:70], v[1:2], v[69:70]
	v_fma_f64 v[1:2], v[1:2], v[67:68], -v[72:73]
	v_fma_f64 v[3:4], v[3:4], v[67:68], v[69:70]
	buffer_store_dword v2, off, s[0:3], 0 offset:148
	buffer_store_dword v1, off, s[0:3], 0 offset:144
	;; [unrolled: 1-line block ×4, first 2 shown]
.LBB93_163:
	s_or_b32 exec_lo, exec_lo, s6
	v_mov_b32_e32 v4, s29
	v_cmp_lt_u32_e64 s4, 8, v0
	s_clause 0x3
	buffer_load_dword v1, v4, s[0:3], 0 offen
	buffer_load_dword v2, v4, s[0:3], 0 offen offset:4
	buffer_load_dword v3, v4, s[0:3], 0 offen offset:8
	buffer_load_dword v4, v4, s[0:3], 0 offen offset:12
	s_waitcnt vmcnt(0)
	ds_write_b128 v66, v[1:4]
	s_waitcnt lgkmcnt(0)
	s_waitcnt_vscnt null, 0x0
	s_barrier
	buffer_gl0_inv
	s_and_saveexec_b32 s6, s4
	s_cbranch_execz .LBB93_171
; %bb.164:
	ds_read_b128 v[1:4], v66
	s_andn2_b32 vcc_lo, exec_lo, s38
	s_cbranch_vccnz .LBB93_166
; %bb.165:
	s_clause 0x3
	buffer_load_dword v67, v65, s[0:3], 0 offen offset:8
	buffer_load_dword v68, v65, s[0:3], 0 offen offset:12
	buffer_load_dword v69, v65, s[0:3], 0 offen
	buffer_load_dword v70, v65, s[0:3], 0 offen offset:4
	s_waitcnt vmcnt(2) lgkmcnt(0)
	v_mul_f64 v[72:73], v[3:4], v[67:68]
	v_mul_f64 v[67:68], v[1:2], v[67:68]
	s_waitcnt vmcnt(0)
	v_fma_f64 v[1:2], v[1:2], v[69:70], -v[72:73]
	v_fma_f64 v[3:4], v[3:4], v[69:70], v[67:68]
.LBB93_166:
	s_and_saveexec_b32 s8, s5
	s_cbranch_execz .LBB93_170
; %bb.167:
	v_add_nc_u32_e32 v67, -9, v0
	s_movk_i32 s39, 0x270
	s_mov_b32 s5, 0
	s_mov_b32 s40, s28
	.p2align	6
.LBB93_168:                             ; =>This Inner Loop Header: Depth=1
	v_mov_b32_e32 v70, s40
	v_add_nc_u32_e32 v67, -1, v67
	s_add_i32 s40, s40, 16
	s_clause 0x3
	buffer_load_dword v68, v70, s[0:3], 0 offen offset:8
	buffer_load_dword v69, v70, s[0:3], 0 offen offset:12
	buffer_load_dword v76, v70, s[0:3], 0 offen
	buffer_load_dword v77, v70, s[0:3], 0 offen offset:4
	v_mov_b32_e32 v70, s39
	v_cmp_eq_u32_e32 vcc_lo, 0, v67
	s_add_i32 s39, s39, 16
	ds_read_b128 v[72:75], v70
	s_or_b32 s5, vcc_lo, s5
	s_waitcnt vmcnt(2) lgkmcnt(0)
	v_mul_f64 v[78:79], v[74:75], v[68:69]
	v_mul_f64 v[68:69], v[72:73], v[68:69]
	s_waitcnt vmcnt(0)
	v_fma_f64 v[72:73], v[72:73], v[76:77], -v[78:79]
	v_fma_f64 v[68:69], v[74:75], v[76:77], v[68:69]
	v_add_f64 v[1:2], v[1:2], v[72:73]
	v_add_f64 v[3:4], v[3:4], v[68:69]
	s_andn2_b32 exec_lo, exec_lo, s5
	s_cbranch_execnz .LBB93_168
; %bb.169:
	s_or_b32 exec_lo, exec_lo, s5
.LBB93_170:
	s_or_b32 exec_lo, exec_lo, s8
	v_mov_b32_e32 v67, 0
	ds_read_b128 v[67:70], v67 offset:128
	s_waitcnt lgkmcnt(0)
	v_mul_f64 v[72:73], v[3:4], v[69:70]
	v_mul_f64 v[69:70], v[1:2], v[69:70]
	v_fma_f64 v[1:2], v[1:2], v[67:68], -v[72:73]
	v_fma_f64 v[3:4], v[3:4], v[67:68], v[69:70]
	buffer_store_dword v2, off, s[0:3], 0 offset:132
	buffer_store_dword v1, off, s[0:3], 0 offset:128
	;; [unrolled: 1-line block ×4, first 2 shown]
.LBB93_171:
	s_or_b32 exec_lo, exec_lo, s6
	v_mov_b32_e32 v4, s30
	v_cmp_lt_u32_e64 s5, 7, v0
	s_clause 0x3
	buffer_load_dword v1, v4, s[0:3], 0 offen
	buffer_load_dword v2, v4, s[0:3], 0 offen offset:4
	buffer_load_dword v3, v4, s[0:3], 0 offen offset:8
	;; [unrolled: 1-line block ×3, first 2 shown]
	s_waitcnt vmcnt(0)
	ds_write_b128 v66, v[1:4]
	s_waitcnt lgkmcnt(0)
	s_waitcnt_vscnt null, 0x0
	s_barrier
	buffer_gl0_inv
	s_and_saveexec_b32 s6, s5
	s_cbranch_execz .LBB93_179
; %bb.172:
	ds_read_b128 v[1:4], v66
	s_andn2_b32 vcc_lo, exec_lo, s38
	s_cbranch_vccnz .LBB93_174
; %bb.173:
	s_clause 0x3
	buffer_load_dword v67, v65, s[0:3], 0 offen offset:8
	buffer_load_dword v68, v65, s[0:3], 0 offen offset:12
	buffer_load_dword v69, v65, s[0:3], 0 offen
	buffer_load_dword v70, v65, s[0:3], 0 offen offset:4
	s_waitcnt vmcnt(2) lgkmcnt(0)
	v_mul_f64 v[72:73], v[3:4], v[67:68]
	v_mul_f64 v[67:68], v[1:2], v[67:68]
	s_waitcnt vmcnt(0)
	v_fma_f64 v[1:2], v[1:2], v[69:70], -v[72:73]
	v_fma_f64 v[3:4], v[3:4], v[69:70], v[67:68]
.LBB93_174:
	s_and_saveexec_b32 s8, s4
	s_cbranch_execz .LBB93_178
; %bb.175:
	v_add_nc_u32_e32 v67, -8, v0
	s_movk_i32 s39, 0x260
	s_mov_b32 s4, 0
	s_mov_b32 s40, s29
	.p2align	6
.LBB93_176:                             ; =>This Inner Loop Header: Depth=1
	v_mov_b32_e32 v70, s40
	v_add_nc_u32_e32 v67, -1, v67
	s_add_i32 s40, s40, 16
	s_clause 0x3
	buffer_load_dword v68, v70, s[0:3], 0 offen offset:8
	buffer_load_dword v69, v70, s[0:3], 0 offen offset:12
	buffer_load_dword v76, v70, s[0:3], 0 offen
	buffer_load_dword v77, v70, s[0:3], 0 offen offset:4
	v_mov_b32_e32 v70, s39
	v_cmp_eq_u32_e32 vcc_lo, 0, v67
	s_add_i32 s39, s39, 16
	ds_read_b128 v[72:75], v70
	s_or_b32 s4, vcc_lo, s4
	s_waitcnt vmcnt(2) lgkmcnt(0)
	v_mul_f64 v[78:79], v[74:75], v[68:69]
	v_mul_f64 v[68:69], v[72:73], v[68:69]
	s_waitcnt vmcnt(0)
	v_fma_f64 v[72:73], v[72:73], v[76:77], -v[78:79]
	v_fma_f64 v[68:69], v[74:75], v[76:77], v[68:69]
	v_add_f64 v[1:2], v[1:2], v[72:73]
	v_add_f64 v[3:4], v[3:4], v[68:69]
	s_andn2_b32 exec_lo, exec_lo, s4
	s_cbranch_execnz .LBB93_176
; %bb.177:
	s_or_b32 exec_lo, exec_lo, s4
.LBB93_178:
	s_or_b32 exec_lo, exec_lo, s8
	v_mov_b32_e32 v67, 0
	ds_read_b128 v[67:70], v67 offset:112
	s_waitcnt lgkmcnt(0)
	v_mul_f64 v[72:73], v[3:4], v[69:70]
	v_mul_f64 v[69:70], v[1:2], v[69:70]
	v_fma_f64 v[1:2], v[1:2], v[67:68], -v[72:73]
	v_fma_f64 v[3:4], v[3:4], v[67:68], v[69:70]
	buffer_store_dword v2, off, s[0:3], 0 offset:116
	buffer_store_dword v1, off, s[0:3], 0 offset:112
	;; [unrolled: 1-line block ×4, first 2 shown]
.LBB93_179:
	s_or_b32 exec_lo, exec_lo, s6
	v_mov_b32_e32 v4, s31
	v_cmp_lt_u32_e64 s4, 6, v0
	s_clause 0x3
	buffer_load_dword v1, v4, s[0:3], 0 offen
	buffer_load_dword v2, v4, s[0:3], 0 offen offset:4
	buffer_load_dword v3, v4, s[0:3], 0 offen offset:8
	;; [unrolled: 1-line block ×3, first 2 shown]
	s_waitcnt vmcnt(0)
	ds_write_b128 v66, v[1:4]
	s_waitcnt lgkmcnt(0)
	s_waitcnt_vscnt null, 0x0
	s_barrier
	buffer_gl0_inv
	s_and_saveexec_b32 s6, s4
	s_cbranch_execz .LBB93_187
; %bb.180:
	ds_read_b128 v[1:4], v66
	s_andn2_b32 vcc_lo, exec_lo, s38
	s_cbranch_vccnz .LBB93_182
; %bb.181:
	s_clause 0x3
	buffer_load_dword v67, v65, s[0:3], 0 offen offset:8
	buffer_load_dword v68, v65, s[0:3], 0 offen offset:12
	buffer_load_dword v69, v65, s[0:3], 0 offen
	buffer_load_dword v70, v65, s[0:3], 0 offen offset:4
	s_waitcnt vmcnt(2) lgkmcnt(0)
	v_mul_f64 v[72:73], v[3:4], v[67:68]
	v_mul_f64 v[67:68], v[1:2], v[67:68]
	s_waitcnt vmcnt(0)
	v_fma_f64 v[1:2], v[1:2], v[69:70], -v[72:73]
	v_fma_f64 v[3:4], v[3:4], v[69:70], v[67:68]
.LBB93_182:
	s_and_saveexec_b32 s8, s5
	s_cbranch_execz .LBB93_186
; %bb.183:
	v_add_nc_u32_e32 v67, -7, v0
	s_movk_i32 s39, 0x250
	s_mov_b32 s5, 0
	s_mov_b32 s40, s30
	.p2align	6
.LBB93_184:                             ; =>This Inner Loop Header: Depth=1
	v_mov_b32_e32 v70, s40
	v_add_nc_u32_e32 v67, -1, v67
	s_add_i32 s40, s40, 16
	s_clause 0x3
	buffer_load_dword v68, v70, s[0:3], 0 offen offset:8
	buffer_load_dword v69, v70, s[0:3], 0 offen offset:12
	buffer_load_dword v76, v70, s[0:3], 0 offen
	buffer_load_dword v77, v70, s[0:3], 0 offen offset:4
	v_mov_b32_e32 v70, s39
	v_cmp_eq_u32_e32 vcc_lo, 0, v67
	s_add_i32 s39, s39, 16
	ds_read_b128 v[72:75], v70
	s_or_b32 s5, vcc_lo, s5
	s_waitcnt vmcnt(2) lgkmcnt(0)
	v_mul_f64 v[78:79], v[74:75], v[68:69]
	v_mul_f64 v[68:69], v[72:73], v[68:69]
	s_waitcnt vmcnt(0)
	v_fma_f64 v[72:73], v[72:73], v[76:77], -v[78:79]
	v_fma_f64 v[68:69], v[74:75], v[76:77], v[68:69]
	v_add_f64 v[1:2], v[1:2], v[72:73]
	v_add_f64 v[3:4], v[3:4], v[68:69]
	s_andn2_b32 exec_lo, exec_lo, s5
	s_cbranch_execnz .LBB93_184
; %bb.185:
	s_or_b32 exec_lo, exec_lo, s5
.LBB93_186:
	s_or_b32 exec_lo, exec_lo, s8
	v_mov_b32_e32 v67, 0
	ds_read_b128 v[67:70], v67 offset:96
	s_waitcnt lgkmcnt(0)
	v_mul_f64 v[72:73], v[3:4], v[69:70]
	v_mul_f64 v[69:70], v[1:2], v[69:70]
	v_fma_f64 v[1:2], v[1:2], v[67:68], -v[72:73]
	v_fma_f64 v[3:4], v[3:4], v[67:68], v[69:70]
	buffer_store_dword v2, off, s[0:3], 0 offset:100
	buffer_store_dword v1, off, s[0:3], 0 offset:96
	;; [unrolled: 1-line block ×4, first 2 shown]
.LBB93_187:
	s_or_b32 exec_lo, exec_lo, s6
	v_mov_b32_e32 v4, s33
	v_cmp_lt_u32_e64 s5, 5, v0
	s_clause 0x3
	buffer_load_dword v1, v4, s[0:3], 0 offen
	buffer_load_dword v2, v4, s[0:3], 0 offen offset:4
	buffer_load_dword v3, v4, s[0:3], 0 offen offset:8
	;; [unrolled: 1-line block ×3, first 2 shown]
	s_waitcnt vmcnt(0)
	ds_write_b128 v66, v[1:4]
	s_waitcnt lgkmcnt(0)
	s_waitcnt_vscnt null, 0x0
	s_barrier
	buffer_gl0_inv
	s_and_saveexec_b32 s6, s5
	s_cbranch_execz .LBB93_195
; %bb.188:
	ds_read_b128 v[1:4], v66
	s_andn2_b32 vcc_lo, exec_lo, s38
	s_cbranch_vccnz .LBB93_190
; %bb.189:
	s_clause 0x3
	buffer_load_dword v67, v65, s[0:3], 0 offen offset:8
	buffer_load_dword v68, v65, s[0:3], 0 offen offset:12
	buffer_load_dword v69, v65, s[0:3], 0 offen
	buffer_load_dword v70, v65, s[0:3], 0 offen offset:4
	s_waitcnt vmcnt(2) lgkmcnt(0)
	v_mul_f64 v[72:73], v[3:4], v[67:68]
	v_mul_f64 v[67:68], v[1:2], v[67:68]
	s_waitcnt vmcnt(0)
	v_fma_f64 v[1:2], v[1:2], v[69:70], -v[72:73]
	v_fma_f64 v[3:4], v[3:4], v[69:70], v[67:68]
.LBB93_190:
	s_and_saveexec_b32 s8, s4
	s_cbranch_execz .LBB93_194
; %bb.191:
	v_add_nc_u32_e32 v67, -6, v0
	s_movk_i32 s39, 0x240
	s_mov_b32 s4, 0
	s_mov_b32 s40, s31
	.p2align	6
.LBB93_192:                             ; =>This Inner Loop Header: Depth=1
	v_mov_b32_e32 v70, s40
	v_add_nc_u32_e32 v67, -1, v67
	s_add_i32 s40, s40, 16
	s_clause 0x3
	buffer_load_dword v68, v70, s[0:3], 0 offen offset:8
	buffer_load_dword v69, v70, s[0:3], 0 offen offset:12
	buffer_load_dword v76, v70, s[0:3], 0 offen
	buffer_load_dword v77, v70, s[0:3], 0 offen offset:4
	v_mov_b32_e32 v70, s39
	v_cmp_eq_u32_e32 vcc_lo, 0, v67
	s_add_i32 s39, s39, 16
	ds_read_b128 v[72:75], v70
	s_or_b32 s4, vcc_lo, s4
	s_waitcnt vmcnt(2) lgkmcnt(0)
	v_mul_f64 v[78:79], v[74:75], v[68:69]
	v_mul_f64 v[68:69], v[72:73], v[68:69]
	s_waitcnt vmcnt(0)
	v_fma_f64 v[72:73], v[72:73], v[76:77], -v[78:79]
	v_fma_f64 v[68:69], v[74:75], v[76:77], v[68:69]
	v_add_f64 v[1:2], v[1:2], v[72:73]
	v_add_f64 v[3:4], v[3:4], v[68:69]
	s_andn2_b32 exec_lo, exec_lo, s4
	s_cbranch_execnz .LBB93_192
; %bb.193:
	s_or_b32 exec_lo, exec_lo, s4
.LBB93_194:
	s_or_b32 exec_lo, exec_lo, s8
	v_mov_b32_e32 v67, 0
	ds_read_b128 v[67:70], v67 offset:80
	s_waitcnt lgkmcnt(0)
	v_mul_f64 v[72:73], v[3:4], v[69:70]
	v_mul_f64 v[69:70], v[1:2], v[69:70]
	v_fma_f64 v[1:2], v[1:2], v[67:68], -v[72:73]
	v_fma_f64 v[3:4], v[3:4], v[67:68], v[69:70]
	buffer_store_dword v2, off, s[0:3], 0 offset:84
	buffer_store_dword v1, off, s[0:3], 0 offset:80
	;; [unrolled: 1-line block ×4, first 2 shown]
.LBB93_195:
	s_or_b32 exec_lo, exec_lo, s6
	v_mov_b32_e32 v4, s34
	v_cmp_lt_u32_e64 s4, 4, v0
	s_clause 0x3
	buffer_load_dword v1, v4, s[0:3], 0 offen
	buffer_load_dword v2, v4, s[0:3], 0 offen offset:4
	buffer_load_dword v3, v4, s[0:3], 0 offen offset:8
	;; [unrolled: 1-line block ×3, first 2 shown]
	s_waitcnt vmcnt(0)
	ds_write_b128 v66, v[1:4]
	s_waitcnt lgkmcnt(0)
	s_waitcnt_vscnt null, 0x0
	s_barrier
	buffer_gl0_inv
	s_and_saveexec_b32 s6, s4
	s_cbranch_execz .LBB93_203
; %bb.196:
	ds_read_b128 v[1:4], v66
	s_andn2_b32 vcc_lo, exec_lo, s38
	s_cbranch_vccnz .LBB93_198
; %bb.197:
	s_clause 0x3
	buffer_load_dword v67, v65, s[0:3], 0 offen offset:8
	buffer_load_dword v68, v65, s[0:3], 0 offen offset:12
	buffer_load_dword v69, v65, s[0:3], 0 offen
	buffer_load_dword v70, v65, s[0:3], 0 offen offset:4
	s_waitcnt vmcnt(2) lgkmcnt(0)
	v_mul_f64 v[72:73], v[3:4], v[67:68]
	v_mul_f64 v[67:68], v[1:2], v[67:68]
	s_waitcnt vmcnt(0)
	v_fma_f64 v[1:2], v[1:2], v[69:70], -v[72:73]
	v_fma_f64 v[3:4], v[3:4], v[69:70], v[67:68]
.LBB93_198:
	s_and_saveexec_b32 s8, s5
	s_cbranch_execz .LBB93_202
; %bb.199:
	v_add_nc_u32_e32 v67, -5, v0
	s_movk_i32 s39, 0x230
	s_mov_b32 s5, 0
	s_mov_b32 s40, s33
	.p2align	6
.LBB93_200:                             ; =>This Inner Loop Header: Depth=1
	v_mov_b32_e32 v70, s40
	v_add_nc_u32_e32 v67, -1, v67
	s_add_i32 s40, s40, 16
	s_clause 0x3
	buffer_load_dword v68, v70, s[0:3], 0 offen offset:8
	buffer_load_dword v69, v70, s[0:3], 0 offen offset:12
	buffer_load_dword v76, v70, s[0:3], 0 offen
	buffer_load_dword v77, v70, s[0:3], 0 offen offset:4
	v_mov_b32_e32 v70, s39
	v_cmp_eq_u32_e32 vcc_lo, 0, v67
	s_add_i32 s39, s39, 16
	ds_read_b128 v[72:75], v70
	s_or_b32 s5, vcc_lo, s5
	s_waitcnt vmcnt(2) lgkmcnt(0)
	v_mul_f64 v[78:79], v[74:75], v[68:69]
	v_mul_f64 v[68:69], v[72:73], v[68:69]
	s_waitcnt vmcnt(0)
	v_fma_f64 v[72:73], v[72:73], v[76:77], -v[78:79]
	v_fma_f64 v[68:69], v[74:75], v[76:77], v[68:69]
	v_add_f64 v[1:2], v[1:2], v[72:73]
	v_add_f64 v[3:4], v[3:4], v[68:69]
	s_andn2_b32 exec_lo, exec_lo, s5
	s_cbranch_execnz .LBB93_200
; %bb.201:
	s_or_b32 exec_lo, exec_lo, s5
.LBB93_202:
	s_or_b32 exec_lo, exec_lo, s8
	v_mov_b32_e32 v67, 0
	ds_read_b128 v[67:70], v67 offset:64
	s_waitcnt lgkmcnt(0)
	v_mul_f64 v[72:73], v[3:4], v[69:70]
	v_mul_f64 v[69:70], v[1:2], v[69:70]
	v_fma_f64 v[1:2], v[1:2], v[67:68], -v[72:73]
	v_fma_f64 v[3:4], v[3:4], v[67:68], v[69:70]
	buffer_store_dword v2, off, s[0:3], 0 offset:68
	buffer_store_dword v1, off, s[0:3], 0 offset:64
	;; [unrolled: 1-line block ×4, first 2 shown]
.LBB93_203:
	s_or_b32 exec_lo, exec_lo, s6
	v_mov_b32_e32 v4, s35
	v_cmp_lt_u32_e64 s5, 3, v0
	s_clause 0x3
	buffer_load_dword v1, v4, s[0:3], 0 offen
	buffer_load_dword v2, v4, s[0:3], 0 offen offset:4
	buffer_load_dword v3, v4, s[0:3], 0 offen offset:8
	;; [unrolled: 1-line block ×3, first 2 shown]
	s_waitcnt vmcnt(0)
	ds_write_b128 v66, v[1:4]
	s_waitcnt lgkmcnt(0)
	s_waitcnt_vscnt null, 0x0
	s_barrier
	buffer_gl0_inv
	s_and_saveexec_b32 s6, s5
	s_cbranch_execz .LBB93_211
; %bb.204:
	ds_read_b128 v[1:4], v66
	s_andn2_b32 vcc_lo, exec_lo, s38
	s_cbranch_vccnz .LBB93_206
; %bb.205:
	s_clause 0x3
	buffer_load_dword v67, v65, s[0:3], 0 offen offset:8
	buffer_load_dword v68, v65, s[0:3], 0 offen offset:12
	buffer_load_dword v69, v65, s[0:3], 0 offen
	buffer_load_dword v70, v65, s[0:3], 0 offen offset:4
	s_waitcnt vmcnt(2) lgkmcnt(0)
	v_mul_f64 v[72:73], v[3:4], v[67:68]
	v_mul_f64 v[67:68], v[1:2], v[67:68]
	s_waitcnt vmcnt(0)
	v_fma_f64 v[1:2], v[1:2], v[69:70], -v[72:73]
	v_fma_f64 v[3:4], v[3:4], v[69:70], v[67:68]
.LBB93_206:
	s_and_saveexec_b32 s8, s4
	s_cbranch_execz .LBB93_210
; %bb.207:
	v_add_nc_u32_e32 v67, -4, v0
	s_movk_i32 s39, 0x220
	s_mov_b32 s4, 0
	s_mov_b32 s40, s34
	.p2align	6
.LBB93_208:                             ; =>This Inner Loop Header: Depth=1
	v_mov_b32_e32 v70, s40
	v_add_nc_u32_e32 v67, -1, v67
	s_add_i32 s40, s40, 16
	s_clause 0x3
	buffer_load_dword v68, v70, s[0:3], 0 offen offset:8
	buffer_load_dword v69, v70, s[0:3], 0 offen offset:12
	buffer_load_dword v76, v70, s[0:3], 0 offen
	buffer_load_dword v77, v70, s[0:3], 0 offen offset:4
	v_mov_b32_e32 v70, s39
	v_cmp_eq_u32_e32 vcc_lo, 0, v67
	s_add_i32 s39, s39, 16
	ds_read_b128 v[72:75], v70
	s_or_b32 s4, vcc_lo, s4
	s_waitcnt vmcnt(2) lgkmcnt(0)
	v_mul_f64 v[78:79], v[74:75], v[68:69]
	v_mul_f64 v[68:69], v[72:73], v[68:69]
	s_waitcnt vmcnt(0)
	v_fma_f64 v[72:73], v[72:73], v[76:77], -v[78:79]
	v_fma_f64 v[68:69], v[74:75], v[76:77], v[68:69]
	v_add_f64 v[1:2], v[1:2], v[72:73]
	v_add_f64 v[3:4], v[3:4], v[68:69]
	s_andn2_b32 exec_lo, exec_lo, s4
	s_cbranch_execnz .LBB93_208
; %bb.209:
	s_or_b32 exec_lo, exec_lo, s4
.LBB93_210:
	s_or_b32 exec_lo, exec_lo, s8
	v_mov_b32_e32 v67, 0
	ds_read_b128 v[67:70], v67 offset:48
	s_waitcnt lgkmcnt(0)
	v_mul_f64 v[72:73], v[3:4], v[69:70]
	v_mul_f64 v[69:70], v[1:2], v[69:70]
	v_fma_f64 v[1:2], v[1:2], v[67:68], -v[72:73]
	v_fma_f64 v[3:4], v[3:4], v[67:68], v[69:70]
	buffer_store_dword v2, off, s[0:3], 0 offset:52
	buffer_store_dword v1, off, s[0:3], 0 offset:48
	;; [unrolled: 1-line block ×4, first 2 shown]
.LBB93_211:
	s_or_b32 exec_lo, exec_lo, s6
	v_mov_b32_e32 v4, s36
	v_cmp_lt_u32_e64 s6, 2, v0
	s_clause 0x3
	buffer_load_dword v1, v4, s[0:3], 0 offen
	buffer_load_dword v2, v4, s[0:3], 0 offen offset:4
	buffer_load_dword v3, v4, s[0:3], 0 offen offset:8
	;; [unrolled: 1-line block ×3, first 2 shown]
	s_waitcnt vmcnt(0)
	ds_write_b128 v66, v[1:4]
	s_waitcnt lgkmcnt(0)
	s_waitcnt_vscnt null, 0x0
	s_barrier
	buffer_gl0_inv
	s_and_saveexec_b32 s4, s6
	s_cbranch_execz .LBB93_219
; %bb.212:
	ds_read_b128 v[1:4], v66
	s_andn2_b32 vcc_lo, exec_lo, s38
	s_cbranch_vccnz .LBB93_214
; %bb.213:
	s_clause 0x3
	buffer_load_dword v67, v65, s[0:3], 0 offen offset:8
	buffer_load_dword v68, v65, s[0:3], 0 offen offset:12
	buffer_load_dword v69, v65, s[0:3], 0 offen
	buffer_load_dword v70, v65, s[0:3], 0 offen offset:4
	s_waitcnt vmcnt(2) lgkmcnt(0)
	v_mul_f64 v[72:73], v[3:4], v[67:68]
	v_mul_f64 v[67:68], v[1:2], v[67:68]
	s_waitcnt vmcnt(0)
	v_fma_f64 v[1:2], v[1:2], v[69:70], -v[72:73]
	v_fma_f64 v[3:4], v[3:4], v[69:70], v[67:68]
.LBB93_214:
	s_and_saveexec_b32 s8, s5
	s_cbranch_execz .LBB93_218
; %bb.215:
	v_add_nc_u32_e32 v67, -3, v0
	s_movk_i32 s39, 0x210
	s_mov_b32 s5, 0
	s_mov_b32 s40, s35
	.p2align	6
.LBB93_216:                             ; =>This Inner Loop Header: Depth=1
	v_mov_b32_e32 v70, s40
	v_add_nc_u32_e32 v67, -1, v67
	s_add_i32 s40, s40, 16
	s_clause 0x3
	buffer_load_dword v68, v70, s[0:3], 0 offen offset:8
	buffer_load_dword v69, v70, s[0:3], 0 offen offset:12
	buffer_load_dword v76, v70, s[0:3], 0 offen
	buffer_load_dword v77, v70, s[0:3], 0 offen offset:4
	v_mov_b32_e32 v70, s39
	v_cmp_eq_u32_e32 vcc_lo, 0, v67
	s_add_i32 s39, s39, 16
	ds_read_b128 v[72:75], v70
	s_or_b32 s5, vcc_lo, s5
	s_waitcnt vmcnt(2) lgkmcnt(0)
	v_mul_f64 v[78:79], v[74:75], v[68:69]
	v_mul_f64 v[68:69], v[72:73], v[68:69]
	s_waitcnt vmcnt(0)
	v_fma_f64 v[72:73], v[72:73], v[76:77], -v[78:79]
	v_fma_f64 v[68:69], v[74:75], v[76:77], v[68:69]
	v_add_f64 v[1:2], v[1:2], v[72:73]
	v_add_f64 v[3:4], v[3:4], v[68:69]
	s_andn2_b32 exec_lo, exec_lo, s5
	s_cbranch_execnz .LBB93_216
; %bb.217:
	s_or_b32 exec_lo, exec_lo, s5
.LBB93_218:
	s_or_b32 exec_lo, exec_lo, s8
	v_mov_b32_e32 v67, 0
	ds_read_b128 v[67:70], v67 offset:32
	s_waitcnt lgkmcnt(0)
	v_mul_f64 v[72:73], v[3:4], v[69:70]
	v_mul_f64 v[69:70], v[1:2], v[69:70]
	v_fma_f64 v[1:2], v[1:2], v[67:68], -v[72:73]
	v_fma_f64 v[3:4], v[3:4], v[67:68], v[69:70]
	buffer_store_dword v2, off, s[0:3], 0 offset:36
	buffer_store_dword v1, off, s[0:3], 0 offset:32
	;; [unrolled: 1-line block ×4, first 2 shown]
.LBB93_219:
	s_or_b32 exec_lo, exec_lo, s4
	v_mov_b32_e32 v4, s37
	v_cmp_lt_u32_e64 s4, 1, v0
	s_clause 0x3
	buffer_load_dword v1, v4, s[0:3], 0 offen
	buffer_load_dword v2, v4, s[0:3], 0 offen offset:4
	buffer_load_dword v3, v4, s[0:3], 0 offen offset:8
	;; [unrolled: 1-line block ×3, first 2 shown]
	s_waitcnt vmcnt(0)
	ds_write_b128 v66, v[1:4]
	s_waitcnt lgkmcnt(0)
	s_waitcnt_vscnt null, 0x0
	s_barrier
	buffer_gl0_inv
	s_and_saveexec_b32 s5, s4
	s_cbranch_execz .LBB93_227
; %bb.220:
	ds_read_b128 v[1:4], v66
	s_andn2_b32 vcc_lo, exec_lo, s38
	s_cbranch_vccnz .LBB93_222
; %bb.221:
	s_clause 0x3
	buffer_load_dword v67, v65, s[0:3], 0 offen offset:8
	buffer_load_dword v68, v65, s[0:3], 0 offen offset:12
	buffer_load_dword v69, v65, s[0:3], 0 offen
	buffer_load_dword v70, v65, s[0:3], 0 offen offset:4
	s_waitcnt vmcnt(2) lgkmcnt(0)
	v_mul_f64 v[72:73], v[3:4], v[67:68]
	v_mul_f64 v[67:68], v[1:2], v[67:68]
	s_waitcnt vmcnt(0)
	v_fma_f64 v[1:2], v[1:2], v[69:70], -v[72:73]
	v_fma_f64 v[3:4], v[3:4], v[69:70], v[67:68]
.LBB93_222:
	s_and_saveexec_b32 s8, s6
	s_cbranch_execz .LBB93_226
; %bb.223:
	v_add_nc_u32_e32 v67, -2, v0
	s_movk_i32 s39, 0x200
	s_mov_b32 s6, 0
	s_mov_b32 s40, s36
	.p2align	6
.LBB93_224:                             ; =>This Inner Loop Header: Depth=1
	v_mov_b32_e32 v70, s40
	v_add_nc_u32_e32 v67, -1, v67
	s_add_i32 s40, s40, 16
	s_clause 0x3
	buffer_load_dword v68, v70, s[0:3], 0 offen offset:8
	buffer_load_dword v69, v70, s[0:3], 0 offen offset:12
	buffer_load_dword v76, v70, s[0:3], 0 offen
	buffer_load_dword v77, v70, s[0:3], 0 offen offset:4
	v_mov_b32_e32 v70, s39
	v_cmp_eq_u32_e32 vcc_lo, 0, v67
	s_add_i32 s39, s39, 16
	ds_read_b128 v[72:75], v70
	s_or_b32 s6, vcc_lo, s6
	s_waitcnt vmcnt(2) lgkmcnt(0)
	v_mul_f64 v[78:79], v[74:75], v[68:69]
	v_mul_f64 v[68:69], v[72:73], v[68:69]
	s_waitcnt vmcnt(0)
	v_fma_f64 v[72:73], v[72:73], v[76:77], -v[78:79]
	v_fma_f64 v[68:69], v[74:75], v[76:77], v[68:69]
	v_add_f64 v[1:2], v[1:2], v[72:73]
	v_add_f64 v[3:4], v[3:4], v[68:69]
	s_andn2_b32 exec_lo, exec_lo, s6
	s_cbranch_execnz .LBB93_224
; %bb.225:
	s_or_b32 exec_lo, exec_lo, s6
.LBB93_226:
	s_or_b32 exec_lo, exec_lo, s8
	v_mov_b32_e32 v67, 0
	ds_read_b128 v[67:70], v67 offset:16
	s_waitcnt lgkmcnt(0)
	v_mul_f64 v[72:73], v[3:4], v[69:70]
	v_mul_f64 v[69:70], v[1:2], v[69:70]
	v_fma_f64 v[1:2], v[1:2], v[67:68], -v[72:73]
	v_fma_f64 v[3:4], v[3:4], v[67:68], v[69:70]
	buffer_store_dword v2, off, s[0:3], 0 offset:20
	buffer_store_dword v1, off, s[0:3], 0 offset:16
	;; [unrolled: 1-line block ×4, first 2 shown]
.LBB93_227:
	s_or_b32 exec_lo, exec_lo, s5
	s_clause 0x3
	buffer_load_dword v1, off, s[0:3], 0
	buffer_load_dword v2, off, s[0:3], 0 offset:4
	buffer_load_dword v3, off, s[0:3], 0 offset:8
	;; [unrolled: 1-line block ×3, first 2 shown]
	s_mov_b32 s6, 0
	s_mov_b32 s5, 0
	s_mov_b32 s8, exec_lo
                                        ; implicit-def: $sgpr39
	s_waitcnt vmcnt(0)
	ds_write_b128 v66, v[1:4]
	s_waitcnt lgkmcnt(0)
	s_waitcnt_vscnt null, 0x0
	s_barrier
	buffer_gl0_inv
                                        ; implicit-def: $vgpr1_vgpr2
	v_cmpx_ne_u32_e32 0, v0
	s_cbranch_execz .LBB93_235
; %bb.228:
	ds_read_b128 v[1:4], v66
	s_andn2_b32 vcc_lo, exec_lo, s38
	s_cbranch_vccnz .LBB93_230
; %bb.229:
	s_clause 0x3
	buffer_load_dword v67, v65, s[0:3], 0 offen offset:8
	buffer_load_dword v68, v65, s[0:3], 0 offen offset:12
	buffer_load_dword v69, v65, s[0:3], 0 offen
	buffer_load_dword v70, v65, s[0:3], 0 offen offset:4
	s_waitcnt vmcnt(2) lgkmcnt(0)
	v_mul_f64 v[72:73], v[3:4], v[67:68]
	v_mul_f64 v[67:68], v[1:2], v[67:68]
	s_waitcnt vmcnt(0)
	v_fma_f64 v[1:2], v[1:2], v[69:70], -v[72:73]
	v_fma_f64 v[3:4], v[3:4], v[69:70], v[67:68]
.LBB93_230:
	s_and_saveexec_b32 s5, s4
	s_cbranch_execz .LBB93_234
; %bb.231:
	v_add_nc_u32_e32 v67, -1, v0
	s_movk_i32 s39, 0x1f0
	s_mov_b32 s4, 0
	s_mov_b32 s40, s37
	.p2align	6
.LBB93_232:                             ; =>This Inner Loop Header: Depth=1
	v_mov_b32_e32 v70, s40
	v_add_nc_u32_e32 v67, -1, v67
	s_add_i32 s40, s40, 16
	s_clause 0x3
	buffer_load_dword v68, v70, s[0:3], 0 offen offset:8
	buffer_load_dword v69, v70, s[0:3], 0 offen offset:12
	buffer_load_dword v76, v70, s[0:3], 0 offen
	buffer_load_dword v77, v70, s[0:3], 0 offen offset:4
	v_mov_b32_e32 v70, s39
	v_cmp_eq_u32_e32 vcc_lo, 0, v67
	s_add_i32 s39, s39, 16
	ds_read_b128 v[72:75], v70
	s_or_b32 s4, vcc_lo, s4
	s_waitcnt vmcnt(2) lgkmcnt(0)
	v_mul_f64 v[78:79], v[74:75], v[68:69]
	v_mul_f64 v[68:69], v[72:73], v[68:69]
	s_waitcnt vmcnt(0)
	v_fma_f64 v[72:73], v[72:73], v[76:77], -v[78:79]
	v_fma_f64 v[68:69], v[74:75], v[76:77], v[68:69]
	v_add_f64 v[1:2], v[1:2], v[72:73]
	v_add_f64 v[3:4], v[3:4], v[68:69]
	s_andn2_b32 exec_lo, exec_lo, s4
	s_cbranch_execnz .LBB93_232
; %bb.233:
	s_or_b32 exec_lo, exec_lo, s4
.LBB93_234:
	s_or_b32 exec_lo, exec_lo, s5
	v_mov_b32_e32 v67, 0
	s_mov_b32 s5, exec_lo
	s_or_b32 s39, 0, 8
	ds_read_b128 v[67:70], v67
	s_waitcnt lgkmcnt(0)
	v_mul_f64 v[72:73], v[3:4], v[69:70]
	v_mul_f64 v[69:70], v[1:2], v[69:70]
	v_fma_f64 v[72:73], v[1:2], v[67:68], -v[72:73]
	v_fma_f64 v[1:2], v[3:4], v[67:68], v[69:70]
	buffer_store_dword v73, off, s[0:3], 0 offset:4
	buffer_store_dword v72, off, s[0:3], 0
.LBB93_235:
	s_or_b32 exec_lo, exec_lo, s8
	s_and_b32 vcc_lo, exec_lo, s6
	s_cbranch_vccnz .LBB93_237
	s_branch .LBB93_464
.LBB93_236:
	s_mov_b32 s5, 0
                                        ; implicit-def: $vgpr1_vgpr2
                                        ; implicit-def: $sgpr39
	s_cbranch_execz .LBB93_464
.LBB93_237:
	v_mov_b32_e32 v4, s37
	v_cmp_eq_u32_e64 s4, 0, v0
	v_cndmask_b32_e64 v67, 0, 1, s38
	s_clause 0x3
	buffer_load_dword v1, v4, s[0:3], 0 offen
	buffer_load_dword v2, v4, s[0:3], 0 offen offset:4
	buffer_load_dword v3, v4, s[0:3], 0 offen offset:8
	;; [unrolled: 1-line block ×3, first 2 shown]
	s_waitcnt vmcnt(0)
	ds_write_b128 v66, v[1:4]
	s_waitcnt lgkmcnt(0)
	s_waitcnt_vscnt null, 0x0
	s_barrier
	buffer_gl0_inv
	s_and_saveexec_b32 s6, s4
	s_cbranch_execz .LBB93_241
; %bb.238:
	ds_read_b128 v[1:4], v66
	s_andn2_b32 vcc_lo, exec_lo, s38
	s_cbranch_vccnz .LBB93_240
; %bb.239:
	s_clause 0x3
	buffer_load_dword v68, v65, s[0:3], 0 offen offset:8
	buffer_load_dword v69, v65, s[0:3], 0 offen offset:12
	buffer_load_dword v72, v65, s[0:3], 0 offen
	buffer_load_dword v73, v65, s[0:3], 0 offen offset:4
	s_waitcnt vmcnt(2) lgkmcnt(0)
	v_mul_f64 v[74:75], v[3:4], v[68:69]
	v_mul_f64 v[68:69], v[1:2], v[68:69]
	s_waitcnt vmcnt(0)
	v_fma_f64 v[1:2], v[1:2], v[72:73], -v[74:75]
	v_fma_f64 v[3:4], v[3:4], v[72:73], v[68:69]
.LBB93_240:
	v_mov_b32_e32 v68, 0
	ds_read_b128 v[72:75], v68 offset:16
	s_waitcnt lgkmcnt(0)
	v_mul_f64 v[68:69], v[3:4], v[74:75]
	v_mul_f64 v[74:75], v[1:2], v[74:75]
	v_fma_f64 v[1:2], v[1:2], v[72:73], -v[68:69]
	v_fma_f64 v[3:4], v[3:4], v[72:73], v[74:75]
	buffer_store_dword v2, off, s[0:3], 0 offset:20
	buffer_store_dword v1, off, s[0:3], 0 offset:16
	;; [unrolled: 1-line block ×4, first 2 shown]
.LBB93_241:
	s_or_b32 exec_lo, exec_lo, s6
	v_mov_b32_e32 v4, s36
	s_mov_b32 s6, exec_lo
	s_clause 0x3
	buffer_load_dword v1, v4, s[0:3], 0 offen
	buffer_load_dword v2, v4, s[0:3], 0 offen offset:4
	buffer_load_dword v3, v4, s[0:3], 0 offen offset:8
	;; [unrolled: 1-line block ×3, first 2 shown]
	s_waitcnt vmcnt(0)
	ds_write_b128 v66, v[1:4]
	s_waitcnt lgkmcnt(0)
	s_waitcnt_vscnt null, 0x0
	s_barrier
	buffer_gl0_inv
	v_cmpx_gt_u32_e32 2, v0
	s_cbranch_execz .LBB93_247
; %bb.242:
	ds_read_b128 v[1:4], v66
	v_cmp_ne_u32_e32 vcc_lo, 1, v67
	s_cbranch_vccnz .LBB93_244
; %bb.243:
	s_clause 0x3
	buffer_load_dword v68, v65, s[0:3], 0 offen offset:8
	buffer_load_dword v69, v65, s[0:3], 0 offen offset:12
	buffer_load_dword v72, v65, s[0:3], 0 offen
	buffer_load_dword v73, v65, s[0:3], 0 offen offset:4
	s_waitcnt vmcnt(2) lgkmcnt(0)
	v_mul_f64 v[74:75], v[3:4], v[68:69]
	v_mul_f64 v[68:69], v[1:2], v[68:69]
	s_waitcnt vmcnt(0)
	v_fma_f64 v[1:2], v[1:2], v[72:73], -v[74:75]
	v_fma_f64 v[3:4], v[3:4], v[72:73], v[68:69]
.LBB93_244:
	s_and_saveexec_b32 s8, s4
	s_cbranch_execz .LBB93_246
; %bb.245:
	s_clause 0x3
	buffer_load_dword v68, off, s[0:3], 0 offset:24
	buffer_load_dword v69, off, s[0:3], 0 offset:28
	;; [unrolled: 1-line block ×4, first 2 shown]
	v_mov_b32_e32 v70, 0
	ds_read_b128 v[72:75], v70 offset:496
	s_waitcnt vmcnt(2) lgkmcnt(0)
	v_mul_f64 v[78:79], v[74:75], v[68:69]
	v_mul_f64 v[68:69], v[72:73], v[68:69]
	s_waitcnt vmcnt(0)
	v_fma_f64 v[72:73], v[72:73], v[76:77], -v[78:79]
	v_fma_f64 v[68:69], v[74:75], v[76:77], v[68:69]
	v_add_f64 v[1:2], v[1:2], v[72:73]
	v_add_f64 v[3:4], v[3:4], v[68:69]
.LBB93_246:
	s_or_b32 exec_lo, exec_lo, s8
	v_mov_b32_e32 v68, 0
	ds_read_b128 v[72:75], v68 offset:32
	s_waitcnt lgkmcnt(0)
	v_mul_f64 v[68:69], v[3:4], v[74:75]
	v_mul_f64 v[74:75], v[1:2], v[74:75]
	v_fma_f64 v[1:2], v[1:2], v[72:73], -v[68:69]
	v_fma_f64 v[3:4], v[3:4], v[72:73], v[74:75]
	buffer_store_dword v2, off, s[0:3], 0 offset:36
	buffer_store_dword v1, off, s[0:3], 0 offset:32
	;; [unrolled: 1-line block ×4, first 2 shown]
.LBB93_247:
	s_or_b32 exec_lo, exec_lo, s6
	v_mov_b32_e32 v4, s35
	s_mov_b32 s6, exec_lo
	s_clause 0x3
	buffer_load_dword v1, v4, s[0:3], 0 offen
	buffer_load_dword v2, v4, s[0:3], 0 offen offset:4
	buffer_load_dword v3, v4, s[0:3], 0 offen offset:8
	;; [unrolled: 1-line block ×3, first 2 shown]
	s_waitcnt vmcnt(0)
	ds_write_b128 v66, v[1:4]
	s_waitcnt lgkmcnt(0)
	s_waitcnt_vscnt null, 0x0
	s_barrier
	buffer_gl0_inv
	v_cmpx_gt_u32_e32 3, v0
	s_cbranch_execz .LBB93_255
; %bb.248:
	ds_read_b128 v[1:4], v66
	v_cmp_ne_u32_e32 vcc_lo, 1, v67
	s_cbranch_vccnz .LBB93_250
; %bb.249:
	s_clause 0x3
	buffer_load_dword v68, v65, s[0:3], 0 offen offset:8
	buffer_load_dword v69, v65, s[0:3], 0 offen offset:12
	buffer_load_dword v72, v65, s[0:3], 0 offen
	buffer_load_dword v73, v65, s[0:3], 0 offen offset:4
	s_waitcnt vmcnt(2) lgkmcnt(0)
	v_mul_f64 v[74:75], v[3:4], v[68:69]
	v_mul_f64 v[68:69], v[1:2], v[68:69]
	s_waitcnt vmcnt(0)
	v_fma_f64 v[1:2], v[1:2], v[72:73], -v[74:75]
	v_fma_f64 v[3:4], v[3:4], v[72:73], v[68:69]
.LBB93_250:
	s_mov_b32 s8, exec_lo
	v_cmpx_ne_u32_e32 2, v0
	s_cbranch_execz .LBB93_254
; %bb.251:
	s_clause 0x3
	buffer_load_dword v68, v65, s[0:3], 0 offen offset:24
	buffer_load_dword v69, v65, s[0:3], 0 offen offset:28
	;; [unrolled: 1-line block ×4, first 2 shown]
	ds_read_b128 v[72:75], v66 offset:16
	s_waitcnt vmcnt(2) lgkmcnt(0)
	v_mul_f64 v[78:79], v[74:75], v[68:69]
	v_mul_f64 v[68:69], v[72:73], v[68:69]
	s_waitcnt vmcnt(0)
	v_fma_f64 v[72:73], v[72:73], v[76:77], -v[78:79]
	v_fma_f64 v[68:69], v[74:75], v[76:77], v[68:69]
	v_add_f64 v[1:2], v[1:2], v[72:73]
	v_add_f64 v[3:4], v[3:4], v[68:69]
	s_and_saveexec_b32 s38, s4
	s_cbranch_execz .LBB93_253
; %bb.252:
	s_clause 0x3
	buffer_load_dword v68, off, s[0:3], 0 offset:40
	buffer_load_dword v69, off, s[0:3], 0 offset:44
	buffer_load_dword v76, off, s[0:3], 0 offset:32
	buffer_load_dword v77, off, s[0:3], 0 offset:36
	v_mov_b32_e32 v70, 0
	ds_read_b128 v[72:75], v70 offset:512
	s_waitcnt vmcnt(2) lgkmcnt(0)
	v_mul_f64 v[78:79], v[72:73], v[68:69]
	v_mul_f64 v[68:69], v[74:75], v[68:69]
	s_waitcnt vmcnt(0)
	v_fma_f64 v[74:75], v[74:75], v[76:77], v[78:79]
	v_fma_f64 v[68:69], v[72:73], v[76:77], -v[68:69]
	v_add_f64 v[3:4], v[3:4], v[74:75]
	v_add_f64 v[1:2], v[1:2], v[68:69]
.LBB93_253:
	s_or_b32 exec_lo, exec_lo, s38
.LBB93_254:
	s_or_b32 exec_lo, exec_lo, s8
	v_mov_b32_e32 v68, 0
	ds_read_b128 v[72:75], v68 offset:48
	s_waitcnt lgkmcnt(0)
	v_mul_f64 v[68:69], v[3:4], v[74:75]
	v_mul_f64 v[74:75], v[1:2], v[74:75]
	v_fma_f64 v[1:2], v[1:2], v[72:73], -v[68:69]
	v_fma_f64 v[3:4], v[3:4], v[72:73], v[74:75]
	buffer_store_dword v2, off, s[0:3], 0 offset:52
	buffer_store_dword v1, off, s[0:3], 0 offset:48
	;; [unrolled: 1-line block ×4, first 2 shown]
.LBB93_255:
	s_or_b32 exec_lo, exec_lo, s6
	v_mov_b32_e32 v4, s34
	s_mov_b32 s4, exec_lo
	s_clause 0x3
	buffer_load_dword v1, v4, s[0:3], 0 offen
	buffer_load_dword v2, v4, s[0:3], 0 offen offset:4
	buffer_load_dword v3, v4, s[0:3], 0 offen offset:8
	;; [unrolled: 1-line block ×3, first 2 shown]
	s_waitcnt vmcnt(0)
	ds_write_b128 v66, v[1:4]
	s_waitcnt lgkmcnt(0)
	s_waitcnt_vscnt null, 0x0
	s_barrier
	buffer_gl0_inv
	v_cmpx_gt_u32_e32 4, v0
	s_cbranch_execz .LBB93_263
; %bb.256:
	ds_read_b128 v[1:4], v66
	v_cmp_ne_u32_e32 vcc_lo, 1, v67
	s_cbranch_vccnz .LBB93_258
; %bb.257:
	s_clause 0x3
	buffer_load_dword v68, v65, s[0:3], 0 offen offset:8
	buffer_load_dword v69, v65, s[0:3], 0 offen offset:12
	buffer_load_dword v72, v65, s[0:3], 0 offen
	buffer_load_dword v73, v65, s[0:3], 0 offen offset:4
	s_waitcnt vmcnt(2) lgkmcnt(0)
	v_mul_f64 v[74:75], v[3:4], v[68:69]
	v_mul_f64 v[68:69], v[1:2], v[68:69]
	s_waitcnt vmcnt(0)
	v_fma_f64 v[1:2], v[1:2], v[72:73], -v[74:75]
	v_fma_f64 v[3:4], v[3:4], v[72:73], v[68:69]
.LBB93_258:
	s_mov_b32 s6, exec_lo
	v_cmpx_ne_u32_e32 3, v0
	s_cbranch_execz .LBB93_262
; %bb.259:
	v_add_nc_u32_e32 v68, 0x1f0, v71
	v_add3_u32 v69, 0, v71, 16
	v_mov_b32_e32 v70, v0
	s_mov_b32 s8, 0
	.p2align	6
.LBB93_260:                             ; =>This Inner Loop Header: Depth=1
	s_clause 0x3
	buffer_load_dword v76, v69, s[0:3], 0 offen offset:8
	buffer_load_dword v77, v69, s[0:3], 0 offen offset:12
	buffer_load_dword v78, v69, s[0:3], 0 offen
	buffer_load_dword v79, v69, s[0:3], 0 offen offset:4
	ds_read_b128 v[72:75], v68
	v_add_nc_u32_e32 v70, 1, v70
	v_add_nc_u32_e32 v68, 16, v68
	;; [unrolled: 1-line block ×3, first 2 shown]
	v_cmp_lt_u32_e32 vcc_lo, 2, v70
	s_or_b32 s8, vcc_lo, s8
	s_waitcnt vmcnt(2) lgkmcnt(0)
	v_mul_f64 v[80:81], v[74:75], v[76:77]
	v_mul_f64 v[76:77], v[72:73], v[76:77]
	s_waitcnt vmcnt(0)
	v_fma_f64 v[72:73], v[72:73], v[78:79], -v[80:81]
	v_fma_f64 v[74:75], v[74:75], v[78:79], v[76:77]
	v_add_f64 v[1:2], v[1:2], v[72:73]
	v_add_f64 v[3:4], v[3:4], v[74:75]
	s_andn2_b32 exec_lo, exec_lo, s8
	s_cbranch_execnz .LBB93_260
; %bb.261:
	s_or_b32 exec_lo, exec_lo, s8
.LBB93_262:
	s_or_b32 exec_lo, exec_lo, s6
	v_mov_b32_e32 v68, 0
	ds_read_b128 v[72:75], v68 offset:64
	s_waitcnt lgkmcnt(0)
	v_mul_f64 v[68:69], v[3:4], v[74:75]
	v_mul_f64 v[74:75], v[1:2], v[74:75]
	v_fma_f64 v[1:2], v[1:2], v[72:73], -v[68:69]
	v_fma_f64 v[3:4], v[3:4], v[72:73], v[74:75]
	buffer_store_dword v2, off, s[0:3], 0 offset:68
	buffer_store_dword v1, off, s[0:3], 0 offset:64
	;; [unrolled: 1-line block ×4, first 2 shown]
.LBB93_263:
	s_or_b32 exec_lo, exec_lo, s4
	v_mov_b32_e32 v4, s33
	s_mov_b32 s4, exec_lo
	s_clause 0x3
	buffer_load_dword v1, v4, s[0:3], 0 offen
	buffer_load_dword v2, v4, s[0:3], 0 offen offset:4
	buffer_load_dword v3, v4, s[0:3], 0 offen offset:8
	;; [unrolled: 1-line block ×3, first 2 shown]
	s_waitcnt vmcnt(0)
	ds_write_b128 v66, v[1:4]
	s_waitcnt lgkmcnt(0)
	s_waitcnt_vscnt null, 0x0
	s_barrier
	buffer_gl0_inv
	v_cmpx_gt_u32_e32 5, v0
	s_cbranch_execz .LBB93_271
; %bb.264:
	ds_read_b128 v[1:4], v66
	v_cmp_ne_u32_e32 vcc_lo, 1, v67
	s_cbranch_vccnz .LBB93_266
; %bb.265:
	s_clause 0x3
	buffer_load_dword v68, v65, s[0:3], 0 offen offset:8
	buffer_load_dword v69, v65, s[0:3], 0 offen offset:12
	buffer_load_dword v72, v65, s[0:3], 0 offen
	buffer_load_dword v73, v65, s[0:3], 0 offen offset:4
	s_waitcnt vmcnt(2) lgkmcnt(0)
	v_mul_f64 v[74:75], v[3:4], v[68:69]
	v_mul_f64 v[68:69], v[1:2], v[68:69]
	s_waitcnt vmcnt(0)
	v_fma_f64 v[1:2], v[1:2], v[72:73], -v[74:75]
	v_fma_f64 v[3:4], v[3:4], v[72:73], v[68:69]
.LBB93_266:
	s_mov_b32 s6, exec_lo
	v_cmpx_ne_u32_e32 4, v0
	s_cbranch_execz .LBB93_270
; %bb.267:
	v_add_nc_u32_e32 v68, 0x1f0, v71
	v_add3_u32 v69, 0, v71, 16
	v_mov_b32_e32 v70, v0
	s_mov_b32 s8, 0
	.p2align	6
.LBB93_268:                             ; =>This Inner Loop Header: Depth=1
	s_clause 0x3
	buffer_load_dword v76, v69, s[0:3], 0 offen offset:8
	buffer_load_dword v77, v69, s[0:3], 0 offen offset:12
	buffer_load_dword v78, v69, s[0:3], 0 offen
	buffer_load_dword v79, v69, s[0:3], 0 offen offset:4
	ds_read_b128 v[72:75], v68
	v_add_nc_u32_e32 v70, 1, v70
	v_add_nc_u32_e32 v68, 16, v68
	v_add_nc_u32_e32 v69, 16, v69
	v_cmp_lt_u32_e32 vcc_lo, 3, v70
	s_or_b32 s8, vcc_lo, s8
	s_waitcnt vmcnt(2) lgkmcnt(0)
	v_mul_f64 v[80:81], v[74:75], v[76:77]
	v_mul_f64 v[76:77], v[72:73], v[76:77]
	s_waitcnt vmcnt(0)
	v_fma_f64 v[72:73], v[72:73], v[78:79], -v[80:81]
	v_fma_f64 v[74:75], v[74:75], v[78:79], v[76:77]
	v_add_f64 v[1:2], v[1:2], v[72:73]
	v_add_f64 v[3:4], v[3:4], v[74:75]
	s_andn2_b32 exec_lo, exec_lo, s8
	s_cbranch_execnz .LBB93_268
; %bb.269:
	s_or_b32 exec_lo, exec_lo, s8
.LBB93_270:
	s_or_b32 exec_lo, exec_lo, s6
	v_mov_b32_e32 v68, 0
	ds_read_b128 v[72:75], v68 offset:80
	s_waitcnt lgkmcnt(0)
	v_mul_f64 v[68:69], v[3:4], v[74:75]
	v_mul_f64 v[74:75], v[1:2], v[74:75]
	v_fma_f64 v[1:2], v[1:2], v[72:73], -v[68:69]
	v_fma_f64 v[3:4], v[3:4], v[72:73], v[74:75]
	buffer_store_dword v2, off, s[0:3], 0 offset:84
	buffer_store_dword v1, off, s[0:3], 0 offset:80
	buffer_store_dword v4, off, s[0:3], 0 offset:92
	buffer_store_dword v3, off, s[0:3], 0 offset:88
.LBB93_271:
	s_or_b32 exec_lo, exec_lo, s4
	v_mov_b32_e32 v4, s31
	s_mov_b32 s4, exec_lo
	s_clause 0x3
	buffer_load_dword v1, v4, s[0:3], 0 offen
	buffer_load_dword v2, v4, s[0:3], 0 offen offset:4
	buffer_load_dword v3, v4, s[0:3], 0 offen offset:8
	;; [unrolled: 1-line block ×3, first 2 shown]
	s_waitcnt vmcnt(0)
	ds_write_b128 v66, v[1:4]
	s_waitcnt lgkmcnt(0)
	s_waitcnt_vscnt null, 0x0
	s_barrier
	buffer_gl0_inv
	v_cmpx_gt_u32_e32 6, v0
	s_cbranch_execz .LBB93_279
; %bb.272:
	ds_read_b128 v[1:4], v66
	v_cmp_ne_u32_e32 vcc_lo, 1, v67
	s_cbranch_vccnz .LBB93_274
; %bb.273:
	s_clause 0x3
	buffer_load_dword v68, v65, s[0:3], 0 offen offset:8
	buffer_load_dword v69, v65, s[0:3], 0 offen offset:12
	buffer_load_dword v72, v65, s[0:3], 0 offen
	buffer_load_dword v73, v65, s[0:3], 0 offen offset:4
	s_waitcnt vmcnt(2) lgkmcnt(0)
	v_mul_f64 v[74:75], v[3:4], v[68:69]
	v_mul_f64 v[68:69], v[1:2], v[68:69]
	s_waitcnt vmcnt(0)
	v_fma_f64 v[1:2], v[1:2], v[72:73], -v[74:75]
	v_fma_f64 v[3:4], v[3:4], v[72:73], v[68:69]
.LBB93_274:
	s_mov_b32 s6, exec_lo
	v_cmpx_ne_u32_e32 5, v0
	s_cbranch_execz .LBB93_278
; %bb.275:
	v_add_nc_u32_e32 v68, 0x1f0, v71
	v_add3_u32 v69, 0, v71, 16
	v_mov_b32_e32 v70, v0
	s_mov_b32 s8, 0
	.p2align	6
.LBB93_276:                             ; =>This Inner Loop Header: Depth=1
	s_clause 0x3
	buffer_load_dword v76, v69, s[0:3], 0 offen offset:8
	buffer_load_dword v77, v69, s[0:3], 0 offen offset:12
	buffer_load_dword v78, v69, s[0:3], 0 offen
	buffer_load_dword v79, v69, s[0:3], 0 offen offset:4
	ds_read_b128 v[72:75], v68
	v_add_nc_u32_e32 v70, 1, v70
	v_add_nc_u32_e32 v68, 16, v68
	;; [unrolled: 1-line block ×3, first 2 shown]
	v_cmp_lt_u32_e32 vcc_lo, 4, v70
	s_or_b32 s8, vcc_lo, s8
	s_waitcnt vmcnt(2) lgkmcnt(0)
	v_mul_f64 v[80:81], v[74:75], v[76:77]
	v_mul_f64 v[76:77], v[72:73], v[76:77]
	s_waitcnt vmcnt(0)
	v_fma_f64 v[72:73], v[72:73], v[78:79], -v[80:81]
	v_fma_f64 v[74:75], v[74:75], v[78:79], v[76:77]
	v_add_f64 v[1:2], v[1:2], v[72:73]
	v_add_f64 v[3:4], v[3:4], v[74:75]
	s_andn2_b32 exec_lo, exec_lo, s8
	s_cbranch_execnz .LBB93_276
; %bb.277:
	s_or_b32 exec_lo, exec_lo, s8
.LBB93_278:
	s_or_b32 exec_lo, exec_lo, s6
	v_mov_b32_e32 v68, 0
	ds_read_b128 v[72:75], v68 offset:96
	s_waitcnt lgkmcnt(0)
	v_mul_f64 v[68:69], v[3:4], v[74:75]
	v_mul_f64 v[74:75], v[1:2], v[74:75]
	v_fma_f64 v[1:2], v[1:2], v[72:73], -v[68:69]
	v_fma_f64 v[3:4], v[3:4], v[72:73], v[74:75]
	buffer_store_dword v2, off, s[0:3], 0 offset:100
	buffer_store_dword v1, off, s[0:3], 0 offset:96
	;; [unrolled: 1-line block ×4, first 2 shown]
.LBB93_279:
	s_or_b32 exec_lo, exec_lo, s4
	v_mov_b32_e32 v4, s30
	s_mov_b32 s4, exec_lo
	s_clause 0x3
	buffer_load_dword v1, v4, s[0:3], 0 offen
	buffer_load_dword v2, v4, s[0:3], 0 offen offset:4
	buffer_load_dword v3, v4, s[0:3], 0 offen offset:8
	;; [unrolled: 1-line block ×3, first 2 shown]
	s_waitcnt vmcnt(0)
	ds_write_b128 v66, v[1:4]
	s_waitcnt lgkmcnt(0)
	s_waitcnt_vscnt null, 0x0
	s_barrier
	buffer_gl0_inv
	v_cmpx_gt_u32_e32 7, v0
	s_cbranch_execz .LBB93_287
; %bb.280:
	ds_read_b128 v[1:4], v66
	v_cmp_ne_u32_e32 vcc_lo, 1, v67
	s_cbranch_vccnz .LBB93_282
; %bb.281:
	s_clause 0x3
	buffer_load_dword v68, v65, s[0:3], 0 offen offset:8
	buffer_load_dword v69, v65, s[0:3], 0 offen offset:12
	buffer_load_dword v72, v65, s[0:3], 0 offen
	buffer_load_dword v73, v65, s[0:3], 0 offen offset:4
	s_waitcnt vmcnt(2) lgkmcnt(0)
	v_mul_f64 v[74:75], v[3:4], v[68:69]
	v_mul_f64 v[68:69], v[1:2], v[68:69]
	s_waitcnt vmcnt(0)
	v_fma_f64 v[1:2], v[1:2], v[72:73], -v[74:75]
	v_fma_f64 v[3:4], v[3:4], v[72:73], v[68:69]
.LBB93_282:
	s_mov_b32 s6, exec_lo
	v_cmpx_ne_u32_e32 6, v0
	s_cbranch_execz .LBB93_286
; %bb.283:
	v_add_nc_u32_e32 v68, 0x1f0, v71
	v_add3_u32 v69, 0, v71, 16
	v_mov_b32_e32 v70, v0
	s_mov_b32 s8, 0
	.p2align	6
.LBB93_284:                             ; =>This Inner Loop Header: Depth=1
	s_clause 0x3
	buffer_load_dword v76, v69, s[0:3], 0 offen offset:8
	buffer_load_dword v77, v69, s[0:3], 0 offen offset:12
	buffer_load_dword v78, v69, s[0:3], 0 offen
	buffer_load_dword v79, v69, s[0:3], 0 offen offset:4
	ds_read_b128 v[72:75], v68
	v_add_nc_u32_e32 v70, 1, v70
	v_add_nc_u32_e32 v68, 16, v68
	;; [unrolled: 1-line block ×3, first 2 shown]
	v_cmp_lt_u32_e32 vcc_lo, 5, v70
	s_or_b32 s8, vcc_lo, s8
	s_waitcnt vmcnt(2) lgkmcnt(0)
	v_mul_f64 v[80:81], v[74:75], v[76:77]
	v_mul_f64 v[76:77], v[72:73], v[76:77]
	s_waitcnt vmcnt(0)
	v_fma_f64 v[72:73], v[72:73], v[78:79], -v[80:81]
	v_fma_f64 v[74:75], v[74:75], v[78:79], v[76:77]
	v_add_f64 v[1:2], v[1:2], v[72:73]
	v_add_f64 v[3:4], v[3:4], v[74:75]
	s_andn2_b32 exec_lo, exec_lo, s8
	s_cbranch_execnz .LBB93_284
; %bb.285:
	s_or_b32 exec_lo, exec_lo, s8
.LBB93_286:
	s_or_b32 exec_lo, exec_lo, s6
	v_mov_b32_e32 v68, 0
	ds_read_b128 v[72:75], v68 offset:112
	s_waitcnt lgkmcnt(0)
	v_mul_f64 v[68:69], v[3:4], v[74:75]
	v_mul_f64 v[74:75], v[1:2], v[74:75]
	v_fma_f64 v[1:2], v[1:2], v[72:73], -v[68:69]
	v_fma_f64 v[3:4], v[3:4], v[72:73], v[74:75]
	buffer_store_dword v2, off, s[0:3], 0 offset:116
	buffer_store_dword v1, off, s[0:3], 0 offset:112
	;; [unrolled: 1-line block ×4, first 2 shown]
.LBB93_287:
	s_or_b32 exec_lo, exec_lo, s4
	v_mov_b32_e32 v4, s29
	s_mov_b32 s4, exec_lo
	s_clause 0x3
	buffer_load_dword v1, v4, s[0:3], 0 offen
	buffer_load_dword v2, v4, s[0:3], 0 offen offset:4
	buffer_load_dword v3, v4, s[0:3], 0 offen offset:8
	;; [unrolled: 1-line block ×3, first 2 shown]
	s_waitcnt vmcnt(0)
	ds_write_b128 v66, v[1:4]
	s_waitcnt lgkmcnt(0)
	s_waitcnt_vscnt null, 0x0
	s_barrier
	buffer_gl0_inv
	v_cmpx_gt_u32_e32 8, v0
	s_cbranch_execz .LBB93_295
; %bb.288:
	ds_read_b128 v[1:4], v66
	v_cmp_ne_u32_e32 vcc_lo, 1, v67
	s_cbranch_vccnz .LBB93_290
; %bb.289:
	s_clause 0x3
	buffer_load_dword v68, v65, s[0:3], 0 offen offset:8
	buffer_load_dword v69, v65, s[0:3], 0 offen offset:12
	buffer_load_dword v72, v65, s[0:3], 0 offen
	buffer_load_dword v73, v65, s[0:3], 0 offen offset:4
	s_waitcnt vmcnt(2) lgkmcnt(0)
	v_mul_f64 v[74:75], v[3:4], v[68:69]
	v_mul_f64 v[68:69], v[1:2], v[68:69]
	s_waitcnt vmcnt(0)
	v_fma_f64 v[1:2], v[1:2], v[72:73], -v[74:75]
	v_fma_f64 v[3:4], v[3:4], v[72:73], v[68:69]
.LBB93_290:
	s_mov_b32 s6, exec_lo
	v_cmpx_ne_u32_e32 7, v0
	s_cbranch_execz .LBB93_294
; %bb.291:
	v_add_nc_u32_e32 v68, 0x1f0, v71
	v_add3_u32 v69, 0, v71, 16
	v_mov_b32_e32 v70, v0
	s_mov_b32 s8, 0
	.p2align	6
.LBB93_292:                             ; =>This Inner Loop Header: Depth=1
	s_clause 0x3
	buffer_load_dword v76, v69, s[0:3], 0 offen offset:8
	buffer_load_dword v77, v69, s[0:3], 0 offen offset:12
	buffer_load_dword v78, v69, s[0:3], 0 offen
	buffer_load_dword v79, v69, s[0:3], 0 offen offset:4
	ds_read_b128 v[72:75], v68
	v_add_nc_u32_e32 v70, 1, v70
	v_add_nc_u32_e32 v68, 16, v68
	;; [unrolled: 1-line block ×3, first 2 shown]
	v_cmp_lt_u32_e32 vcc_lo, 6, v70
	s_or_b32 s8, vcc_lo, s8
	s_waitcnt vmcnt(2) lgkmcnt(0)
	v_mul_f64 v[80:81], v[74:75], v[76:77]
	v_mul_f64 v[76:77], v[72:73], v[76:77]
	s_waitcnt vmcnt(0)
	v_fma_f64 v[72:73], v[72:73], v[78:79], -v[80:81]
	v_fma_f64 v[74:75], v[74:75], v[78:79], v[76:77]
	v_add_f64 v[1:2], v[1:2], v[72:73]
	v_add_f64 v[3:4], v[3:4], v[74:75]
	s_andn2_b32 exec_lo, exec_lo, s8
	s_cbranch_execnz .LBB93_292
; %bb.293:
	s_or_b32 exec_lo, exec_lo, s8
.LBB93_294:
	s_or_b32 exec_lo, exec_lo, s6
	v_mov_b32_e32 v68, 0
	ds_read_b128 v[72:75], v68 offset:128
	s_waitcnt lgkmcnt(0)
	v_mul_f64 v[68:69], v[3:4], v[74:75]
	v_mul_f64 v[74:75], v[1:2], v[74:75]
	v_fma_f64 v[1:2], v[1:2], v[72:73], -v[68:69]
	v_fma_f64 v[3:4], v[3:4], v[72:73], v[74:75]
	buffer_store_dword v2, off, s[0:3], 0 offset:132
	buffer_store_dword v1, off, s[0:3], 0 offset:128
	;; [unrolled: 1-line block ×4, first 2 shown]
.LBB93_295:
	s_or_b32 exec_lo, exec_lo, s4
	v_mov_b32_e32 v4, s28
	s_mov_b32 s4, exec_lo
	s_clause 0x3
	buffer_load_dword v1, v4, s[0:3], 0 offen
	buffer_load_dword v2, v4, s[0:3], 0 offen offset:4
	buffer_load_dword v3, v4, s[0:3], 0 offen offset:8
	;; [unrolled: 1-line block ×3, first 2 shown]
	s_waitcnt vmcnt(0)
	ds_write_b128 v66, v[1:4]
	s_waitcnt lgkmcnt(0)
	s_waitcnt_vscnt null, 0x0
	s_barrier
	buffer_gl0_inv
	v_cmpx_gt_u32_e32 9, v0
	s_cbranch_execz .LBB93_303
; %bb.296:
	ds_read_b128 v[1:4], v66
	v_cmp_ne_u32_e32 vcc_lo, 1, v67
	s_cbranch_vccnz .LBB93_298
; %bb.297:
	s_clause 0x3
	buffer_load_dword v68, v65, s[0:3], 0 offen offset:8
	buffer_load_dword v69, v65, s[0:3], 0 offen offset:12
	buffer_load_dword v72, v65, s[0:3], 0 offen
	buffer_load_dword v73, v65, s[0:3], 0 offen offset:4
	s_waitcnt vmcnt(2) lgkmcnt(0)
	v_mul_f64 v[74:75], v[3:4], v[68:69]
	v_mul_f64 v[68:69], v[1:2], v[68:69]
	s_waitcnt vmcnt(0)
	v_fma_f64 v[1:2], v[1:2], v[72:73], -v[74:75]
	v_fma_f64 v[3:4], v[3:4], v[72:73], v[68:69]
.LBB93_298:
	s_mov_b32 s6, exec_lo
	v_cmpx_ne_u32_e32 8, v0
	s_cbranch_execz .LBB93_302
; %bb.299:
	v_add_nc_u32_e32 v68, 0x1f0, v71
	v_add3_u32 v69, 0, v71, 16
	v_mov_b32_e32 v70, v0
	s_mov_b32 s8, 0
	.p2align	6
.LBB93_300:                             ; =>This Inner Loop Header: Depth=1
	s_clause 0x3
	buffer_load_dword v76, v69, s[0:3], 0 offen offset:8
	buffer_load_dword v77, v69, s[0:3], 0 offen offset:12
	buffer_load_dword v78, v69, s[0:3], 0 offen
	buffer_load_dword v79, v69, s[0:3], 0 offen offset:4
	ds_read_b128 v[72:75], v68
	v_add_nc_u32_e32 v70, 1, v70
	v_add_nc_u32_e32 v68, 16, v68
	;; [unrolled: 1-line block ×3, first 2 shown]
	v_cmp_lt_u32_e32 vcc_lo, 7, v70
	s_or_b32 s8, vcc_lo, s8
	s_waitcnt vmcnt(2) lgkmcnt(0)
	v_mul_f64 v[80:81], v[74:75], v[76:77]
	v_mul_f64 v[76:77], v[72:73], v[76:77]
	s_waitcnt vmcnt(0)
	v_fma_f64 v[72:73], v[72:73], v[78:79], -v[80:81]
	v_fma_f64 v[74:75], v[74:75], v[78:79], v[76:77]
	v_add_f64 v[1:2], v[1:2], v[72:73]
	v_add_f64 v[3:4], v[3:4], v[74:75]
	s_andn2_b32 exec_lo, exec_lo, s8
	s_cbranch_execnz .LBB93_300
; %bb.301:
	s_or_b32 exec_lo, exec_lo, s8
.LBB93_302:
	s_or_b32 exec_lo, exec_lo, s6
	v_mov_b32_e32 v68, 0
	ds_read_b128 v[72:75], v68 offset:144
	s_waitcnt lgkmcnt(0)
	v_mul_f64 v[68:69], v[3:4], v[74:75]
	v_mul_f64 v[74:75], v[1:2], v[74:75]
	v_fma_f64 v[1:2], v[1:2], v[72:73], -v[68:69]
	v_fma_f64 v[3:4], v[3:4], v[72:73], v[74:75]
	buffer_store_dword v2, off, s[0:3], 0 offset:148
	buffer_store_dword v1, off, s[0:3], 0 offset:144
	;; [unrolled: 1-line block ×4, first 2 shown]
.LBB93_303:
	s_or_b32 exec_lo, exec_lo, s4
	v_mov_b32_e32 v4, s27
	s_mov_b32 s4, exec_lo
	s_clause 0x3
	buffer_load_dword v1, v4, s[0:3], 0 offen
	buffer_load_dword v2, v4, s[0:3], 0 offen offset:4
	buffer_load_dword v3, v4, s[0:3], 0 offen offset:8
	;; [unrolled: 1-line block ×3, first 2 shown]
	s_waitcnt vmcnt(0)
	ds_write_b128 v66, v[1:4]
	s_waitcnt lgkmcnt(0)
	s_waitcnt_vscnt null, 0x0
	s_barrier
	buffer_gl0_inv
	v_cmpx_gt_u32_e32 10, v0
	s_cbranch_execz .LBB93_311
; %bb.304:
	ds_read_b128 v[1:4], v66
	v_cmp_ne_u32_e32 vcc_lo, 1, v67
	s_cbranch_vccnz .LBB93_306
; %bb.305:
	s_clause 0x3
	buffer_load_dword v68, v65, s[0:3], 0 offen offset:8
	buffer_load_dword v69, v65, s[0:3], 0 offen offset:12
	buffer_load_dword v72, v65, s[0:3], 0 offen
	buffer_load_dword v73, v65, s[0:3], 0 offen offset:4
	s_waitcnt vmcnt(2) lgkmcnt(0)
	v_mul_f64 v[74:75], v[3:4], v[68:69]
	v_mul_f64 v[68:69], v[1:2], v[68:69]
	s_waitcnt vmcnt(0)
	v_fma_f64 v[1:2], v[1:2], v[72:73], -v[74:75]
	v_fma_f64 v[3:4], v[3:4], v[72:73], v[68:69]
.LBB93_306:
	s_mov_b32 s6, exec_lo
	v_cmpx_ne_u32_e32 9, v0
	s_cbranch_execz .LBB93_310
; %bb.307:
	v_add_nc_u32_e32 v68, 0x1f0, v71
	v_add3_u32 v69, 0, v71, 16
	v_mov_b32_e32 v70, v0
	s_mov_b32 s8, 0
	.p2align	6
.LBB93_308:                             ; =>This Inner Loop Header: Depth=1
	s_clause 0x3
	buffer_load_dword v76, v69, s[0:3], 0 offen offset:8
	buffer_load_dword v77, v69, s[0:3], 0 offen offset:12
	buffer_load_dword v78, v69, s[0:3], 0 offen
	buffer_load_dword v79, v69, s[0:3], 0 offen offset:4
	ds_read_b128 v[72:75], v68
	v_add_nc_u32_e32 v70, 1, v70
	v_add_nc_u32_e32 v68, 16, v68
	;; [unrolled: 1-line block ×3, first 2 shown]
	v_cmp_lt_u32_e32 vcc_lo, 8, v70
	s_or_b32 s8, vcc_lo, s8
	s_waitcnt vmcnt(2) lgkmcnt(0)
	v_mul_f64 v[80:81], v[74:75], v[76:77]
	v_mul_f64 v[76:77], v[72:73], v[76:77]
	s_waitcnt vmcnt(0)
	v_fma_f64 v[72:73], v[72:73], v[78:79], -v[80:81]
	v_fma_f64 v[74:75], v[74:75], v[78:79], v[76:77]
	v_add_f64 v[1:2], v[1:2], v[72:73]
	v_add_f64 v[3:4], v[3:4], v[74:75]
	s_andn2_b32 exec_lo, exec_lo, s8
	s_cbranch_execnz .LBB93_308
; %bb.309:
	s_or_b32 exec_lo, exec_lo, s8
.LBB93_310:
	s_or_b32 exec_lo, exec_lo, s6
	v_mov_b32_e32 v68, 0
	ds_read_b128 v[72:75], v68 offset:160
	s_waitcnt lgkmcnt(0)
	v_mul_f64 v[68:69], v[3:4], v[74:75]
	v_mul_f64 v[74:75], v[1:2], v[74:75]
	v_fma_f64 v[1:2], v[1:2], v[72:73], -v[68:69]
	v_fma_f64 v[3:4], v[3:4], v[72:73], v[74:75]
	buffer_store_dword v2, off, s[0:3], 0 offset:164
	buffer_store_dword v1, off, s[0:3], 0 offset:160
	;; [unrolled: 1-line block ×4, first 2 shown]
.LBB93_311:
	s_or_b32 exec_lo, exec_lo, s4
	v_mov_b32_e32 v4, s26
	s_mov_b32 s4, exec_lo
	s_clause 0x3
	buffer_load_dword v1, v4, s[0:3], 0 offen
	buffer_load_dword v2, v4, s[0:3], 0 offen offset:4
	buffer_load_dword v3, v4, s[0:3], 0 offen offset:8
	;; [unrolled: 1-line block ×3, first 2 shown]
	s_waitcnt vmcnt(0)
	ds_write_b128 v66, v[1:4]
	s_waitcnt lgkmcnt(0)
	s_waitcnt_vscnt null, 0x0
	s_barrier
	buffer_gl0_inv
	v_cmpx_gt_u32_e32 11, v0
	s_cbranch_execz .LBB93_319
; %bb.312:
	ds_read_b128 v[1:4], v66
	v_cmp_ne_u32_e32 vcc_lo, 1, v67
	s_cbranch_vccnz .LBB93_314
; %bb.313:
	s_clause 0x3
	buffer_load_dword v68, v65, s[0:3], 0 offen offset:8
	buffer_load_dword v69, v65, s[0:3], 0 offen offset:12
	buffer_load_dword v72, v65, s[0:3], 0 offen
	buffer_load_dword v73, v65, s[0:3], 0 offen offset:4
	s_waitcnt vmcnt(2) lgkmcnt(0)
	v_mul_f64 v[74:75], v[3:4], v[68:69]
	v_mul_f64 v[68:69], v[1:2], v[68:69]
	s_waitcnt vmcnt(0)
	v_fma_f64 v[1:2], v[1:2], v[72:73], -v[74:75]
	v_fma_f64 v[3:4], v[3:4], v[72:73], v[68:69]
.LBB93_314:
	s_mov_b32 s6, exec_lo
	v_cmpx_ne_u32_e32 10, v0
	s_cbranch_execz .LBB93_318
; %bb.315:
	v_add_nc_u32_e32 v68, 0x1f0, v71
	v_add3_u32 v69, 0, v71, 16
	v_mov_b32_e32 v70, v0
	s_mov_b32 s8, 0
	.p2align	6
.LBB93_316:                             ; =>This Inner Loop Header: Depth=1
	s_clause 0x3
	buffer_load_dword v76, v69, s[0:3], 0 offen offset:8
	buffer_load_dword v77, v69, s[0:3], 0 offen offset:12
	buffer_load_dword v78, v69, s[0:3], 0 offen
	buffer_load_dword v79, v69, s[0:3], 0 offen offset:4
	ds_read_b128 v[72:75], v68
	v_add_nc_u32_e32 v70, 1, v70
	v_add_nc_u32_e32 v68, 16, v68
	;; [unrolled: 1-line block ×3, first 2 shown]
	v_cmp_lt_u32_e32 vcc_lo, 9, v70
	s_or_b32 s8, vcc_lo, s8
	s_waitcnt vmcnt(2) lgkmcnt(0)
	v_mul_f64 v[80:81], v[74:75], v[76:77]
	v_mul_f64 v[76:77], v[72:73], v[76:77]
	s_waitcnt vmcnt(0)
	v_fma_f64 v[72:73], v[72:73], v[78:79], -v[80:81]
	v_fma_f64 v[74:75], v[74:75], v[78:79], v[76:77]
	v_add_f64 v[1:2], v[1:2], v[72:73]
	v_add_f64 v[3:4], v[3:4], v[74:75]
	s_andn2_b32 exec_lo, exec_lo, s8
	s_cbranch_execnz .LBB93_316
; %bb.317:
	s_or_b32 exec_lo, exec_lo, s8
.LBB93_318:
	s_or_b32 exec_lo, exec_lo, s6
	v_mov_b32_e32 v68, 0
	ds_read_b128 v[72:75], v68 offset:176
	s_waitcnt lgkmcnt(0)
	v_mul_f64 v[68:69], v[3:4], v[74:75]
	v_mul_f64 v[74:75], v[1:2], v[74:75]
	v_fma_f64 v[1:2], v[1:2], v[72:73], -v[68:69]
	v_fma_f64 v[3:4], v[3:4], v[72:73], v[74:75]
	buffer_store_dword v2, off, s[0:3], 0 offset:180
	buffer_store_dword v1, off, s[0:3], 0 offset:176
	;; [unrolled: 1-line block ×4, first 2 shown]
.LBB93_319:
	s_or_b32 exec_lo, exec_lo, s4
	v_mov_b32_e32 v4, s25
	s_mov_b32 s4, exec_lo
	s_clause 0x3
	buffer_load_dword v1, v4, s[0:3], 0 offen
	buffer_load_dword v2, v4, s[0:3], 0 offen offset:4
	buffer_load_dword v3, v4, s[0:3], 0 offen offset:8
	;; [unrolled: 1-line block ×3, first 2 shown]
	s_waitcnt vmcnt(0)
	ds_write_b128 v66, v[1:4]
	s_waitcnt lgkmcnt(0)
	s_waitcnt_vscnt null, 0x0
	s_barrier
	buffer_gl0_inv
	v_cmpx_gt_u32_e32 12, v0
	s_cbranch_execz .LBB93_327
; %bb.320:
	ds_read_b128 v[1:4], v66
	v_cmp_ne_u32_e32 vcc_lo, 1, v67
	s_cbranch_vccnz .LBB93_322
; %bb.321:
	s_clause 0x3
	buffer_load_dword v68, v65, s[0:3], 0 offen offset:8
	buffer_load_dword v69, v65, s[0:3], 0 offen offset:12
	buffer_load_dword v72, v65, s[0:3], 0 offen
	buffer_load_dword v73, v65, s[0:3], 0 offen offset:4
	s_waitcnt vmcnt(2) lgkmcnt(0)
	v_mul_f64 v[74:75], v[3:4], v[68:69]
	v_mul_f64 v[68:69], v[1:2], v[68:69]
	s_waitcnt vmcnt(0)
	v_fma_f64 v[1:2], v[1:2], v[72:73], -v[74:75]
	v_fma_f64 v[3:4], v[3:4], v[72:73], v[68:69]
.LBB93_322:
	s_mov_b32 s6, exec_lo
	v_cmpx_ne_u32_e32 11, v0
	s_cbranch_execz .LBB93_326
; %bb.323:
	v_add_nc_u32_e32 v68, 0x1f0, v71
	v_add3_u32 v69, 0, v71, 16
	v_mov_b32_e32 v70, v0
	s_mov_b32 s8, 0
	.p2align	6
.LBB93_324:                             ; =>This Inner Loop Header: Depth=1
	s_clause 0x3
	buffer_load_dword v76, v69, s[0:3], 0 offen offset:8
	buffer_load_dword v77, v69, s[0:3], 0 offen offset:12
	buffer_load_dword v78, v69, s[0:3], 0 offen
	buffer_load_dword v79, v69, s[0:3], 0 offen offset:4
	ds_read_b128 v[72:75], v68
	v_add_nc_u32_e32 v70, 1, v70
	v_add_nc_u32_e32 v68, 16, v68
	v_add_nc_u32_e32 v69, 16, v69
	v_cmp_lt_u32_e32 vcc_lo, 10, v70
	s_or_b32 s8, vcc_lo, s8
	s_waitcnt vmcnt(2) lgkmcnt(0)
	v_mul_f64 v[80:81], v[74:75], v[76:77]
	v_mul_f64 v[76:77], v[72:73], v[76:77]
	s_waitcnt vmcnt(0)
	v_fma_f64 v[72:73], v[72:73], v[78:79], -v[80:81]
	v_fma_f64 v[74:75], v[74:75], v[78:79], v[76:77]
	v_add_f64 v[1:2], v[1:2], v[72:73]
	v_add_f64 v[3:4], v[3:4], v[74:75]
	s_andn2_b32 exec_lo, exec_lo, s8
	s_cbranch_execnz .LBB93_324
; %bb.325:
	s_or_b32 exec_lo, exec_lo, s8
.LBB93_326:
	s_or_b32 exec_lo, exec_lo, s6
	v_mov_b32_e32 v68, 0
	ds_read_b128 v[72:75], v68 offset:192
	s_waitcnt lgkmcnt(0)
	v_mul_f64 v[68:69], v[3:4], v[74:75]
	v_mul_f64 v[74:75], v[1:2], v[74:75]
	v_fma_f64 v[1:2], v[1:2], v[72:73], -v[68:69]
	v_fma_f64 v[3:4], v[3:4], v[72:73], v[74:75]
	buffer_store_dword v2, off, s[0:3], 0 offset:196
	buffer_store_dword v1, off, s[0:3], 0 offset:192
	;; [unrolled: 1-line block ×4, first 2 shown]
.LBB93_327:
	s_or_b32 exec_lo, exec_lo, s4
	v_mov_b32_e32 v4, s24
	s_mov_b32 s4, exec_lo
	s_clause 0x3
	buffer_load_dword v1, v4, s[0:3], 0 offen
	buffer_load_dword v2, v4, s[0:3], 0 offen offset:4
	buffer_load_dword v3, v4, s[0:3], 0 offen offset:8
	buffer_load_dword v4, v4, s[0:3], 0 offen offset:12
	s_waitcnt vmcnt(0)
	ds_write_b128 v66, v[1:4]
	s_waitcnt lgkmcnt(0)
	s_waitcnt_vscnt null, 0x0
	s_barrier
	buffer_gl0_inv
	v_cmpx_gt_u32_e32 13, v0
	s_cbranch_execz .LBB93_335
; %bb.328:
	ds_read_b128 v[1:4], v66
	v_cmp_ne_u32_e32 vcc_lo, 1, v67
	s_cbranch_vccnz .LBB93_330
; %bb.329:
	s_clause 0x3
	buffer_load_dword v68, v65, s[0:3], 0 offen offset:8
	buffer_load_dword v69, v65, s[0:3], 0 offen offset:12
	buffer_load_dword v72, v65, s[0:3], 0 offen
	buffer_load_dword v73, v65, s[0:3], 0 offen offset:4
	s_waitcnt vmcnt(2) lgkmcnt(0)
	v_mul_f64 v[74:75], v[3:4], v[68:69]
	v_mul_f64 v[68:69], v[1:2], v[68:69]
	s_waitcnt vmcnt(0)
	v_fma_f64 v[1:2], v[1:2], v[72:73], -v[74:75]
	v_fma_f64 v[3:4], v[3:4], v[72:73], v[68:69]
.LBB93_330:
	s_mov_b32 s6, exec_lo
	v_cmpx_ne_u32_e32 12, v0
	s_cbranch_execz .LBB93_334
; %bb.331:
	v_add_nc_u32_e32 v68, 0x1f0, v71
	v_add3_u32 v69, 0, v71, 16
	v_mov_b32_e32 v70, v0
	s_mov_b32 s8, 0
	.p2align	6
.LBB93_332:                             ; =>This Inner Loop Header: Depth=1
	s_clause 0x3
	buffer_load_dword v76, v69, s[0:3], 0 offen offset:8
	buffer_load_dword v77, v69, s[0:3], 0 offen offset:12
	buffer_load_dword v78, v69, s[0:3], 0 offen
	buffer_load_dword v79, v69, s[0:3], 0 offen offset:4
	ds_read_b128 v[72:75], v68
	v_add_nc_u32_e32 v70, 1, v70
	v_add_nc_u32_e32 v68, 16, v68
	;; [unrolled: 1-line block ×3, first 2 shown]
	v_cmp_lt_u32_e32 vcc_lo, 11, v70
	s_or_b32 s8, vcc_lo, s8
	s_waitcnt vmcnt(2) lgkmcnt(0)
	v_mul_f64 v[80:81], v[74:75], v[76:77]
	v_mul_f64 v[76:77], v[72:73], v[76:77]
	s_waitcnt vmcnt(0)
	v_fma_f64 v[72:73], v[72:73], v[78:79], -v[80:81]
	v_fma_f64 v[74:75], v[74:75], v[78:79], v[76:77]
	v_add_f64 v[1:2], v[1:2], v[72:73]
	v_add_f64 v[3:4], v[3:4], v[74:75]
	s_andn2_b32 exec_lo, exec_lo, s8
	s_cbranch_execnz .LBB93_332
; %bb.333:
	s_or_b32 exec_lo, exec_lo, s8
.LBB93_334:
	s_or_b32 exec_lo, exec_lo, s6
	v_mov_b32_e32 v68, 0
	ds_read_b128 v[72:75], v68 offset:208
	s_waitcnt lgkmcnt(0)
	v_mul_f64 v[68:69], v[3:4], v[74:75]
	v_mul_f64 v[74:75], v[1:2], v[74:75]
	v_fma_f64 v[1:2], v[1:2], v[72:73], -v[68:69]
	v_fma_f64 v[3:4], v[3:4], v[72:73], v[74:75]
	buffer_store_dword v2, off, s[0:3], 0 offset:212
	buffer_store_dword v1, off, s[0:3], 0 offset:208
	;; [unrolled: 1-line block ×4, first 2 shown]
.LBB93_335:
	s_or_b32 exec_lo, exec_lo, s4
	v_mov_b32_e32 v4, s23
	s_mov_b32 s4, exec_lo
	s_clause 0x3
	buffer_load_dword v1, v4, s[0:3], 0 offen
	buffer_load_dword v2, v4, s[0:3], 0 offen offset:4
	buffer_load_dword v3, v4, s[0:3], 0 offen offset:8
	;; [unrolled: 1-line block ×3, first 2 shown]
	s_waitcnt vmcnt(0)
	ds_write_b128 v66, v[1:4]
	s_waitcnt lgkmcnt(0)
	s_waitcnt_vscnt null, 0x0
	s_barrier
	buffer_gl0_inv
	v_cmpx_gt_u32_e32 14, v0
	s_cbranch_execz .LBB93_343
; %bb.336:
	ds_read_b128 v[1:4], v66
	v_cmp_ne_u32_e32 vcc_lo, 1, v67
	s_cbranch_vccnz .LBB93_338
; %bb.337:
	s_clause 0x3
	buffer_load_dword v68, v65, s[0:3], 0 offen offset:8
	buffer_load_dword v69, v65, s[0:3], 0 offen offset:12
	buffer_load_dword v72, v65, s[0:3], 0 offen
	buffer_load_dword v73, v65, s[0:3], 0 offen offset:4
	s_waitcnt vmcnt(2) lgkmcnt(0)
	v_mul_f64 v[74:75], v[3:4], v[68:69]
	v_mul_f64 v[68:69], v[1:2], v[68:69]
	s_waitcnt vmcnt(0)
	v_fma_f64 v[1:2], v[1:2], v[72:73], -v[74:75]
	v_fma_f64 v[3:4], v[3:4], v[72:73], v[68:69]
.LBB93_338:
	s_mov_b32 s6, exec_lo
	v_cmpx_ne_u32_e32 13, v0
	s_cbranch_execz .LBB93_342
; %bb.339:
	v_add_nc_u32_e32 v68, 0x1f0, v71
	v_add3_u32 v69, 0, v71, 16
	v_mov_b32_e32 v70, v0
	s_mov_b32 s8, 0
	.p2align	6
.LBB93_340:                             ; =>This Inner Loop Header: Depth=1
	s_clause 0x3
	buffer_load_dword v76, v69, s[0:3], 0 offen offset:8
	buffer_load_dword v77, v69, s[0:3], 0 offen offset:12
	buffer_load_dword v78, v69, s[0:3], 0 offen
	buffer_load_dword v79, v69, s[0:3], 0 offen offset:4
	ds_read_b128 v[72:75], v68
	v_add_nc_u32_e32 v70, 1, v70
	v_add_nc_u32_e32 v68, 16, v68
	;; [unrolled: 1-line block ×3, first 2 shown]
	v_cmp_lt_u32_e32 vcc_lo, 12, v70
	s_or_b32 s8, vcc_lo, s8
	s_waitcnt vmcnt(2) lgkmcnt(0)
	v_mul_f64 v[80:81], v[74:75], v[76:77]
	v_mul_f64 v[76:77], v[72:73], v[76:77]
	s_waitcnt vmcnt(0)
	v_fma_f64 v[72:73], v[72:73], v[78:79], -v[80:81]
	v_fma_f64 v[74:75], v[74:75], v[78:79], v[76:77]
	v_add_f64 v[1:2], v[1:2], v[72:73]
	v_add_f64 v[3:4], v[3:4], v[74:75]
	s_andn2_b32 exec_lo, exec_lo, s8
	s_cbranch_execnz .LBB93_340
; %bb.341:
	s_or_b32 exec_lo, exec_lo, s8
.LBB93_342:
	s_or_b32 exec_lo, exec_lo, s6
	v_mov_b32_e32 v68, 0
	ds_read_b128 v[72:75], v68 offset:224
	s_waitcnt lgkmcnt(0)
	v_mul_f64 v[68:69], v[3:4], v[74:75]
	v_mul_f64 v[74:75], v[1:2], v[74:75]
	v_fma_f64 v[1:2], v[1:2], v[72:73], -v[68:69]
	v_fma_f64 v[3:4], v[3:4], v[72:73], v[74:75]
	buffer_store_dword v2, off, s[0:3], 0 offset:228
	buffer_store_dword v1, off, s[0:3], 0 offset:224
	buffer_store_dword v4, off, s[0:3], 0 offset:236
	buffer_store_dword v3, off, s[0:3], 0 offset:232
.LBB93_343:
	s_or_b32 exec_lo, exec_lo, s4
	v_mov_b32_e32 v4, s22
	s_mov_b32 s4, exec_lo
	s_clause 0x3
	buffer_load_dword v1, v4, s[0:3], 0 offen
	buffer_load_dword v2, v4, s[0:3], 0 offen offset:4
	buffer_load_dword v3, v4, s[0:3], 0 offen offset:8
	;; [unrolled: 1-line block ×3, first 2 shown]
	s_waitcnt vmcnt(0)
	ds_write_b128 v66, v[1:4]
	s_waitcnt lgkmcnt(0)
	s_waitcnt_vscnt null, 0x0
	s_barrier
	buffer_gl0_inv
	v_cmpx_gt_u32_e32 15, v0
	s_cbranch_execz .LBB93_351
; %bb.344:
	ds_read_b128 v[1:4], v66
	v_cmp_ne_u32_e32 vcc_lo, 1, v67
	s_cbranch_vccnz .LBB93_346
; %bb.345:
	s_clause 0x3
	buffer_load_dword v68, v65, s[0:3], 0 offen offset:8
	buffer_load_dword v69, v65, s[0:3], 0 offen offset:12
	buffer_load_dword v72, v65, s[0:3], 0 offen
	buffer_load_dword v73, v65, s[0:3], 0 offen offset:4
	s_waitcnt vmcnt(2) lgkmcnt(0)
	v_mul_f64 v[74:75], v[3:4], v[68:69]
	v_mul_f64 v[68:69], v[1:2], v[68:69]
	s_waitcnt vmcnt(0)
	v_fma_f64 v[1:2], v[1:2], v[72:73], -v[74:75]
	v_fma_f64 v[3:4], v[3:4], v[72:73], v[68:69]
.LBB93_346:
	s_mov_b32 s6, exec_lo
	v_cmpx_ne_u32_e32 14, v0
	s_cbranch_execz .LBB93_350
; %bb.347:
	v_add_nc_u32_e32 v68, 0x1f0, v71
	v_add3_u32 v69, 0, v71, 16
	v_mov_b32_e32 v70, v0
	s_mov_b32 s8, 0
	.p2align	6
.LBB93_348:                             ; =>This Inner Loop Header: Depth=1
	s_clause 0x3
	buffer_load_dword v76, v69, s[0:3], 0 offen offset:8
	buffer_load_dword v77, v69, s[0:3], 0 offen offset:12
	buffer_load_dword v78, v69, s[0:3], 0 offen
	buffer_load_dword v79, v69, s[0:3], 0 offen offset:4
	ds_read_b128 v[72:75], v68
	v_add_nc_u32_e32 v70, 1, v70
	v_add_nc_u32_e32 v68, 16, v68
	;; [unrolled: 1-line block ×3, first 2 shown]
	v_cmp_lt_u32_e32 vcc_lo, 13, v70
	s_or_b32 s8, vcc_lo, s8
	s_waitcnt vmcnt(2) lgkmcnt(0)
	v_mul_f64 v[80:81], v[74:75], v[76:77]
	v_mul_f64 v[76:77], v[72:73], v[76:77]
	s_waitcnt vmcnt(0)
	v_fma_f64 v[72:73], v[72:73], v[78:79], -v[80:81]
	v_fma_f64 v[74:75], v[74:75], v[78:79], v[76:77]
	v_add_f64 v[1:2], v[1:2], v[72:73]
	v_add_f64 v[3:4], v[3:4], v[74:75]
	s_andn2_b32 exec_lo, exec_lo, s8
	s_cbranch_execnz .LBB93_348
; %bb.349:
	s_or_b32 exec_lo, exec_lo, s8
.LBB93_350:
	s_or_b32 exec_lo, exec_lo, s6
	v_mov_b32_e32 v68, 0
	ds_read_b128 v[72:75], v68 offset:240
	s_waitcnt lgkmcnt(0)
	v_mul_f64 v[68:69], v[3:4], v[74:75]
	v_mul_f64 v[74:75], v[1:2], v[74:75]
	v_fma_f64 v[1:2], v[1:2], v[72:73], -v[68:69]
	v_fma_f64 v[3:4], v[3:4], v[72:73], v[74:75]
	buffer_store_dword v2, off, s[0:3], 0 offset:244
	buffer_store_dword v1, off, s[0:3], 0 offset:240
	;; [unrolled: 1-line block ×4, first 2 shown]
.LBB93_351:
	s_or_b32 exec_lo, exec_lo, s4
	v_mov_b32_e32 v4, s21
	s_mov_b32 s4, exec_lo
	s_clause 0x3
	buffer_load_dword v1, v4, s[0:3], 0 offen
	buffer_load_dword v2, v4, s[0:3], 0 offen offset:4
	buffer_load_dword v3, v4, s[0:3], 0 offen offset:8
	buffer_load_dword v4, v4, s[0:3], 0 offen offset:12
	s_waitcnt vmcnt(0)
	ds_write_b128 v66, v[1:4]
	s_waitcnt lgkmcnt(0)
	s_waitcnt_vscnt null, 0x0
	s_barrier
	buffer_gl0_inv
	v_cmpx_gt_u32_e32 16, v0
	s_cbranch_execz .LBB93_359
; %bb.352:
	ds_read_b128 v[1:4], v66
	v_cmp_ne_u32_e32 vcc_lo, 1, v67
	s_cbranch_vccnz .LBB93_354
; %bb.353:
	s_clause 0x3
	buffer_load_dword v68, v65, s[0:3], 0 offen offset:8
	buffer_load_dword v69, v65, s[0:3], 0 offen offset:12
	buffer_load_dword v72, v65, s[0:3], 0 offen
	buffer_load_dword v73, v65, s[0:3], 0 offen offset:4
	s_waitcnt vmcnt(2) lgkmcnt(0)
	v_mul_f64 v[74:75], v[3:4], v[68:69]
	v_mul_f64 v[68:69], v[1:2], v[68:69]
	s_waitcnt vmcnt(0)
	v_fma_f64 v[1:2], v[1:2], v[72:73], -v[74:75]
	v_fma_f64 v[3:4], v[3:4], v[72:73], v[68:69]
.LBB93_354:
	s_mov_b32 s6, exec_lo
	v_cmpx_ne_u32_e32 15, v0
	s_cbranch_execz .LBB93_358
; %bb.355:
	v_add_nc_u32_e32 v68, 0x1f0, v71
	v_add3_u32 v69, 0, v71, 16
	v_mov_b32_e32 v70, v0
	s_mov_b32 s8, 0
	.p2align	6
.LBB93_356:                             ; =>This Inner Loop Header: Depth=1
	s_clause 0x3
	buffer_load_dword v76, v69, s[0:3], 0 offen offset:8
	buffer_load_dword v77, v69, s[0:3], 0 offen offset:12
	buffer_load_dword v78, v69, s[0:3], 0 offen
	buffer_load_dword v79, v69, s[0:3], 0 offen offset:4
	ds_read_b128 v[72:75], v68
	v_add_nc_u32_e32 v70, 1, v70
	v_add_nc_u32_e32 v68, 16, v68
	;; [unrolled: 1-line block ×3, first 2 shown]
	v_cmp_lt_u32_e32 vcc_lo, 14, v70
	s_or_b32 s8, vcc_lo, s8
	s_waitcnt vmcnt(2) lgkmcnt(0)
	v_mul_f64 v[80:81], v[74:75], v[76:77]
	v_mul_f64 v[76:77], v[72:73], v[76:77]
	s_waitcnt vmcnt(0)
	v_fma_f64 v[72:73], v[72:73], v[78:79], -v[80:81]
	v_fma_f64 v[74:75], v[74:75], v[78:79], v[76:77]
	v_add_f64 v[1:2], v[1:2], v[72:73]
	v_add_f64 v[3:4], v[3:4], v[74:75]
	s_andn2_b32 exec_lo, exec_lo, s8
	s_cbranch_execnz .LBB93_356
; %bb.357:
	s_or_b32 exec_lo, exec_lo, s8
.LBB93_358:
	s_or_b32 exec_lo, exec_lo, s6
	v_mov_b32_e32 v68, 0
	ds_read_b128 v[72:75], v68 offset:256
	s_waitcnt lgkmcnt(0)
	v_mul_f64 v[68:69], v[3:4], v[74:75]
	v_mul_f64 v[74:75], v[1:2], v[74:75]
	v_fma_f64 v[1:2], v[1:2], v[72:73], -v[68:69]
	v_fma_f64 v[3:4], v[3:4], v[72:73], v[74:75]
	buffer_store_dword v2, off, s[0:3], 0 offset:260
	buffer_store_dword v1, off, s[0:3], 0 offset:256
	buffer_store_dword v4, off, s[0:3], 0 offset:268
	buffer_store_dword v3, off, s[0:3], 0 offset:264
.LBB93_359:
	s_or_b32 exec_lo, exec_lo, s4
	v_mov_b32_e32 v4, s20
	s_mov_b32 s4, exec_lo
	s_clause 0x3
	buffer_load_dword v1, v4, s[0:3], 0 offen
	buffer_load_dword v2, v4, s[0:3], 0 offen offset:4
	buffer_load_dword v3, v4, s[0:3], 0 offen offset:8
	;; [unrolled: 1-line block ×3, first 2 shown]
	s_waitcnt vmcnt(0)
	ds_write_b128 v66, v[1:4]
	s_waitcnt lgkmcnt(0)
	s_waitcnt_vscnt null, 0x0
	s_barrier
	buffer_gl0_inv
	v_cmpx_gt_u32_e32 17, v0
	s_cbranch_execz .LBB93_367
; %bb.360:
	ds_read_b128 v[1:4], v66
	v_cmp_ne_u32_e32 vcc_lo, 1, v67
	s_cbranch_vccnz .LBB93_362
; %bb.361:
	s_clause 0x3
	buffer_load_dword v68, v65, s[0:3], 0 offen offset:8
	buffer_load_dword v69, v65, s[0:3], 0 offen offset:12
	buffer_load_dword v72, v65, s[0:3], 0 offen
	buffer_load_dword v73, v65, s[0:3], 0 offen offset:4
	s_waitcnt vmcnt(2) lgkmcnt(0)
	v_mul_f64 v[74:75], v[3:4], v[68:69]
	v_mul_f64 v[68:69], v[1:2], v[68:69]
	s_waitcnt vmcnt(0)
	v_fma_f64 v[1:2], v[1:2], v[72:73], -v[74:75]
	v_fma_f64 v[3:4], v[3:4], v[72:73], v[68:69]
.LBB93_362:
	s_mov_b32 s6, exec_lo
	v_cmpx_ne_u32_e32 16, v0
	s_cbranch_execz .LBB93_366
; %bb.363:
	v_add_nc_u32_e32 v68, 0x1f0, v71
	v_add3_u32 v69, 0, v71, 16
	v_mov_b32_e32 v70, v0
	s_mov_b32 s8, 0
	.p2align	6
.LBB93_364:                             ; =>This Inner Loop Header: Depth=1
	s_clause 0x3
	buffer_load_dword v76, v69, s[0:3], 0 offen offset:8
	buffer_load_dword v77, v69, s[0:3], 0 offen offset:12
	buffer_load_dword v78, v69, s[0:3], 0 offen
	buffer_load_dword v79, v69, s[0:3], 0 offen offset:4
	ds_read_b128 v[72:75], v68
	v_add_nc_u32_e32 v70, 1, v70
	v_add_nc_u32_e32 v68, 16, v68
	;; [unrolled: 1-line block ×3, first 2 shown]
	v_cmp_lt_u32_e32 vcc_lo, 15, v70
	s_or_b32 s8, vcc_lo, s8
	s_waitcnt vmcnt(2) lgkmcnt(0)
	v_mul_f64 v[80:81], v[74:75], v[76:77]
	v_mul_f64 v[76:77], v[72:73], v[76:77]
	s_waitcnt vmcnt(0)
	v_fma_f64 v[72:73], v[72:73], v[78:79], -v[80:81]
	v_fma_f64 v[74:75], v[74:75], v[78:79], v[76:77]
	v_add_f64 v[1:2], v[1:2], v[72:73]
	v_add_f64 v[3:4], v[3:4], v[74:75]
	s_andn2_b32 exec_lo, exec_lo, s8
	s_cbranch_execnz .LBB93_364
; %bb.365:
	s_or_b32 exec_lo, exec_lo, s8
.LBB93_366:
	s_or_b32 exec_lo, exec_lo, s6
	v_mov_b32_e32 v68, 0
	ds_read_b128 v[72:75], v68 offset:272
	s_waitcnt lgkmcnt(0)
	v_mul_f64 v[68:69], v[3:4], v[74:75]
	v_mul_f64 v[74:75], v[1:2], v[74:75]
	v_fma_f64 v[1:2], v[1:2], v[72:73], -v[68:69]
	v_fma_f64 v[3:4], v[3:4], v[72:73], v[74:75]
	buffer_store_dword v2, off, s[0:3], 0 offset:276
	buffer_store_dword v1, off, s[0:3], 0 offset:272
	;; [unrolled: 1-line block ×4, first 2 shown]
.LBB93_367:
	s_or_b32 exec_lo, exec_lo, s4
	v_mov_b32_e32 v4, s19
	s_mov_b32 s4, exec_lo
	s_clause 0x3
	buffer_load_dword v1, v4, s[0:3], 0 offen
	buffer_load_dword v2, v4, s[0:3], 0 offen offset:4
	buffer_load_dword v3, v4, s[0:3], 0 offen offset:8
	;; [unrolled: 1-line block ×3, first 2 shown]
	s_waitcnt vmcnt(0)
	ds_write_b128 v66, v[1:4]
	s_waitcnt lgkmcnt(0)
	s_waitcnt_vscnt null, 0x0
	s_barrier
	buffer_gl0_inv
	v_cmpx_gt_u32_e32 18, v0
	s_cbranch_execz .LBB93_375
; %bb.368:
	ds_read_b128 v[1:4], v66
	v_cmp_ne_u32_e32 vcc_lo, 1, v67
	s_cbranch_vccnz .LBB93_370
; %bb.369:
	s_clause 0x3
	buffer_load_dword v68, v65, s[0:3], 0 offen offset:8
	buffer_load_dword v69, v65, s[0:3], 0 offen offset:12
	buffer_load_dword v72, v65, s[0:3], 0 offen
	buffer_load_dword v73, v65, s[0:3], 0 offen offset:4
	s_waitcnt vmcnt(2) lgkmcnt(0)
	v_mul_f64 v[74:75], v[3:4], v[68:69]
	v_mul_f64 v[68:69], v[1:2], v[68:69]
	s_waitcnt vmcnt(0)
	v_fma_f64 v[1:2], v[1:2], v[72:73], -v[74:75]
	v_fma_f64 v[3:4], v[3:4], v[72:73], v[68:69]
.LBB93_370:
	s_mov_b32 s6, exec_lo
	v_cmpx_ne_u32_e32 17, v0
	s_cbranch_execz .LBB93_374
; %bb.371:
	v_add_nc_u32_e32 v68, 0x1f0, v71
	v_add3_u32 v69, 0, v71, 16
	v_mov_b32_e32 v70, v0
	s_mov_b32 s8, 0
	.p2align	6
.LBB93_372:                             ; =>This Inner Loop Header: Depth=1
	s_clause 0x3
	buffer_load_dword v76, v69, s[0:3], 0 offen offset:8
	buffer_load_dword v77, v69, s[0:3], 0 offen offset:12
	buffer_load_dword v78, v69, s[0:3], 0 offen
	buffer_load_dword v79, v69, s[0:3], 0 offen offset:4
	ds_read_b128 v[72:75], v68
	v_add_nc_u32_e32 v70, 1, v70
	v_add_nc_u32_e32 v68, 16, v68
	;; [unrolled: 1-line block ×3, first 2 shown]
	v_cmp_lt_u32_e32 vcc_lo, 16, v70
	s_or_b32 s8, vcc_lo, s8
	s_waitcnt vmcnt(2) lgkmcnt(0)
	v_mul_f64 v[80:81], v[74:75], v[76:77]
	v_mul_f64 v[76:77], v[72:73], v[76:77]
	s_waitcnt vmcnt(0)
	v_fma_f64 v[72:73], v[72:73], v[78:79], -v[80:81]
	v_fma_f64 v[74:75], v[74:75], v[78:79], v[76:77]
	v_add_f64 v[1:2], v[1:2], v[72:73]
	v_add_f64 v[3:4], v[3:4], v[74:75]
	s_andn2_b32 exec_lo, exec_lo, s8
	s_cbranch_execnz .LBB93_372
; %bb.373:
	s_or_b32 exec_lo, exec_lo, s8
.LBB93_374:
	s_or_b32 exec_lo, exec_lo, s6
	v_mov_b32_e32 v68, 0
	ds_read_b128 v[72:75], v68 offset:288
	s_waitcnt lgkmcnt(0)
	v_mul_f64 v[68:69], v[3:4], v[74:75]
	v_mul_f64 v[74:75], v[1:2], v[74:75]
	v_fma_f64 v[1:2], v[1:2], v[72:73], -v[68:69]
	v_fma_f64 v[3:4], v[3:4], v[72:73], v[74:75]
	buffer_store_dword v2, off, s[0:3], 0 offset:292
	buffer_store_dword v1, off, s[0:3], 0 offset:288
	;; [unrolled: 1-line block ×4, first 2 shown]
.LBB93_375:
	s_or_b32 exec_lo, exec_lo, s4
	v_mov_b32_e32 v4, s18
	s_mov_b32 s4, exec_lo
	s_clause 0x3
	buffer_load_dword v1, v4, s[0:3], 0 offen
	buffer_load_dword v2, v4, s[0:3], 0 offen offset:4
	buffer_load_dword v3, v4, s[0:3], 0 offen offset:8
	;; [unrolled: 1-line block ×3, first 2 shown]
	s_waitcnt vmcnt(0)
	ds_write_b128 v66, v[1:4]
	s_waitcnt lgkmcnt(0)
	s_waitcnt_vscnt null, 0x0
	s_barrier
	buffer_gl0_inv
	v_cmpx_gt_u32_e32 19, v0
	s_cbranch_execz .LBB93_383
; %bb.376:
	ds_read_b128 v[1:4], v66
	v_cmp_ne_u32_e32 vcc_lo, 1, v67
	s_cbranch_vccnz .LBB93_378
; %bb.377:
	s_clause 0x3
	buffer_load_dword v68, v65, s[0:3], 0 offen offset:8
	buffer_load_dword v69, v65, s[0:3], 0 offen offset:12
	buffer_load_dword v72, v65, s[0:3], 0 offen
	buffer_load_dword v73, v65, s[0:3], 0 offen offset:4
	s_waitcnt vmcnt(2) lgkmcnt(0)
	v_mul_f64 v[74:75], v[3:4], v[68:69]
	v_mul_f64 v[68:69], v[1:2], v[68:69]
	s_waitcnt vmcnt(0)
	v_fma_f64 v[1:2], v[1:2], v[72:73], -v[74:75]
	v_fma_f64 v[3:4], v[3:4], v[72:73], v[68:69]
.LBB93_378:
	s_mov_b32 s6, exec_lo
	v_cmpx_ne_u32_e32 18, v0
	s_cbranch_execz .LBB93_382
; %bb.379:
	v_add_nc_u32_e32 v68, 0x1f0, v71
	v_add3_u32 v69, 0, v71, 16
	v_mov_b32_e32 v70, v0
	s_mov_b32 s8, 0
	.p2align	6
.LBB93_380:                             ; =>This Inner Loop Header: Depth=1
	s_clause 0x3
	buffer_load_dword v76, v69, s[0:3], 0 offen offset:8
	buffer_load_dword v77, v69, s[0:3], 0 offen offset:12
	buffer_load_dword v78, v69, s[0:3], 0 offen
	buffer_load_dword v79, v69, s[0:3], 0 offen offset:4
	ds_read_b128 v[72:75], v68
	v_add_nc_u32_e32 v70, 1, v70
	v_add_nc_u32_e32 v68, 16, v68
	;; [unrolled: 1-line block ×3, first 2 shown]
	v_cmp_lt_u32_e32 vcc_lo, 17, v70
	s_or_b32 s8, vcc_lo, s8
	s_waitcnt vmcnt(2) lgkmcnt(0)
	v_mul_f64 v[80:81], v[74:75], v[76:77]
	v_mul_f64 v[76:77], v[72:73], v[76:77]
	s_waitcnt vmcnt(0)
	v_fma_f64 v[72:73], v[72:73], v[78:79], -v[80:81]
	v_fma_f64 v[74:75], v[74:75], v[78:79], v[76:77]
	v_add_f64 v[1:2], v[1:2], v[72:73]
	v_add_f64 v[3:4], v[3:4], v[74:75]
	s_andn2_b32 exec_lo, exec_lo, s8
	s_cbranch_execnz .LBB93_380
; %bb.381:
	s_or_b32 exec_lo, exec_lo, s8
.LBB93_382:
	s_or_b32 exec_lo, exec_lo, s6
	v_mov_b32_e32 v68, 0
	ds_read_b128 v[72:75], v68 offset:304
	s_waitcnt lgkmcnt(0)
	v_mul_f64 v[68:69], v[3:4], v[74:75]
	v_mul_f64 v[74:75], v[1:2], v[74:75]
	v_fma_f64 v[1:2], v[1:2], v[72:73], -v[68:69]
	v_fma_f64 v[3:4], v[3:4], v[72:73], v[74:75]
	buffer_store_dword v2, off, s[0:3], 0 offset:308
	buffer_store_dword v1, off, s[0:3], 0 offset:304
	;; [unrolled: 1-line block ×4, first 2 shown]
.LBB93_383:
	s_or_b32 exec_lo, exec_lo, s4
	v_mov_b32_e32 v4, s17
	s_mov_b32 s4, exec_lo
	s_clause 0x3
	buffer_load_dword v1, v4, s[0:3], 0 offen
	buffer_load_dword v2, v4, s[0:3], 0 offen offset:4
	buffer_load_dword v3, v4, s[0:3], 0 offen offset:8
	;; [unrolled: 1-line block ×3, first 2 shown]
	s_waitcnt vmcnt(0)
	ds_write_b128 v66, v[1:4]
	s_waitcnt lgkmcnt(0)
	s_waitcnt_vscnt null, 0x0
	s_barrier
	buffer_gl0_inv
	v_cmpx_gt_u32_e32 20, v0
	s_cbranch_execz .LBB93_391
; %bb.384:
	ds_read_b128 v[1:4], v66
	v_cmp_ne_u32_e32 vcc_lo, 1, v67
	s_cbranch_vccnz .LBB93_386
; %bb.385:
	s_clause 0x3
	buffer_load_dword v68, v65, s[0:3], 0 offen offset:8
	buffer_load_dword v69, v65, s[0:3], 0 offen offset:12
	buffer_load_dword v72, v65, s[0:3], 0 offen
	buffer_load_dword v73, v65, s[0:3], 0 offen offset:4
	s_waitcnt vmcnt(2) lgkmcnt(0)
	v_mul_f64 v[74:75], v[3:4], v[68:69]
	v_mul_f64 v[68:69], v[1:2], v[68:69]
	s_waitcnt vmcnt(0)
	v_fma_f64 v[1:2], v[1:2], v[72:73], -v[74:75]
	v_fma_f64 v[3:4], v[3:4], v[72:73], v[68:69]
.LBB93_386:
	s_mov_b32 s6, exec_lo
	v_cmpx_ne_u32_e32 19, v0
	s_cbranch_execz .LBB93_390
; %bb.387:
	v_add_nc_u32_e32 v68, 0x1f0, v71
	v_add3_u32 v69, 0, v71, 16
	v_mov_b32_e32 v70, v0
	s_mov_b32 s8, 0
	.p2align	6
.LBB93_388:                             ; =>This Inner Loop Header: Depth=1
	s_clause 0x3
	buffer_load_dword v76, v69, s[0:3], 0 offen offset:8
	buffer_load_dword v77, v69, s[0:3], 0 offen offset:12
	buffer_load_dword v78, v69, s[0:3], 0 offen
	buffer_load_dword v79, v69, s[0:3], 0 offen offset:4
	ds_read_b128 v[72:75], v68
	v_add_nc_u32_e32 v70, 1, v70
	v_add_nc_u32_e32 v68, 16, v68
	;; [unrolled: 1-line block ×3, first 2 shown]
	v_cmp_lt_u32_e32 vcc_lo, 18, v70
	s_or_b32 s8, vcc_lo, s8
	s_waitcnt vmcnt(2) lgkmcnt(0)
	v_mul_f64 v[80:81], v[74:75], v[76:77]
	v_mul_f64 v[76:77], v[72:73], v[76:77]
	s_waitcnt vmcnt(0)
	v_fma_f64 v[72:73], v[72:73], v[78:79], -v[80:81]
	v_fma_f64 v[74:75], v[74:75], v[78:79], v[76:77]
	v_add_f64 v[1:2], v[1:2], v[72:73]
	v_add_f64 v[3:4], v[3:4], v[74:75]
	s_andn2_b32 exec_lo, exec_lo, s8
	s_cbranch_execnz .LBB93_388
; %bb.389:
	s_or_b32 exec_lo, exec_lo, s8
.LBB93_390:
	s_or_b32 exec_lo, exec_lo, s6
	v_mov_b32_e32 v68, 0
	ds_read_b128 v[72:75], v68 offset:320
	s_waitcnt lgkmcnt(0)
	v_mul_f64 v[68:69], v[3:4], v[74:75]
	v_mul_f64 v[74:75], v[1:2], v[74:75]
	v_fma_f64 v[1:2], v[1:2], v[72:73], -v[68:69]
	v_fma_f64 v[3:4], v[3:4], v[72:73], v[74:75]
	buffer_store_dword v2, off, s[0:3], 0 offset:324
	buffer_store_dword v1, off, s[0:3], 0 offset:320
	buffer_store_dword v4, off, s[0:3], 0 offset:332
	buffer_store_dword v3, off, s[0:3], 0 offset:328
.LBB93_391:
	s_or_b32 exec_lo, exec_lo, s4
	v_mov_b32_e32 v4, s16
	s_mov_b32 s4, exec_lo
	s_clause 0x3
	buffer_load_dword v1, v4, s[0:3], 0 offen
	buffer_load_dword v2, v4, s[0:3], 0 offen offset:4
	buffer_load_dword v3, v4, s[0:3], 0 offen offset:8
	;; [unrolled: 1-line block ×3, first 2 shown]
	s_waitcnt vmcnt(0)
	ds_write_b128 v66, v[1:4]
	s_waitcnt lgkmcnt(0)
	s_waitcnt_vscnt null, 0x0
	s_barrier
	buffer_gl0_inv
	v_cmpx_gt_u32_e32 21, v0
	s_cbranch_execz .LBB93_399
; %bb.392:
	ds_read_b128 v[1:4], v66
	v_cmp_ne_u32_e32 vcc_lo, 1, v67
	s_cbranch_vccnz .LBB93_394
; %bb.393:
	s_clause 0x3
	buffer_load_dword v68, v65, s[0:3], 0 offen offset:8
	buffer_load_dword v69, v65, s[0:3], 0 offen offset:12
	buffer_load_dword v72, v65, s[0:3], 0 offen
	buffer_load_dword v73, v65, s[0:3], 0 offen offset:4
	s_waitcnt vmcnt(2) lgkmcnt(0)
	v_mul_f64 v[74:75], v[3:4], v[68:69]
	v_mul_f64 v[68:69], v[1:2], v[68:69]
	s_waitcnt vmcnt(0)
	v_fma_f64 v[1:2], v[1:2], v[72:73], -v[74:75]
	v_fma_f64 v[3:4], v[3:4], v[72:73], v[68:69]
.LBB93_394:
	s_mov_b32 s6, exec_lo
	v_cmpx_ne_u32_e32 20, v0
	s_cbranch_execz .LBB93_398
; %bb.395:
	v_add_nc_u32_e32 v68, 0x1f0, v71
	v_add3_u32 v69, 0, v71, 16
	v_mov_b32_e32 v70, v0
	s_mov_b32 s8, 0
	.p2align	6
.LBB93_396:                             ; =>This Inner Loop Header: Depth=1
	s_clause 0x3
	buffer_load_dword v76, v69, s[0:3], 0 offen offset:8
	buffer_load_dword v77, v69, s[0:3], 0 offen offset:12
	buffer_load_dword v78, v69, s[0:3], 0 offen
	buffer_load_dword v79, v69, s[0:3], 0 offen offset:4
	ds_read_b128 v[72:75], v68
	v_add_nc_u32_e32 v70, 1, v70
	v_add_nc_u32_e32 v68, 16, v68
	;; [unrolled: 1-line block ×3, first 2 shown]
	v_cmp_lt_u32_e32 vcc_lo, 19, v70
	s_or_b32 s8, vcc_lo, s8
	s_waitcnt vmcnt(2) lgkmcnt(0)
	v_mul_f64 v[80:81], v[74:75], v[76:77]
	v_mul_f64 v[76:77], v[72:73], v[76:77]
	s_waitcnt vmcnt(0)
	v_fma_f64 v[72:73], v[72:73], v[78:79], -v[80:81]
	v_fma_f64 v[74:75], v[74:75], v[78:79], v[76:77]
	v_add_f64 v[1:2], v[1:2], v[72:73]
	v_add_f64 v[3:4], v[3:4], v[74:75]
	s_andn2_b32 exec_lo, exec_lo, s8
	s_cbranch_execnz .LBB93_396
; %bb.397:
	s_or_b32 exec_lo, exec_lo, s8
.LBB93_398:
	s_or_b32 exec_lo, exec_lo, s6
	v_mov_b32_e32 v68, 0
	ds_read_b128 v[72:75], v68 offset:336
	s_waitcnt lgkmcnt(0)
	v_mul_f64 v[68:69], v[3:4], v[74:75]
	v_mul_f64 v[74:75], v[1:2], v[74:75]
	v_fma_f64 v[1:2], v[1:2], v[72:73], -v[68:69]
	v_fma_f64 v[3:4], v[3:4], v[72:73], v[74:75]
	buffer_store_dword v2, off, s[0:3], 0 offset:340
	buffer_store_dword v1, off, s[0:3], 0 offset:336
	;; [unrolled: 1-line block ×4, first 2 shown]
.LBB93_399:
	s_or_b32 exec_lo, exec_lo, s4
	v_mov_b32_e32 v4, s15
	s_mov_b32 s4, exec_lo
	s_clause 0x3
	buffer_load_dword v1, v4, s[0:3], 0 offen
	buffer_load_dword v2, v4, s[0:3], 0 offen offset:4
	buffer_load_dword v3, v4, s[0:3], 0 offen offset:8
	;; [unrolled: 1-line block ×3, first 2 shown]
	s_waitcnt vmcnt(0)
	ds_write_b128 v66, v[1:4]
	s_waitcnt lgkmcnt(0)
	s_waitcnt_vscnt null, 0x0
	s_barrier
	buffer_gl0_inv
	v_cmpx_gt_u32_e32 22, v0
	s_cbranch_execz .LBB93_407
; %bb.400:
	ds_read_b128 v[1:4], v66
	v_cmp_ne_u32_e32 vcc_lo, 1, v67
	s_cbranch_vccnz .LBB93_402
; %bb.401:
	s_clause 0x3
	buffer_load_dword v68, v65, s[0:3], 0 offen offset:8
	buffer_load_dword v69, v65, s[0:3], 0 offen offset:12
	buffer_load_dword v72, v65, s[0:3], 0 offen
	buffer_load_dword v73, v65, s[0:3], 0 offen offset:4
	s_waitcnt vmcnt(2) lgkmcnt(0)
	v_mul_f64 v[74:75], v[3:4], v[68:69]
	v_mul_f64 v[68:69], v[1:2], v[68:69]
	s_waitcnt vmcnt(0)
	v_fma_f64 v[1:2], v[1:2], v[72:73], -v[74:75]
	v_fma_f64 v[3:4], v[3:4], v[72:73], v[68:69]
.LBB93_402:
	s_mov_b32 s6, exec_lo
	v_cmpx_ne_u32_e32 21, v0
	s_cbranch_execz .LBB93_406
; %bb.403:
	v_add_nc_u32_e32 v68, 0x1f0, v71
	v_add3_u32 v69, 0, v71, 16
	v_mov_b32_e32 v70, v0
	s_mov_b32 s8, 0
	.p2align	6
.LBB93_404:                             ; =>This Inner Loop Header: Depth=1
	s_clause 0x3
	buffer_load_dword v76, v69, s[0:3], 0 offen offset:8
	buffer_load_dword v77, v69, s[0:3], 0 offen offset:12
	buffer_load_dword v78, v69, s[0:3], 0 offen
	buffer_load_dword v79, v69, s[0:3], 0 offen offset:4
	ds_read_b128 v[72:75], v68
	v_add_nc_u32_e32 v70, 1, v70
	v_add_nc_u32_e32 v68, 16, v68
	;; [unrolled: 1-line block ×3, first 2 shown]
	v_cmp_lt_u32_e32 vcc_lo, 20, v70
	s_or_b32 s8, vcc_lo, s8
	s_waitcnt vmcnt(2) lgkmcnt(0)
	v_mul_f64 v[80:81], v[74:75], v[76:77]
	v_mul_f64 v[76:77], v[72:73], v[76:77]
	s_waitcnt vmcnt(0)
	v_fma_f64 v[72:73], v[72:73], v[78:79], -v[80:81]
	v_fma_f64 v[74:75], v[74:75], v[78:79], v[76:77]
	v_add_f64 v[1:2], v[1:2], v[72:73]
	v_add_f64 v[3:4], v[3:4], v[74:75]
	s_andn2_b32 exec_lo, exec_lo, s8
	s_cbranch_execnz .LBB93_404
; %bb.405:
	s_or_b32 exec_lo, exec_lo, s8
.LBB93_406:
	s_or_b32 exec_lo, exec_lo, s6
	v_mov_b32_e32 v68, 0
	ds_read_b128 v[72:75], v68 offset:352
	s_waitcnt lgkmcnt(0)
	v_mul_f64 v[68:69], v[3:4], v[74:75]
	v_mul_f64 v[74:75], v[1:2], v[74:75]
	v_fma_f64 v[1:2], v[1:2], v[72:73], -v[68:69]
	v_fma_f64 v[3:4], v[3:4], v[72:73], v[74:75]
	buffer_store_dword v2, off, s[0:3], 0 offset:356
	buffer_store_dword v1, off, s[0:3], 0 offset:352
	;; [unrolled: 1-line block ×4, first 2 shown]
.LBB93_407:
	s_or_b32 exec_lo, exec_lo, s4
	v_mov_b32_e32 v4, s14
	s_mov_b32 s4, exec_lo
	s_clause 0x3
	buffer_load_dword v1, v4, s[0:3], 0 offen
	buffer_load_dword v2, v4, s[0:3], 0 offen offset:4
	buffer_load_dword v3, v4, s[0:3], 0 offen offset:8
	;; [unrolled: 1-line block ×3, first 2 shown]
	s_waitcnt vmcnt(0)
	ds_write_b128 v66, v[1:4]
	s_waitcnt lgkmcnt(0)
	s_waitcnt_vscnt null, 0x0
	s_barrier
	buffer_gl0_inv
	v_cmpx_gt_u32_e32 23, v0
	s_cbranch_execz .LBB93_415
; %bb.408:
	ds_read_b128 v[1:4], v66
	v_cmp_ne_u32_e32 vcc_lo, 1, v67
	s_cbranch_vccnz .LBB93_410
; %bb.409:
	s_clause 0x3
	buffer_load_dword v68, v65, s[0:3], 0 offen offset:8
	buffer_load_dword v69, v65, s[0:3], 0 offen offset:12
	buffer_load_dword v72, v65, s[0:3], 0 offen
	buffer_load_dword v73, v65, s[0:3], 0 offen offset:4
	s_waitcnt vmcnt(2) lgkmcnt(0)
	v_mul_f64 v[74:75], v[3:4], v[68:69]
	v_mul_f64 v[68:69], v[1:2], v[68:69]
	s_waitcnt vmcnt(0)
	v_fma_f64 v[1:2], v[1:2], v[72:73], -v[74:75]
	v_fma_f64 v[3:4], v[3:4], v[72:73], v[68:69]
.LBB93_410:
	s_mov_b32 s6, exec_lo
	v_cmpx_ne_u32_e32 22, v0
	s_cbranch_execz .LBB93_414
; %bb.411:
	v_add_nc_u32_e32 v68, 0x1f0, v71
	v_add3_u32 v69, 0, v71, 16
	v_mov_b32_e32 v70, v0
	s_mov_b32 s8, 0
	.p2align	6
.LBB93_412:                             ; =>This Inner Loop Header: Depth=1
	s_clause 0x3
	buffer_load_dword v76, v69, s[0:3], 0 offen offset:8
	buffer_load_dword v77, v69, s[0:3], 0 offen offset:12
	buffer_load_dword v78, v69, s[0:3], 0 offen
	buffer_load_dword v79, v69, s[0:3], 0 offen offset:4
	ds_read_b128 v[72:75], v68
	v_add_nc_u32_e32 v70, 1, v70
	v_add_nc_u32_e32 v68, 16, v68
	;; [unrolled: 1-line block ×3, first 2 shown]
	v_cmp_lt_u32_e32 vcc_lo, 21, v70
	s_or_b32 s8, vcc_lo, s8
	s_waitcnt vmcnt(2) lgkmcnt(0)
	v_mul_f64 v[80:81], v[74:75], v[76:77]
	v_mul_f64 v[76:77], v[72:73], v[76:77]
	s_waitcnt vmcnt(0)
	v_fma_f64 v[72:73], v[72:73], v[78:79], -v[80:81]
	v_fma_f64 v[74:75], v[74:75], v[78:79], v[76:77]
	v_add_f64 v[1:2], v[1:2], v[72:73]
	v_add_f64 v[3:4], v[3:4], v[74:75]
	s_andn2_b32 exec_lo, exec_lo, s8
	s_cbranch_execnz .LBB93_412
; %bb.413:
	s_or_b32 exec_lo, exec_lo, s8
.LBB93_414:
	s_or_b32 exec_lo, exec_lo, s6
	v_mov_b32_e32 v68, 0
	ds_read_b128 v[72:75], v68 offset:368
	s_waitcnt lgkmcnt(0)
	v_mul_f64 v[68:69], v[3:4], v[74:75]
	v_mul_f64 v[74:75], v[1:2], v[74:75]
	v_fma_f64 v[1:2], v[1:2], v[72:73], -v[68:69]
	v_fma_f64 v[3:4], v[3:4], v[72:73], v[74:75]
	buffer_store_dword v2, off, s[0:3], 0 offset:372
	buffer_store_dword v1, off, s[0:3], 0 offset:368
	buffer_store_dword v4, off, s[0:3], 0 offset:380
	buffer_store_dword v3, off, s[0:3], 0 offset:376
.LBB93_415:
	s_or_b32 exec_lo, exec_lo, s4
	v_mov_b32_e32 v4, s13
	s_mov_b32 s4, exec_lo
	s_clause 0x3
	buffer_load_dword v1, v4, s[0:3], 0 offen
	buffer_load_dword v2, v4, s[0:3], 0 offen offset:4
	buffer_load_dword v3, v4, s[0:3], 0 offen offset:8
	;; [unrolled: 1-line block ×3, first 2 shown]
	s_waitcnt vmcnt(0)
	ds_write_b128 v66, v[1:4]
	s_waitcnt lgkmcnt(0)
	s_waitcnt_vscnt null, 0x0
	s_barrier
	buffer_gl0_inv
	v_cmpx_gt_u32_e32 24, v0
	s_cbranch_execz .LBB93_423
; %bb.416:
	ds_read_b128 v[1:4], v66
	v_cmp_ne_u32_e32 vcc_lo, 1, v67
	s_cbranch_vccnz .LBB93_418
; %bb.417:
	s_clause 0x3
	buffer_load_dword v68, v65, s[0:3], 0 offen offset:8
	buffer_load_dword v69, v65, s[0:3], 0 offen offset:12
	buffer_load_dword v72, v65, s[0:3], 0 offen
	buffer_load_dword v73, v65, s[0:3], 0 offen offset:4
	s_waitcnt vmcnt(2) lgkmcnt(0)
	v_mul_f64 v[74:75], v[3:4], v[68:69]
	v_mul_f64 v[68:69], v[1:2], v[68:69]
	s_waitcnt vmcnt(0)
	v_fma_f64 v[1:2], v[1:2], v[72:73], -v[74:75]
	v_fma_f64 v[3:4], v[3:4], v[72:73], v[68:69]
.LBB93_418:
	s_mov_b32 s6, exec_lo
	v_cmpx_ne_u32_e32 23, v0
	s_cbranch_execz .LBB93_422
; %bb.419:
	v_add_nc_u32_e32 v68, 0x1f0, v71
	v_add3_u32 v69, 0, v71, 16
	v_mov_b32_e32 v70, v0
	s_mov_b32 s8, 0
	.p2align	6
.LBB93_420:                             ; =>This Inner Loop Header: Depth=1
	s_clause 0x3
	buffer_load_dword v76, v69, s[0:3], 0 offen offset:8
	buffer_load_dword v77, v69, s[0:3], 0 offen offset:12
	buffer_load_dword v78, v69, s[0:3], 0 offen
	buffer_load_dword v79, v69, s[0:3], 0 offen offset:4
	ds_read_b128 v[72:75], v68
	v_add_nc_u32_e32 v70, 1, v70
	v_add_nc_u32_e32 v68, 16, v68
	;; [unrolled: 1-line block ×3, first 2 shown]
	v_cmp_lt_u32_e32 vcc_lo, 22, v70
	s_or_b32 s8, vcc_lo, s8
	s_waitcnt vmcnt(2) lgkmcnt(0)
	v_mul_f64 v[80:81], v[74:75], v[76:77]
	v_mul_f64 v[76:77], v[72:73], v[76:77]
	s_waitcnt vmcnt(0)
	v_fma_f64 v[72:73], v[72:73], v[78:79], -v[80:81]
	v_fma_f64 v[74:75], v[74:75], v[78:79], v[76:77]
	v_add_f64 v[1:2], v[1:2], v[72:73]
	v_add_f64 v[3:4], v[3:4], v[74:75]
	s_andn2_b32 exec_lo, exec_lo, s8
	s_cbranch_execnz .LBB93_420
; %bb.421:
	s_or_b32 exec_lo, exec_lo, s8
.LBB93_422:
	s_or_b32 exec_lo, exec_lo, s6
	v_mov_b32_e32 v68, 0
	ds_read_b128 v[72:75], v68 offset:384
	s_waitcnt lgkmcnt(0)
	v_mul_f64 v[68:69], v[3:4], v[74:75]
	v_mul_f64 v[74:75], v[1:2], v[74:75]
	v_fma_f64 v[1:2], v[1:2], v[72:73], -v[68:69]
	v_fma_f64 v[3:4], v[3:4], v[72:73], v[74:75]
	buffer_store_dword v2, off, s[0:3], 0 offset:388
	buffer_store_dword v1, off, s[0:3], 0 offset:384
	buffer_store_dword v4, off, s[0:3], 0 offset:396
	buffer_store_dword v3, off, s[0:3], 0 offset:392
.LBB93_423:
	s_or_b32 exec_lo, exec_lo, s4
	v_mov_b32_e32 v4, s12
	s_mov_b32 s4, exec_lo
	s_clause 0x3
	buffer_load_dword v1, v4, s[0:3], 0 offen
	buffer_load_dword v2, v4, s[0:3], 0 offen offset:4
	buffer_load_dword v3, v4, s[0:3], 0 offen offset:8
	;; [unrolled: 1-line block ×3, first 2 shown]
	s_waitcnt vmcnt(0)
	ds_write_b128 v66, v[1:4]
	s_waitcnt lgkmcnt(0)
	s_waitcnt_vscnt null, 0x0
	s_barrier
	buffer_gl0_inv
	v_cmpx_gt_u32_e32 25, v0
	s_cbranch_execz .LBB93_431
; %bb.424:
	ds_read_b128 v[1:4], v66
	v_cmp_ne_u32_e32 vcc_lo, 1, v67
	s_cbranch_vccnz .LBB93_426
; %bb.425:
	s_clause 0x3
	buffer_load_dword v68, v65, s[0:3], 0 offen offset:8
	buffer_load_dword v69, v65, s[0:3], 0 offen offset:12
	buffer_load_dword v72, v65, s[0:3], 0 offen
	buffer_load_dword v73, v65, s[0:3], 0 offen offset:4
	s_waitcnt vmcnt(2) lgkmcnt(0)
	v_mul_f64 v[74:75], v[3:4], v[68:69]
	v_mul_f64 v[68:69], v[1:2], v[68:69]
	s_waitcnt vmcnt(0)
	v_fma_f64 v[1:2], v[1:2], v[72:73], -v[74:75]
	v_fma_f64 v[3:4], v[3:4], v[72:73], v[68:69]
.LBB93_426:
	s_mov_b32 s6, exec_lo
	v_cmpx_ne_u32_e32 24, v0
	s_cbranch_execz .LBB93_430
; %bb.427:
	v_add_nc_u32_e32 v68, 0x1f0, v71
	v_add3_u32 v69, 0, v71, 16
	v_mov_b32_e32 v70, v0
	s_mov_b32 s8, 0
	.p2align	6
.LBB93_428:                             ; =>This Inner Loop Header: Depth=1
	s_clause 0x3
	buffer_load_dword v76, v69, s[0:3], 0 offen offset:8
	buffer_load_dword v77, v69, s[0:3], 0 offen offset:12
	buffer_load_dword v78, v69, s[0:3], 0 offen
	buffer_load_dword v79, v69, s[0:3], 0 offen offset:4
	ds_read_b128 v[72:75], v68
	v_add_nc_u32_e32 v70, 1, v70
	v_add_nc_u32_e32 v68, 16, v68
	;; [unrolled: 1-line block ×3, first 2 shown]
	v_cmp_lt_u32_e32 vcc_lo, 23, v70
	s_or_b32 s8, vcc_lo, s8
	s_waitcnt vmcnt(2) lgkmcnt(0)
	v_mul_f64 v[80:81], v[74:75], v[76:77]
	v_mul_f64 v[76:77], v[72:73], v[76:77]
	s_waitcnt vmcnt(0)
	v_fma_f64 v[72:73], v[72:73], v[78:79], -v[80:81]
	v_fma_f64 v[74:75], v[74:75], v[78:79], v[76:77]
	v_add_f64 v[1:2], v[1:2], v[72:73]
	v_add_f64 v[3:4], v[3:4], v[74:75]
	s_andn2_b32 exec_lo, exec_lo, s8
	s_cbranch_execnz .LBB93_428
; %bb.429:
	s_or_b32 exec_lo, exec_lo, s8
.LBB93_430:
	s_or_b32 exec_lo, exec_lo, s6
	v_mov_b32_e32 v68, 0
	ds_read_b128 v[72:75], v68 offset:400
	s_waitcnt lgkmcnt(0)
	v_mul_f64 v[68:69], v[3:4], v[74:75]
	v_mul_f64 v[74:75], v[1:2], v[74:75]
	v_fma_f64 v[1:2], v[1:2], v[72:73], -v[68:69]
	v_fma_f64 v[3:4], v[3:4], v[72:73], v[74:75]
	buffer_store_dword v2, off, s[0:3], 0 offset:404
	buffer_store_dword v1, off, s[0:3], 0 offset:400
	;; [unrolled: 1-line block ×4, first 2 shown]
.LBB93_431:
	s_or_b32 exec_lo, exec_lo, s4
	v_mov_b32_e32 v4, s11
	s_mov_b32 s4, exec_lo
	s_clause 0x3
	buffer_load_dword v1, v4, s[0:3], 0 offen
	buffer_load_dword v2, v4, s[0:3], 0 offen offset:4
	buffer_load_dword v3, v4, s[0:3], 0 offen offset:8
	;; [unrolled: 1-line block ×3, first 2 shown]
	s_waitcnt vmcnt(0)
	ds_write_b128 v66, v[1:4]
	s_waitcnt lgkmcnt(0)
	s_waitcnt_vscnt null, 0x0
	s_barrier
	buffer_gl0_inv
	v_cmpx_gt_u32_e32 26, v0
	s_cbranch_execz .LBB93_439
; %bb.432:
	ds_read_b128 v[1:4], v66
	v_cmp_ne_u32_e32 vcc_lo, 1, v67
	s_cbranch_vccnz .LBB93_434
; %bb.433:
	s_clause 0x3
	buffer_load_dword v68, v65, s[0:3], 0 offen offset:8
	buffer_load_dword v69, v65, s[0:3], 0 offen offset:12
	buffer_load_dword v72, v65, s[0:3], 0 offen
	buffer_load_dword v73, v65, s[0:3], 0 offen offset:4
	s_waitcnt vmcnt(2) lgkmcnt(0)
	v_mul_f64 v[74:75], v[3:4], v[68:69]
	v_mul_f64 v[68:69], v[1:2], v[68:69]
	s_waitcnt vmcnt(0)
	v_fma_f64 v[1:2], v[1:2], v[72:73], -v[74:75]
	v_fma_f64 v[3:4], v[3:4], v[72:73], v[68:69]
.LBB93_434:
	s_mov_b32 s6, exec_lo
	v_cmpx_ne_u32_e32 25, v0
	s_cbranch_execz .LBB93_438
; %bb.435:
	v_add_nc_u32_e32 v68, 0x1f0, v71
	v_add3_u32 v69, 0, v71, 16
	v_mov_b32_e32 v70, v0
	s_mov_b32 s8, 0
	.p2align	6
.LBB93_436:                             ; =>This Inner Loop Header: Depth=1
	s_clause 0x3
	buffer_load_dword v76, v69, s[0:3], 0 offen offset:8
	buffer_load_dword v77, v69, s[0:3], 0 offen offset:12
	buffer_load_dword v78, v69, s[0:3], 0 offen
	buffer_load_dword v79, v69, s[0:3], 0 offen offset:4
	ds_read_b128 v[72:75], v68
	v_add_nc_u32_e32 v70, 1, v70
	v_add_nc_u32_e32 v68, 16, v68
	;; [unrolled: 1-line block ×3, first 2 shown]
	v_cmp_lt_u32_e32 vcc_lo, 24, v70
	s_or_b32 s8, vcc_lo, s8
	s_waitcnt vmcnt(2) lgkmcnt(0)
	v_mul_f64 v[80:81], v[74:75], v[76:77]
	v_mul_f64 v[76:77], v[72:73], v[76:77]
	s_waitcnt vmcnt(0)
	v_fma_f64 v[72:73], v[72:73], v[78:79], -v[80:81]
	v_fma_f64 v[74:75], v[74:75], v[78:79], v[76:77]
	v_add_f64 v[1:2], v[1:2], v[72:73]
	v_add_f64 v[3:4], v[3:4], v[74:75]
	s_andn2_b32 exec_lo, exec_lo, s8
	s_cbranch_execnz .LBB93_436
; %bb.437:
	s_or_b32 exec_lo, exec_lo, s8
.LBB93_438:
	s_or_b32 exec_lo, exec_lo, s6
	v_mov_b32_e32 v68, 0
	ds_read_b128 v[72:75], v68 offset:416
	s_waitcnt lgkmcnt(0)
	v_mul_f64 v[68:69], v[3:4], v[74:75]
	v_mul_f64 v[74:75], v[1:2], v[74:75]
	v_fma_f64 v[1:2], v[1:2], v[72:73], -v[68:69]
	v_fma_f64 v[3:4], v[3:4], v[72:73], v[74:75]
	buffer_store_dword v2, off, s[0:3], 0 offset:420
	buffer_store_dword v1, off, s[0:3], 0 offset:416
	;; [unrolled: 1-line block ×4, first 2 shown]
.LBB93_439:
	s_or_b32 exec_lo, exec_lo, s4
	v_mov_b32_e32 v4, s10
	s_mov_b32 s4, exec_lo
	s_clause 0x3
	buffer_load_dword v1, v4, s[0:3], 0 offen
	buffer_load_dword v2, v4, s[0:3], 0 offen offset:4
	buffer_load_dword v3, v4, s[0:3], 0 offen offset:8
	buffer_load_dword v4, v4, s[0:3], 0 offen offset:12
	s_waitcnt vmcnt(0)
	ds_write_b128 v66, v[1:4]
	s_waitcnt lgkmcnt(0)
	s_waitcnt_vscnt null, 0x0
	s_barrier
	buffer_gl0_inv
	v_cmpx_gt_u32_e32 27, v0
	s_cbranch_execz .LBB93_447
; %bb.440:
	ds_read_b128 v[1:4], v66
	v_cmp_ne_u32_e32 vcc_lo, 1, v67
	s_cbranch_vccnz .LBB93_442
; %bb.441:
	s_clause 0x3
	buffer_load_dword v68, v65, s[0:3], 0 offen offset:8
	buffer_load_dword v69, v65, s[0:3], 0 offen offset:12
	buffer_load_dword v72, v65, s[0:3], 0 offen
	buffer_load_dword v73, v65, s[0:3], 0 offen offset:4
	s_waitcnt vmcnt(2) lgkmcnt(0)
	v_mul_f64 v[74:75], v[3:4], v[68:69]
	v_mul_f64 v[68:69], v[1:2], v[68:69]
	s_waitcnt vmcnt(0)
	v_fma_f64 v[1:2], v[1:2], v[72:73], -v[74:75]
	v_fma_f64 v[3:4], v[3:4], v[72:73], v[68:69]
.LBB93_442:
	s_mov_b32 s6, exec_lo
	v_cmpx_ne_u32_e32 26, v0
	s_cbranch_execz .LBB93_446
; %bb.443:
	v_add_nc_u32_e32 v68, 0x1f0, v71
	v_add3_u32 v69, 0, v71, 16
	v_mov_b32_e32 v70, v0
	s_mov_b32 s8, 0
	.p2align	6
.LBB93_444:                             ; =>This Inner Loop Header: Depth=1
	s_clause 0x3
	buffer_load_dword v76, v69, s[0:3], 0 offen offset:8
	buffer_load_dword v77, v69, s[0:3], 0 offen offset:12
	buffer_load_dword v78, v69, s[0:3], 0 offen
	buffer_load_dword v79, v69, s[0:3], 0 offen offset:4
	ds_read_b128 v[72:75], v68
	v_add_nc_u32_e32 v70, 1, v70
	v_add_nc_u32_e32 v68, 16, v68
	v_add_nc_u32_e32 v69, 16, v69
	v_cmp_lt_u32_e32 vcc_lo, 25, v70
	s_or_b32 s8, vcc_lo, s8
	s_waitcnt vmcnt(2) lgkmcnt(0)
	v_mul_f64 v[80:81], v[74:75], v[76:77]
	v_mul_f64 v[76:77], v[72:73], v[76:77]
	s_waitcnt vmcnt(0)
	v_fma_f64 v[72:73], v[72:73], v[78:79], -v[80:81]
	v_fma_f64 v[74:75], v[74:75], v[78:79], v[76:77]
	v_add_f64 v[1:2], v[1:2], v[72:73]
	v_add_f64 v[3:4], v[3:4], v[74:75]
	s_andn2_b32 exec_lo, exec_lo, s8
	s_cbranch_execnz .LBB93_444
; %bb.445:
	s_or_b32 exec_lo, exec_lo, s8
.LBB93_446:
	s_or_b32 exec_lo, exec_lo, s6
	v_mov_b32_e32 v68, 0
	ds_read_b128 v[72:75], v68 offset:432
	s_waitcnt lgkmcnt(0)
	v_mul_f64 v[68:69], v[3:4], v[74:75]
	v_mul_f64 v[74:75], v[1:2], v[74:75]
	v_fma_f64 v[1:2], v[1:2], v[72:73], -v[68:69]
	v_fma_f64 v[3:4], v[3:4], v[72:73], v[74:75]
	buffer_store_dword v2, off, s[0:3], 0 offset:436
	buffer_store_dword v1, off, s[0:3], 0 offset:432
	;; [unrolled: 1-line block ×4, first 2 shown]
.LBB93_447:
	s_or_b32 exec_lo, exec_lo, s4
	v_mov_b32_e32 v4, s9
	v_cmp_gt_u32_e64 s4, 28, v0
	s_clause 0x3
	buffer_load_dword v1, v4, s[0:3], 0 offen
	buffer_load_dword v2, v4, s[0:3], 0 offen offset:4
	buffer_load_dword v3, v4, s[0:3], 0 offen offset:8
	;; [unrolled: 1-line block ×3, first 2 shown]
	s_waitcnt vmcnt(0)
	ds_write_b128 v66, v[1:4]
	s_waitcnt lgkmcnt(0)
	s_waitcnt_vscnt null, 0x0
	s_barrier
	buffer_gl0_inv
	s_and_saveexec_b32 s6, s4
	s_cbranch_execz .LBB93_455
; %bb.448:
	ds_read_b128 v[1:4], v66
	v_cmp_ne_u32_e32 vcc_lo, 1, v67
	s_cbranch_vccnz .LBB93_450
; %bb.449:
	s_clause 0x3
	buffer_load_dword v68, v65, s[0:3], 0 offen offset:8
	buffer_load_dword v69, v65, s[0:3], 0 offen offset:12
	buffer_load_dword v72, v65, s[0:3], 0 offen
	buffer_load_dword v73, v65, s[0:3], 0 offen offset:4
	s_waitcnt vmcnt(2) lgkmcnt(0)
	v_mul_f64 v[74:75], v[3:4], v[68:69]
	v_mul_f64 v[68:69], v[1:2], v[68:69]
	s_waitcnt vmcnt(0)
	v_fma_f64 v[1:2], v[1:2], v[72:73], -v[74:75]
	v_fma_f64 v[3:4], v[3:4], v[72:73], v[68:69]
.LBB93_450:
	s_mov_b32 s8, exec_lo
	v_cmpx_ne_u32_e32 27, v0
	s_cbranch_execz .LBB93_454
; %bb.451:
	v_add_nc_u32_e32 v68, 0x1f0, v71
	v_add3_u32 v69, 0, v71, 16
	v_mov_b32_e32 v70, v0
	s_mov_b32 s38, 0
	.p2align	6
.LBB93_452:                             ; =>This Inner Loop Header: Depth=1
	s_clause 0x3
	buffer_load_dword v76, v69, s[0:3], 0 offen offset:8
	buffer_load_dword v77, v69, s[0:3], 0 offen offset:12
	buffer_load_dword v78, v69, s[0:3], 0 offen
	buffer_load_dword v79, v69, s[0:3], 0 offen offset:4
	ds_read_b128 v[72:75], v68
	v_add_nc_u32_e32 v70, 1, v70
	v_add_nc_u32_e32 v68, 16, v68
	;; [unrolled: 1-line block ×3, first 2 shown]
	v_cmp_lt_u32_e32 vcc_lo, 26, v70
	s_or_b32 s38, vcc_lo, s38
	s_waitcnt vmcnt(2) lgkmcnt(0)
	v_mul_f64 v[80:81], v[74:75], v[76:77]
	v_mul_f64 v[76:77], v[72:73], v[76:77]
	s_waitcnt vmcnt(0)
	v_fma_f64 v[72:73], v[72:73], v[78:79], -v[80:81]
	v_fma_f64 v[74:75], v[74:75], v[78:79], v[76:77]
	v_add_f64 v[1:2], v[1:2], v[72:73]
	v_add_f64 v[3:4], v[3:4], v[74:75]
	s_andn2_b32 exec_lo, exec_lo, s38
	s_cbranch_execnz .LBB93_452
; %bb.453:
	s_or_b32 exec_lo, exec_lo, s38
.LBB93_454:
	s_or_b32 exec_lo, exec_lo, s8
	v_mov_b32_e32 v68, 0
	ds_read_b128 v[72:75], v68 offset:448
	s_waitcnt lgkmcnt(0)
	v_mul_f64 v[68:69], v[3:4], v[74:75]
	v_mul_f64 v[74:75], v[1:2], v[74:75]
	v_fma_f64 v[1:2], v[1:2], v[72:73], -v[68:69]
	v_fma_f64 v[3:4], v[3:4], v[72:73], v[74:75]
	buffer_store_dword v2, off, s[0:3], 0 offset:452
	buffer_store_dword v1, off, s[0:3], 0 offset:448
	;; [unrolled: 1-line block ×4, first 2 shown]
.LBB93_455:
	s_or_b32 exec_lo, exec_lo, s6
	v_mov_b32_e32 v4, s7
	s_mov_b32 s6, exec_lo
                                        ; implicit-def: $sgpr39
	s_clause 0x3
	buffer_load_dword v1, v4, s[0:3], 0 offen
	buffer_load_dword v2, v4, s[0:3], 0 offen offset:4
	buffer_load_dword v3, v4, s[0:3], 0 offen offset:8
	;; [unrolled: 1-line block ×3, first 2 shown]
	s_waitcnt vmcnt(0)
	ds_write_b128 v66, v[1:4]
	s_waitcnt lgkmcnt(0)
	s_waitcnt_vscnt null, 0x0
	s_barrier
	buffer_gl0_inv
                                        ; implicit-def: $vgpr1_vgpr2
	v_cmpx_ne_u32_e32 29, v0
	s_cbranch_execz .LBB93_463
; %bb.456:
	ds_read_b128 v[1:4], v66
	v_cmp_ne_u32_e32 vcc_lo, 1, v67
	s_cbranch_vccnz .LBB93_458
; %bb.457:
	s_clause 0x3
	buffer_load_dword v66, v65, s[0:3], 0 offen offset:8
	buffer_load_dword v67, v65, s[0:3], 0 offen offset:12
	buffer_load_dword v68, v65, s[0:3], 0 offen
	buffer_load_dword v69, v65, s[0:3], 0 offen offset:4
	s_waitcnt vmcnt(2) lgkmcnt(0)
	v_mul_f64 v[72:73], v[3:4], v[66:67]
	v_mul_f64 v[65:66], v[1:2], v[66:67]
	s_waitcnt vmcnt(0)
	v_fma_f64 v[1:2], v[1:2], v[68:69], -v[72:73]
	v_fma_f64 v[3:4], v[3:4], v[68:69], v[65:66]
.LBB93_458:
	s_and_saveexec_b32 s8, s4
	s_cbranch_execz .LBB93_462
; %bb.459:
	v_add_nc_u32_e32 v65, 0x1f0, v71
	v_add3_u32 v66, 0, v71, 16
	s_mov_b32 s4, 0
	.p2align	6
.LBB93_460:                             ; =>This Inner Loop Header: Depth=1
	s_clause 0x3
	buffer_load_dword v71, v66, s[0:3], 0 offen offset:8
	buffer_load_dword v72, v66, s[0:3], 0 offen offset:12
	buffer_load_dword v73, v66, s[0:3], 0 offen
	buffer_load_dword v74, v66, s[0:3], 0 offen offset:4
	ds_read_b128 v[67:70], v65
	v_add_nc_u32_e32 v0, 1, v0
	v_add_nc_u32_e32 v65, 16, v65
	;; [unrolled: 1-line block ×3, first 2 shown]
	v_cmp_lt_u32_e32 vcc_lo, 27, v0
	s_or_b32 s4, vcc_lo, s4
	s_waitcnt vmcnt(2) lgkmcnt(0)
	v_mul_f64 v[75:76], v[69:70], v[71:72]
	v_mul_f64 v[71:72], v[67:68], v[71:72]
	s_waitcnt vmcnt(0)
	v_fma_f64 v[67:68], v[67:68], v[73:74], -v[75:76]
	v_fma_f64 v[69:70], v[69:70], v[73:74], v[71:72]
	v_add_f64 v[1:2], v[1:2], v[67:68]
	v_add_f64 v[3:4], v[3:4], v[69:70]
	s_andn2_b32 exec_lo, exec_lo, s4
	s_cbranch_execnz .LBB93_460
; %bb.461:
	s_or_b32 exec_lo, exec_lo, s4
.LBB93_462:
	s_or_b32 exec_lo, exec_lo, s8
	v_mov_b32_e32 v0, 0
	s_movk_i32 s39, 0x1d8
	s_or_b32 s5, s5, exec_lo
	ds_read_b128 v[65:68], v0 offset:464
	s_waitcnt lgkmcnt(0)
	v_mul_f64 v[69:70], v[3:4], v[67:68]
	v_mul_f64 v[67:68], v[1:2], v[67:68]
	v_fma_f64 v[69:70], v[1:2], v[65:66], -v[69:70]
	v_fma_f64 v[1:2], v[3:4], v[65:66], v[67:68]
	buffer_store_dword v70, off, s[0:3], 0 offset:468
	buffer_store_dword v69, off, s[0:3], 0 offset:464
.LBB93_463:
	s_or_b32 exec_lo, exec_lo, s6
.LBB93_464:
	s_and_saveexec_b32 s4, s5
	s_cbranch_execz .LBB93_466
; %bb.465:
	v_mov_b32_e32 v0, s39
	buffer_store_dword v2, v0, s[0:3], 0 offen offset:4
	buffer_store_dword v1, v0, s[0:3], 0 offen
.LBB93_466:
	s_or_b32 exec_lo, exec_lo, s4
	s_clause 0x3
	buffer_load_dword v0, off, s[0:3], 0
	buffer_load_dword v1, off, s[0:3], 0 offset:4
	buffer_load_dword v2, off, s[0:3], 0 offset:8
	;; [unrolled: 1-line block ×3, first 2 shown]
	v_mov_b32_e32 v4, s37
	s_waitcnt vmcnt(0)
	flat_store_dwordx4 v[5:6], v[0:3]
	s_clause 0x3
	buffer_load_dword v0, v4, s[0:3], 0 offen
	buffer_load_dword v1, v4, s[0:3], 0 offen offset:4
	buffer_load_dword v2, v4, s[0:3], 0 offen offset:8
	buffer_load_dword v3, v4, s[0:3], 0 offen offset:12
	v_mov_b32_e32 v4, s36
	s_waitcnt vmcnt(0)
	flat_store_dwordx4 v[59:60], v[0:3]
	s_clause 0x3
	buffer_load_dword v0, v4, s[0:3], 0 offen
	buffer_load_dword v1, v4, s[0:3], 0 offen offset:4
	buffer_load_dword v2, v4, s[0:3], 0 offen offset:8
	buffer_load_dword v3, v4, s[0:3], 0 offen offset:12
	;; [unrolled: 8-line block ×29, first 2 shown]
	s_waitcnt vmcnt(0)
	flat_store_dwordx4 v[63:64], v[0:3]
.LBB93_467:
	s_endpgm
	.section	.rodata,"a",@progbits
	.p2align	6, 0x0
	.amdhsa_kernel _ZN9rocsolver6v33100L18trti2_kernel_smallILi30E19rocblas_complex_numIdEPKPS3_EEv13rocblas_fill_17rocblas_diagonal_T1_iil
		.amdhsa_group_segment_fixed_size 960
		.amdhsa_private_segment_fixed_size 496
		.amdhsa_kernarg_size 32
		.amdhsa_user_sgpr_count 6
		.amdhsa_user_sgpr_private_segment_buffer 1
		.amdhsa_user_sgpr_dispatch_ptr 0
		.amdhsa_user_sgpr_queue_ptr 0
		.amdhsa_user_sgpr_kernarg_segment_ptr 1
		.amdhsa_user_sgpr_dispatch_id 0
		.amdhsa_user_sgpr_flat_scratch_init 0
		.amdhsa_user_sgpr_private_segment_size 0
		.amdhsa_wavefront_size32 1
		.amdhsa_uses_dynamic_stack 0
		.amdhsa_system_sgpr_private_segment_wavefront_offset 1
		.amdhsa_system_sgpr_workgroup_id_x 1
		.amdhsa_system_sgpr_workgroup_id_y 0
		.amdhsa_system_sgpr_workgroup_id_z 0
		.amdhsa_system_sgpr_workgroup_info 0
		.amdhsa_system_vgpr_workitem_id 0
		.amdhsa_next_free_vgpr 82
		.amdhsa_next_free_sgpr 50
		.amdhsa_reserve_vcc 1
		.amdhsa_reserve_flat_scratch 0
		.amdhsa_float_round_mode_32 0
		.amdhsa_float_round_mode_16_64 0
		.amdhsa_float_denorm_mode_32 3
		.amdhsa_float_denorm_mode_16_64 3
		.amdhsa_dx10_clamp 1
		.amdhsa_ieee_mode 1
		.amdhsa_fp16_overflow 0
		.amdhsa_workgroup_processor_mode 1
		.amdhsa_memory_ordered 1
		.amdhsa_forward_progress 1
		.amdhsa_shared_vgpr_count 0
		.amdhsa_exception_fp_ieee_invalid_op 0
		.amdhsa_exception_fp_denorm_src 0
		.amdhsa_exception_fp_ieee_div_zero 0
		.amdhsa_exception_fp_ieee_overflow 0
		.amdhsa_exception_fp_ieee_underflow 0
		.amdhsa_exception_fp_ieee_inexact 0
		.amdhsa_exception_int_div_zero 0
	.end_amdhsa_kernel
	.section	.text._ZN9rocsolver6v33100L18trti2_kernel_smallILi30E19rocblas_complex_numIdEPKPS3_EEv13rocblas_fill_17rocblas_diagonal_T1_iil,"axG",@progbits,_ZN9rocsolver6v33100L18trti2_kernel_smallILi30E19rocblas_complex_numIdEPKPS3_EEv13rocblas_fill_17rocblas_diagonal_T1_iil,comdat
.Lfunc_end93:
	.size	_ZN9rocsolver6v33100L18trti2_kernel_smallILi30E19rocblas_complex_numIdEPKPS3_EEv13rocblas_fill_17rocblas_diagonal_T1_iil, .Lfunc_end93-_ZN9rocsolver6v33100L18trti2_kernel_smallILi30E19rocblas_complex_numIdEPKPS3_EEv13rocblas_fill_17rocblas_diagonal_T1_iil
                                        ; -- End function
	.set _ZN9rocsolver6v33100L18trti2_kernel_smallILi30E19rocblas_complex_numIdEPKPS3_EEv13rocblas_fill_17rocblas_diagonal_T1_iil.num_vgpr, 82
	.set _ZN9rocsolver6v33100L18trti2_kernel_smallILi30E19rocblas_complex_numIdEPKPS3_EEv13rocblas_fill_17rocblas_diagonal_T1_iil.num_agpr, 0
	.set _ZN9rocsolver6v33100L18trti2_kernel_smallILi30E19rocblas_complex_numIdEPKPS3_EEv13rocblas_fill_17rocblas_diagonal_T1_iil.numbered_sgpr, 50
	.set _ZN9rocsolver6v33100L18trti2_kernel_smallILi30E19rocblas_complex_numIdEPKPS3_EEv13rocblas_fill_17rocblas_diagonal_T1_iil.num_named_barrier, 0
	.set _ZN9rocsolver6v33100L18trti2_kernel_smallILi30E19rocblas_complex_numIdEPKPS3_EEv13rocblas_fill_17rocblas_diagonal_T1_iil.private_seg_size, 496
	.set _ZN9rocsolver6v33100L18trti2_kernel_smallILi30E19rocblas_complex_numIdEPKPS3_EEv13rocblas_fill_17rocblas_diagonal_T1_iil.uses_vcc, 1
	.set _ZN9rocsolver6v33100L18trti2_kernel_smallILi30E19rocblas_complex_numIdEPKPS3_EEv13rocblas_fill_17rocblas_diagonal_T1_iil.uses_flat_scratch, 0
	.set _ZN9rocsolver6v33100L18trti2_kernel_smallILi30E19rocblas_complex_numIdEPKPS3_EEv13rocblas_fill_17rocblas_diagonal_T1_iil.has_dyn_sized_stack, 0
	.set _ZN9rocsolver6v33100L18trti2_kernel_smallILi30E19rocblas_complex_numIdEPKPS3_EEv13rocblas_fill_17rocblas_diagonal_T1_iil.has_recursion, 0
	.set _ZN9rocsolver6v33100L18trti2_kernel_smallILi30E19rocblas_complex_numIdEPKPS3_EEv13rocblas_fill_17rocblas_diagonal_T1_iil.has_indirect_call, 0
	.section	.AMDGPU.csdata,"",@progbits
; Kernel info:
; codeLenInByte = 30284
; TotalNumSgprs: 52
; NumVgprs: 82
; ScratchSize: 496
; MemoryBound: 0
; FloatMode: 240
; IeeeMode: 1
; LDSByteSize: 960 bytes/workgroup (compile time only)
; SGPRBlocks: 0
; VGPRBlocks: 10
; NumSGPRsForWavesPerEU: 52
; NumVGPRsForWavesPerEU: 82
; Occupancy: 10
; WaveLimiterHint : 1
; COMPUTE_PGM_RSRC2:SCRATCH_EN: 1
; COMPUTE_PGM_RSRC2:USER_SGPR: 6
; COMPUTE_PGM_RSRC2:TRAP_HANDLER: 0
; COMPUTE_PGM_RSRC2:TGID_X_EN: 1
; COMPUTE_PGM_RSRC2:TGID_Y_EN: 0
; COMPUTE_PGM_RSRC2:TGID_Z_EN: 0
; COMPUTE_PGM_RSRC2:TIDIG_COMP_CNT: 0
	.section	.text._ZN9rocsolver6v33100L18trti2_kernel_smallILi31E19rocblas_complex_numIdEPKPS3_EEv13rocblas_fill_17rocblas_diagonal_T1_iil,"axG",@progbits,_ZN9rocsolver6v33100L18trti2_kernel_smallILi31E19rocblas_complex_numIdEPKPS3_EEv13rocblas_fill_17rocblas_diagonal_T1_iil,comdat
	.globl	_ZN9rocsolver6v33100L18trti2_kernel_smallILi31E19rocblas_complex_numIdEPKPS3_EEv13rocblas_fill_17rocblas_diagonal_T1_iil ; -- Begin function _ZN9rocsolver6v33100L18trti2_kernel_smallILi31E19rocblas_complex_numIdEPKPS3_EEv13rocblas_fill_17rocblas_diagonal_T1_iil
	.p2align	8
	.type	_ZN9rocsolver6v33100L18trti2_kernel_smallILi31E19rocblas_complex_numIdEPKPS3_EEv13rocblas_fill_17rocblas_diagonal_T1_iil,@function
_ZN9rocsolver6v33100L18trti2_kernel_smallILi31E19rocblas_complex_numIdEPKPS3_EEv13rocblas_fill_17rocblas_diagonal_T1_iil: ; @_ZN9rocsolver6v33100L18trti2_kernel_smallILi31E19rocblas_complex_numIdEPKPS3_EEv13rocblas_fill_17rocblas_diagonal_T1_iil
; %bb.0:
	s_add_u32 s0, s0, s7
	s_addc_u32 s1, s1, 0
	s_mov_b32 s7, exec_lo
	v_cmpx_gt_u32_e32 31, v0
	s_cbranch_execz .LBB94_483
; %bb.1:
	s_clause 0x1
	s_load_dwordx2 s[12:13], s[4:5], 0x10
	s_load_dwordx4 s[8:11], s[4:5], 0x0
	s_ashr_i32 s7, s6, 31
	v_lshlrev_b32_e32 v73, 4, v0
	s_lshl_b64 s[4:5], s[6:7], 3
	s_movk_i32 s14, 0xd0
	s_movk_i32 s15, 0xe0
	s_movk_i32 s16, 0xf0
	s_movk_i32 s17, 0x100
	s_movk_i32 s18, 0x110
	s_movk_i32 s19, 0x120
	s_movk_i32 s39, 0x130
	s_movk_i32 s40, 0x140
	s_movk_i32 s41, 0x150
	s_movk_i32 s42, 0x160
	s_movk_i32 s43, 0x170
	s_movk_i32 s44, 0x180
	s_movk_i32 s45, 0x190
	s_movk_i32 s46, 0x1a0
	s_movk_i32 s47, 0x1b0
	s_waitcnt lgkmcnt(0)
	s_ashr_i32 s7, s12, 31
	s_add_u32 s4, s10, s4
	s_addc_u32 s5, s11, s5
	s_mov_b32 s6, s12
	s_load_dwordx2 s[4:5], s[4:5], 0x0
	s_lshl_b64 s[6:7], s[6:7], 4
	v_add3_u32 v7, s13, s13, v0
	s_movk_i32 s10, 0x90
	s_movk_i32 s11, 0xa0
	;; [unrolled: 1-line block ×4, first 2 shown]
	v_ashrrev_i32_e32 v8, 31, v7
	s_movk_i32 s49, 0x1d0
	s_movk_i32 s50, 0x1e0
	v_lshlrev_b64 v[8:9], 4, v[7:8]
	v_add_nc_u32_e32 v7, s13, v7
	s_waitcnt lgkmcnt(0)
	s_add_u32 s6, s4, s6
	s_addc_u32 s7, s5, s7
	v_add_co_u32 v5, s4, s6, v73
	v_add_co_ci_u32_e64 v6, null, s7, 0, s4
	s_mov_b32 s4, s13
	s_ashr_i32 s5, s13, 31
	s_lshl_b64 s[4:5], s[4:5], 4
	flat_load_dwordx4 v[1:4], v[5:6]
	v_add_co_u32 v59, vcc_lo, v5, s4
	v_add_co_ci_u32_e64 v60, null, s5, v6, vcc_lo
	v_add_co_u32 v57, vcc_lo, s6, v8
	v_add_co_ci_u32_e64 v58, null, s7, v9, vcc_lo
	v_ashrrev_i32_e32 v8, 31, v7
	s_cmpk_lg_i32 s9, 0x84
	s_movk_i32 s4, 0x50
	s_movk_i32 s5, 0x60
	s_cselect_b32 s38, -1, 0
	v_lshlrev_b64 v[8:9], 4, v[7:8]
	v_add_nc_u32_e32 v7, s13, v7
	s_cmpk_eq_i32 s9, 0x84
	s_waitcnt vmcnt(0) lgkmcnt(0)
	buffer_store_dword v4, off, s[0:3], 0 offset:12
	buffer_store_dword v3, off, s[0:3], 0 offset:8
	;; [unrolled: 1-line block ×3, first 2 shown]
	buffer_store_dword v1, off, s[0:3], 0
	flat_load_dwordx4 v[1:4], v[59:60]
	v_add_co_u32 v55, vcc_lo, s6, v8
	v_add_co_ci_u32_e64 v56, null, s7, v9, vcc_lo
	v_ashrrev_i32_e32 v8, 31, v7
	s_waitcnt vmcnt(0) lgkmcnt(0)
	buffer_store_dword v4, off, s[0:3], 0 offset:28
	buffer_store_dword v3, off, s[0:3], 0 offset:24
	;; [unrolled: 1-line block ×4, first 2 shown]
	flat_load_dwordx4 v[1:4], v[57:58]
	v_lshlrev_b64 v[8:9], 4, v[7:8]
	v_add_nc_u32_e32 v7, s13, v7
	s_waitcnt vmcnt(0) lgkmcnt(0)
	buffer_store_dword v4, off, s[0:3], 0 offset:44
	buffer_store_dword v3, off, s[0:3], 0 offset:40
	;; [unrolled: 1-line block ×4, first 2 shown]
	flat_load_dwordx4 v[1:4], v[55:56]
	v_add_co_u32 v53, vcc_lo, s6, v8
	v_add_co_ci_u32_e64 v54, null, s7, v9, vcc_lo
	v_ashrrev_i32_e32 v8, 31, v7
	s_waitcnt vmcnt(0) lgkmcnt(0)
	buffer_store_dword v4, off, s[0:3], 0 offset:60
	buffer_store_dword v3, off, s[0:3], 0 offset:56
	;; [unrolled: 1-line block ×4, first 2 shown]
	flat_load_dwordx4 v[1:4], v[53:54]
	v_lshlrev_b64 v[8:9], 4, v[7:8]
	v_add_nc_u32_e32 v7, s13, v7
	s_waitcnt vmcnt(0) lgkmcnt(0)
	buffer_store_dword v4, off, s[0:3], 0 offset:76
	buffer_store_dword v3, off, s[0:3], 0 offset:72
	buffer_store_dword v2, off, s[0:3], 0 offset:68
	buffer_store_dword v1, off, s[0:3], 0 offset:64
	v_add_co_u32 v49, vcc_lo, s6, v8
	v_add_co_ci_u32_e64 v50, null, s7, v9, vcc_lo
	v_ashrrev_i32_e32 v8, 31, v7
	flat_load_dwordx4 v[1:4], v[49:50]
	s_waitcnt vmcnt(0) lgkmcnt(0)
	buffer_store_dword v4, off, s[0:3], 0 offset:92
	buffer_store_dword v3, off, s[0:3], 0 offset:88
	buffer_store_dword v2, off, s[0:3], 0 offset:84
	buffer_store_dword v1, off, s[0:3], 0 offset:80
	v_lshlrev_b64 v[8:9], 4, v[7:8]
	v_add_nc_u32_e32 v7, s13, v7
	v_add_co_u32 v47, vcc_lo, s6, v8
	v_add_co_ci_u32_e64 v48, null, s7, v9, vcc_lo
	v_ashrrev_i32_e32 v8, 31, v7
	flat_load_dwordx4 v[1:4], v[47:48]
	s_waitcnt vmcnt(0) lgkmcnt(0)
	buffer_store_dword v4, off, s[0:3], 0 offset:108
	buffer_store_dword v3, off, s[0:3], 0 offset:104
	buffer_store_dword v2, off, s[0:3], 0 offset:100
	buffer_store_dword v1, off, s[0:3], 0 offset:96
	v_lshlrev_b64 v[8:9], 4, v[7:8]
	v_add_nc_u32_e32 v7, s13, v7
	;; [unrolled: 11-line block ×18, first 2 shown]
	v_add_co_u32 v11, vcc_lo, s6, v8
	v_add_co_ci_u32_e64 v12, null, s7, v9, vcc_lo
	v_ashrrev_i32_e32 v8, 31, v7
	v_add_nc_u32_e32 v33, s13, v7
	flat_load_dwordx4 v[1:4], v[11:12]
	s_waitcnt vmcnt(0) lgkmcnt(0)
	buffer_store_dword v4, off, s[0:3], 0 offset:380
	buffer_store_dword v3, off, s[0:3], 0 offset:376
	;; [unrolled: 1-line block ×4, first 2 shown]
	v_lshlrev_b64 v[9:10], 4, v[7:8]
	v_ashrrev_i32_e32 v34, 31, v33
	v_add_nc_u32_e32 v51, s13, v33
	v_add_co_u32 v9, vcc_lo, s6, v9
	v_add_co_ci_u32_e64 v10, null, s7, v10, vcc_lo
	v_lshlrev_b64 v[7:8], 4, v[33:34]
	v_ashrrev_i32_e32 v52, 31, v51
	v_add_nc_u32_e32 v61, s13, v51
	flat_load_dwordx4 v[1:4], v[9:10]
	s_waitcnt vmcnt(0) lgkmcnt(0)
	buffer_store_dword v4, off, s[0:3], 0 offset:396
	buffer_store_dword v3, off, s[0:3], 0 offset:392
	buffer_store_dword v2, off, s[0:3], 0 offset:388
	buffer_store_dword v1, off, s[0:3], 0 offset:384
	v_add_co_u32 v7, vcc_lo, s6, v7
	v_add_co_ci_u32_e64 v8, null, s7, v8, vcc_lo
	v_lshlrev_b64 v[33:34], 4, v[51:52]
	v_ashrrev_i32_e32 v62, 31, v61
	v_add_nc_u32_e32 v63, s13, v61
	flat_load_dwordx4 v[1:4], v[7:8]
	s_waitcnt vmcnt(0) lgkmcnt(0)
	buffer_store_dword v4, off, s[0:3], 0 offset:412
	buffer_store_dword v3, off, s[0:3], 0 offset:408
	buffer_store_dword v2, off, s[0:3], 0 offset:404
	buffer_store_dword v1, off, s[0:3], 0 offset:400
	v_add_co_u32 v33, vcc_lo, s6, v33
	v_add_co_ci_u32_e64 v34, null, s7, v34, vcc_lo
	v_lshlrev_b64 v[51:52], 4, v[61:62]
	v_ashrrev_i32_e32 v64, 31, v63
	v_add_nc_u32_e32 v65, s13, v63
	flat_load_dwordx4 v[1:4], v[33:34]
	s_waitcnt vmcnt(0) lgkmcnt(0)
	buffer_store_dword v4, off, s[0:3], 0 offset:428
	buffer_store_dword v3, off, s[0:3], 0 offset:424
	buffer_store_dword v2, off, s[0:3], 0 offset:420
	buffer_store_dword v1, off, s[0:3], 0 offset:416
	v_add_co_u32 v51, vcc_lo, s6, v51
	v_add_co_ci_u32_e64 v52, null, s7, v52, vcc_lo
	v_lshlrev_b64 v[61:62], 4, v[63:64]
	v_ashrrev_i32_e32 v66, 31, v65
	flat_load_dwordx4 v[1:4], v[51:52]
	s_waitcnt vmcnt(0) lgkmcnt(0)
	buffer_store_dword v4, off, s[0:3], 0 offset:444
	buffer_store_dword v3, off, s[0:3], 0 offset:440
	;; [unrolled: 1-line block ×4, first 2 shown]
	v_add_co_u32 v61, vcc_lo, s6, v61
	v_add_co_ci_u32_e64 v62, null, s7, v62, vcc_lo
	v_lshlrev_b64 v[63:64], 4, v[65:66]
	v_add_nc_u32_e32 v65, s13, v65
	s_movk_i32 s13, 0xc0
	flat_load_dwordx4 v[1:4], v[61:62]
	s_waitcnt vmcnt(0) lgkmcnt(0)
	buffer_store_dword v4, off, s[0:3], 0 offset:460
	buffer_store_dword v3, off, s[0:3], 0 offset:456
	buffer_store_dword v2, off, s[0:3], 0 offset:452
	buffer_store_dword v1, off, s[0:3], 0 offset:448
	v_add_co_u32 v63, vcc_lo, s6, v63
	v_add_co_ci_u32_e64 v64, null, s7, v64, vcc_lo
	v_ashrrev_i32_e32 v66, 31, v65
	flat_load_dwordx4 v[1:4], v[63:64]
	s_waitcnt vmcnt(0) lgkmcnt(0)
	buffer_store_dword v4, off, s[0:3], 0 offset:476
	buffer_store_dword v3, off, s[0:3], 0 offset:472
	;; [unrolled: 1-line block ×4, first 2 shown]
	v_lshlrev_b64 v[65:66], 4, v[65:66]
	v_add_co_u32 v65, vcc_lo, s6, v65
	v_add_co_ci_u32_e64 v66, null, s7, v66, vcc_lo
	s_movk_i32 s6, 0x70
	s_movk_i32 s7, 0x80
	flat_load_dwordx4 v[1:4], v[65:66]
	s_waitcnt vmcnt(0) lgkmcnt(0)
	buffer_store_dword v4, off, s[0:3], 0 offset:492
	buffer_store_dword v3, off, s[0:3], 0 offset:488
	;; [unrolled: 1-line block ×4, first 2 shown]
	s_cbranch_scc1 .LBB94_7
; %bb.2:
	v_lshl_add_u32 v74, v0, 4, 0
                                        ; implicit-def: $vgpr69_vgpr70
                                        ; implicit-def: $vgpr3_vgpr4
	s_clause 0x3
	buffer_load_dword v67, v74, s[0:3], 0 offen
	buffer_load_dword v68, v74, s[0:3], 0 offen offset:4
	buffer_load_dword v71, v74, s[0:3], 0 offen offset:8
	;; [unrolled: 1-line block ×3, first 2 shown]
	s_waitcnt vmcnt(0)
	v_cmp_ngt_f64_e64 s9, |v[67:68]|, |v[71:72]|
	s_and_saveexec_b32 s20, s9
	s_xor_b32 s9, exec_lo, s20
	s_cbranch_execz .LBB94_4
; %bb.3:
	v_div_scale_f64 v[1:2], null, v[71:72], v[71:72], v[67:68]
	v_div_scale_f64 v[75:76], vcc_lo, v[67:68], v[71:72], v[67:68]
	v_rcp_f64_e32 v[3:4], v[1:2]
	v_fma_f64 v[69:70], -v[1:2], v[3:4], 1.0
	v_fma_f64 v[3:4], v[3:4], v[69:70], v[3:4]
	v_fma_f64 v[69:70], -v[1:2], v[3:4], 1.0
	v_fma_f64 v[3:4], v[3:4], v[69:70], v[3:4]
	v_mul_f64 v[69:70], v[75:76], v[3:4]
	v_fma_f64 v[1:2], -v[1:2], v[69:70], v[75:76]
	v_div_fmas_f64 v[1:2], v[1:2], v[3:4], v[69:70]
	v_div_fixup_f64 v[1:2], v[1:2], v[71:72], v[67:68]
	v_fma_f64 v[3:4], v[67:68], v[1:2], v[71:72]
	v_div_scale_f64 v[67:68], null, v[3:4], v[3:4], 1.0
	v_div_scale_f64 v[75:76], vcc_lo, 1.0, v[3:4], 1.0
	v_rcp_f64_e32 v[69:70], v[67:68]
	v_fma_f64 v[71:72], -v[67:68], v[69:70], 1.0
	v_fma_f64 v[69:70], v[69:70], v[71:72], v[69:70]
	v_fma_f64 v[71:72], -v[67:68], v[69:70], 1.0
	v_fma_f64 v[69:70], v[69:70], v[71:72], v[69:70]
	v_mul_f64 v[71:72], v[75:76], v[69:70]
	v_fma_f64 v[67:68], -v[67:68], v[71:72], v[75:76]
	v_div_fmas_f64 v[67:68], v[67:68], v[69:70], v[71:72]
                                        ; implicit-def: $vgpr71_vgpr72
	v_div_fixup_f64 v[3:4], v[67:68], v[3:4], 1.0
                                        ; implicit-def: $vgpr67_vgpr68
	v_mul_f64 v[69:70], v[1:2], v[3:4]
	v_xor_b32_e32 v4, 0x80000000, v4
	v_xor_b32_e32 v2, 0x80000000, v70
	v_mov_b32_e32 v1, v69
.LBB94_4:
	s_andn2_saveexec_b32 s9, s9
	s_cbranch_execz .LBB94_6
; %bb.5:
	v_div_scale_f64 v[1:2], null, v[67:68], v[67:68], v[71:72]
	v_div_scale_f64 v[75:76], vcc_lo, v[71:72], v[67:68], v[71:72]
	v_rcp_f64_e32 v[3:4], v[1:2]
	v_fma_f64 v[69:70], -v[1:2], v[3:4], 1.0
	v_fma_f64 v[3:4], v[3:4], v[69:70], v[3:4]
	v_fma_f64 v[69:70], -v[1:2], v[3:4], 1.0
	v_fma_f64 v[3:4], v[3:4], v[69:70], v[3:4]
	v_mul_f64 v[69:70], v[75:76], v[3:4]
	v_fma_f64 v[1:2], -v[1:2], v[69:70], v[75:76]
	v_div_fmas_f64 v[1:2], v[1:2], v[3:4], v[69:70]
	v_div_fixup_f64 v[1:2], v[1:2], v[67:68], v[71:72]
	v_fma_f64 v[3:4], v[71:72], v[1:2], v[67:68]
	v_div_scale_f64 v[67:68], null, v[3:4], v[3:4], 1.0
	v_rcp_f64_e32 v[69:70], v[67:68]
	v_fma_f64 v[71:72], -v[67:68], v[69:70], 1.0
	v_fma_f64 v[69:70], v[69:70], v[71:72], v[69:70]
	v_fma_f64 v[71:72], -v[67:68], v[69:70], 1.0
	v_fma_f64 v[69:70], v[69:70], v[71:72], v[69:70]
	v_div_scale_f64 v[71:72], vcc_lo, 1.0, v[3:4], 1.0
	v_mul_f64 v[75:76], v[71:72], v[69:70]
	v_fma_f64 v[67:68], -v[67:68], v[75:76], v[71:72]
	v_div_fmas_f64 v[67:68], v[67:68], v[69:70], v[75:76]
	v_div_fixup_f64 v[69:70], v[67:68], v[3:4], 1.0
	v_mul_f64 v[3:4], v[1:2], -v[69:70]
	v_xor_b32_e32 v2, 0x80000000, v70
	v_mov_b32_e32 v1, v69
.LBB94_6:
	s_or_b32 exec_lo, exec_lo, s9
	buffer_store_dword v4, v74, s[0:3], 0 offen offset:12
	v_xor_b32_e32 v4, 0x80000000, v4
	buffer_store_dword v70, v74, s[0:3], 0 offen offset:4
	buffer_store_dword v69, v74, s[0:3], 0 offen
	buffer_store_dword v3, v74, s[0:3], 0 offen offset:8
	s_branch .LBB94_8
.LBB94_7:
	v_mov_b32_e32 v1, 0
	v_mov_b32_e32 v3, 0
	;; [unrolled: 1-line block ×4, first 2 shown]
.LBB94_8:
	v_add_nc_u32_e32 v68, 0x1f0, v73
	v_mov_b32_e32 v67, v73
	s_mov_b32 s37, 16
	s_mov_b32 s36, 32
	;; [unrolled: 1-line block ×29, first 2 shown]
	s_cmpk_eq_i32 s8, 0x79
	ds_write_b128 v73, v[1:4]
	s_cbranch_scc1 .LBB94_244
; %bb.9:
	v_mov_b32_e32 v4, s7
	v_cmp_eq_u32_e64 s4, 30, v0
	s_clause 0x3
	buffer_load_dword v1, v4, s[0:3], 0 offen
	buffer_load_dword v2, v4, s[0:3], 0 offen offset:4
	buffer_load_dword v3, v4, s[0:3], 0 offen offset:8
	;; [unrolled: 1-line block ×3, first 2 shown]
	s_waitcnt vmcnt(0)
	ds_write_b128 v68, v[1:4]
	s_waitcnt lgkmcnt(0)
	s_waitcnt_vscnt null, 0x0
	s_barrier
	buffer_gl0_inv
	s_and_saveexec_b32 s5, s4
	s_cbranch_execz .LBB94_13
; %bb.10:
	ds_read_b128 v[1:4], v68
	s_andn2_b32 vcc_lo, exec_lo, s38
	s_cbranch_vccnz .LBB94_12
; %bb.11:
	s_clause 0x3
	buffer_load_dword v69, v67, s[0:3], 0 offen offset:8
	buffer_load_dword v70, v67, s[0:3], 0 offen offset:12
	buffer_load_dword v71, v67, s[0:3], 0 offen
	buffer_load_dword v72, v67, s[0:3], 0 offen offset:4
	s_waitcnt vmcnt(2) lgkmcnt(0)
	v_mul_f64 v[74:75], v[3:4], v[69:70]
	v_mul_f64 v[69:70], v[1:2], v[69:70]
	s_waitcnt vmcnt(0)
	v_fma_f64 v[1:2], v[1:2], v[71:72], -v[74:75]
	v_fma_f64 v[3:4], v[3:4], v[71:72], v[69:70]
.LBB94_12:
	v_mov_b32_e32 v69, 0
	ds_read_b128 v[69:72], v69 offset:464
	s_waitcnt lgkmcnt(0)
	v_mul_f64 v[74:75], v[3:4], v[71:72]
	v_mul_f64 v[71:72], v[1:2], v[71:72]
	v_fma_f64 v[1:2], v[1:2], v[69:70], -v[74:75]
	v_fma_f64 v[3:4], v[3:4], v[69:70], v[71:72]
	buffer_store_dword v2, off, s[0:3], 0 offset:468
	buffer_store_dword v1, off, s[0:3], 0 offset:464
	;; [unrolled: 1-line block ×4, first 2 shown]
.LBB94_13:
	s_or_b32 exec_lo, exec_lo, s5
	v_mov_b32_e32 v4, s9
	v_cmp_lt_u32_e64 s5, 28, v0
	s_clause 0x3
	buffer_load_dword v1, v4, s[0:3], 0 offen
	buffer_load_dword v2, v4, s[0:3], 0 offen offset:4
	buffer_load_dword v3, v4, s[0:3], 0 offen offset:8
	;; [unrolled: 1-line block ×3, first 2 shown]
	s_waitcnt vmcnt(0)
	ds_write_b128 v68, v[1:4]
	s_waitcnt lgkmcnt(0)
	s_waitcnt_vscnt null, 0x0
	s_barrier
	buffer_gl0_inv
	s_and_saveexec_b32 s8, s5
	s_cbranch_execz .LBB94_19
; %bb.14:
	ds_read_b128 v[1:4], v68
	s_andn2_b32 vcc_lo, exec_lo, s38
	s_cbranch_vccnz .LBB94_16
; %bb.15:
	s_clause 0x3
	buffer_load_dword v69, v67, s[0:3], 0 offen offset:8
	buffer_load_dword v70, v67, s[0:3], 0 offen offset:12
	buffer_load_dword v71, v67, s[0:3], 0 offen
	buffer_load_dword v72, v67, s[0:3], 0 offen offset:4
	s_waitcnt vmcnt(2) lgkmcnt(0)
	v_mul_f64 v[74:75], v[3:4], v[69:70]
	v_mul_f64 v[69:70], v[1:2], v[69:70]
	s_waitcnt vmcnt(0)
	v_fma_f64 v[1:2], v[1:2], v[71:72], -v[74:75]
	v_fma_f64 v[3:4], v[3:4], v[71:72], v[69:70]
.LBB94_16:
	s_and_saveexec_b32 s39, s4
	s_cbranch_execz .LBB94_18
; %bb.17:
	s_clause 0x3
	buffer_load_dword v74, off, s[0:3], 0 offset:472
	buffer_load_dword v75, off, s[0:3], 0 offset:476
	;; [unrolled: 1-line block ×4, first 2 shown]
	v_mov_b32_e32 v69, 0
	ds_read_b128 v[69:72], v69 offset:960
	s_waitcnt vmcnt(2) lgkmcnt(0)
	v_mul_f64 v[78:79], v[69:70], v[74:75]
	v_mul_f64 v[74:75], v[71:72], v[74:75]
	s_waitcnt vmcnt(0)
	v_fma_f64 v[71:72], v[71:72], v[76:77], v[78:79]
	v_fma_f64 v[69:70], v[69:70], v[76:77], -v[74:75]
	v_add_f64 v[3:4], v[3:4], v[71:72]
	v_add_f64 v[1:2], v[1:2], v[69:70]
.LBB94_18:
	s_or_b32 exec_lo, exec_lo, s39
	v_mov_b32_e32 v69, 0
	ds_read_b128 v[69:72], v69 offset:448
	s_waitcnt lgkmcnt(0)
	v_mul_f64 v[74:75], v[3:4], v[71:72]
	v_mul_f64 v[71:72], v[1:2], v[71:72]
	v_fma_f64 v[1:2], v[1:2], v[69:70], -v[74:75]
	v_fma_f64 v[3:4], v[3:4], v[69:70], v[71:72]
	buffer_store_dword v2, off, s[0:3], 0 offset:452
	buffer_store_dword v1, off, s[0:3], 0 offset:448
	;; [unrolled: 1-line block ×4, first 2 shown]
.LBB94_19:
	s_or_b32 exec_lo, exec_lo, s8
	v_mov_b32_e32 v4, s10
	v_cmp_lt_u32_e64 s4, 27, v0
	s_clause 0x3
	buffer_load_dword v1, v4, s[0:3], 0 offen
	buffer_load_dword v2, v4, s[0:3], 0 offen offset:4
	buffer_load_dword v3, v4, s[0:3], 0 offen offset:8
	buffer_load_dword v4, v4, s[0:3], 0 offen offset:12
	s_waitcnt vmcnt(0)
	ds_write_b128 v68, v[1:4]
	s_waitcnt lgkmcnt(0)
	s_waitcnt_vscnt null, 0x0
	s_barrier
	buffer_gl0_inv
	s_and_saveexec_b32 s8, s4
	s_cbranch_execz .LBB94_27
; %bb.20:
	ds_read_b128 v[1:4], v68
	s_andn2_b32 vcc_lo, exec_lo, s38
	s_cbranch_vccnz .LBB94_22
; %bb.21:
	s_clause 0x3
	buffer_load_dword v69, v67, s[0:3], 0 offen offset:8
	buffer_load_dword v70, v67, s[0:3], 0 offen offset:12
	buffer_load_dword v71, v67, s[0:3], 0 offen
	buffer_load_dword v72, v67, s[0:3], 0 offen offset:4
	s_waitcnt vmcnt(2) lgkmcnt(0)
	v_mul_f64 v[74:75], v[3:4], v[69:70]
	v_mul_f64 v[69:70], v[1:2], v[69:70]
	s_waitcnt vmcnt(0)
	v_fma_f64 v[1:2], v[1:2], v[71:72], -v[74:75]
	v_fma_f64 v[3:4], v[3:4], v[71:72], v[69:70]
.LBB94_22:
	s_and_saveexec_b32 s39, s5
	s_cbranch_execz .LBB94_26
; %bb.23:
	v_subrev_nc_u32_e32 v69, 28, v0
	s_movk_i32 s40, 0x3b0
	s_mov_b32 s5, 0
	s_mov_b32 s41, s9
	.p2align	6
.LBB94_24:                              ; =>This Inner Loop Header: Depth=1
	v_mov_b32_e32 v72, s41
	v_add_nc_u32_e32 v69, -1, v69
	s_add_i32 s41, s41, 16
	s_clause 0x3
	buffer_load_dword v70, v72, s[0:3], 0 offen offset:8
	buffer_load_dword v71, v72, s[0:3], 0 offen offset:12
	buffer_load_dword v78, v72, s[0:3], 0 offen
	buffer_load_dword v79, v72, s[0:3], 0 offen offset:4
	v_mov_b32_e32 v72, s40
	v_cmp_eq_u32_e32 vcc_lo, 0, v69
	s_add_i32 s40, s40, 16
	ds_read_b128 v[74:77], v72
	s_or_b32 s5, vcc_lo, s5
	s_waitcnt vmcnt(2) lgkmcnt(0)
	v_mul_f64 v[80:81], v[76:77], v[70:71]
	v_mul_f64 v[70:71], v[74:75], v[70:71]
	s_waitcnt vmcnt(0)
	v_fma_f64 v[74:75], v[74:75], v[78:79], -v[80:81]
	v_fma_f64 v[70:71], v[76:77], v[78:79], v[70:71]
	v_add_f64 v[1:2], v[1:2], v[74:75]
	v_add_f64 v[3:4], v[3:4], v[70:71]
	s_andn2_b32 exec_lo, exec_lo, s5
	s_cbranch_execnz .LBB94_24
; %bb.25:
	s_or_b32 exec_lo, exec_lo, s5
.LBB94_26:
	s_or_b32 exec_lo, exec_lo, s39
	v_mov_b32_e32 v69, 0
	ds_read_b128 v[69:72], v69 offset:432
	s_waitcnt lgkmcnt(0)
	v_mul_f64 v[74:75], v[3:4], v[71:72]
	v_mul_f64 v[71:72], v[1:2], v[71:72]
	v_fma_f64 v[1:2], v[1:2], v[69:70], -v[74:75]
	v_fma_f64 v[3:4], v[3:4], v[69:70], v[71:72]
	buffer_store_dword v2, off, s[0:3], 0 offset:436
	buffer_store_dword v1, off, s[0:3], 0 offset:432
	;; [unrolled: 1-line block ×4, first 2 shown]
.LBB94_27:
	s_or_b32 exec_lo, exec_lo, s8
	v_mov_b32_e32 v4, s11
	v_cmp_lt_u32_e64 s5, 26, v0
	s_clause 0x3
	buffer_load_dword v1, v4, s[0:3], 0 offen
	buffer_load_dword v2, v4, s[0:3], 0 offen offset:4
	buffer_load_dword v3, v4, s[0:3], 0 offen offset:8
	;; [unrolled: 1-line block ×3, first 2 shown]
	s_waitcnt vmcnt(0)
	ds_write_b128 v68, v[1:4]
	s_waitcnt lgkmcnt(0)
	s_waitcnt_vscnt null, 0x0
	s_barrier
	buffer_gl0_inv
	s_and_saveexec_b32 s8, s5
	s_cbranch_execz .LBB94_35
; %bb.28:
	ds_read_b128 v[1:4], v68
	s_andn2_b32 vcc_lo, exec_lo, s38
	s_cbranch_vccnz .LBB94_30
; %bb.29:
	s_clause 0x3
	buffer_load_dword v69, v67, s[0:3], 0 offen offset:8
	buffer_load_dword v70, v67, s[0:3], 0 offen offset:12
	buffer_load_dword v71, v67, s[0:3], 0 offen
	buffer_load_dword v72, v67, s[0:3], 0 offen offset:4
	s_waitcnt vmcnt(2) lgkmcnt(0)
	v_mul_f64 v[74:75], v[3:4], v[69:70]
	v_mul_f64 v[69:70], v[1:2], v[69:70]
	s_waitcnt vmcnt(0)
	v_fma_f64 v[1:2], v[1:2], v[71:72], -v[74:75]
	v_fma_f64 v[3:4], v[3:4], v[71:72], v[69:70]
.LBB94_30:
	s_and_saveexec_b32 s39, s4
	s_cbranch_execz .LBB94_34
; %bb.31:
	v_subrev_nc_u32_e32 v69, 27, v0
	s_movk_i32 s40, 0x3a0
	s_mov_b32 s4, 0
	s_mov_b32 s41, s10
	.p2align	6
.LBB94_32:                              ; =>This Inner Loop Header: Depth=1
	v_mov_b32_e32 v72, s41
	v_add_nc_u32_e32 v69, -1, v69
	s_add_i32 s41, s41, 16
	s_clause 0x3
	buffer_load_dword v70, v72, s[0:3], 0 offen offset:8
	buffer_load_dword v71, v72, s[0:3], 0 offen offset:12
	buffer_load_dword v78, v72, s[0:3], 0 offen
	buffer_load_dword v79, v72, s[0:3], 0 offen offset:4
	v_mov_b32_e32 v72, s40
	v_cmp_eq_u32_e32 vcc_lo, 0, v69
	s_add_i32 s40, s40, 16
	ds_read_b128 v[74:77], v72
	s_or_b32 s4, vcc_lo, s4
	s_waitcnt vmcnt(2) lgkmcnt(0)
	v_mul_f64 v[80:81], v[76:77], v[70:71]
	v_mul_f64 v[70:71], v[74:75], v[70:71]
	s_waitcnt vmcnt(0)
	v_fma_f64 v[74:75], v[74:75], v[78:79], -v[80:81]
	v_fma_f64 v[70:71], v[76:77], v[78:79], v[70:71]
	v_add_f64 v[1:2], v[1:2], v[74:75]
	v_add_f64 v[3:4], v[3:4], v[70:71]
	s_andn2_b32 exec_lo, exec_lo, s4
	s_cbranch_execnz .LBB94_32
; %bb.33:
	s_or_b32 exec_lo, exec_lo, s4
.LBB94_34:
	s_or_b32 exec_lo, exec_lo, s39
	v_mov_b32_e32 v69, 0
	ds_read_b128 v[69:72], v69 offset:416
	s_waitcnt lgkmcnt(0)
	v_mul_f64 v[74:75], v[3:4], v[71:72]
	v_mul_f64 v[71:72], v[1:2], v[71:72]
	v_fma_f64 v[1:2], v[1:2], v[69:70], -v[74:75]
	v_fma_f64 v[3:4], v[3:4], v[69:70], v[71:72]
	buffer_store_dword v2, off, s[0:3], 0 offset:420
	buffer_store_dword v1, off, s[0:3], 0 offset:416
	;; [unrolled: 1-line block ×4, first 2 shown]
.LBB94_35:
	s_or_b32 exec_lo, exec_lo, s8
	v_mov_b32_e32 v4, s12
	v_cmp_lt_u32_e64 s4, 25, v0
	s_clause 0x3
	buffer_load_dword v1, v4, s[0:3], 0 offen
	buffer_load_dword v2, v4, s[0:3], 0 offen offset:4
	buffer_load_dword v3, v4, s[0:3], 0 offen offset:8
	buffer_load_dword v4, v4, s[0:3], 0 offen offset:12
	s_waitcnt vmcnt(0)
	ds_write_b128 v68, v[1:4]
	s_waitcnt lgkmcnt(0)
	s_waitcnt_vscnt null, 0x0
	s_barrier
	buffer_gl0_inv
	s_and_saveexec_b32 s8, s4
	s_cbranch_execz .LBB94_43
; %bb.36:
	ds_read_b128 v[1:4], v68
	s_andn2_b32 vcc_lo, exec_lo, s38
	s_cbranch_vccnz .LBB94_38
; %bb.37:
	s_clause 0x3
	buffer_load_dword v69, v67, s[0:3], 0 offen offset:8
	buffer_load_dword v70, v67, s[0:3], 0 offen offset:12
	buffer_load_dword v71, v67, s[0:3], 0 offen
	buffer_load_dword v72, v67, s[0:3], 0 offen offset:4
	s_waitcnt vmcnt(2) lgkmcnt(0)
	v_mul_f64 v[74:75], v[3:4], v[69:70]
	v_mul_f64 v[69:70], v[1:2], v[69:70]
	s_waitcnt vmcnt(0)
	v_fma_f64 v[1:2], v[1:2], v[71:72], -v[74:75]
	v_fma_f64 v[3:4], v[3:4], v[71:72], v[69:70]
.LBB94_38:
	s_and_saveexec_b32 s39, s5
	s_cbranch_execz .LBB94_42
; %bb.39:
	v_subrev_nc_u32_e32 v69, 26, v0
	s_movk_i32 s40, 0x390
	s_mov_b32 s5, 0
	s_mov_b32 s41, s11
	.p2align	6
.LBB94_40:                              ; =>This Inner Loop Header: Depth=1
	v_mov_b32_e32 v72, s41
	v_add_nc_u32_e32 v69, -1, v69
	s_add_i32 s41, s41, 16
	s_clause 0x3
	buffer_load_dword v70, v72, s[0:3], 0 offen offset:8
	buffer_load_dword v71, v72, s[0:3], 0 offen offset:12
	buffer_load_dword v78, v72, s[0:3], 0 offen
	buffer_load_dword v79, v72, s[0:3], 0 offen offset:4
	v_mov_b32_e32 v72, s40
	v_cmp_eq_u32_e32 vcc_lo, 0, v69
	s_add_i32 s40, s40, 16
	ds_read_b128 v[74:77], v72
	s_or_b32 s5, vcc_lo, s5
	s_waitcnt vmcnt(2) lgkmcnt(0)
	v_mul_f64 v[80:81], v[76:77], v[70:71]
	v_mul_f64 v[70:71], v[74:75], v[70:71]
	s_waitcnt vmcnt(0)
	v_fma_f64 v[74:75], v[74:75], v[78:79], -v[80:81]
	v_fma_f64 v[70:71], v[76:77], v[78:79], v[70:71]
	v_add_f64 v[1:2], v[1:2], v[74:75]
	v_add_f64 v[3:4], v[3:4], v[70:71]
	s_andn2_b32 exec_lo, exec_lo, s5
	s_cbranch_execnz .LBB94_40
; %bb.41:
	s_or_b32 exec_lo, exec_lo, s5
.LBB94_42:
	s_or_b32 exec_lo, exec_lo, s39
	v_mov_b32_e32 v69, 0
	ds_read_b128 v[69:72], v69 offset:400
	s_waitcnt lgkmcnt(0)
	v_mul_f64 v[74:75], v[3:4], v[71:72]
	v_mul_f64 v[71:72], v[1:2], v[71:72]
	v_fma_f64 v[1:2], v[1:2], v[69:70], -v[74:75]
	v_fma_f64 v[3:4], v[3:4], v[69:70], v[71:72]
	buffer_store_dword v2, off, s[0:3], 0 offset:404
	buffer_store_dword v1, off, s[0:3], 0 offset:400
	;; [unrolled: 1-line block ×4, first 2 shown]
.LBB94_43:
	s_or_b32 exec_lo, exec_lo, s8
	v_mov_b32_e32 v4, s13
	v_cmp_lt_u32_e64 s5, 24, v0
	s_clause 0x3
	buffer_load_dword v1, v4, s[0:3], 0 offen
	buffer_load_dword v2, v4, s[0:3], 0 offen offset:4
	buffer_load_dword v3, v4, s[0:3], 0 offen offset:8
	;; [unrolled: 1-line block ×3, first 2 shown]
	s_waitcnt vmcnt(0)
	ds_write_b128 v68, v[1:4]
	s_waitcnt lgkmcnt(0)
	s_waitcnt_vscnt null, 0x0
	s_barrier
	buffer_gl0_inv
	s_and_saveexec_b32 s8, s5
	s_cbranch_execz .LBB94_51
; %bb.44:
	ds_read_b128 v[1:4], v68
	s_andn2_b32 vcc_lo, exec_lo, s38
	s_cbranch_vccnz .LBB94_46
; %bb.45:
	s_clause 0x3
	buffer_load_dword v69, v67, s[0:3], 0 offen offset:8
	buffer_load_dword v70, v67, s[0:3], 0 offen offset:12
	buffer_load_dword v71, v67, s[0:3], 0 offen
	buffer_load_dword v72, v67, s[0:3], 0 offen offset:4
	s_waitcnt vmcnt(2) lgkmcnt(0)
	v_mul_f64 v[74:75], v[3:4], v[69:70]
	v_mul_f64 v[69:70], v[1:2], v[69:70]
	s_waitcnt vmcnt(0)
	v_fma_f64 v[1:2], v[1:2], v[71:72], -v[74:75]
	v_fma_f64 v[3:4], v[3:4], v[71:72], v[69:70]
.LBB94_46:
	s_and_saveexec_b32 s39, s4
	s_cbranch_execz .LBB94_50
; %bb.47:
	v_subrev_nc_u32_e32 v69, 25, v0
	s_movk_i32 s40, 0x380
	s_mov_b32 s4, 0
	s_mov_b32 s41, s12
	.p2align	6
.LBB94_48:                              ; =>This Inner Loop Header: Depth=1
	v_mov_b32_e32 v72, s41
	v_add_nc_u32_e32 v69, -1, v69
	s_add_i32 s41, s41, 16
	s_clause 0x3
	buffer_load_dword v70, v72, s[0:3], 0 offen offset:8
	buffer_load_dword v71, v72, s[0:3], 0 offen offset:12
	buffer_load_dword v78, v72, s[0:3], 0 offen
	buffer_load_dword v79, v72, s[0:3], 0 offen offset:4
	v_mov_b32_e32 v72, s40
	v_cmp_eq_u32_e32 vcc_lo, 0, v69
	s_add_i32 s40, s40, 16
	ds_read_b128 v[74:77], v72
	s_or_b32 s4, vcc_lo, s4
	s_waitcnt vmcnt(2) lgkmcnt(0)
	v_mul_f64 v[80:81], v[76:77], v[70:71]
	v_mul_f64 v[70:71], v[74:75], v[70:71]
	s_waitcnt vmcnt(0)
	v_fma_f64 v[74:75], v[74:75], v[78:79], -v[80:81]
	v_fma_f64 v[70:71], v[76:77], v[78:79], v[70:71]
	v_add_f64 v[1:2], v[1:2], v[74:75]
	v_add_f64 v[3:4], v[3:4], v[70:71]
	s_andn2_b32 exec_lo, exec_lo, s4
	s_cbranch_execnz .LBB94_48
; %bb.49:
	s_or_b32 exec_lo, exec_lo, s4
.LBB94_50:
	s_or_b32 exec_lo, exec_lo, s39
	v_mov_b32_e32 v69, 0
	ds_read_b128 v[69:72], v69 offset:384
	s_waitcnt lgkmcnt(0)
	v_mul_f64 v[74:75], v[3:4], v[71:72]
	v_mul_f64 v[71:72], v[1:2], v[71:72]
	v_fma_f64 v[1:2], v[1:2], v[69:70], -v[74:75]
	v_fma_f64 v[3:4], v[3:4], v[69:70], v[71:72]
	buffer_store_dword v2, off, s[0:3], 0 offset:388
	buffer_store_dword v1, off, s[0:3], 0 offset:384
	;; [unrolled: 1-line block ×4, first 2 shown]
.LBB94_51:
	s_or_b32 exec_lo, exec_lo, s8
	v_mov_b32_e32 v4, s14
	v_cmp_lt_u32_e64 s4, 23, v0
	s_clause 0x3
	buffer_load_dword v1, v4, s[0:3], 0 offen
	buffer_load_dword v2, v4, s[0:3], 0 offen offset:4
	buffer_load_dword v3, v4, s[0:3], 0 offen offset:8
	;; [unrolled: 1-line block ×3, first 2 shown]
	s_waitcnt vmcnt(0)
	ds_write_b128 v68, v[1:4]
	s_waitcnt lgkmcnt(0)
	s_waitcnt_vscnt null, 0x0
	s_barrier
	buffer_gl0_inv
	s_and_saveexec_b32 s8, s4
	s_cbranch_execz .LBB94_59
; %bb.52:
	ds_read_b128 v[1:4], v68
	s_andn2_b32 vcc_lo, exec_lo, s38
	s_cbranch_vccnz .LBB94_54
; %bb.53:
	s_clause 0x3
	buffer_load_dword v69, v67, s[0:3], 0 offen offset:8
	buffer_load_dword v70, v67, s[0:3], 0 offen offset:12
	buffer_load_dword v71, v67, s[0:3], 0 offen
	buffer_load_dword v72, v67, s[0:3], 0 offen offset:4
	s_waitcnt vmcnt(2) lgkmcnt(0)
	v_mul_f64 v[74:75], v[3:4], v[69:70]
	v_mul_f64 v[69:70], v[1:2], v[69:70]
	s_waitcnt vmcnt(0)
	v_fma_f64 v[1:2], v[1:2], v[71:72], -v[74:75]
	v_fma_f64 v[3:4], v[3:4], v[71:72], v[69:70]
.LBB94_54:
	s_and_saveexec_b32 s39, s5
	s_cbranch_execz .LBB94_58
; %bb.55:
	v_subrev_nc_u32_e32 v69, 24, v0
	s_movk_i32 s40, 0x370
	s_mov_b32 s5, 0
	s_mov_b32 s41, s13
	.p2align	6
.LBB94_56:                              ; =>This Inner Loop Header: Depth=1
	v_mov_b32_e32 v72, s41
	v_add_nc_u32_e32 v69, -1, v69
	s_add_i32 s41, s41, 16
	s_clause 0x3
	buffer_load_dword v70, v72, s[0:3], 0 offen offset:8
	buffer_load_dword v71, v72, s[0:3], 0 offen offset:12
	buffer_load_dword v78, v72, s[0:3], 0 offen
	buffer_load_dword v79, v72, s[0:3], 0 offen offset:4
	v_mov_b32_e32 v72, s40
	v_cmp_eq_u32_e32 vcc_lo, 0, v69
	s_add_i32 s40, s40, 16
	ds_read_b128 v[74:77], v72
	s_or_b32 s5, vcc_lo, s5
	s_waitcnt vmcnt(2) lgkmcnt(0)
	v_mul_f64 v[80:81], v[76:77], v[70:71]
	v_mul_f64 v[70:71], v[74:75], v[70:71]
	s_waitcnt vmcnt(0)
	v_fma_f64 v[74:75], v[74:75], v[78:79], -v[80:81]
	v_fma_f64 v[70:71], v[76:77], v[78:79], v[70:71]
	v_add_f64 v[1:2], v[1:2], v[74:75]
	v_add_f64 v[3:4], v[3:4], v[70:71]
	s_andn2_b32 exec_lo, exec_lo, s5
	s_cbranch_execnz .LBB94_56
; %bb.57:
	s_or_b32 exec_lo, exec_lo, s5
.LBB94_58:
	s_or_b32 exec_lo, exec_lo, s39
	v_mov_b32_e32 v69, 0
	ds_read_b128 v[69:72], v69 offset:368
	s_waitcnt lgkmcnt(0)
	v_mul_f64 v[74:75], v[3:4], v[71:72]
	v_mul_f64 v[71:72], v[1:2], v[71:72]
	v_fma_f64 v[1:2], v[1:2], v[69:70], -v[74:75]
	v_fma_f64 v[3:4], v[3:4], v[69:70], v[71:72]
	buffer_store_dword v2, off, s[0:3], 0 offset:372
	buffer_store_dword v1, off, s[0:3], 0 offset:368
	buffer_store_dword v4, off, s[0:3], 0 offset:380
	buffer_store_dword v3, off, s[0:3], 0 offset:376
.LBB94_59:
	s_or_b32 exec_lo, exec_lo, s8
	v_mov_b32_e32 v4, s15
	v_cmp_lt_u32_e64 s5, 22, v0
	s_clause 0x3
	buffer_load_dword v1, v4, s[0:3], 0 offen
	buffer_load_dword v2, v4, s[0:3], 0 offen offset:4
	buffer_load_dword v3, v4, s[0:3], 0 offen offset:8
	;; [unrolled: 1-line block ×3, first 2 shown]
	s_waitcnt vmcnt(0)
	ds_write_b128 v68, v[1:4]
	s_waitcnt lgkmcnt(0)
	s_waitcnt_vscnt null, 0x0
	s_barrier
	buffer_gl0_inv
	s_and_saveexec_b32 s8, s5
	s_cbranch_execz .LBB94_67
; %bb.60:
	ds_read_b128 v[1:4], v68
	s_andn2_b32 vcc_lo, exec_lo, s38
	s_cbranch_vccnz .LBB94_62
; %bb.61:
	s_clause 0x3
	buffer_load_dword v69, v67, s[0:3], 0 offen offset:8
	buffer_load_dword v70, v67, s[0:3], 0 offen offset:12
	buffer_load_dword v71, v67, s[0:3], 0 offen
	buffer_load_dword v72, v67, s[0:3], 0 offen offset:4
	s_waitcnt vmcnt(2) lgkmcnt(0)
	v_mul_f64 v[74:75], v[3:4], v[69:70]
	v_mul_f64 v[69:70], v[1:2], v[69:70]
	s_waitcnt vmcnt(0)
	v_fma_f64 v[1:2], v[1:2], v[71:72], -v[74:75]
	v_fma_f64 v[3:4], v[3:4], v[71:72], v[69:70]
.LBB94_62:
	s_and_saveexec_b32 s39, s4
	s_cbranch_execz .LBB94_66
; %bb.63:
	v_subrev_nc_u32_e32 v69, 23, v0
	s_movk_i32 s40, 0x360
	s_mov_b32 s4, 0
	s_mov_b32 s41, s14
	.p2align	6
.LBB94_64:                              ; =>This Inner Loop Header: Depth=1
	v_mov_b32_e32 v72, s41
	v_add_nc_u32_e32 v69, -1, v69
	s_add_i32 s41, s41, 16
	s_clause 0x3
	buffer_load_dword v70, v72, s[0:3], 0 offen offset:8
	buffer_load_dword v71, v72, s[0:3], 0 offen offset:12
	buffer_load_dword v78, v72, s[0:3], 0 offen
	buffer_load_dword v79, v72, s[0:3], 0 offen offset:4
	v_mov_b32_e32 v72, s40
	v_cmp_eq_u32_e32 vcc_lo, 0, v69
	s_add_i32 s40, s40, 16
	ds_read_b128 v[74:77], v72
	s_or_b32 s4, vcc_lo, s4
	s_waitcnt vmcnt(2) lgkmcnt(0)
	v_mul_f64 v[80:81], v[76:77], v[70:71]
	v_mul_f64 v[70:71], v[74:75], v[70:71]
	s_waitcnt vmcnt(0)
	v_fma_f64 v[74:75], v[74:75], v[78:79], -v[80:81]
	v_fma_f64 v[70:71], v[76:77], v[78:79], v[70:71]
	v_add_f64 v[1:2], v[1:2], v[74:75]
	v_add_f64 v[3:4], v[3:4], v[70:71]
	s_andn2_b32 exec_lo, exec_lo, s4
	s_cbranch_execnz .LBB94_64
; %bb.65:
	s_or_b32 exec_lo, exec_lo, s4
.LBB94_66:
	s_or_b32 exec_lo, exec_lo, s39
	v_mov_b32_e32 v69, 0
	ds_read_b128 v[69:72], v69 offset:352
	s_waitcnt lgkmcnt(0)
	v_mul_f64 v[74:75], v[3:4], v[71:72]
	v_mul_f64 v[71:72], v[1:2], v[71:72]
	v_fma_f64 v[1:2], v[1:2], v[69:70], -v[74:75]
	v_fma_f64 v[3:4], v[3:4], v[69:70], v[71:72]
	buffer_store_dword v2, off, s[0:3], 0 offset:356
	buffer_store_dword v1, off, s[0:3], 0 offset:352
	;; [unrolled: 1-line block ×4, first 2 shown]
.LBB94_67:
	s_or_b32 exec_lo, exec_lo, s8
	v_mov_b32_e32 v4, s16
	v_cmp_lt_u32_e64 s4, 21, v0
	s_clause 0x3
	buffer_load_dword v1, v4, s[0:3], 0 offen
	buffer_load_dword v2, v4, s[0:3], 0 offen offset:4
	buffer_load_dword v3, v4, s[0:3], 0 offen offset:8
	;; [unrolled: 1-line block ×3, first 2 shown]
	s_waitcnt vmcnt(0)
	ds_write_b128 v68, v[1:4]
	s_waitcnt lgkmcnt(0)
	s_waitcnt_vscnt null, 0x0
	s_barrier
	buffer_gl0_inv
	s_and_saveexec_b32 s8, s4
	s_cbranch_execz .LBB94_75
; %bb.68:
	ds_read_b128 v[1:4], v68
	s_andn2_b32 vcc_lo, exec_lo, s38
	s_cbranch_vccnz .LBB94_70
; %bb.69:
	s_clause 0x3
	buffer_load_dword v69, v67, s[0:3], 0 offen offset:8
	buffer_load_dword v70, v67, s[0:3], 0 offen offset:12
	buffer_load_dword v71, v67, s[0:3], 0 offen
	buffer_load_dword v72, v67, s[0:3], 0 offen offset:4
	s_waitcnt vmcnt(2) lgkmcnt(0)
	v_mul_f64 v[74:75], v[3:4], v[69:70]
	v_mul_f64 v[69:70], v[1:2], v[69:70]
	s_waitcnt vmcnt(0)
	v_fma_f64 v[1:2], v[1:2], v[71:72], -v[74:75]
	v_fma_f64 v[3:4], v[3:4], v[71:72], v[69:70]
.LBB94_70:
	s_and_saveexec_b32 s39, s5
	s_cbranch_execz .LBB94_74
; %bb.71:
	v_subrev_nc_u32_e32 v69, 22, v0
	s_movk_i32 s40, 0x350
	s_mov_b32 s5, 0
	s_mov_b32 s41, s15
	.p2align	6
.LBB94_72:                              ; =>This Inner Loop Header: Depth=1
	v_mov_b32_e32 v72, s41
	v_add_nc_u32_e32 v69, -1, v69
	s_add_i32 s41, s41, 16
	s_clause 0x3
	buffer_load_dword v70, v72, s[0:3], 0 offen offset:8
	buffer_load_dword v71, v72, s[0:3], 0 offen offset:12
	buffer_load_dword v78, v72, s[0:3], 0 offen
	buffer_load_dword v79, v72, s[0:3], 0 offen offset:4
	v_mov_b32_e32 v72, s40
	v_cmp_eq_u32_e32 vcc_lo, 0, v69
	s_add_i32 s40, s40, 16
	ds_read_b128 v[74:77], v72
	s_or_b32 s5, vcc_lo, s5
	s_waitcnt vmcnt(2) lgkmcnt(0)
	v_mul_f64 v[80:81], v[76:77], v[70:71]
	v_mul_f64 v[70:71], v[74:75], v[70:71]
	s_waitcnt vmcnt(0)
	v_fma_f64 v[74:75], v[74:75], v[78:79], -v[80:81]
	v_fma_f64 v[70:71], v[76:77], v[78:79], v[70:71]
	v_add_f64 v[1:2], v[1:2], v[74:75]
	v_add_f64 v[3:4], v[3:4], v[70:71]
	s_andn2_b32 exec_lo, exec_lo, s5
	s_cbranch_execnz .LBB94_72
; %bb.73:
	s_or_b32 exec_lo, exec_lo, s5
.LBB94_74:
	s_or_b32 exec_lo, exec_lo, s39
	v_mov_b32_e32 v69, 0
	ds_read_b128 v[69:72], v69 offset:336
	s_waitcnt lgkmcnt(0)
	v_mul_f64 v[74:75], v[3:4], v[71:72]
	v_mul_f64 v[71:72], v[1:2], v[71:72]
	v_fma_f64 v[1:2], v[1:2], v[69:70], -v[74:75]
	v_fma_f64 v[3:4], v[3:4], v[69:70], v[71:72]
	buffer_store_dword v2, off, s[0:3], 0 offset:340
	buffer_store_dword v1, off, s[0:3], 0 offset:336
	;; [unrolled: 1-line block ×4, first 2 shown]
.LBB94_75:
	s_or_b32 exec_lo, exec_lo, s8
	v_mov_b32_e32 v4, s17
	v_cmp_lt_u32_e64 s5, 20, v0
	s_clause 0x3
	buffer_load_dword v1, v4, s[0:3], 0 offen
	buffer_load_dword v2, v4, s[0:3], 0 offen offset:4
	buffer_load_dword v3, v4, s[0:3], 0 offen offset:8
	;; [unrolled: 1-line block ×3, first 2 shown]
	s_waitcnt vmcnt(0)
	ds_write_b128 v68, v[1:4]
	s_waitcnt lgkmcnt(0)
	s_waitcnt_vscnt null, 0x0
	s_barrier
	buffer_gl0_inv
	s_and_saveexec_b32 s8, s5
	s_cbranch_execz .LBB94_83
; %bb.76:
	ds_read_b128 v[1:4], v68
	s_andn2_b32 vcc_lo, exec_lo, s38
	s_cbranch_vccnz .LBB94_78
; %bb.77:
	s_clause 0x3
	buffer_load_dword v69, v67, s[0:3], 0 offen offset:8
	buffer_load_dword v70, v67, s[0:3], 0 offen offset:12
	buffer_load_dword v71, v67, s[0:3], 0 offen
	buffer_load_dword v72, v67, s[0:3], 0 offen offset:4
	s_waitcnt vmcnt(2) lgkmcnt(0)
	v_mul_f64 v[74:75], v[3:4], v[69:70]
	v_mul_f64 v[69:70], v[1:2], v[69:70]
	s_waitcnt vmcnt(0)
	v_fma_f64 v[1:2], v[1:2], v[71:72], -v[74:75]
	v_fma_f64 v[3:4], v[3:4], v[71:72], v[69:70]
.LBB94_78:
	s_and_saveexec_b32 s39, s4
	s_cbranch_execz .LBB94_82
; %bb.79:
	v_subrev_nc_u32_e32 v69, 21, v0
	s_movk_i32 s40, 0x340
	s_mov_b32 s4, 0
	s_mov_b32 s41, s16
	.p2align	6
.LBB94_80:                              ; =>This Inner Loop Header: Depth=1
	v_mov_b32_e32 v72, s41
	v_add_nc_u32_e32 v69, -1, v69
	s_add_i32 s41, s41, 16
	s_clause 0x3
	buffer_load_dword v70, v72, s[0:3], 0 offen offset:8
	buffer_load_dword v71, v72, s[0:3], 0 offen offset:12
	buffer_load_dword v78, v72, s[0:3], 0 offen
	buffer_load_dword v79, v72, s[0:3], 0 offen offset:4
	v_mov_b32_e32 v72, s40
	v_cmp_eq_u32_e32 vcc_lo, 0, v69
	s_add_i32 s40, s40, 16
	ds_read_b128 v[74:77], v72
	s_or_b32 s4, vcc_lo, s4
	s_waitcnt vmcnt(2) lgkmcnt(0)
	v_mul_f64 v[80:81], v[76:77], v[70:71]
	v_mul_f64 v[70:71], v[74:75], v[70:71]
	s_waitcnt vmcnt(0)
	v_fma_f64 v[74:75], v[74:75], v[78:79], -v[80:81]
	v_fma_f64 v[70:71], v[76:77], v[78:79], v[70:71]
	v_add_f64 v[1:2], v[1:2], v[74:75]
	v_add_f64 v[3:4], v[3:4], v[70:71]
	s_andn2_b32 exec_lo, exec_lo, s4
	s_cbranch_execnz .LBB94_80
; %bb.81:
	s_or_b32 exec_lo, exec_lo, s4
.LBB94_82:
	s_or_b32 exec_lo, exec_lo, s39
	v_mov_b32_e32 v69, 0
	ds_read_b128 v[69:72], v69 offset:320
	s_waitcnt lgkmcnt(0)
	v_mul_f64 v[74:75], v[3:4], v[71:72]
	v_mul_f64 v[71:72], v[1:2], v[71:72]
	v_fma_f64 v[1:2], v[1:2], v[69:70], -v[74:75]
	v_fma_f64 v[3:4], v[3:4], v[69:70], v[71:72]
	buffer_store_dword v2, off, s[0:3], 0 offset:324
	buffer_store_dword v1, off, s[0:3], 0 offset:320
	;; [unrolled: 1-line block ×4, first 2 shown]
.LBB94_83:
	s_or_b32 exec_lo, exec_lo, s8
	v_mov_b32_e32 v4, s18
	v_cmp_lt_u32_e64 s4, 19, v0
	s_clause 0x3
	buffer_load_dword v1, v4, s[0:3], 0 offen
	buffer_load_dword v2, v4, s[0:3], 0 offen offset:4
	buffer_load_dword v3, v4, s[0:3], 0 offen offset:8
	;; [unrolled: 1-line block ×3, first 2 shown]
	s_waitcnt vmcnt(0)
	ds_write_b128 v68, v[1:4]
	s_waitcnt lgkmcnt(0)
	s_waitcnt_vscnt null, 0x0
	s_barrier
	buffer_gl0_inv
	s_and_saveexec_b32 s8, s4
	s_cbranch_execz .LBB94_91
; %bb.84:
	ds_read_b128 v[1:4], v68
	s_andn2_b32 vcc_lo, exec_lo, s38
	s_cbranch_vccnz .LBB94_86
; %bb.85:
	s_clause 0x3
	buffer_load_dword v69, v67, s[0:3], 0 offen offset:8
	buffer_load_dword v70, v67, s[0:3], 0 offen offset:12
	buffer_load_dword v71, v67, s[0:3], 0 offen
	buffer_load_dword v72, v67, s[0:3], 0 offen offset:4
	s_waitcnt vmcnt(2) lgkmcnt(0)
	v_mul_f64 v[74:75], v[3:4], v[69:70]
	v_mul_f64 v[69:70], v[1:2], v[69:70]
	s_waitcnt vmcnt(0)
	v_fma_f64 v[1:2], v[1:2], v[71:72], -v[74:75]
	v_fma_f64 v[3:4], v[3:4], v[71:72], v[69:70]
.LBB94_86:
	s_and_saveexec_b32 s39, s5
	s_cbranch_execz .LBB94_90
; %bb.87:
	v_subrev_nc_u32_e32 v69, 20, v0
	s_movk_i32 s40, 0x330
	s_mov_b32 s5, 0
	s_mov_b32 s41, s17
	.p2align	6
.LBB94_88:                              ; =>This Inner Loop Header: Depth=1
	v_mov_b32_e32 v72, s41
	v_add_nc_u32_e32 v69, -1, v69
	s_add_i32 s41, s41, 16
	s_clause 0x3
	buffer_load_dword v70, v72, s[0:3], 0 offen offset:8
	buffer_load_dword v71, v72, s[0:3], 0 offen offset:12
	buffer_load_dword v78, v72, s[0:3], 0 offen
	buffer_load_dword v79, v72, s[0:3], 0 offen offset:4
	v_mov_b32_e32 v72, s40
	v_cmp_eq_u32_e32 vcc_lo, 0, v69
	s_add_i32 s40, s40, 16
	ds_read_b128 v[74:77], v72
	s_or_b32 s5, vcc_lo, s5
	s_waitcnt vmcnt(2) lgkmcnt(0)
	v_mul_f64 v[80:81], v[76:77], v[70:71]
	v_mul_f64 v[70:71], v[74:75], v[70:71]
	s_waitcnt vmcnt(0)
	v_fma_f64 v[74:75], v[74:75], v[78:79], -v[80:81]
	v_fma_f64 v[70:71], v[76:77], v[78:79], v[70:71]
	v_add_f64 v[1:2], v[1:2], v[74:75]
	v_add_f64 v[3:4], v[3:4], v[70:71]
	s_andn2_b32 exec_lo, exec_lo, s5
	s_cbranch_execnz .LBB94_88
; %bb.89:
	s_or_b32 exec_lo, exec_lo, s5
.LBB94_90:
	s_or_b32 exec_lo, exec_lo, s39
	v_mov_b32_e32 v69, 0
	ds_read_b128 v[69:72], v69 offset:304
	s_waitcnt lgkmcnt(0)
	v_mul_f64 v[74:75], v[3:4], v[71:72]
	v_mul_f64 v[71:72], v[1:2], v[71:72]
	v_fma_f64 v[1:2], v[1:2], v[69:70], -v[74:75]
	v_fma_f64 v[3:4], v[3:4], v[69:70], v[71:72]
	buffer_store_dword v2, off, s[0:3], 0 offset:308
	buffer_store_dword v1, off, s[0:3], 0 offset:304
	buffer_store_dword v4, off, s[0:3], 0 offset:316
	buffer_store_dword v3, off, s[0:3], 0 offset:312
.LBB94_91:
	s_or_b32 exec_lo, exec_lo, s8
	v_mov_b32_e32 v4, s19
	v_cmp_lt_u32_e64 s5, 18, v0
	s_clause 0x3
	buffer_load_dword v1, v4, s[0:3], 0 offen
	buffer_load_dword v2, v4, s[0:3], 0 offen offset:4
	buffer_load_dword v3, v4, s[0:3], 0 offen offset:8
	;; [unrolled: 1-line block ×3, first 2 shown]
	s_waitcnt vmcnt(0)
	ds_write_b128 v68, v[1:4]
	s_waitcnt lgkmcnt(0)
	s_waitcnt_vscnt null, 0x0
	s_barrier
	buffer_gl0_inv
	s_and_saveexec_b32 s8, s5
	s_cbranch_execz .LBB94_99
; %bb.92:
	ds_read_b128 v[1:4], v68
	s_andn2_b32 vcc_lo, exec_lo, s38
	s_cbranch_vccnz .LBB94_94
; %bb.93:
	s_clause 0x3
	buffer_load_dword v69, v67, s[0:3], 0 offen offset:8
	buffer_load_dword v70, v67, s[0:3], 0 offen offset:12
	buffer_load_dword v71, v67, s[0:3], 0 offen
	buffer_load_dword v72, v67, s[0:3], 0 offen offset:4
	s_waitcnt vmcnt(2) lgkmcnt(0)
	v_mul_f64 v[74:75], v[3:4], v[69:70]
	v_mul_f64 v[69:70], v[1:2], v[69:70]
	s_waitcnt vmcnt(0)
	v_fma_f64 v[1:2], v[1:2], v[71:72], -v[74:75]
	v_fma_f64 v[3:4], v[3:4], v[71:72], v[69:70]
.LBB94_94:
	s_and_saveexec_b32 s39, s4
	s_cbranch_execz .LBB94_98
; %bb.95:
	v_subrev_nc_u32_e32 v69, 19, v0
	s_movk_i32 s40, 0x320
	s_mov_b32 s4, 0
	s_mov_b32 s41, s18
	.p2align	6
.LBB94_96:                              ; =>This Inner Loop Header: Depth=1
	v_mov_b32_e32 v72, s41
	v_add_nc_u32_e32 v69, -1, v69
	s_add_i32 s41, s41, 16
	s_clause 0x3
	buffer_load_dword v70, v72, s[0:3], 0 offen offset:8
	buffer_load_dword v71, v72, s[0:3], 0 offen offset:12
	buffer_load_dword v78, v72, s[0:3], 0 offen
	buffer_load_dword v79, v72, s[0:3], 0 offen offset:4
	v_mov_b32_e32 v72, s40
	v_cmp_eq_u32_e32 vcc_lo, 0, v69
	s_add_i32 s40, s40, 16
	ds_read_b128 v[74:77], v72
	s_or_b32 s4, vcc_lo, s4
	s_waitcnt vmcnt(2) lgkmcnt(0)
	v_mul_f64 v[80:81], v[76:77], v[70:71]
	v_mul_f64 v[70:71], v[74:75], v[70:71]
	s_waitcnt vmcnt(0)
	v_fma_f64 v[74:75], v[74:75], v[78:79], -v[80:81]
	v_fma_f64 v[70:71], v[76:77], v[78:79], v[70:71]
	v_add_f64 v[1:2], v[1:2], v[74:75]
	v_add_f64 v[3:4], v[3:4], v[70:71]
	s_andn2_b32 exec_lo, exec_lo, s4
	s_cbranch_execnz .LBB94_96
; %bb.97:
	s_or_b32 exec_lo, exec_lo, s4
.LBB94_98:
	s_or_b32 exec_lo, exec_lo, s39
	v_mov_b32_e32 v69, 0
	ds_read_b128 v[69:72], v69 offset:288
	s_waitcnt lgkmcnt(0)
	v_mul_f64 v[74:75], v[3:4], v[71:72]
	v_mul_f64 v[71:72], v[1:2], v[71:72]
	v_fma_f64 v[1:2], v[1:2], v[69:70], -v[74:75]
	v_fma_f64 v[3:4], v[3:4], v[69:70], v[71:72]
	buffer_store_dword v2, off, s[0:3], 0 offset:292
	buffer_store_dword v1, off, s[0:3], 0 offset:288
	buffer_store_dword v4, off, s[0:3], 0 offset:300
	buffer_store_dword v3, off, s[0:3], 0 offset:296
.LBB94_99:
	s_or_b32 exec_lo, exec_lo, s8
	v_mov_b32_e32 v4, s20
	v_cmp_lt_u32_e64 s4, 17, v0
	s_clause 0x3
	buffer_load_dword v1, v4, s[0:3], 0 offen
	buffer_load_dword v2, v4, s[0:3], 0 offen offset:4
	buffer_load_dword v3, v4, s[0:3], 0 offen offset:8
	;; [unrolled: 1-line block ×3, first 2 shown]
	s_waitcnt vmcnt(0)
	ds_write_b128 v68, v[1:4]
	s_waitcnt lgkmcnt(0)
	s_waitcnt_vscnt null, 0x0
	s_barrier
	buffer_gl0_inv
	s_and_saveexec_b32 s8, s4
	s_cbranch_execz .LBB94_107
; %bb.100:
	ds_read_b128 v[1:4], v68
	s_andn2_b32 vcc_lo, exec_lo, s38
	s_cbranch_vccnz .LBB94_102
; %bb.101:
	s_clause 0x3
	buffer_load_dword v69, v67, s[0:3], 0 offen offset:8
	buffer_load_dword v70, v67, s[0:3], 0 offen offset:12
	buffer_load_dword v71, v67, s[0:3], 0 offen
	buffer_load_dword v72, v67, s[0:3], 0 offen offset:4
	s_waitcnt vmcnt(2) lgkmcnt(0)
	v_mul_f64 v[74:75], v[3:4], v[69:70]
	v_mul_f64 v[69:70], v[1:2], v[69:70]
	s_waitcnt vmcnt(0)
	v_fma_f64 v[1:2], v[1:2], v[71:72], -v[74:75]
	v_fma_f64 v[3:4], v[3:4], v[71:72], v[69:70]
.LBB94_102:
	s_and_saveexec_b32 s39, s5
	s_cbranch_execz .LBB94_106
; %bb.103:
	v_subrev_nc_u32_e32 v69, 18, v0
	s_movk_i32 s40, 0x310
	s_mov_b32 s5, 0
	s_mov_b32 s41, s19
	.p2align	6
.LBB94_104:                             ; =>This Inner Loop Header: Depth=1
	v_mov_b32_e32 v72, s41
	v_add_nc_u32_e32 v69, -1, v69
	s_add_i32 s41, s41, 16
	s_clause 0x3
	buffer_load_dword v70, v72, s[0:3], 0 offen offset:8
	buffer_load_dword v71, v72, s[0:3], 0 offen offset:12
	buffer_load_dword v78, v72, s[0:3], 0 offen
	buffer_load_dword v79, v72, s[0:3], 0 offen offset:4
	v_mov_b32_e32 v72, s40
	v_cmp_eq_u32_e32 vcc_lo, 0, v69
	s_add_i32 s40, s40, 16
	ds_read_b128 v[74:77], v72
	s_or_b32 s5, vcc_lo, s5
	s_waitcnt vmcnt(2) lgkmcnt(0)
	v_mul_f64 v[80:81], v[76:77], v[70:71]
	v_mul_f64 v[70:71], v[74:75], v[70:71]
	s_waitcnt vmcnt(0)
	v_fma_f64 v[74:75], v[74:75], v[78:79], -v[80:81]
	v_fma_f64 v[70:71], v[76:77], v[78:79], v[70:71]
	v_add_f64 v[1:2], v[1:2], v[74:75]
	v_add_f64 v[3:4], v[3:4], v[70:71]
	s_andn2_b32 exec_lo, exec_lo, s5
	s_cbranch_execnz .LBB94_104
; %bb.105:
	s_or_b32 exec_lo, exec_lo, s5
.LBB94_106:
	s_or_b32 exec_lo, exec_lo, s39
	v_mov_b32_e32 v69, 0
	ds_read_b128 v[69:72], v69 offset:272
	s_waitcnt lgkmcnt(0)
	v_mul_f64 v[74:75], v[3:4], v[71:72]
	v_mul_f64 v[71:72], v[1:2], v[71:72]
	v_fma_f64 v[1:2], v[1:2], v[69:70], -v[74:75]
	v_fma_f64 v[3:4], v[3:4], v[69:70], v[71:72]
	buffer_store_dword v2, off, s[0:3], 0 offset:276
	buffer_store_dword v1, off, s[0:3], 0 offset:272
	;; [unrolled: 1-line block ×4, first 2 shown]
.LBB94_107:
	s_or_b32 exec_lo, exec_lo, s8
	v_mov_b32_e32 v4, s21
	v_cmp_lt_u32_e64 s5, 16, v0
	s_clause 0x3
	buffer_load_dword v1, v4, s[0:3], 0 offen
	buffer_load_dword v2, v4, s[0:3], 0 offen offset:4
	buffer_load_dword v3, v4, s[0:3], 0 offen offset:8
	;; [unrolled: 1-line block ×3, first 2 shown]
	s_waitcnt vmcnt(0)
	ds_write_b128 v68, v[1:4]
	s_waitcnt lgkmcnt(0)
	s_waitcnt_vscnt null, 0x0
	s_barrier
	buffer_gl0_inv
	s_and_saveexec_b32 s8, s5
	s_cbranch_execz .LBB94_115
; %bb.108:
	ds_read_b128 v[1:4], v68
	s_andn2_b32 vcc_lo, exec_lo, s38
	s_cbranch_vccnz .LBB94_110
; %bb.109:
	s_clause 0x3
	buffer_load_dword v69, v67, s[0:3], 0 offen offset:8
	buffer_load_dword v70, v67, s[0:3], 0 offen offset:12
	buffer_load_dword v71, v67, s[0:3], 0 offen
	buffer_load_dword v72, v67, s[0:3], 0 offen offset:4
	s_waitcnt vmcnt(2) lgkmcnt(0)
	v_mul_f64 v[74:75], v[3:4], v[69:70]
	v_mul_f64 v[69:70], v[1:2], v[69:70]
	s_waitcnt vmcnt(0)
	v_fma_f64 v[1:2], v[1:2], v[71:72], -v[74:75]
	v_fma_f64 v[3:4], v[3:4], v[71:72], v[69:70]
.LBB94_110:
	s_and_saveexec_b32 s39, s4
	s_cbranch_execz .LBB94_114
; %bb.111:
	v_subrev_nc_u32_e32 v69, 17, v0
	s_movk_i32 s40, 0x300
	s_mov_b32 s4, 0
	s_mov_b32 s41, s20
	.p2align	6
.LBB94_112:                             ; =>This Inner Loop Header: Depth=1
	v_mov_b32_e32 v72, s41
	v_add_nc_u32_e32 v69, -1, v69
	s_add_i32 s41, s41, 16
	s_clause 0x3
	buffer_load_dword v70, v72, s[0:3], 0 offen offset:8
	buffer_load_dword v71, v72, s[0:3], 0 offen offset:12
	buffer_load_dword v78, v72, s[0:3], 0 offen
	buffer_load_dword v79, v72, s[0:3], 0 offen offset:4
	v_mov_b32_e32 v72, s40
	v_cmp_eq_u32_e32 vcc_lo, 0, v69
	s_add_i32 s40, s40, 16
	ds_read_b128 v[74:77], v72
	s_or_b32 s4, vcc_lo, s4
	s_waitcnt vmcnt(2) lgkmcnt(0)
	v_mul_f64 v[80:81], v[76:77], v[70:71]
	v_mul_f64 v[70:71], v[74:75], v[70:71]
	s_waitcnt vmcnt(0)
	v_fma_f64 v[74:75], v[74:75], v[78:79], -v[80:81]
	v_fma_f64 v[70:71], v[76:77], v[78:79], v[70:71]
	v_add_f64 v[1:2], v[1:2], v[74:75]
	v_add_f64 v[3:4], v[3:4], v[70:71]
	s_andn2_b32 exec_lo, exec_lo, s4
	s_cbranch_execnz .LBB94_112
; %bb.113:
	s_or_b32 exec_lo, exec_lo, s4
.LBB94_114:
	s_or_b32 exec_lo, exec_lo, s39
	v_mov_b32_e32 v69, 0
	ds_read_b128 v[69:72], v69 offset:256
	s_waitcnt lgkmcnt(0)
	v_mul_f64 v[74:75], v[3:4], v[71:72]
	v_mul_f64 v[71:72], v[1:2], v[71:72]
	v_fma_f64 v[1:2], v[1:2], v[69:70], -v[74:75]
	v_fma_f64 v[3:4], v[3:4], v[69:70], v[71:72]
	buffer_store_dword v2, off, s[0:3], 0 offset:260
	buffer_store_dword v1, off, s[0:3], 0 offset:256
	buffer_store_dword v4, off, s[0:3], 0 offset:268
	buffer_store_dword v3, off, s[0:3], 0 offset:264
.LBB94_115:
	s_or_b32 exec_lo, exec_lo, s8
	v_mov_b32_e32 v4, s22
	v_cmp_lt_u32_e64 s4, 15, v0
	s_clause 0x3
	buffer_load_dword v1, v4, s[0:3], 0 offen
	buffer_load_dword v2, v4, s[0:3], 0 offen offset:4
	buffer_load_dword v3, v4, s[0:3], 0 offen offset:8
	;; [unrolled: 1-line block ×3, first 2 shown]
	s_waitcnt vmcnt(0)
	ds_write_b128 v68, v[1:4]
	s_waitcnt lgkmcnt(0)
	s_waitcnt_vscnt null, 0x0
	s_barrier
	buffer_gl0_inv
	s_and_saveexec_b32 s8, s4
	s_cbranch_execz .LBB94_123
; %bb.116:
	ds_read_b128 v[1:4], v68
	s_andn2_b32 vcc_lo, exec_lo, s38
	s_cbranch_vccnz .LBB94_118
; %bb.117:
	s_clause 0x3
	buffer_load_dword v69, v67, s[0:3], 0 offen offset:8
	buffer_load_dword v70, v67, s[0:3], 0 offen offset:12
	buffer_load_dword v71, v67, s[0:3], 0 offen
	buffer_load_dword v72, v67, s[0:3], 0 offen offset:4
	s_waitcnt vmcnt(2) lgkmcnt(0)
	v_mul_f64 v[74:75], v[3:4], v[69:70]
	v_mul_f64 v[69:70], v[1:2], v[69:70]
	s_waitcnt vmcnt(0)
	v_fma_f64 v[1:2], v[1:2], v[71:72], -v[74:75]
	v_fma_f64 v[3:4], v[3:4], v[71:72], v[69:70]
.LBB94_118:
	s_and_saveexec_b32 s39, s5
	s_cbranch_execz .LBB94_122
; %bb.119:
	v_add_nc_u32_e32 v69, -16, v0
	s_movk_i32 s40, 0x2f0
	s_mov_b32 s5, 0
	s_mov_b32 s41, s21
	.p2align	6
.LBB94_120:                             ; =>This Inner Loop Header: Depth=1
	v_mov_b32_e32 v72, s41
	v_add_nc_u32_e32 v69, -1, v69
	s_add_i32 s41, s41, 16
	s_clause 0x3
	buffer_load_dword v70, v72, s[0:3], 0 offen offset:8
	buffer_load_dword v71, v72, s[0:3], 0 offen offset:12
	buffer_load_dword v78, v72, s[0:3], 0 offen
	buffer_load_dword v79, v72, s[0:3], 0 offen offset:4
	v_mov_b32_e32 v72, s40
	v_cmp_eq_u32_e32 vcc_lo, 0, v69
	s_add_i32 s40, s40, 16
	ds_read_b128 v[74:77], v72
	s_or_b32 s5, vcc_lo, s5
	s_waitcnt vmcnt(2) lgkmcnt(0)
	v_mul_f64 v[80:81], v[76:77], v[70:71]
	v_mul_f64 v[70:71], v[74:75], v[70:71]
	s_waitcnt vmcnt(0)
	v_fma_f64 v[74:75], v[74:75], v[78:79], -v[80:81]
	v_fma_f64 v[70:71], v[76:77], v[78:79], v[70:71]
	v_add_f64 v[1:2], v[1:2], v[74:75]
	v_add_f64 v[3:4], v[3:4], v[70:71]
	s_andn2_b32 exec_lo, exec_lo, s5
	s_cbranch_execnz .LBB94_120
; %bb.121:
	s_or_b32 exec_lo, exec_lo, s5
.LBB94_122:
	s_or_b32 exec_lo, exec_lo, s39
	v_mov_b32_e32 v69, 0
	ds_read_b128 v[69:72], v69 offset:240
	s_waitcnt lgkmcnt(0)
	v_mul_f64 v[74:75], v[3:4], v[71:72]
	v_mul_f64 v[71:72], v[1:2], v[71:72]
	v_fma_f64 v[1:2], v[1:2], v[69:70], -v[74:75]
	v_fma_f64 v[3:4], v[3:4], v[69:70], v[71:72]
	buffer_store_dword v2, off, s[0:3], 0 offset:244
	buffer_store_dword v1, off, s[0:3], 0 offset:240
	;; [unrolled: 1-line block ×4, first 2 shown]
.LBB94_123:
	s_or_b32 exec_lo, exec_lo, s8
	v_mov_b32_e32 v4, s23
	v_cmp_lt_u32_e64 s5, 14, v0
	s_clause 0x3
	buffer_load_dword v1, v4, s[0:3], 0 offen
	buffer_load_dword v2, v4, s[0:3], 0 offen offset:4
	buffer_load_dword v3, v4, s[0:3], 0 offen offset:8
	;; [unrolled: 1-line block ×3, first 2 shown]
	s_waitcnt vmcnt(0)
	ds_write_b128 v68, v[1:4]
	s_waitcnt lgkmcnt(0)
	s_waitcnt_vscnt null, 0x0
	s_barrier
	buffer_gl0_inv
	s_and_saveexec_b32 s8, s5
	s_cbranch_execz .LBB94_131
; %bb.124:
	ds_read_b128 v[1:4], v68
	s_andn2_b32 vcc_lo, exec_lo, s38
	s_cbranch_vccnz .LBB94_126
; %bb.125:
	s_clause 0x3
	buffer_load_dword v69, v67, s[0:3], 0 offen offset:8
	buffer_load_dword v70, v67, s[0:3], 0 offen offset:12
	buffer_load_dword v71, v67, s[0:3], 0 offen
	buffer_load_dword v72, v67, s[0:3], 0 offen offset:4
	s_waitcnt vmcnt(2) lgkmcnt(0)
	v_mul_f64 v[74:75], v[3:4], v[69:70]
	v_mul_f64 v[69:70], v[1:2], v[69:70]
	s_waitcnt vmcnt(0)
	v_fma_f64 v[1:2], v[1:2], v[71:72], -v[74:75]
	v_fma_f64 v[3:4], v[3:4], v[71:72], v[69:70]
.LBB94_126:
	s_and_saveexec_b32 s39, s4
	s_cbranch_execz .LBB94_130
; %bb.127:
	v_add_nc_u32_e32 v69, -15, v0
	s_movk_i32 s40, 0x2e0
	s_mov_b32 s4, 0
	s_mov_b32 s41, s22
	.p2align	6
.LBB94_128:                             ; =>This Inner Loop Header: Depth=1
	v_mov_b32_e32 v72, s41
	v_add_nc_u32_e32 v69, -1, v69
	s_add_i32 s41, s41, 16
	s_clause 0x3
	buffer_load_dword v70, v72, s[0:3], 0 offen offset:8
	buffer_load_dword v71, v72, s[0:3], 0 offen offset:12
	buffer_load_dword v78, v72, s[0:3], 0 offen
	buffer_load_dword v79, v72, s[0:3], 0 offen offset:4
	v_mov_b32_e32 v72, s40
	v_cmp_eq_u32_e32 vcc_lo, 0, v69
	s_add_i32 s40, s40, 16
	ds_read_b128 v[74:77], v72
	s_or_b32 s4, vcc_lo, s4
	s_waitcnt vmcnt(2) lgkmcnt(0)
	v_mul_f64 v[80:81], v[76:77], v[70:71]
	v_mul_f64 v[70:71], v[74:75], v[70:71]
	s_waitcnt vmcnt(0)
	v_fma_f64 v[74:75], v[74:75], v[78:79], -v[80:81]
	v_fma_f64 v[70:71], v[76:77], v[78:79], v[70:71]
	v_add_f64 v[1:2], v[1:2], v[74:75]
	v_add_f64 v[3:4], v[3:4], v[70:71]
	s_andn2_b32 exec_lo, exec_lo, s4
	s_cbranch_execnz .LBB94_128
; %bb.129:
	s_or_b32 exec_lo, exec_lo, s4
.LBB94_130:
	s_or_b32 exec_lo, exec_lo, s39
	v_mov_b32_e32 v69, 0
	ds_read_b128 v[69:72], v69 offset:224
	s_waitcnt lgkmcnt(0)
	v_mul_f64 v[74:75], v[3:4], v[71:72]
	v_mul_f64 v[71:72], v[1:2], v[71:72]
	v_fma_f64 v[1:2], v[1:2], v[69:70], -v[74:75]
	v_fma_f64 v[3:4], v[3:4], v[69:70], v[71:72]
	buffer_store_dword v2, off, s[0:3], 0 offset:228
	buffer_store_dword v1, off, s[0:3], 0 offset:224
	;; [unrolled: 1-line block ×4, first 2 shown]
.LBB94_131:
	s_or_b32 exec_lo, exec_lo, s8
	v_mov_b32_e32 v4, s24
	v_cmp_lt_u32_e64 s4, 13, v0
	s_clause 0x3
	buffer_load_dword v1, v4, s[0:3], 0 offen
	buffer_load_dword v2, v4, s[0:3], 0 offen offset:4
	buffer_load_dword v3, v4, s[0:3], 0 offen offset:8
	;; [unrolled: 1-line block ×3, first 2 shown]
	s_waitcnt vmcnt(0)
	ds_write_b128 v68, v[1:4]
	s_waitcnt lgkmcnt(0)
	s_waitcnt_vscnt null, 0x0
	s_barrier
	buffer_gl0_inv
	s_and_saveexec_b32 s8, s4
	s_cbranch_execz .LBB94_139
; %bb.132:
	ds_read_b128 v[1:4], v68
	s_andn2_b32 vcc_lo, exec_lo, s38
	s_cbranch_vccnz .LBB94_134
; %bb.133:
	s_clause 0x3
	buffer_load_dword v69, v67, s[0:3], 0 offen offset:8
	buffer_load_dword v70, v67, s[0:3], 0 offen offset:12
	buffer_load_dword v71, v67, s[0:3], 0 offen
	buffer_load_dword v72, v67, s[0:3], 0 offen offset:4
	s_waitcnt vmcnt(2) lgkmcnt(0)
	v_mul_f64 v[74:75], v[3:4], v[69:70]
	v_mul_f64 v[69:70], v[1:2], v[69:70]
	s_waitcnt vmcnt(0)
	v_fma_f64 v[1:2], v[1:2], v[71:72], -v[74:75]
	v_fma_f64 v[3:4], v[3:4], v[71:72], v[69:70]
.LBB94_134:
	s_and_saveexec_b32 s39, s5
	s_cbranch_execz .LBB94_138
; %bb.135:
	v_add_nc_u32_e32 v69, -14, v0
	s_movk_i32 s40, 0x2d0
	s_mov_b32 s5, 0
	s_mov_b32 s41, s23
	.p2align	6
.LBB94_136:                             ; =>This Inner Loop Header: Depth=1
	v_mov_b32_e32 v72, s41
	v_add_nc_u32_e32 v69, -1, v69
	s_add_i32 s41, s41, 16
	s_clause 0x3
	buffer_load_dword v70, v72, s[0:3], 0 offen offset:8
	buffer_load_dword v71, v72, s[0:3], 0 offen offset:12
	buffer_load_dword v78, v72, s[0:3], 0 offen
	buffer_load_dword v79, v72, s[0:3], 0 offen offset:4
	v_mov_b32_e32 v72, s40
	v_cmp_eq_u32_e32 vcc_lo, 0, v69
	s_add_i32 s40, s40, 16
	ds_read_b128 v[74:77], v72
	s_or_b32 s5, vcc_lo, s5
	s_waitcnt vmcnt(2) lgkmcnt(0)
	v_mul_f64 v[80:81], v[76:77], v[70:71]
	v_mul_f64 v[70:71], v[74:75], v[70:71]
	s_waitcnt vmcnt(0)
	v_fma_f64 v[74:75], v[74:75], v[78:79], -v[80:81]
	v_fma_f64 v[70:71], v[76:77], v[78:79], v[70:71]
	v_add_f64 v[1:2], v[1:2], v[74:75]
	v_add_f64 v[3:4], v[3:4], v[70:71]
	s_andn2_b32 exec_lo, exec_lo, s5
	s_cbranch_execnz .LBB94_136
; %bb.137:
	s_or_b32 exec_lo, exec_lo, s5
.LBB94_138:
	s_or_b32 exec_lo, exec_lo, s39
	v_mov_b32_e32 v69, 0
	ds_read_b128 v[69:72], v69 offset:208
	s_waitcnt lgkmcnt(0)
	v_mul_f64 v[74:75], v[3:4], v[71:72]
	v_mul_f64 v[71:72], v[1:2], v[71:72]
	v_fma_f64 v[1:2], v[1:2], v[69:70], -v[74:75]
	v_fma_f64 v[3:4], v[3:4], v[69:70], v[71:72]
	buffer_store_dword v2, off, s[0:3], 0 offset:212
	buffer_store_dword v1, off, s[0:3], 0 offset:208
	;; [unrolled: 1-line block ×4, first 2 shown]
.LBB94_139:
	s_or_b32 exec_lo, exec_lo, s8
	v_mov_b32_e32 v4, s25
	v_cmp_lt_u32_e64 s5, 12, v0
	s_clause 0x3
	buffer_load_dword v1, v4, s[0:3], 0 offen
	buffer_load_dword v2, v4, s[0:3], 0 offen offset:4
	buffer_load_dword v3, v4, s[0:3], 0 offen offset:8
	;; [unrolled: 1-line block ×3, first 2 shown]
	s_waitcnt vmcnt(0)
	ds_write_b128 v68, v[1:4]
	s_waitcnt lgkmcnt(0)
	s_waitcnt_vscnt null, 0x0
	s_barrier
	buffer_gl0_inv
	s_and_saveexec_b32 s8, s5
	s_cbranch_execz .LBB94_147
; %bb.140:
	ds_read_b128 v[1:4], v68
	s_andn2_b32 vcc_lo, exec_lo, s38
	s_cbranch_vccnz .LBB94_142
; %bb.141:
	s_clause 0x3
	buffer_load_dword v69, v67, s[0:3], 0 offen offset:8
	buffer_load_dword v70, v67, s[0:3], 0 offen offset:12
	buffer_load_dword v71, v67, s[0:3], 0 offen
	buffer_load_dword v72, v67, s[0:3], 0 offen offset:4
	s_waitcnt vmcnt(2) lgkmcnt(0)
	v_mul_f64 v[74:75], v[3:4], v[69:70]
	v_mul_f64 v[69:70], v[1:2], v[69:70]
	s_waitcnt vmcnt(0)
	v_fma_f64 v[1:2], v[1:2], v[71:72], -v[74:75]
	v_fma_f64 v[3:4], v[3:4], v[71:72], v[69:70]
.LBB94_142:
	s_and_saveexec_b32 s39, s4
	s_cbranch_execz .LBB94_146
; %bb.143:
	v_add_nc_u32_e32 v69, -13, v0
	s_movk_i32 s40, 0x2c0
	s_mov_b32 s4, 0
	s_mov_b32 s41, s24
	.p2align	6
.LBB94_144:                             ; =>This Inner Loop Header: Depth=1
	v_mov_b32_e32 v72, s41
	v_add_nc_u32_e32 v69, -1, v69
	s_add_i32 s41, s41, 16
	s_clause 0x3
	buffer_load_dword v70, v72, s[0:3], 0 offen offset:8
	buffer_load_dword v71, v72, s[0:3], 0 offen offset:12
	buffer_load_dword v78, v72, s[0:3], 0 offen
	buffer_load_dword v79, v72, s[0:3], 0 offen offset:4
	v_mov_b32_e32 v72, s40
	v_cmp_eq_u32_e32 vcc_lo, 0, v69
	s_add_i32 s40, s40, 16
	ds_read_b128 v[74:77], v72
	s_or_b32 s4, vcc_lo, s4
	s_waitcnt vmcnt(2) lgkmcnt(0)
	v_mul_f64 v[80:81], v[76:77], v[70:71]
	v_mul_f64 v[70:71], v[74:75], v[70:71]
	s_waitcnt vmcnt(0)
	v_fma_f64 v[74:75], v[74:75], v[78:79], -v[80:81]
	v_fma_f64 v[70:71], v[76:77], v[78:79], v[70:71]
	v_add_f64 v[1:2], v[1:2], v[74:75]
	v_add_f64 v[3:4], v[3:4], v[70:71]
	s_andn2_b32 exec_lo, exec_lo, s4
	s_cbranch_execnz .LBB94_144
; %bb.145:
	s_or_b32 exec_lo, exec_lo, s4
.LBB94_146:
	s_or_b32 exec_lo, exec_lo, s39
	v_mov_b32_e32 v69, 0
	ds_read_b128 v[69:72], v69 offset:192
	s_waitcnt lgkmcnt(0)
	v_mul_f64 v[74:75], v[3:4], v[71:72]
	v_mul_f64 v[71:72], v[1:2], v[71:72]
	v_fma_f64 v[1:2], v[1:2], v[69:70], -v[74:75]
	v_fma_f64 v[3:4], v[3:4], v[69:70], v[71:72]
	buffer_store_dword v2, off, s[0:3], 0 offset:196
	buffer_store_dword v1, off, s[0:3], 0 offset:192
	buffer_store_dword v4, off, s[0:3], 0 offset:204
	buffer_store_dword v3, off, s[0:3], 0 offset:200
.LBB94_147:
	s_or_b32 exec_lo, exec_lo, s8
	v_mov_b32_e32 v4, s26
	v_cmp_lt_u32_e64 s4, 11, v0
	s_clause 0x3
	buffer_load_dword v1, v4, s[0:3], 0 offen
	buffer_load_dword v2, v4, s[0:3], 0 offen offset:4
	buffer_load_dword v3, v4, s[0:3], 0 offen offset:8
	;; [unrolled: 1-line block ×3, first 2 shown]
	s_waitcnt vmcnt(0)
	ds_write_b128 v68, v[1:4]
	s_waitcnt lgkmcnt(0)
	s_waitcnt_vscnt null, 0x0
	s_barrier
	buffer_gl0_inv
	s_and_saveexec_b32 s8, s4
	s_cbranch_execz .LBB94_155
; %bb.148:
	ds_read_b128 v[1:4], v68
	s_andn2_b32 vcc_lo, exec_lo, s38
	s_cbranch_vccnz .LBB94_150
; %bb.149:
	s_clause 0x3
	buffer_load_dword v69, v67, s[0:3], 0 offen offset:8
	buffer_load_dword v70, v67, s[0:3], 0 offen offset:12
	buffer_load_dword v71, v67, s[0:3], 0 offen
	buffer_load_dword v72, v67, s[0:3], 0 offen offset:4
	s_waitcnt vmcnt(2) lgkmcnt(0)
	v_mul_f64 v[74:75], v[3:4], v[69:70]
	v_mul_f64 v[69:70], v[1:2], v[69:70]
	s_waitcnt vmcnt(0)
	v_fma_f64 v[1:2], v[1:2], v[71:72], -v[74:75]
	v_fma_f64 v[3:4], v[3:4], v[71:72], v[69:70]
.LBB94_150:
	s_and_saveexec_b32 s39, s5
	s_cbranch_execz .LBB94_154
; %bb.151:
	v_add_nc_u32_e32 v69, -12, v0
	s_movk_i32 s40, 0x2b0
	s_mov_b32 s5, 0
	s_mov_b32 s41, s25
	.p2align	6
.LBB94_152:                             ; =>This Inner Loop Header: Depth=1
	v_mov_b32_e32 v72, s41
	v_add_nc_u32_e32 v69, -1, v69
	s_add_i32 s41, s41, 16
	s_clause 0x3
	buffer_load_dword v70, v72, s[0:3], 0 offen offset:8
	buffer_load_dword v71, v72, s[0:3], 0 offen offset:12
	buffer_load_dword v78, v72, s[0:3], 0 offen
	buffer_load_dword v79, v72, s[0:3], 0 offen offset:4
	v_mov_b32_e32 v72, s40
	v_cmp_eq_u32_e32 vcc_lo, 0, v69
	s_add_i32 s40, s40, 16
	ds_read_b128 v[74:77], v72
	s_or_b32 s5, vcc_lo, s5
	s_waitcnt vmcnt(2) lgkmcnt(0)
	v_mul_f64 v[80:81], v[76:77], v[70:71]
	v_mul_f64 v[70:71], v[74:75], v[70:71]
	s_waitcnt vmcnt(0)
	v_fma_f64 v[74:75], v[74:75], v[78:79], -v[80:81]
	v_fma_f64 v[70:71], v[76:77], v[78:79], v[70:71]
	v_add_f64 v[1:2], v[1:2], v[74:75]
	v_add_f64 v[3:4], v[3:4], v[70:71]
	s_andn2_b32 exec_lo, exec_lo, s5
	s_cbranch_execnz .LBB94_152
; %bb.153:
	s_or_b32 exec_lo, exec_lo, s5
.LBB94_154:
	s_or_b32 exec_lo, exec_lo, s39
	v_mov_b32_e32 v69, 0
	ds_read_b128 v[69:72], v69 offset:176
	s_waitcnt lgkmcnt(0)
	v_mul_f64 v[74:75], v[3:4], v[71:72]
	v_mul_f64 v[71:72], v[1:2], v[71:72]
	v_fma_f64 v[1:2], v[1:2], v[69:70], -v[74:75]
	v_fma_f64 v[3:4], v[3:4], v[69:70], v[71:72]
	buffer_store_dword v2, off, s[0:3], 0 offset:180
	buffer_store_dword v1, off, s[0:3], 0 offset:176
	;; [unrolled: 1-line block ×4, first 2 shown]
.LBB94_155:
	s_or_b32 exec_lo, exec_lo, s8
	v_mov_b32_e32 v4, s27
	v_cmp_lt_u32_e64 s5, 10, v0
	s_clause 0x3
	buffer_load_dword v1, v4, s[0:3], 0 offen
	buffer_load_dword v2, v4, s[0:3], 0 offen offset:4
	buffer_load_dword v3, v4, s[0:3], 0 offen offset:8
	;; [unrolled: 1-line block ×3, first 2 shown]
	s_waitcnt vmcnt(0)
	ds_write_b128 v68, v[1:4]
	s_waitcnt lgkmcnt(0)
	s_waitcnt_vscnt null, 0x0
	s_barrier
	buffer_gl0_inv
	s_and_saveexec_b32 s8, s5
	s_cbranch_execz .LBB94_163
; %bb.156:
	ds_read_b128 v[1:4], v68
	s_andn2_b32 vcc_lo, exec_lo, s38
	s_cbranch_vccnz .LBB94_158
; %bb.157:
	s_clause 0x3
	buffer_load_dword v69, v67, s[0:3], 0 offen offset:8
	buffer_load_dword v70, v67, s[0:3], 0 offen offset:12
	buffer_load_dword v71, v67, s[0:3], 0 offen
	buffer_load_dword v72, v67, s[0:3], 0 offen offset:4
	s_waitcnt vmcnt(2) lgkmcnt(0)
	v_mul_f64 v[74:75], v[3:4], v[69:70]
	v_mul_f64 v[69:70], v[1:2], v[69:70]
	s_waitcnt vmcnt(0)
	v_fma_f64 v[1:2], v[1:2], v[71:72], -v[74:75]
	v_fma_f64 v[3:4], v[3:4], v[71:72], v[69:70]
.LBB94_158:
	s_and_saveexec_b32 s39, s4
	s_cbranch_execz .LBB94_162
; %bb.159:
	v_add_nc_u32_e32 v69, -11, v0
	s_movk_i32 s40, 0x2a0
	s_mov_b32 s4, 0
	s_mov_b32 s41, s26
	.p2align	6
.LBB94_160:                             ; =>This Inner Loop Header: Depth=1
	v_mov_b32_e32 v72, s41
	v_add_nc_u32_e32 v69, -1, v69
	s_add_i32 s41, s41, 16
	s_clause 0x3
	buffer_load_dword v70, v72, s[0:3], 0 offen offset:8
	buffer_load_dword v71, v72, s[0:3], 0 offen offset:12
	buffer_load_dword v78, v72, s[0:3], 0 offen
	buffer_load_dword v79, v72, s[0:3], 0 offen offset:4
	v_mov_b32_e32 v72, s40
	v_cmp_eq_u32_e32 vcc_lo, 0, v69
	s_add_i32 s40, s40, 16
	ds_read_b128 v[74:77], v72
	s_or_b32 s4, vcc_lo, s4
	s_waitcnt vmcnt(2) lgkmcnt(0)
	v_mul_f64 v[80:81], v[76:77], v[70:71]
	v_mul_f64 v[70:71], v[74:75], v[70:71]
	s_waitcnt vmcnt(0)
	v_fma_f64 v[74:75], v[74:75], v[78:79], -v[80:81]
	v_fma_f64 v[70:71], v[76:77], v[78:79], v[70:71]
	v_add_f64 v[1:2], v[1:2], v[74:75]
	v_add_f64 v[3:4], v[3:4], v[70:71]
	s_andn2_b32 exec_lo, exec_lo, s4
	s_cbranch_execnz .LBB94_160
; %bb.161:
	s_or_b32 exec_lo, exec_lo, s4
.LBB94_162:
	s_or_b32 exec_lo, exec_lo, s39
	v_mov_b32_e32 v69, 0
	ds_read_b128 v[69:72], v69 offset:160
	s_waitcnt lgkmcnt(0)
	v_mul_f64 v[74:75], v[3:4], v[71:72]
	v_mul_f64 v[71:72], v[1:2], v[71:72]
	v_fma_f64 v[1:2], v[1:2], v[69:70], -v[74:75]
	v_fma_f64 v[3:4], v[3:4], v[69:70], v[71:72]
	buffer_store_dword v2, off, s[0:3], 0 offset:164
	buffer_store_dword v1, off, s[0:3], 0 offset:160
	buffer_store_dword v4, off, s[0:3], 0 offset:172
	buffer_store_dword v3, off, s[0:3], 0 offset:168
.LBB94_163:
	s_or_b32 exec_lo, exec_lo, s8
	v_mov_b32_e32 v4, s28
	v_cmp_lt_u32_e64 s4, 9, v0
	s_clause 0x3
	buffer_load_dword v1, v4, s[0:3], 0 offen
	buffer_load_dword v2, v4, s[0:3], 0 offen offset:4
	buffer_load_dword v3, v4, s[0:3], 0 offen offset:8
	;; [unrolled: 1-line block ×3, first 2 shown]
	s_waitcnt vmcnt(0)
	ds_write_b128 v68, v[1:4]
	s_waitcnt lgkmcnt(0)
	s_waitcnt_vscnt null, 0x0
	s_barrier
	buffer_gl0_inv
	s_and_saveexec_b32 s8, s4
	s_cbranch_execz .LBB94_171
; %bb.164:
	ds_read_b128 v[1:4], v68
	s_andn2_b32 vcc_lo, exec_lo, s38
	s_cbranch_vccnz .LBB94_166
; %bb.165:
	s_clause 0x3
	buffer_load_dword v69, v67, s[0:3], 0 offen offset:8
	buffer_load_dword v70, v67, s[0:3], 0 offen offset:12
	buffer_load_dword v71, v67, s[0:3], 0 offen
	buffer_load_dword v72, v67, s[0:3], 0 offen offset:4
	s_waitcnt vmcnt(2) lgkmcnt(0)
	v_mul_f64 v[74:75], v[3:4], v[69:70]
	v_mul_f64 v[69:70], v[1:2], v[69:70]
	s_waitcnt vmcnt(0)
	v_fma_f64 v[1:2], v[1:2], v[71:72], -v[74:75]
	v_fma_f64 v[3:4], v[3:4], v[71:72], v[69:70]
.LBB94_166:
	s_and_saveexec_b32 s39, s5
	s_cbranch_execz .LBB94_170
; %bb.167:
	v_add_nc_u32_e32 v69, -10, v0
	s_movk_i32 s40, 0x290
	s_mov_b32 s5, 0
	s_mov_b32 s41, s27
	.p2align	6
.LBB94_168:                             ; =>This Inner Loop Header: Depth=1
	v_mov_b32_e32 v72, s41
	v_add_nc_u32_e32 v69, -1, v69
	s_add_i32 s41, s41, 16
	s_clause 0x3
	buffer_load_dword v70, v72, s[0:3], 0 offen offset:8
	buffer_load_dword v71, v72, s[0:3], 0 offen offset:12
	buffer_load_dword v78, v72, s[0:3], 0 offen
	buffer_load_dword v79, v72, s[0:3], 0 offen offset:4
	v_mov_b32_e32 v72, s40
	v_cmp_eq_u32_e32 vcc_lo, 0, v69
	s_add_i32 s40, s40, 16
	ds_read_b128 v[74:77], v72
	s_or_b32 s5, vcc_lo, s5
	s_waitcnt vmcnt(2) lgkmcnt(0)
	v_mul_f64 v[80:81], v[76:77], v[70:71]
	v_mul_f64 v[70:71], v[74:75], v[70:71]
	s_waitcnt vmcnt(0)
	v_fma_f64 v[74:75], v[74:75], v[78:79], -v[80:81]
	v_fma_f64 v[70:71], v[76:77], v[78:79], v[70:71]
	v_add_f64 v[1:2], v[1:2], v[74:75]
	v_add_f64 v[3:4], v[3:4], v[70:71]
	s_andn2_b32 exec_lo, exec_lo, s5
	s_cbranch_execnz .LBB94_168
; %bb.169:
	s_or_b32 exec_lo, exec_lo, s5
.LBB94_170:
	s_or_b32 exec_lo, exec_lo, s39
	v_mov_b32_e32 v69, 0
	ds_read_b128 v[69:72], v69 offset:144
	s_waitcnt lgkmcnt(0)
	v_mul_f64 v[74:75], v[3:4], v[71:72]
	v_mul_f64 v[71:72], v[1:2], v[71:72]
	v_fma_f64 v[1:2], v[1:2], v[69:70], -v[74:75]
	v_fma_f64 v[3:4], v[3:4], v[69:70], v[71:72]
	buffer_store_dword v2, off, s[0:3], 0 offset:148
	buffer_store_dword v1, off, s[0:3], 0 offset:144
	;; [unrolled: 1-line block ×4, first 2 shown]
.LBB94_171:
	s_or_b32 exec_lo, exec_lo, s8
	v_mov_b32_e32 v4, s29
	v_cmp_lt_u32_e64 s5, 8, v0
	s_clause 0x3
	buffer_load_dword v1, v4, s[0:3], 0 offen
	buffer_load_dword v2, v4, s[0:3], 0 offen offset:4
	buffer_load_dword v3, v4, s[0:3], 0 offen offset:8
	;; [unrolled: 1-line block ×3, first 2 shown]
	s_waitcnt vmcnt(0)
	ds_write_b128 v68, v[1:4]
	s_waitcnt lgkmcnt(0)
	s_waitcnt_vscnt null, 0x0
	s_barrier
	buffer_gl0_inv
	s_and_saveexec_b32 s8, s5
	s_cbranch_execz .LBB94_179
; %bb.172:
	ds_read_b128 v[1:4], v68
	s_andn2_b32 vcc_lo, exec_lo, s38
	s_cbranch_vccnz .LBB94_174
; %bb.173:
	s_clause 0x3
	buffer_load_dword v69, v67, s[0:3], 0 offen offset:8
	buffer_load_dword v70, v67, s[0:3], 0 offen offset:12
	buffer_load_dword v71, v67, s[0:3], 0 offen
	buffer_load_dword v72, v67, s[0:3], 0 offen offset:4
	s_waitcnt vmcnt(2) lgkmcnt(0)
	v_mul_f64 v[74:75], v[3:4], v[69:70]
	v_mul_f64 v[69:70], v[1:2], v[69:70]
	s_waitcnt vmcnt(0)
	v_fma_f64 v[1:2], v[1:2], v[71:72], -v[74:75]
	v_fma_f64 v[3:4], v[3:4], v[71:72], v[69:70]
.LBB94_174:
	s_and_saveexec_b32 s39, s4
	s_cbranch_execz .LBB94_178
; %bb.175:
	v_add_nc_u32_e32 v69, -9, v0
	s_movk_i32 s40, 0x280
	s_mov_b32 s4, 0
	s_mov_b32 s41, s28
	.p2align	6
.LBB94_176:                             ; =>This Inner Loop Header: Depth=1
	v_mov_b32_e32 v72, s41
	v_add_nc_u32_e32 v69, -1, v69
	s_add_i32 s41, s41, 16
	s_clause 0x3
	buffer_load_dword v70, v72, s[0:3], 0 offen offset:8
	buffer_load_dword v71, v72, s[0:3], 0 offen offset:12
	buffer_load_dword v78, v72, s[0:3], 0 offen
	buffer_load_dword v79, v72, s[0:3], 0 offen offset:4
	v_mov_b32_e32 v72, s40
	v_cmp_eq_u32_e32 vcc_lo, 0, v69
	s_add_i32 s40, s40, 16
	ds_read_b128 v[74:77], v72
	s_or_b32 s4, vcc_lo, s4
	s_waitcnt vmcnt(2) lgkmcnt(0)
	v_mul_f64 v[80:81], v[76:77], v[70:71]
	v_mul_f64 v[70:71], v[74:75], v[70:71]
	s_waitcnt vmcnt(0)
	v_fma_f64 v[74:75], v[74:75], v[78:79], -v[80:81]
	v_fma_f64 v[70:71], v[76:77], v[78:79], v[70:71]
	v_add_f64 v[1:2], v[1:2], v[74:75]
	v_add_f64 v[3:4], v[3:4], v[70:71]
	s_andn2_b32 exec_lo, exec_lo, s4
	s_cbranch_execnz .LBB94_176
; %bb.177:
	s_or_b32 exec_lo, exec_lo, s4
.LBB94_178:
	s_or_b32 exec_lo, exec_lo, s39
	v_mov_b32_e32 v69, 0
	ds_read_b128 v[69:72], v69 offset:128
	s_waitcnt lgkmcnt(0)
	v_mul_f64 v[74:75], v[3:4], v[71:72]
	v_mul_f64 v[71:72], v[1:2], v[71:72]
	v_fma_f64 v[1:2], v[1:2], v[69:70], -v[74:75]
	v_fma_f64 v[3:4], v[3:4], v[69:70], v[71:72]
	buffer_store_dword v2, off, s[0:3], 0 offset:132
	buffer_store_dword v1, off, s[0:3], 0 offset:128
	;; [unrolled: 1-line block ×4, first 2 shown]
.LBB94_179:
	s_or_b32 exec_lo, exec_lo, s8
	v_mov_b32_e32 v4, s30
	v_cmp_lt_u32_e64 s4, 7, v0
	s_clause 0x3
	buffer_load_dword v1, v4, s[0:3], 0 offen
	buffer_load_dword v2, v4, s[0:3], 0 offen offset:4
	buffer_load_dword v3, v4, s[0:3], 0 offen offset:8
	;; [unrolled: 1-line block ×3, first 2 shown]
	s_waitcnt vmcnt(0)
	ds_write_b128 v68, v[1:4]
	s_waitcnt lgkmcnt(0)
	s_waitcnt_vscnt null, 0x0
	s_barrier
	buffer_gl0_inv
	s_and_saveexec_b32 s8, s4
	s_cbranch_execz .LBB94_187
; %bb.180:
	ds_read_b128 v[1:4], v68
	s_andn2_b32 vcc_lo, exec_lo, s38
	s_cbranch_vccnz .LBB94_182
; %bb.181:
	s_clause 0x3
	buffer_load_dword v69, v67, s[0:3], 0 offen offset:8
	buffer_load_dword v70, v67, s[0:3], 0 offen offset:12
	buffer_load_dword v71, v67, s[0:3], 0 offen
	buffer_load_dword v72, v67, s[0:3], 0 offen offset:4
	s_waitcnt vmcnt(2) lgkmcnt(0)
	v_mul_f64 v[74:75], v[3:4], v[69:70]
	v_mul_f64 v[69:70], v[1:2], v[69:70]
	s_waitcnt vmcnt(0)
	v_fma_f64 v[1:2], v[1:2], v[71:72], -v[74:75]
	v_fma_f64 v[3:4], v[3:4], v[71:72], v[69:70]
.LBB94_182:
	s_and_saveexec_b32 s39, s5
	s_cbranch_execz .LBB94_186
; %bb.183:
	v_add_nc_u32_e32 v69, -8, v0
	s_movk_i32 s40, 0x270
	s_mov_b32 s5, 0
	s_mov_b32 s41, s29
	.p2align	6
.LBB94_184:                             ; =>This Inner Loop Header: Depth=1
	v_mov_b32_e32 v72, s41
	v_add_nc_u32_e32 v69, -1, v69
	s_add_i32 s41, s41, 16
	s_clause 0x3
	buffer_load_dword v70, v72, s[0:3], 0 offen offset:8
	buffer_load_dword v71, v72, s[0:3], 0 offen offset:12
	buffer_load_dword v78, v72, s[0:3], 0 offen
	buffer_load_dword v79, v72, s[0:3], 0 offen offset:4
	v_mov_b32_e32 v72, s40
	v_cmp_eq_u32_e32 vcc_lo, 0, v69
	s_add_i32 s40, s40, 16
	ds_read_b128 v[74:77], v72
	s_or_b32 s5, vcc_lo, s5
	s_waitcnt vmcnt(2) lgkmcnt(0)
	v_mul_f64 v[80:81], v[76:77], v[70:71]
	v_mul_f64 v[70:71], v[74:75], v[70:71]
	s_waitcnt vmcnt(0)
	v_fma_f64 v[74:75], v[74:75], v[78:79], -v[80:81]
	v_fma_f64 v[70:71], v[76:77], v[78:79], v[70:71]
	v_add_f64 v[1:2], v[1:2], v[74:75]
	v_add_f64 v[3:4], v[3:4], v[70:71]
	s_andn2_b32 exec_lo, exec_lo, s5
	s_cbranch_execnz .LBB94_184
; %bb.185:
	s_or_b32 exec_lo, exec_lo, s5
.LBB94_186:
	s_or_b32 exec_lo, exec_lo, s39
	v_mov_b32_e32 v69, 0
	ds_read_b128 v[69:72], v69 offset:112
	s_waitcnt lgkmcnt(0)
	v_mul_f64 v[74:75], v[3:4], v[71:72]
	v_mul_f64 v[71:72], v[1:2], v[71:72]
	v_fma_f64 v[1:2], v[1:2], v[69:70], -v[74:75]
	v_fma_f64 v[3:4], v[3:4], v[69:70], v[71:72]
	buffer_store_dword v2, off, s[0:3], 0 offset:116
	buffer_store_dword v1, off, s[0:3], 0 offset:112
	;; [unrolled: 1-line block ×4, first 2 shown]
.LBB94_187:
	s_or_b32 exec_lo, exec_lo, s8
	v_mov_b32_e32 v4, s31
	v_cmp_lt_u32_e64 s5, 6, v0
	s_clause 0x3
	buffer_load_dword v1, v4, s[0:3], 0 offen
	buffer_load_dword v2, v4, s[0:3], 0 offen offset:4
	buffer_load_dword v3, v4, s[0:3], 0 offen offset:8
	;; [unrolled: 1-line block ×3, first 2 shown]
	s_waitcnt vmcnt(0)
	ds_write_b128 v68, v[1:4]
	s_waitcnt lgkmcnt(0)
	s_waitcnt_vscnt null, 0x0
	s_barrier
	buffer_gl0_inv
	s_and_saveexec_b32 s8, s5
	s_cbranch_execz .LBB94_195
; %bb.188:
	ds_read_b128 v[1:4], v68
	s_andn2_b32 vcc_lo, exec_lo, s38
	s_cbranch_vccnz .LBB94_190
; %bb.189:
	s_clause 0x3
	buffer_load_dword v69, v67, s[0:3], 0 offen offset:8
	buffer_load_dword v70, v67, s[0:3], 0 offen offset:12
	buffer_load_dword v71, v67, s[0:3], 0 offen
	buffer_load_dword v72, v67, s[0:3], 0 offen offset:4
	s_waitcnt vmcnt(2) lgkmcnt(0)
	v_mul_f64 v[74:75], v[3:4], v[69:70]
	v_mul_f64 v[69:70], v[1:2], v[69:70]
	s_waitcnt vmcnt(0)
	v_fma_f64 v[1:2], v[1:2], v[71:72], -v[74:75]
	v_fma_f64 v[3:4], v[3:4], v[71:72], v[69:70]
.LBB94_190:
	s_and_saveexec_b32 s39, s4
	s_cbranch_execz .LBB94_194
; %bb.191:
	v_add_nc_u32_e32 v69, -7, v0
	s_movk_i32 s40, 0x260
	s_mov_b32 s4, 0
	s_mov_b32 s41, s30
	.p2align	6
.LBB94_192:                             ; =>This Inner Loop Header: Depth=1
	v_mov_b32_e32 v72, s41
	v_add_nc_u32_e32 v69, -1, v69
	s_add_i32 s41, s41, 16
	s_clause 0x3
	buffer_load_dword v70, v72, s[0:3], 0 offen offset:8
	buffer_load_dword v71, v72, s[0:3], 0 offen offset:12
	buffer_load_dword v78, v72, s[0:3], 0 offen
	buffer_load_dword v79, v72, s[0:3], 0 offen offset:4
	v_mov_b32_e32 v72, s40
	v_cmp_eq_u32_e32 vcc_lo, 0, v69
	s_add_i32 s40, s40, 16
	ds_read_b128 v[74:77], v72
	s_or_b32 s4, vcc_lo, s4
	s_waitcnt vmcnt(2) lgkmcnt(0)
	v_mul_f64 v[80:81], v[76:77], v[70:71]
	v_mul_f64 v[70:71], v[74:75], v[70:71]
	s_waitcnt vmcnt(0)
	v_fma_f64 v[74:75], v[74:75], v[78:79], -v[80:81]
	v_fma_f64 v[70:71], v[76:77], v[78:79], v[70:71]
	v_add_f64 v[1:2], v[1:2], v[74:75]
	v_add_f64 v[3:4], v[3:4], v[70:71]
	s_andn2_b32 exec_lo, exec_lo, s4
	s_cbranch_execnz .LBB94_192
; %bb.193:
	s_or_b32 exec_lo, exec_lo, s4
.LBB94_194:
	s_or_b32 exec_lo, exec_lo, s39
	v_mov_b32_e32 v69, 0
	ds_read_b128 v[69:72], v69 offset:96
	s_waitcnt lgkmcnt(0)
	v_mul_f64 v[74:75], v[3:4], v[71:72]
	v_mul_f64 v[71:72], v[1:2], v[71:72]
	v_fma_f64 v[1:2], v[1:2], v[69:70], -v[74:75]
	v_fma_f64 v[3:4], v[3:4], v[69:70], v[71:72]
	buffer_store_dword v2, off, s[0:3], 0 offset:100
	buffer_store_dword v1, off, s[0:3], 0 offset:96
	;; [unrolled: 1-line block ×4, first 2 shown]
.LBB94_195:
	s_or_b32 exec_lo, exec_lo, s8
	v_mov_b32_e32 v4, s33
	v_cmp_lt_u32_e64 s4, 5, v0
	s_clause 0x3
	buffer_load_dword v1, v4, s[0:3], 0 offen
	buffer_load_dword v2, v4, s[0:3], 0 offen offset:4
	buffer_load_dword v3, v4, s[0:3], 0 offen offset:8
	;; [unrolled: 1-line block ×3, first 2 shown]
	s_waitcnt vmcnt(0)
	ds_write_b128 v68, v[1:4]
	s_waitcnt lgkmcnt(0)
	s_waitcnt_vscnt null, 0x0
	s_barrier
	buffer_gl0_inv
	s_and_saveexec_b32 s8, s4
	s_cbranch_execz .LBB94_203
; %bb.196:
	ds_read_b128 v[1:4], v68
	s_andn2_b32 vcc_lo, exec_lo, s38
	s_cbranch_vccnz .LBB94_198
; %bb.197:
	s_clause 0x3
	buffer_load_dword v69, v67, s[0:3], 0 offen offset:8
	buffer_load_dword v70, v67, s[0:3], 0 offen offset:12
	buffer_load_dword v71, v67, s[0:3], 0 offen
	buffer_load_dword v72, v67, s[0:3], 0 offen offset:4
	s_waitcnt vmcnt(2) lgkmcnt(0)
	v_mul_f64 v[74:75], v[3:4], v[69:70]
	v_mul_f64 v[69:70], v[1:2], v[69:70]
	s_waitcnt vmcnt(0)
	v_fma_f64 v[1:2], v[1:2], v[71:72], -v[74:75]
	v_fma_f64 v[3:4], v[3:4], v[71:72], v[69:70]
.LBB94_198:
	s_and_saveexec_b32 s39, s5
	s_cbranch_execz .LBB94_202
; %bb.199:
	v_add_nc_u32_e32 v69, -6, v0
	s_movk_i32 s40, 0x250
	s_mov_b32 s5, 0
	s_mov_b32 s41, s31
	.p2align	6
.LBB94_200:                             ; =>This Inner Loop Header: Depth=1
	v_mov_b32_e32 v72, s41
	v_add_nc_u32_e32 v69, -1, v69
	s_add_i32 s41, s41, 16
	s_clause 0x3
	buffer_load_dword v70, v72, s[0:3], 0 offen offset:8
	buffer_load_dword v71, v72, s[0:3], 0 offen offset:12
	buffer_load_dword v78, v72, s[0:3], 0 offen
	buffer_load_dword v79, v72, s[0:3], 0 offen offset:4
	v_mov_b32_e32 v72, s40
	v_cmp_eq_u32_e32 vcc_lo, 0, v69
	s_add_i32 s40, s40, 16
	ds_read_b128 v[74:77], v72
	s_or_b32 s5, vcc_lo, s5
	s_waitcnt vmcnt(2) lgkmcnt(0)
	v_mul_f64 v[80:81], v[76:77], v[70:71]
	v_mul_f64 v[70:71], v[74:75], v[70:71]
	s_waitcnt vmcnt(0)
	v_fma_f64 v[74:75], v[74:75], v[78:79], -v[80:81]
	v_fma_f64 v[70:71], v[76:77], v[78:79], v[70:71]
	v_add_f64 v[1:2], v[1:2], v[74:75]
	v_add_f64 v[3:4], v[3:4], v[70:71]
	s_andn2_b32 exec_lo, exec_lo, s5
	s_cbranch_execnz .LBB94_200
; %bb.201:
	s_or_b32 exec_lo, exec_lo, s5
.LBB94_202:
	s_or_b32 exec_lo, exec_lo, s39
	v_mov_b32_e32 v69, 0
	ds_read_b128 v[69:72], v69 offset:80
	s_waitcnt lgkmcnt(0)
	v_mul_f64 v[74:75], v[3:4], v[71:72]
	v_mul_f64 v[71:72], v[1:2], v[71:72]
	v_fma_f64 v[1:2], v[1:2], v[69:70], -v[74:75]
	v_fma_f64 v[3:4], v[3:4], v[69:70], v[71:72]
	buffer_store_dword v2, off, s[0:3], 0 offset:84
	buffer_store_dword v1, off, s[0:3], 0 offset:80
	;; [unrolled: 1-line block ×4, first 2 shown]
.LBB94_203:
	s_or_b32 exec_lo, exec_lo, s8
	v_mov_b32_e32 v4, s34
	v_cmp_lt_u32_e64 s5, 4, v0
	s_clause 0x3
	buffer_load_dword v1, v4, s[0:3], 0 offen
	buffer_load_dword v2, v4, s[0:3], 0 offen offset:4
	buffer_load_dword v3, v4, s[0:3], 0 offen offset:8
	;; [unrolled: 1-line block ×3, first 2 shown]
	s_waitcnt vmcnt(0)
	ds_write_b128 v68, v[1:4]
	s_waitcnt lgkmcnt(0)
	s_waitcnt_vscnt null, 0x0
	s_barrier
	buffer_gl0_inv
	s_and_saveexec_b32 s8, s5
	s_cbranch_execz .LBB94_211
; %bb.204:
	ds_read_b128 v[1:4], v68
	s_andn2_b32 vcc_lo, exec_lo, s38
	s_cbranch_vccnz .LBB94_206
; %bb.205:
	s_clause 0x3
	buffer_load_dword v69, v67, s[0:3], 0 offen offset:8
	buffer_load_dword v70, v67, s[0:3], 0 offen offset:12
	buffer_load_dword v71, v67, s[0:3], 0 offen
	buffer_load_dword v72, v67, s[0:3], 0 offen offset:4
	s_waitcnt vmcnt(2) lgkmcnt(0)
	v_mul_f64 v[74:75], v[3:4], v[69:70]
	v_mul_f64 v[69:70], v[1:2], v[69:70]
	s_waitcnt vmcnt(0)
	v_fma_f64 v[1:2], v[1:2], v[71:72], -v[74:75]
	v_fma_f64 v[3:4], v[3:4], v[71:72], v[69:70]
.LBB94_206:
	s_and_saveexec_b32 s39, s4
	s_cbranch_execz .LBB94_210
; %bb.207:
	v_add_nc_u32_e32 v69, -5, v0
	s_movk_i32 s40, 0x240
	s_mov_b32 s4, 0
	s_mov_b32 s41, s33
	.p2align	6
.LBB94_208:                             ; =>This Inner Loop Header: Depth=1
	v_mov_b32_e32 v72, s41
	v_add_nc_u32_e32 v69, -1, v69
	s_add_i32 s41, s41, 16
	s_clause 0x3
	buffer_load_dword v70, v72, s[0:3], 0 offen offset:8
	buffer_load_dword v71, v72, s[0:3], 0 offen offset:12
	buffer_load_dword v78, v72, s[0:3], 0 offen
	buffer_load_dword v79, v72, s[0:3], 0 offen offset:4
	v_mov_b32_e32 v72, s40
	v_cmp_eq_u32_e32 vcc_lo, 0, v69
	s_add_i32 s40, s40, 16
	ds_read_b128 v[74:77], v72
	s_or_b32 s4, vcc_lo, s4
	s_waitcnt vmcnt(2) lgkmcnt(0)
	v_mul_f64 v[80:81], v[76:77], v[70:71]
	v_mul_f64 v[70:71], v[74:75], v[70:71]
	s_waitcnt vmcnt(0)
	v_fma_f64 v[74:75], v[74:75], v[78:79], -v[80:81]
	v_fma_f64 v[70:71], v[76:77], v[78:79], v[70:71]
	v_add_f64 v[1:2], v[1:2], v[74:75]
	v_add_f64 v[3:4], v[3:4], v[70:71]
	s_andn2_b32 exec_lo, exec_lo, s4
	s_cbranch_execnz .LBB94_208
; %bb.209:
	s_or_b32 exec_lo, exec_lo, s4
.LBB94_210:
	s_or_b32 exec_lo, exec_lo, s39
	v_mov_b32_e32 v69, 0
	ds_read_b128 v[69:72], v69 offset:64
	s_waitcnt lgkmcnt(0)
	v_mul_f64 v[74:75], v[3:4], v[71:72]
	v_mul_f64 v[71:72], v[1:2], v[71:72]
	v_fma_f64 v[1:2], v[1:2], v[69:70], -v[74:75]
	v_fma_f64 v[3:4], v[3:4], v[69:70], v[71:72]
	buffer_store_dword v2, off, s[0:3], 0 offset:68
	buffer_store_dword v1, off, s[0:3], 0 offset:64
	;; [unrolled: 1-line block ×4, first 2 shown]
.LBB94_211:
	s_or_b32 exec_lo, exec_lo, s8
	v_mov_b32_e32 v4, s35
	v_cmp_lt_u32_e64 s4, 3, v0
	s_clause 0x3
	buffer_load_dword v1, v4, s[0:3], 0 offen
	buffer_load_dword v2, v4, s[0:3], 0 offen offset:4
	buffer_load_dword v3, v4, s[0:3], 0 offen offset:8
	;; [unrolled: 1-line block ×3, first 2 shown]
	s_waitcnt vmcnt(0)
	ds_write_b128 v68, v[1:4]
	s_waitcnt lgkmcnt(0)
	s_waitcnt_vscnt null, 0x0
	s_barrier
	buffer_gl0_inv
	s_and_saveexec_b32 s8, s4
	s_cbranch_execz .LBB94_219
; %bb.212:
	ds_read_b128 v[1:4], v68
	s_andn2_b32 vcc_lo, exec_lo, s38
	s_cbranch_vccnz .LBB94_214
; %bb.213:
	s_clause 0x3
	buffer_load_dword v69, v67, s[0:3], 0 offen offset:8
	buffer_load_dword v70, v67, s[0:3], 0 offen offset:12
	buffer_load_dword v71, v67, s[0:3], 0 offen
	buffer_load_dword v72, v67, s[0:3], 0 offen offset:4
	s_waitcnt vmcnt(2) lgkmcnt(0)
	v_mul_f64 v[74:75], v[3:4], v[69:70]
	v_mul_f64 v[69:70], v[1:2], v[69:70]
	s_waitcnt vmcnt(0)
	v_fma_f64 v[1:2], v[1:2], v[71:72], -v[74:75]
	v_fma_f64 v[3:4], v[3:4], v[71:72], v[69:70]
.LBB94_214:
	s_and_saveexec_b32 s39, s5
	s_cbranch_execz .LBB94_218
; %bb.215:
	v_add_nc_u32_e32 v69, -4, v0
	s_movk_i32 s40, 0x230
	s_mov_b32 s5, 0
	s_mov_b32 s41, s34
	.p2align	6
.LBB94_216:                             ; =>This Inner Loop Header: Depth=1
	v_mov_b32_e32 v72, s41
	v_add_nc_u32_e32 v69, -1, v69
	s_add_i32 s41, s41, 16
	s_clause 0x3
	buffer_load_dword v70, v72, s[0:3], 0 offen offset:8
	buffer_load_dword v71, v72, s[0:3], 0 offen offset:12
	buffer_load_dword v78, v72, s[0:3], 0 offen
	buffer_load_dword v79, v72, s[0:3], 0 offen offset:4
	v_mov_b32_e32 v72, s40
	v_cmp_eq_u32_e32 vcc_lo, 0, v69
	s_add_i32 s40, s40, 16
	ds_read_b128 v[74:77], v72
	s_or_b32 s5, vcc_lo, s5
	s_waitcnt vmcnt(2) lgkmcnt(0)
	v_mul_f64 v[80:81], v[76:77], v[70:71]
	v_mul_f64 v[70:71], v[74:75], v[70:71]
	s_waitcnt vmcnt(0)
	v_fma_f64 v[74:75], v[74:75], v[78:79], -v[80:81]
	v_fma_f64 v[70:71], v[76:77], v[78:79], v[70:71]
	v_add_f64 v[1:2], v[1:2], v[74:75]
	v_add_f64 v[3:4], v[3:4], v[70:71]
	s_andn2_b32 exec_lo, exec_lo, s5
	s_cbranch_execnz .LBB94_216
; %bb.217:
	s_or_b32 exec_lo, exec_lo, s5
.LBB94_218:
	s_or_b32 exec_lo, exec_lo, s39
	v_mov_b32_e32 v69, 0
	ds_read_b128 v[69:72], v69 offset:48
	s_waitcnt lgkmcnt(0)
	v_mul_f64 v[74:75], v[3:4], v[71:72]
	v_mul_f64 v[71:72], v[1:2], v[71:72]
	v_fma_f64 v[1:2], v[1:2], v[69:70], -v[74:75]
	v_fma_f64 v[3:4], v[3:4], v[69:70], v[71:72]
	buffer_store_dword v2, off, s[0:3], 0 offset:52
	buffer_store_dword v1, off, s[0:3], 0 offset:48
	;; [unrolled: 1-line block ×4, first 2 shown]
.LBB94_219:
	s_or_b32 exec_lo, exec_lo, s8
	v_mov_b32_e32 v4, s36
	v_cmp_lt_u32_e64 s5, 2, v0
	s_clause 0x3
	buffer_load_dword v1, v4, s[0:3], 0 offen
	buffer_load_dword v2, v4, s[0:3], 0 offen offset:4
	buffer_load_dword v3, v4, s[0:3], 0 offen offset:8
	;; [unrolled: 1-line block ×3, first 2 shown]
	s_waitcnt vmcnt(0)
	ds_write_b128 v68, v[1:4]
	s_waitcnt lgkmcnt(0)
	s_waitcnt_vscnt null, 0x0
	s_barrier
	buffer_gl0_inv
	s_and_saveexec_b32 s8, s5
	s_cbranch_execz .LBB94_227
; %bb.220:
	ds_read_b128 v[1:4], v68
	s_andn2_b32 vcc_lo, exec_lo, s38
	s_cbranch_vccnz .LBB94_222
; %bb.221:
	s_clause 0x3
	buffer_load_dword v69, v67, s[0:3], 0 offen offset:8
	buffer_load_dword v70, v67, s[0:3], 0 offen offset:12
	buffer_load_dword v71, v67, s[0:3], 0 offen
	buffer_load_dword v72, v67, s[0:3], 0 offen offset:4
	s_waitcnt vmcnt(2) lgkmcnt(0)
	v_mul_f64 v[74:75], v[3:4], v[69:70]
	v_mul_f64 v[69:70], v[1:2], v[69:70]
	s_waitcnt vmcnt(0)
	v_fma_f64 v[1:2], v[1:2], v[71:72], -v[74:75]
	v_fma_f64 v[3:4], v[3:4], v[71:72], v[69:70]
.LBB94_222:
	s_and_saveexec_b32 s39, s4
	s_cbranch_execz .LBB94_226
; %bb.223:
	v_add_nc_u32_e32 v69, -3, v0
	s_movk_i32 s40, 0x220
	s_mov_b32 s4, 0
	s_mov_b32 s41, s35
	.p2align	6
.LBB94_224:                             ; =>This Inner Loop Header: Depth=1
	v_mov_b32_e32 v72, s41
	v_add_nc_u32_e32 v69, -1, v69
	s_add_i32 s41, s41, 16
	s_clause 0x3
	buffer_load_dword v70, v72, s[0:3], 0 offen offset:8
	buffer_load_dword v71, v72, s[0:3], 0 offen offset:12
	buffer_load_dword v78, v72, s[0:3], 0 offen
	buffer_load_dword v79, v72, s[0:3], 0 offen offset:4
	v_mov_b32_e32 v72, s40
	v_cmp_eq_u32_e32 vcc_lo, 0, v69
	s_add_i32 s40, s40, 16
	ds_read_b128 v[74:77], v72
	s_or_b32 s4, vcc_lo, s4
	s_waitcnt vmcnt(2) lgkmcnt(0)
	v_mul_f64 v[80:81], v[76:77], v[70:71]
	v_mul_f64 v[70:71], v[74:75], v[70:71]
	s_waitcnt vmcnt(0)
	v_fma_f64 v[74:75], v[74:75], v[78:79], -v[80:81]
	v_fma_f64 v[70:71], v[76:77], v[78:79], v[70:71]
	v_add_f64 v[1:2], v[1:2], v[74:75]
	v_add_f64 v[3:4], v[3:4], v[70:71]
	s_andn2_b32 exec_lo, exec_lo, s4
	s_cbranch_execnz .LBB94_224
; %bb.225:
	s_or_b32 exec_lo, exec_lo, s4
.LBB94_226:
	s_or_b32 exec_lo, exec_lo, s39
	v_mov_b32_e32 v69, 0
	ds_read_b128 v[69:72], v69 offset:32
	s_waitcnt lgkmcnt(0)
	v_mul_f64 v[74:75], v[3:4], v[71:72]
	v_mul_f64 v[71:72], v[1:2], v[71:72]
	v_fma_f64 v[1:2], v[1:2], v[69:70], -v[74:75]
	v_fma_f64 v[3:4], v[3:4], v[69:70], v[71:72]
	buffer_store_dword v2, off, s[0:3], 0 offset:36
	buffer_store_dword v1, off, s[0:3], 0 offset:32
	;; [unrolled: 1-line block ×4, first 2 shown]
.LBB94_227:
	s_or_b32 exec_lo, exec_lo, s8
	v_mov_b32_e32 v4, s37
	v_cmp_lt_u32_e64 s4, 1, v0
	s_clause 0x3
	buffer_load_dword v1, v4, s[0:3], 0 offen
	buffer_load_dword v2, v4, s[0:3], 0 offen offset:4
	buffer_load_dword v3, v4, s[0:3], 0 offen offset:8
	;; [unrolled: 1-line block ×3, first 2 shown]
	s_waitcnt vmcnt(0)
	ds_write_b128 v68, v[1:4]
	s_waitcnt lgkmcnt(0)
	s_waitcnt_vscnt null, 0x0
	s_barrier
	buffer_gl0_inv
	s_and_saveexec_b32 s8, s4
	s_cbranch_execz .LBB94_235
; %bb.228:
	ds_read_b128 v[1:4], v68
	s_andn2_b32 vcc_lo, exec_lo, s38
	s_cbranch_vccnz .LBB94_230
; %bb.229:
	s_clause 0x3
	buffer_load_dword v69, v67, s[0:3], 0 offen offset:8
	buffer_load_dword v70, v67, s[0:3], 0 offen offset:12
	buffer_load_dword v71, v67, s[0:3], 0 offen
	buffer_load_dword v72, v67, s[0:3], 0 offen offset:4
	s_waitcnt vmcnt(2) lgkmcnt(0)
	v_mul_f64 v[74:75], v[3:4], v[69:70]
	v_mul_f64 v[69:70], v[1:2], v[69:70]
	s_waitcnt vmcnt(0)
	v_fma_f64 v[1:2], v[1:2], v[71:72], -v[74:75]
	v_fma_f64 v[3:4], v[3:4], v[71:72], v[69:70]
.LBB94_230:
	s_and_saveexec_b32 s39, s5
	s_cbranch_execz .LBB94_234
; %bb.231:
	v_add_nc_u32_e32 v69, -2, v0
	s_movk_i32 s40, 0x210
	s_mov_b32 s5, 0
	s_mov_b32 s41, s36
	.p2align	6
.LBB94_232:                             ; =>This Inner Loop Header: Depth=1
	v_mov_b32_e32 v72, s41
	v_add_nc_u32_e32 v69, -1, v69
	s_add_i32 s41, s41, 16
	s_clause 0x3
	buffer_load_dword v70, v72, s[0:3], 0 offen offset:8
	buffer_load_dword v71, v72, s[0:3], 0 offen offset:12
	buffer_load_dword v78, v72, s[0:3], 0 offen
	buffer_load_dword v79, v72, s[0:3], 0 offen offset:4
	v_mov_b32_e32 v72, s40
	v_cmp_eq_u32_e32 vcc_lo, 0, v69
	s_add_i32 s40, s40, 16
	ds_read_b128 v[74:77], v72
	s_or_b32 s5, vcc_lo, s5
	s_waitcnt vmcnt(2) lgkmcnt(0)
	v_mul_f64 v[80:81], v[76:77], v[70:71]
	v_mul_f64 v[70:71], v[74:75], v[70:71]
	s_waitcnt vmcnt(0)
	v_fma_f64 v[74:75], v[74:75], v[78:79], -v[80:81]
	v_fma_f64 v[70:71], v[76:77], v[78:79], v[70:71]
	v_add_f64 v[1:2], v[1:2], v[74:75]
	v_add_f64 v[3:4], v[3:4], v[70:71]
	s_andn2_b32 exec_lo, exec_lo, s5
	s_cbranch_execnz .LBB94_232
; %bb.233:
	s_or_b32 exec_lo, exec_lo, s5
.LBB94_234:
	s_or_b32 exec_lo, exec_lo, s39
	v_mov_b32_e32 v69, 0
	ds_read_b128 v[69:72], v69 offset:16
	s_waitcnt lgkmcnt(0)
	v_mul_f64 v[74:75], v[3:4], v[71:72]
	v_mul_f64 v[71:72], v[1:2], v[71:72]
	v_fma_f64 v[1:2], v[1:2], v[69:70], -v[74:75]
	v_fma_f64 v[3:4], v[3:4], v[69:70], v[71:72]
	buffer_store_dword v2, off, s[0:3], 0 offset:20
	buffer_store_dword v1, off, s[0:3], 0 offset:16
	;; [unrolled: 1-line block ×4, first 2 shown]
.LBB94_235:
	s_or_b32 exec_lo, exec_lo, s8
	s_clause 0x3
	buffer_load_dword v1, off, s[0:3], 0
	buffer_load_dword v2, off, s[0:3], 0 offset:4
	buffer_load_dword v3, off, s[0:3], 0 offset:8
	;; [unrolled: 1-line block ×3, first 2 shown]
	s_mov_b32 s8, 0
	s_mov_b32 s5, 0
	s_mov_b32 s39, exec_lo
                                        ; implicit-def: $sgpr40
	s_waitcnt vmcnt(0)
	ds_write_b128 v68, v[1:4]
	s_waitcnt lgkmcnt(0)
	s_waitcnt_vscnt null, 0x0
	s_barrier
	buffer_gl0_inv
                                        ; implicit-def: $vgpr1_vgpr2
	v_cmpx_ne_u32_e32 0, v0
	s_cbranch_execz .LBB94_243
; %bb.236:
	ds_read_b128 v[1:4], v68
	s_andn2_b32 vcc_lo, exec_lo, s38
	s_cbranch_vccnz .LBB94_238
; %bb.237:
	s_clause 0x3
	buffer_load_dword v69, v67, s[0:3], 0 offen offset:8
	buffer_load_dword v70, v67, s[0:3], 0 offen offset:12
	buffer_load_dword v71, v67, s[0:3], 0 offen
	buffer_load_dword v72, v67, s[0:3], 0 offen offset:4
	s_waitcnt vmcnt(2) lgkmcnt(0)
	v_mul_f64 v[74:75], v[3:4], v[69:70]
	v_mul_f64 v[69:70], v[1:2], v[69:70]
	s_waitcnt vmcnt(0)
	v_fma_f64 v[1:2], v[1:2], v[71:72], -v[74:75]
	v_fma_f64 v[3:4], v[3:4], v[71:72], v[69:70]
.LBB94_238:
	s_and_saveexec_b32 s5, s4
	s_cbranch_execz .LBB94_242
; %bb.239:
	v_add_nc_u32_e32 v69, -1, v0
	s_movk_i32 s40, 0x200
	s_mov_b32 s4, 0
	s_mov_b32 s41, s37
	.p2align	6
.LBB94_240:                             ; =>This Inner Loop Header: Depth=1
	v_mov_b32_e32 v72, s41
	v_add_nc_u32_e32 v69, -1, v69
	s_add_i32 s41, s41, 16
	s_clause 0x3
	buffer_load_dword v70, v72, s[0:3], 0 offen offset:8
	buffer_load_dword v71, v72, s[0:3], 0 offen offset:12
	buffer_load_dword v78, v72, s[0:3], 0 offen
	buffer_load_dword v79, v72, s[0:3], 0 offen offset:4
	v_mov_b32_e32 v72, s40
	v_cmp_eq_u32_e32 vcc_lo, 0, v69
	s_add_i32 s40, s40, 16
	ds_read_b128 v[74:77], v72
	s_or_b32 s4, vcc_lo, s4
	s_waitcnt vmcnt(2) lgkmcnt(0)
	v_mul_f64 v[80:81], v[76:77], v[70:71]
	v_mul_f64 v[70:71], v[74:75], v[70:71]
	s_waitcnt vmcnt(0)
	v_fma_f64 v[74:75], v[74:75], v[78:79], -v[80:81]
	v_fma_f64 v[70:71], v[76:77], v[78:79], v[70:71]
	v_add_f64 v[1:2], v[1:2], v[74:75]
	v_add_f64 v[3:4], v[3:4], v[70:71]
	s_andn2_b32 exec_lo, exec_lo, s4
	s_cbranch_execnz .LBB94_240
; %bb.241:
	s_or_b32 exec_lo, exec_lo, s4
.LBB94_242:
	s_or_b32 exec_lo, exec_lo, s5
	v_mov_b32_e32 v69, 0
	s_mov_b32 s5, exec_lo
	s_or_b32 s40, 0, 8
	ds_read_b128 v[69:72], v69
	s_waitcnt lgkmcnt(0)
	v_mul_f64 v[74:75], v[3:4], v[71:72]
	v_mul_f64 v[71:72], v[1:2], v[71:72]
	v_fma_f64 v[74:75], v[1:2], v[69:70], -v[74:75]
	v_fma_f64 v[1:2], v[3:4], v[69:70], v[71:72]
	buffer_store_dword v75, off, s[0:3], 0 offset:4
	buffer_store_dword v74, off, s[0:3], 0
.LBB94_243:
	s_or_b32 exec_lo, exec_lo, s39
	s_and_b32 vcc_lo, exec_lo, s8
	s_cbranch_vccnz .LBB94_245
	s_branch .LBB94_480
.LBB94_244:
	s_mov_b32 s5, 0
                                        ; implicit-def: $vgpr1_vgpr2
                                        ; implicit-def: $sgpr40
	s_cbranch_execz .LBB94_480
.LBB94_245:
	v_mov_b32_e32 v4, s37
	v_cmp_eq_u32_e64 s4, 0, v0
	v_cndmask_b32_e64 v69, 0, 1, s38
	s_clause 0x3
	buffer_load_dword v1, v4, s[0:3], 0 offen
	buffer_load_dword v2, v4, s[0:3], 0 offen offset:4
	buffer_load_dword v3, v4, s[0:3], 0 offen offset:8
	;; [unrolled: 1-line block ×3, first 2 shown]
	s_waitcnt vmcnt(0)
	ds_write_b128 v68, v[1:4]
	s_waitcnt lgkmcnt(0)
	s_waitcnt_vscnt null, 0x0
	s_barrier
	buffer_gl0_inv
	s_and_saveexec_b32 s8, s4
	s_cbranch_execz .LBB94_249
; %bb.246:
	ds_read_b128 v[1:4], v68
	s_andn2_b32 vcc_lo, exec_lo, s38
	s_cbranch_vccnz .LBB94_248
; %bb.247:
	s_clause 0x3
	buffer_load_dword v70, v67, s[0:3], 0 offen offset:8
	buffer_load_dword v71, v67, s[0:3], 0 offen offset:12
	buffer_load_dword v74, v67, s[0:3], 0 offen
	buffer_load_dword v75, v67, s[0:3], 0 offen offset:4
	s_waitcnt vmcnt(2) lgkmcnt(0)
	v_mul_f64 v[76:77], v[3:4], v[70:71]
	v_mul_f64 v[70:71], v[1:2], v[70:71]
	s_waitcnt vmcnt(0)
	v_fma_f64 v[1:2], v[1:2], v[74:75], -v[76:77]
	v_fma_f64 v[3:4], v[3:4], v[74:75], v[70:71]
.LBB94_248:
	v_mov_b32_e32 v70, 0
	ds_read_b128 v[74:77], v70 offset:16
	s_waitcnt lgkmcnt(0)
	v_mul_f64 v[70:71], v[3:4], v[76:77]
	v_mul_f64 v[76:77], v[1:2], v[76:77]
	v_fma_f64 v[1:2], v[1:2], v[74:75], -v[70:71]
	v_fma_f64 v[3:4], v[3:4], v[74:75], v[76:77]
	buffer_store_dword v2, off, s[0:3], 0 offset:20
	buffer_store_dword v1, off, s[0:3], 0 offset:16
	;; [unrolled: 1-line block ×4, first 2 shown]
.LBB94_249:
	s_or_b32 exec_lo, exec_lo, s8
	v_mov_b32_e32 v4, s36
	s_mov_b32 s8, exec_lo
	s_clause 0x3
	buffer_load_dword v1, v4, s[0:3], 0 offen
	buffer_load_dword v2, v4, s[0:3], 0 offen offset:4
	buffer_load_dword v3, v4, s[0:3], 0 offen offset:8
	;; [unrolled: 1-line block ×3, first 2 shown]
	s_waitcnt vmcnt(0)
	ds_write_b128 v68, v[1:4]
	s_waitcnt lgkmcnt(0)
	s_waitcnt_vscnt null, 0x0
	s_barrier
	buffer_gl0_inv
	v_cmpx_gt_u32_e32 2, v0
	s_cbranch_execz .LBB94_255
; %bb.250:
	ds_read_b128 v[1:4], v68
	v_cmp_ne_u32_e32 vcc_lo, 1, v69
	s_cbranch_vccnz .LBB94_252
; %bb.251:
	s_clause 0x3
	buffer_load_dword v70, v67, s[0:3], 0 offen offset:8
	buffer_load_dword v71, v67, s[0:3], 0 offen offset:12
	buffer_load_dword v74, v67, s[0:3], 0 offen
	buffer_load_dword v75, v67, s[0:3], 0 offen offset:4
	s_waitcnt vmcnt(2) lgkmcnt(0)
	v_mul_f64 v[76:77], v[3:4], v[70:71]
	v_mul_f64 v[70:71], v[1:2], v[70:71]
	s_waitcnt vmcnt(0)
	v_fma_f64 v[1:2], v[1:2], v[74:75], -v[76:77]
	v_fma_f64 v[3:4], v[3:4], v[74:75], v[70:71]
.LBB94_252:
	s_and_saveexec_b32 s38, s4
	s_cbranch_execz .LBB94_254
; %bb.253:
	s_clause 0x3
	buffer_load_dword v70, off, s[0:3], 0 offset:24
	buffer_load_dword v71, off, s[0:3], 0 offset:28
	;; [unrolled: 1-line block ×4, first 2 shown]
	v_mov_b32_e32 v72, 0
	ds_read_b128 v[74:77], v72 offset:512
	s_waitcnt vmcnt(2) lgkmcnt(0)
	v_mul_f64 v[80:81], v[76:77], v[70:71]
	v_mul_f64 v[70:71], v[74:75], v[70:71]
	s_waitcnt vmcnt(0)
	v_fma_f64 v[74:75], v[74:75], v[78:79], -v[80:81]
	v_fma_f64 v[70:71], v[76:77], v[78:79], v[70:71]
	v_add_f64 v[1:2], v[1:2], v[74:75]
	v_add_f64 v[3:4], v[3:4], v[70:71]
.LBB94_254:
	s_or_b32 exec_lo, exec_lo, s38
	v_mov_b32_e32 v70, 0
	ds_read_b128 v[74:77], v70 offset:32
	s_waitcnt lgkmcnt(0)
	v_mul_f64 v[70:71], v[3:4], v[76:77]
	v_mul_f64 v[76:77], v[1:2], v[76:77]
	v_fma_f64 v[1:2], v[1:2], v[74:75], -v[70:71]
	v_fma_f64 v[3:4], v[3:4], v[74:75], v[76:77]
	buffer_store_dword v2, off, s[0:3], 0 offset:36
	buffer_store_dword v1, off, s[0:3], 0 offset:32
	buffer_store_dword v4, off, s[0:3], 0 offset:44
	buffer_store_dword v3, off, s[0:3], 0 offset:40
.LBB94_255:
	s_or_b32 exec_lo, exec_lo, s8
	v_mov_b32_e32 v4, s35
	s_mov_b32 s8, exec_lo
	s_clause 0x3
	buffer_load_dword v1, v4, s[0:3], 0 offen
	buffer_load_dword v2, v4, s[0:3], 0 offen offset:4
	buffer_load_dword v3, v4, s[0:3], 0 offen offset:8
	buffer_load_dword v4, v4, s[0:3], 0 offen offset:12
	s_waitcnt vmcnt(0)
	ds_write_b128 v68, v[1:4]
	s_waitcnt lgkmcnt(0)
	s_waitcnt_vscnt null, 0x0
	s_barrier
	buffer_gl0_inv
	v_cmpx_gt_u32_e32 3, v0
	s_cbranch_execz .LBB94_263
; %bb.256:
	ds_read_b128 v[1:4], v68
	v_cmp_ne_u32_e32 vcc_lo, 1, v69
	s_cbranch_vccnz .LBB94_258
; %bb.257:
	s_clause 0x3
	buffer_load_dword v70, v67, s[0:3], 0 offen offset:8
	buffer_load_dword v71, v67, s[0:3], 0 offen offset:12
	buffer_load_dword v74, v67, s[0:3], 0 offen
	buffer_load_dword v75, v67, s[0:3], 0 offen offset:4
	s_waitcnt vmcnt(2) lgkmcnt(0)
	v_mul_f64 v[76:77], v[3:4], v[70:71]
	v_mul_f64 v[70:71], v[1:2], v[70:71]
	s_waitcnt vmcnt(0)
	v_fma_f64 v[1:2], v[1:2], v[74:75], -v[76:77]
	v_fma_f64 v[3:4], v[3:4], v[74:75], v[70:71]
.LBB94_258:
	s_mov_b32 s38, exec_lo
	v_cmpx_ne_u32_e32 2, v0
	s_cbranch_execz .LBB94_262
; %bb.259:
	s_clause 0x3
	buffer_load_dword v70, v67, s[0:3], 0 offen offset:24
	buffer_load_dword v71, v67, s[0:3], 0 offen offset:28
	;; [unrolled: 1-line block ×4, first 2 shown]
	ds_read_b128 v[74:77], v68 offset:16
	s_waitcnt vmcnt(2) lgkmcnt(0)
	v_mul_f64 v[80:81], v[76:77], v[70:71]
	v_mul_f64 v[70:71], v[74:75], v[70:71]
	s_waitcnt vmcnt(0)
	v_fma_f64 v[74:75], v[74:75], v[78:79], -v[80:81]
	v_fma_f64 v[70:71], v[76:77], v[78:79], v[70:71]
	v_add_f64 v[1:2], v[1:2], v[74:75]
	v_add_f64 v[3:4], v[3:4], v[70:71]
	s_and_saveexec_b32 s39, s4
	s_cbranch_execz .LBB94_261
; %bb.260:
	s_clause 0x3
	buffer_load_dword v70, off, s[0:3], 0 offset:40
	buffer_load_dword v71, off, s[0:3], 0 offset:44
	;; [unrolled: 1-line block ×4, first 2 shown]
	v_mov_b32_e32 v72, 0
	ds_read_b128 v[74:77], v72 offset:528
	s_waitcnt vmcnt(2) lgkmcnt(0)
	v_mul_f64 v[80:81], v[74:75], v[70:71]
	v_mul_f64 v[70:71], v[76:77], v[70:71]
	s_waitcnt vmcnt(0)
	v_fma_f64 v[76:77], v[76:77], v[78:79], v[80:81]
	v_fma_f64 v[70:71], v[74:75], v[78:79], -v[70:71]
	v_add_f64 v[3:4], v[3:4], v[76:77]
	v_add_f64 v[1:2], v[1:2], v[70:71]
.LBB94_261:
	s_or_b32 exec_lo, exec_lo, s39
.LBB94_262:
	s_or_b32 exec_lo, exec_lo, s38
	v_mov_b32_e32 v70, 0
	ds_read_b128 v[74:77], v70 offset:48
	s_waitcnt lgkmcnt(0)
	v_mul_f64 v[70:71], v[3:4], v[76:77]
	v_mul_f64 v[76:77], v[1:2], v[76:77]
	v_fma_f64 v[1:2], v[1:2], v[74:75], -v[70:71]
	v_fma_f64 v[3:4], v[3:4], v[74:75], v[76:77]
	buffer_store_dword v2, off, s[0:3], 0 offset:52
	buffer_store_dword v1, off, s[0:3], 0 offset:48
	;; [unrolled: 1-line block ×4, first 2 shown]
.LBB94_263:
	s_or_b32 exec_lo, exec_lo, s8
	v_mov_b32_e32 v4, s34
	s_mov_b32 s4, exec_lo
	s_clause 0x3
	buffer_load_dword v1, v4, s[0:3], 0 offen
	buffer_load_dword v2, v4, s[0:3], 0 offen offset:4
	buffer_load_dword v3, v4, s[0:3], 0 offen offset:8
	;; [unrolled: 1-line block ×3, first 2 shown]
	s_waitcnt vmcnt(0)
	ds_write_b128 v68, v[1:4]
	s_waitcnt lgkmcnt(0)
	s_waitcnt_vscnt null, 0x0
	s_barrier
	buffer_gl0_inv
	v_cmpx_gt_u32_e32 4, v0
	s_cbranch_execz .LBB94_271
; %bb.264:
	ds_read_b128 v[1:4], v68
	v_cmp_ne_u32_e32 vcc_lo, 1, v69
	s_cbranch_vccnz .LBB94_266
; %bb.265:
	s_clause 0x3
	buffer_load_dword v70, v67, s[0:3], 0 offen offset:8
	buffer_load_dword v71, v67, s[0:3], 0 offen offset:12
	buffer_load_dword v74, v67, s[0:3], 0 offen
	buffer_load_dword v75, v67, s[0:3], 0 offen offset:4
	s_waitcnt vmcnt(2) lgkmcnt(0)
	v_mul_f64 v[76:77], v[3:4], v[70:71]
	v_mul_f64 v[70:71], v[1:2], v[70:71]
	s_waitcnt vmcnt(0)
	v_fma_f64 v[1:2], v[1:2], v[74:75], -v[76:77]
	v_fma_f64 v[3:4], v[3:4], v[74:75], v[70:71]
.LBB94_266:
	s_mov_b32 s8, exec_lo
	v_cmpx_ne_u32_e32 3, v0
	s_cbranch_execz .LBB94_270
; %bb.267:
	v_add_nc_u32_e32 v70, 0x200, v73
	v_add3_u32 v71, 0, v73, 16
	v_mov_b32_e32 v72, v0
	s_mov_b32 s38, 0
	.p2align	6
.LBB94_268:                             ; =>This Inner Loop Header: Depth=1
	s_clause 0x3
	buffer_load_dword v78, v71, s[0:3], 0 offen offset:8
	buffer_load_dword v79, v71, s[0:3], 0 offen offset:12
	buffer_load_dword v80, v71, s[0:3], 0 offen
	buffer_load_dword v81, v71, s[0:3], 0 offen offset:4
	ds_read_b128 v[74:77], v70
	v_add_nc_u32_e32 v72, 1, v72
	v_add_nc_u32_e32 v70, 16, v70
	;; [unrolled: 1-line block ×3, first 2 shown]
	v_cmp_lt_u32_e32 vcc_lo, 2, v72
	s_or_b32 s38, vcc_lo, s38
	s_waitcnt vmcnt(2) lgkmcnt(0)
	v_mul_f64 v[82:83], v[76:77], v[78:79]
	v_mul_f64 v[78:79], v[74:75], v[78:79]
	s_waitcnt vmcnt(0)
	v_fma_f64 v[74:75], v[74:75], v[80:81], -v[82:83]
	v_fma_f64 v[76:77], v[76:77], v[80:81], v[78:79]
	v_add_f64 v[1:2], v[1:2], v[74:75]
	v_add_f64 v[3:4], v[3:4], v[76:77]
	s_andn2_b32 exec_lo, exec_lo, s38
	s_cbranch_execnz .LBB94_268
; %bb.269:
	s_or_b32 exec_lo, exec_lo, s38
.LBB94_270:
	s_or_b32 exec_lo, exec_lo, s8
	v_mov_b32_e32 v70, 0
	ds_read_b128 v[74:77], v70 offset:64
	s_waitcnt lgkmcnt(0)
	v_mul_f64 v[70:71], v[3:4], v[76:77]
	v_mul_f64 v[76:77], v[1:2], v[76:77]
	v_fma_f64 v[1:2], v[1:2], v[74:75], -v[70:71]
	v_fma_f64 v[3:4], v[3:4], v[74:75], v[76:77]
	buffer_store_dword v2, off, s[0:3], 0 offset:68
	buffer_store_dword v1, off, s[0:3], 0 offset:64
	;; [unrolled: 1-line block ×4, first 2 shown]
.LBB94_271:
	s_or_b32 exec_lo, exec_lo, s4
	v_mov_b32_e32 v4, s33
	s_mov_b32 s4, exec_lo
	s_clause 0x3
	buffer_load_dword v1, v4, s[0:3], 0 offen
	buffer_load_dword v2, v4, s[0:3], 0 offen offset:4
	buffer_load_dword v3, v4, s[0:3], 0 offen offset:8
	;; [unrolled: 1-line block ×3, first 2 shown]
	s_waitcnt vmcnt(0)
	ds_write_b128 v68, v[1:4]
	s_waitcnt lgkmcnt(0)
	s_waitcnt_vscnt null, 0x0
	s_barrier
	buffer_gl0_inv
	v_cmpx_gt_u32_e32 5, v0
	s_cbranch_execz .LBB94_279
; %bb.272:
	ds_read_b128 v[1:4], v68
	v_cmp_ne_u32_e32 vcc_lo, 1, v69
	s_cbranch_vccnz .LBB94_274
; %bb.273:
	s_clause 0x3
	buffer_load_dword v70, v67, s[0:3], 0 offen offset:8
	buffer_load_dword v71, v67, s[0:3], 0 offen offset:12
	buffer_load_dword v74, v67, s[0:3], 0 offen
	buffer_load_dword v75, v67, s[0:3], 0 offen offset:4
	s_waitcnt vmcnt(2) lgkmcnt(0)
	v_mul_f64 v[76:77], v[3:4], v[70:71]
	v_mul_f64 v[70:71], v[1:2], v[70:71]
	s_waitcnt vmcnt(0)
	v_fma_f64 v[1:2], v[1:2], v[74:75], -v[76:77]
	v_fma_f64 v[3:4], v[3:4], v[74:75], v[70:71]
.LBB94_274:
	s_mov_b32 s8, exec_lo
	v_cmpx_ne_u32_e32 4, v0
	s_cbranch_execz .LBB94_278
; %bb.275:
	v_add_nc_u32_e32 v70, 0x200, v73
	v_add3_u32 v71, 0, v73, 16
	v_mov_b32_e32 v72, v0
	s_mov_b32 s38, 0
	.p2align	6
.LBB94_276:                             ; =>This Inner Loop Header: Depth=1
	s_clause 0x3
	buffer_load_dword v78, v71, s[0:3], 0 offen offset:8
	buffer_load_dword v79, v71, s[0:3], 0 offen offset:12
	buffer_load_dword v80, v71, s[0:3], 0 offen
	buffer_load_dword v81, v71, s[0:3], 0 offen offset:4
	ds_read_b128 v[74:77], v70
	v_add_nc_u32_e32 v72, 1, v72
	v_add_nc_u32_e32 v70, 16, v70
	v_add_nc_u32_e32 v71, 16, v71
	v_cmp_lt_u32_e32 vcc_lo, 3, v72
	s_or_b32 s38, vcc_lo, s38
	s_waitcnt vmcnt(2) lgkmcnt(0)
	v_mul_f64 v[82:83], v[76:77], v[78:79]
	v_mul_f64 v[78:79], v[74:75], v[78:79]
	s_waitcnt vmcnt(0)
	v_fma_f64 v[74:75], v[74:75], v[80:81], -v[82:83]
	v_fma_f64 v[76:77], v[76:77], v[80:81], v[78:79]
	v_add_f64 v[1:2], v[1:2], v[74:75]
	v_add_f64 v[3:4], v[3:4], v[76:77]
	s_andn2_b32 exec_lo, exec_lo, s38
	s_cbranch_execnz .LBB94_276
; %bb.277:
	s_or_b32 exec_lo, exec_lo, s38
.LBB94_278:
	s_or_b32 exec_lo, exec_lo, s8
	v_mov_b32_e32 v70, 0
	ds_read_b128 v[74:77], v70 offset:80
	s_waitcnt lgkmcnt(0)
	v_mul_f64 v[70:71], v[3:4], v[76:77]
	v_mul_f64 v[76:77], v[1:2], v[76:77]
	v_fma_f64 v[1:2], v[1:2], v[74:75], -v[70:71]
	v_fma_f64 v[3:4], v[3:4], v[74:75], v[76:77]
	buffer_store_dword v2, off, s[0:3], 0 offset:84
	buffer_store_dword v1, off, s[0:3], 0 offset:80
	;; [unrolled: 1-line block ×4, first 2 shown]
.LBB94_279:
	s_or_b32 exec_lo, exec_lo, s4
	v_mov_b32_e32 v4, s31
	s_mov_b32 s4, exec_lo
	s_clause 0x3
	buffer_load_dword v1, v4, s[0:3], 0 offen
	buffer_load_dword v2, v4, s[0:3], 0 offen offset:4
	buffer_load_dword v3, v4, s[0:3], 0 offen offset:8
	;; [unrolled: 1-line block ×3, first 2 shown]
	s_waitcnt vmcnt(0)
	ds_write_b128 v68, v[1:4]
	s_waitcnt lgkmcnt(0)
	s_waitcnt_vscnt null, 0x0
	s_barrier
	buffer_gl0_inv
	v_cmpx_gt_u32_e32 6, v0
	s_cbranch_execz .LBB94_287
; %bb.280:
	ds_read_b128 v[1:4], v68
	v_cmp_ne_u32_e32 vcc_lo, 1, v69
	s_cbranch_vccnz .LBB94_282
; %bb.281:
	s_clause 0x3
	buffer_load_dword v70, v67, s[0:3], 0 offen offset:8
	buffer_load_dword v71, v67, s[0:3], 0 offen offset:12
	buffer_load_dword v74, v67, s[0:3], 0 offen
	buffer_load_dword v75, v67, s[0:3], 0 offen offset:4
	s_waitcnt vmcnt(2) lgkmcnt(0)
	v_mul_f64 v[76:77], v[3:4], v[70:71]
	v_mul_f64 v[70:71], v[1:2], v[70:71]
	s_waitcnt vmcnt(0)
	v_fma_f64 v[1:2], v[1:2], v[74:75], -v[76:77]
	v_fma_f64 v[3:4], v[3:4], v[74:75], v[70:71]
.LBB94_282:
	s_mov_b32 s8, exec_lo
	v_cmpx_ne_u32_e32 5, v0
	s_cbranch_execz .LBB94_286
; %bb.283:
	v_add_nc_u32_e32 v70, 0x200, v73
	v_add3_u32 v71, 0, v73, 16
	v_mov_b32_e32 v72, v0
	s_mov_b32 s38, 0
	.p2align	6
.LBB94_284:                             ; =>This Inner Loop Header: Depth=1
	s_clause 0x3
	buffer_load_dword v78, v71, s[0:3], 0 offen offset:8
	buffer_load_dword v79, v71, s[0:3], 0 offen offset:12
	buffer_load_dword v80, v71, s[0:3], 0 offen
	buffer_load_dword v81, v71, s[0:3], 0 offen offset:4
	ds_read_b128 v[74:77], v70
	v_add_nc_u32_e32 v72, 1, v72
	v_add_nc_u32_e32 v70, 16, v70
	;; [unrolled: 1-line block ×3, first 2 shown]
	v_cmp_lt_u32_e32 vcc_lo, 4, v72
	s_or_b32 s38, vcc_lo, s38
	s_waitcnt vmcnt(2) lgkmcnt(0)
	v_mul_f64 v[82:83], v[76:77], v[78:79]
	v_mul_f64 v[78:79], v[74:75], v[78:79]
	s_waitcnt vmcnt(0)
	v_fma_f64 v[74:75], v[74:75], v[80:81], -v[82:83]
	v_fma_f64 v[76:77], v[76:77], v[80:81], v[78:79]
	v_add_f64 v[1:2], v[1:2], v[74:75]
	v_add_f64 v[3:4], v[3:4], v[76:77]
	s_andn2_b32 exec_lo, exec_lo, s38
	s_cbranch_execnz .LBB94_284
; %bb.285:
	s_or_b32 exec_lo, exec_lo, s38
.LBB94_286:
	s_or_b32 exec_lo, exec_lo, s8
	v_mov_b32_e32 v70, 0
	ds_read_b128 v[74:77], v70 offset:96
	s_waitcnt lgkmcnt(0)
	v_mul_f64 v[70:71], v[3:4], v[76:77]
	v_mul_f64 v[76:77], v[1:2], v[76:77]
	v_fma_f64 v[1:2], v[1:2], v[74:75], -v[70:71]
	v_fma_f64 v[3:4], v[3:4], v[74:75], v[76:77]
	buffer_store_dword v2, off, s[0:3], 0 offset:100
	buffer_store_dword v1, off, s[0:3], 0 offset:96
	;; [unrolled: 1-line block ×4, first 2 shown]
.LBB94_287:
	s_or_b32 exec_lo, exec_lo, s4
	v_mov_b32_e32 v4, s30
	s_mov_b32 s4, exec_lo
	s_clause 0x3
	buffer_load_dword v1, v4, s[0:3], 0 offen
	buffer_load_dword v2, v4, s[0:3], 0 offen offset:4
	buffer_load_dword v3, v4, s[0:3], 0 offen offset:8
	;; [unrolled: 1-line block ×3, first 2 shown]
	s_waitcnt vmcnt(0)
	ds_write_b128 v68, v[1:4]
	s_waitcnt lgkmcnt(0)
	s_waitcnt_vscnt null, 0x0
	s_barrier
	buffer_gl0_inv
	v_cmpx_gt_u32_e32 7, v0
	s_cbranch_execz .LBB94_295
; %bb.288:
	ds_read_b128 v[1:4], v68
	v_cmp_ne_u32_e32 vcc_lo, 1, v69
	s_cbranch_vccnz .LBB94_290
; %bb.289:
	s_clause 0x3
	buffer_load_dword v70, v67, s[0:3], 0 offen offset:8
	buffer_load_dword v71, v67, s[0:3], 0 offen offset:12
	buffer_load_dword v74, v67, s[0:3], 0 offen
	buffer_load_dword v75, v67, s[0:3], 0 offen offset:4
	s_waitcnt vmcnt(2) lgkmcnt(0)
	v_mul_f64 v[76:77], v[3:4], v[70:71]
	v_mul_f64 v[70:71], v[1:2], v[70:71]
	s_waitcnt vmcnt(0)
	v_fma_f64 v[1:2], v[1:2], v[74:75], -v[76:77]
	v_fma_f64 v[3:4], v[3:4], v[74:75], v[70:71]
.LBB94_290:
	s_mov_b32 s8, exec_lo
	v_cmpx_ne_u32_e32 6, v0
	s_cbranch_execz .LBB94_294
; %bb.291:
	v_add_nc_u32_e32 v70, 0x200, v73
	v_add3_u32 v71, 0, v73, 16
	v_mov_b32_e32 v72, v0
	s_mov_b32 s38, 0
	.p2align	6
.LBB94_292:                             ; =>This Inner Loop Header: Depth=1
	s_clause 0x3
	buffer_load_dword v78, v71, s[0:3], 0 offen offset:8
	buffer_load_dword v79, v71, s[0:3], 0 offen offset:12
	buffer_load_dword v80, v71, s[0:3], 0 offen
	buffer_load_dword v81, v71, s[0:3], 0 offen offset:4
	ds_read_b128 v[74:77], v70
	v_add_nc_u32_e32 v72, 1, v72
	v_add_nc_u32_e32 v70, 16, v70
	;; [unrolled: 1-line block ×3, first 2 shown]
	v_cmp_lt_u32_e32 vcc_lo, 5, v72
	s_or_b32 s38, vcc_lo, s38
	s_waitcnt vmcnt(2) lgkmcnt(0)
	v_mul_f64 v[82:83], v[76:77], v[78:79]
	v_mul_f64 v[78:79], v[74:75], v[78:79]
	s_waitcnt vmcnt(0)
	v_fma_f64 v[74:75], v[74:75], v[80:81], -v[82:83]
	v_fma_f64 v[76:77], v[76:77], v[80:81], v[78:79]
	v_add_f64 v[1:2], v[1:2], v[74:75]
	v_add_f64 v[3:4], v[3:4], v[76:77]
	s_andn2_b32 exec_lo, exec_lo, s38
	s_cbranch_execnz .LBB94_292
; %bb.293:
	s_or_b32 exec_lo, exec_lo, s38
.LBB94_294:
	s_or_b32 exec_lo, exec_lo, s8
	v_mov_b32_e32 v70, 0
	ds_read_b128 v[74:77], v70 offset:112
	s_waitcnt lgkmcnt(0)
	v_mul_f64 v[70:71], v[3:4], v[76:77]
	v_mul_f64 v[76:77], v[1:2], v[76:77]
	v_fma_f64 v[1:2], v[1:2], v[74:75], -v[70:71]
	v_fma_f64 v[3:4], v[3:4], v[74:75], v[76:77]
	buffer_store_dword v2, off, s[0:3], 0 offset:116
	buffer_store_dword v1, off, s[0:3], 0 offset:112
	;; [unrolled: 1-line block ×4, first 2 shown]
.LBB94_295:
	s_or_b32 exec_lo, exec_lo, s4
	v_mov_b32_e32 v4, s29
	s_mov_b32 s4, exec_lo
	s_clause 0x3
	buffer_load_dword v1, v4, s[0:3], 0 offen
	buffer_load_dword v2, v4, s[0:3], 0 offen offset:4
	buffer_load_dword v3, v4, s[0:3], 0 offen offset:8
	;; [unrolled: 1-line block ×3, first 2 shown]
	s_waitcnt vmcnt(0)
	ds_write_b128 v68, v[1:4]
	s_waitcnt lgkmcnt(0)
	s_waitcnt_vscnt null, 0x0
	s_barrier
	buffer_gl0_inv
	v_cmpx_gt_u32_e32 8, v0
	s_cbranch_execz .LBB94_303
; %bb.296:
	ds_read_b128 v[1:4], v68
	v_cmp_ne_u32_e32 vcc_lo, 1, v69
	s_cbranch_vccnz .LBB94_298
; %bb.297:
	s_clause 0x3
	buffer_load_dword v70, v67, s[0:3], 0 offen offset:8
	buffer_load_dword v71, v67, s[0:3], 0 offen offset:12
	buffer_load_dword v74, v67, s[0:3], 0 offen
	buffer_load_dword v75, v67, s[0:3], 0 offen offset:4
	s_waitcnt vmcnt(2) lgkmcnt(0)
	v_mul_f64 v[76:77], v[3:4], v[70:71]
	v_mul_f64 v[70:71], v[1:2], v[70:71]
	s_waitcnt vmcnt(0)
	v_fma_f64 v[1:2], v[1:2], v[74:75], -v[76:77]
	v_fma_f64 v[3:4], v[3:4], v[74:75], v[70:71]
.LBB94_298:
	s_mov_b32 s8, exec_lo
	v_cmpx_ne_u32_e32 7, v0
	s_cbranch_execz .LBB94_302
; %bb.299:
	v_add_nc_u32_e32 v70, 0x200, v73
	v_add3_u32 v71, 0, v73, 16
	v_mov_b32_e32 v72, v0
	s_mov_b32 s38, 0
	.p2align	6
.LBB94_300:                             ; =>This Inner Loop Header: Depth=1
	s_clause 0x3
	buffer_load_dword v78, v71, s[0:3], 0 offen offset:8
	buffer_load_dword v79, v71, s[0:3], 0 offen offset:12
	buffer_load_dword v80, v71, s[0:3], 0 offen
	buffer_load_dword v81, v71, s[0:3], 0 offen offset:4
	ds_read_b128 v[74:77], v70
	v_add_nc_u32_e32 v72, 1, v72
	v_add_nc_u32_e32 v70, 16, v70
	;; [unrolled: 1-line block ×3, first 2 shown]
	v_cmp_lt_u32_e32 vcc_lo, 6, v72
	s_or_b32 s38, vcc_lo, s38
	s_waitcnt vmcnt(2) lgkmcnt(0)
	v_mul_f64 v[82:83], v[76:77], v[78:79]
	v_mul_f64 v[78:79], v[74:75], v[78:79]
	s_waitcnt vmcnt(0)
	v_fma_f64 v[74:75], v[74:75], v[80:81], -v[82:83]
	v_fma_f64 v[76:77], v[76:77], v[80:81], v[78:79]
	v_add_f64 v[1:2], v[1:2], v[74:75]
	v_add_f64 v[3:4], v[3:4], v[76:77]
	s_andn2_b32 exec_lo, exec_lo, s38
	s_cbranch_execnz .LBB94_300
; %bb.301:
	s_or_b32 exec_lo, exec_lo, s38
.LBB94_302:
	s_or_b32 exec_lo, exec_lo, s8
	v_mov_b32_e32 v70, 0
	ds_read_b128 v[74:77], v70 offset:128
	s_waitcnt lgkmcnt(0)
	v_mul_f64 v[70:71], v[3:4], v[76:77]
	v_mul_f64 v[76:77], v[1:2], v[76:77]
	v_fma_f64 v[1:2], v[1:2], v[74:75], -v[70:71]
	v_fma_f64 v[3:4], v[3:4], v[74:75], v[76:77]
	buffer_store_dword v2, off, s[0:3], 0 offset:132
	buffer_store_dword v1, off, s[0:3], 0 offset:128
	;; [unrolled: 1-line block ×4, first 2 shown]
.LBB94_303:
	s_or_b32 exec_lo, exec_lo, s4
	v_mov_b32_e32 v4, s28
	s_mov_b32 s4, exec_lo
	s_clause 0x3
	buffer_load_dword v1, v4, s[0:3], 0 offen
	buffer_load_dword v2, v4, s[0:3], 0 offen offset:4
	buffer_load_dword v3, v4, s[0:3], 0 offen offset:8
	;; [unrolled: 1-line block ×3, first 2 shown]
	s_waitcnt vmcnt(0)
	ds_write_b128 v68, v[1:4]
	s_waitcnt lgkmcnt(0)
	s_waitcnt_vscnt null, 0x0
	s_barrier
	buffer_gl0_inv
	v_cmpx_gt_u32_e32 9, v0
	s_cbranch_execz .LBB94_311
; %bb.304:
	ds_read_b128 v[1:4], v68
	v_cmp_ne_u32_e32 vcc_lo, 1, v69
	s_cbranch_vccnz .LBB94_306
; %bb.305:
	s_clause 0x3
	buffer_load_dword v70, v67, s[0:3], 0 offen offset:8
	buffer_load_dword v71, v67, s[0:3], 0 offen offset:12
	buffer_load_dword v74, v67, s[0:3], 0 offen
	buffer_load_dword v75, v67, s[0:3], 0 offen offset:4
	s_waitcnt vmcnt(2) lgkmcnt(0)
	v_mul_f64 v[76:77], v[3:4], v[70:71]
	v_mul_f64 v[70:71], v[1:2], v[70:71]
	s_waitcnt vmcnt(0)
	v_fma_f64 v[1:2], v[1:2], v[74:75], -v[76:77]
	v_fma_f64 v[3:4], v[3:4], v[74:75], v[70:71]
.LBB94_306:
	s_mov_b32 s8, exec_lo
	v_cmpx_ne_u32_e32 8, v0
	s_cbranch_execz .LBB94_310
; %bb.307:
	v_add_nc_u32_e32 v70, 0x200, v73
	v_add3_u32 v71, 0, v73, 16
	v_mov_b32_e32 v72, v0
	s_mov_b32 s38, 0
	.p2align	6
.LBB94_308:                             ; =>This Inner Loop Header: Depth=1
	s_clause 0x3
	buffer_load_dword v78, v71, s[0:3], 0 offen offset:8
	buffer_load_dword v79, v71, s[0:3], 0 offen offset:12
	buffer_load_dword v80, v71, s[0:3], 0 offen
	buffer_load_dword v81, v71, s[0:3], 0 offen offset:4
	ds_read_b128 v[74:77], v70
	v_add_nc_u32_e32 v72, 1, v72
	v_add_nc_u32_e32 v70, 16, v70
	;; [unrolled: 1-line block ×3, first 2 shown]
	v_cmp_lt_u32_e32 vcc_lo, 7, v72
	s_or_b32 s38, vcc_lo, s38
	s_waitcnt vmcnt(2) lgkmcnt(0)
	v_mul_f64 v[82:83], v[76:77], v[78:79]
	v_mul_f64 v[78:79], v[74:75], v[78:79]
	s_waitcnt vmcnt(0)
	v_fma_f64 v[74:75], v[74:75], v[80:81], -v[82:83]
	v_fma_f64 v[76:77], v[76:77], v[80:81], v[78:79]
	v_add_f64 v[1:2], v[1:2], v[74:75]
	v_add_f64 v[3:4], v[3:4], v[76:77]
	s_andn2_b32 exec_lo, exec_lo, s38
	s_cbranch_execnz .LBB94_308
; %bb.309:
	s_or_b32 exec_lo, exec_lo, s38
.LBB94_310:
	s_or_b32 exec_lo, exec_lo, s8
	v_mov_b32_e32 v70, 0
	ds_read_b128 v[74:77], v70 offset:144
	s_waitcnt lgkmcnt(0)
	v_mul_f64 v[70:71], v[3:4], v[76:77]
	v_mul_f64 v[76:77], v[1:2], v[76:77]
	v_fma_f64 v[1:2], v[1:2], v[74:75], -v[70:71]
	v_fma_f64 v[3:4], v[3:4], v[74:75], v[76:77]
	buffer_store_dword v2, off, s[0:3], 0 offset:148
	buffer_store_dword v1, off, s[0:3], 0 offset:144
	;; [unrolled: 1-line block ×4, first 2 shown]
.LBB94_311:
	s_or_b32 exec_lo, exec_lo, s4
	v_mov_b32_e32 v4, s27
	s_mov_b32 s4, exec_lo
	s_clause 0x3
	buffer_load_dword v1, v4, s[0:3], 0 offen
	buffer_load_dword v2, v4, s[0:3], 0 offen offset:4
	buffer_load_dword v3, v4, s[0:3], 0 offen offset:8
	;; [unrolled: 1-line block ×3, first 2 shown]
	s_waitcnt vmcnt(0)
	ds_write_b128 v68, v[1:4]
	s_waitcnt lgkmcnt(0)
	s_waitcnt_vscnt null, 0x0
	s_barrier
	buffer_gl0_inv
	v_cmpx_gt_u32_e32 10, v0
	s_cbranch_execz .LBB94_319
; %bb.312:
	ds_read_b128 v[1:4], v68
	v_cmp_ne_u32_e32 vcc_lo, 1, v69
	s_cbranch_vccnz .LBB94_314
; %bb.313:
	s_clause 0x3
	buffer_load_dword v70, v67, s[0:3], 0 offen offset:8
	buffer_load_dword v71, v67, s[0:3], 0 offen offset:12
	buffer_load_dword v74, v67, s[0:3], 0 offen
	buffer_load_dword v75, v67, s[0:3], 0 offen offset:4
	s_waitcnt vmcnt(2) lgkmcnt(0)
	v_mul_f64 v[76:77], v[3:4], v[70:71]
	v_mul_f64 v[70:71], v[1:2], v[70:71]
	s_waitcnt vmcnt(0)
	v_fma_f64 v[1:2], v[1:2], v[74:75], -v[76:77]
	v_fma_f64 v[3:4], v[3:4], v[74:75], v[70:71]
.LBB94_314:
	s_mov_b32 s8, exec_lo
	v_cmpx_ne_u32_e32 9, v0
	s_cbranch_execz .LBB94_318
; %bb.315:
	v_add_nc_u32_e32 v70, 0x200, v73
	v_add3_u32 v71, 0, v73, 16
	v_mov_b32_e32 v72, v0
	s_mov_b32 s38, 0
	.p2align	6
.LBB94_316:                             ; =>This Inner Loop Header: Depth=1
	s_clause 0x3
	buffer_load_dword v78, v71, s[0:3], 0 offen offset:8
	buffer_load_dword v79, v71, s[0:3], 0 offen offset:12
	buffer_load_dword v80, v71, s[0:3], 0 offen
	buffer_load_dword v81, v71, s[0:3], 0 offen offset:4
	ds_read_b128 v[74:77], v70
	v_add_nc_u32_e32 v72, 1, v72
	v_add_nc_u32_e32 v70, 16, v70
	;; [unrolled: 1-line block ×3, first 2 shown]
	v_cmp_lt_u32_e32 vcc_lo, 8, v72
	s_or_b32 s38, vcc_lo, s38
	s_waitcnt vmcnt(2) lgkmcnt(0)
	v_mul_f64 v[82:83], v[76:77], v[78:79]
	v_mul_f64 v[78:79], v[74:75], v[78:79]
	s_waitcnt vmcnt(0)
	v_fma_f64 v[74:75], v[74:75], v[80:81], -v[82:83]
	v_fma_f64 v[76:77], v[76:77], v[80:81], v[78:79]
	v_add_f64 v[1:2], v[1:2], v[74:75]
	v_add_f64 v[3:4], v[3:4], v[76:77]
	s_andn2_b32 exec_lo, exec_lo, s38
	s_cbranch_execnz .LBB94_316
; %bb.317:
	s_or_b32 exec_lo, exec_lo, s38
.LBB94_318:
	s_or_b32 exec_lo, exec_lo, s8
	v_mov_b32_e32 v70, 0
	ds_read_b128 v[74:77], v70 offset:160
	s_waitcnt lgkmcnt(0)
	v_mul_f64 v[70:71], v[3:4], v[76:77]
	v_mul_f64 v[76:77], v[1:2], v[76:77]
	v_fma_f64 v[1:2], v[1:2], v[74:75], -v[70:71]
	v_fma_f64 v[3:4], v[3:4], v[74:75], v[76:77]
	buffer_store_dword v2, off, s[0:3], 0 offset:164
	buffer_store_dword v1, off, s[0:3], 0 offset:160
	;; [unrolled: 1-line block ×4, first 2 shown]
.LBB94_319:
	s_or_b32 exec_lo, exec_lo, s4
	v_mov_b32_e32 v4, s26
	s_mov_b32 s4, exec_lo
	s_clause 0x3
	buffer_load_dword v1, v4, s[0:3], 0 offen
	buffer_load_dword v2, v4, s[0:3], 0 offen offset:4
	buffer_load_dword v3, v4, s[0:3], 0 offen offset:8
	;; [unrolled: 1-line block ×3, first 2 shown]
	s_waitcnt vmcnt(0)
	ds_write_b128 v68, v[1:4]
	s_waitcnt lgkmcnt(0)
	s_waitcnt_vscnt null, 0x0
	s_barrier
	buffer_gl0_inv
	v_cmpx_gt_u32_e32 11, v0
	s_cbranch_execz .LBB94_327
; %bb.320:
	ds_read_b128 v[1:4], v68
	v_cmp_ne_u32_e32 vcc_lo, 1, v69
	s_cbranch_vccnz .LBB94_322
; %bb.321:
	s_clause 0x3
	buffer_load_dword v70, v67, s[0:3], 0 offen offset:8
	buffer_load_dword v71, v67, s[0:3], 0 offen offset:12
	buffer_load_dword v74, v67, s[0:3], 0 offen
	buffer_load_dword v75, v67, s[0:3], 0 offen offset:4
	s_waitcnt vmcnt(2) lgkmcnt(0)
	v_mul_f64 v[76:77], v[3:4], v[70:71]
	v_mul_f64 v[70:71], v[1:2], v[70:71]
	s_waitcnt vmcnt(0)
	v_fma_f64 v[1:2], v[1:2], v[74:75], -v[76:77]
	v_fma_f64 v[3:4], v[3:4], v[74:75], v[70:71]
.LBB94_322:
	s_mov_b32 s8, exec_lo
	v_cmpx_ne_u32_e32 10, v0
	s_cbranch_execz .LBB94_326
; %bb.323:
	v_add_nc_u32_e32 v70, 0x200, v73
	v_add3_u32 v71, 0, v73, 16
	v_mov_b32_e32 v72, v0
	s_mov_b32 s38, 0
	.p2align	6
.LBB94_324:                             ; =>This Inner Loop Header: Depth=1
	s_clause 0x3
	buffer_load_dword v78, v71, s[0:3], 0 offen offset:8
	buffer_load_dword v79, v71, s[0:3], 0 offen offset:12
	buffer_load_dword v80, v71, s[0:3], 0 offen
	buffer_load_dword v81, v71, s[0:3], 0 offen offset:4
	ds_read_b128 v[74:77], v70
	v_add_nc_u32_e32 v72, 1, v72
	v_add_nc_u32_e32 v70, 16, v70
	;; [unrolled: 1-line block ×3, first 2 shown]
	v_cmp_lt_u32_e32 vcc_lo, 9, v72
	s_or_b32 s38, vcc_lo, s38
	s_waitcnt vmcnt(2) lgkmcnt(0)
	v_mul_f64 v[82:83], v[76:77], v[78:79]
	v_mul_f64 v[78:79], v[74:75], v[78:79]
	s_waitcnt vmcnt(0)
	v_fma_f64 v[74:75], v[74:75], v[80:81], -v[82:83]
	v_fma_f64 v[76:77], v[76:77], v[80:81], v[78:79]
	v_add_f64 v[1:2], v[1:2], v[74:75]
	v_add_f64 v[3:4], v[3:4], v[76:77]
	s_andn2_b32 exec_lo, exec_lo, s38
	s_cbranch_execnz .LBB94_324
; %bb.325:
	s_or_b32 exec_lo, exec_lo, s38
.LBB94_326:
	s_or_b32 exec_lo, exec_lo, s8
	v_mov_b32_e32 v70, 0
	ds_read_b128 v[74:77], v70 offset:176
	s_waitcnt lgkmcnt(0)
	v_mul_f64 v[70:71], v[3:4], v[76:77]
	v_mul_f64 v[76:77], v[1:2], v[76:77]
	v_fma_f64 v[1:2], v[1:2], v[74:75], -v[70:71]
	v_fma_f64 v[3:4], v[3:4], v[74:75], v[76:77]
	buffer_store_dword v2, off, s[0:3], 0 offset:180
	buffer_store_dword v1, off, s[0:3], 0 offset:176
	buffer_store_dword v4, off, s[0:3], 0 offset:188
	buffer_store_dword v3, off, s[0:3], 0 offset:184
.LBB94_327:
	s_or_b32 exec_lo, exec_lo, s4
	v_mov_b32_e32 v4, s25
	s_mov_b32 s4, exec_lo
	s_clause 0x3
	buffer_load_dword v1, v4, s[0:3], 0 offen
	buffer_load_dword v2, v4, s[0:3], 0 offen offset:4
	buffer_load_dword v3, v4, s[0:3], 0 offen offset:8
	;; [unrolled: 1-line block ×3, first 2 shown]
	s_waitcnt vmcnt(0)
	ds_write_b128 v68, v[1:4]
	s_waitcnt lgkmcnt(0)
	s_waitcnt_vscnt null, 0x0
	s_barrier
	buffer_gl0_inv
	v_cmpx_gt_u32_e32 12, v0
	s_cbranch_execz .LBB94_335
; %bb.328:
	ds_read_b128 v[1:4], v68
	v_cmp_ne_u32_e32 vcc_lo, 1, v69
	s_cbranch_vccnz .LBB94_330
; %bb.329:
	s_clause 0x3
	buffer_load_dword v70, v67, s[0:3], 0 offen offset:8
	buffer_load_dword v71, v67, s[0:3], 0 offen offset:12
	buffer_load_dword v74, v67, s[0:3], 0 offen
	buffer_load_dword v75, v67, s[0:3], 0 offen offset:4
	s_waitcnt vmcnt(2) lgkmcnt(0)
	v_mul_f64 v[76:77], v[3:4], v[70:71]
	v_mul_f64 v[70:71], v[1:2], v[70:71]
	s_waitcnt vmcnt(0)
	v_fma_f64 v[1:2], v[1:2], v[74:75], -v[76:77]
	v_fma_f64 v[3:4], v[3:4], v[74:75], v[70:71]
.LBB94_330:
	s_mov_b32 s8, exec_lo
	v_cmpx_ne_u32_e32 11, v0
	s_cbranch_execz .LBB94_334
; %bb.331:
	v_add_nc_u32_e32 v70, 0x200, v73
	v_add3_u32 v71, 0, v73, 16
	v_mov_b32_e32 v72, v0
	s_mov_b32 s38, 0
	.p2align	6
.LBB94_332:                             ; =>This Inner Loop Header: Depth=1
	s_clause 0x3
	buffer_load_dword v78, v71, s[0:3], 0 offen offset:8
	buffer_load_dword v79, v71, s[0:3], 0 offen offset:12
	buffer_load_dword v80, v71, s[0:3], 0 offen
	buffer_load_dword v81, v71, s[0:3], 0 offen offset:4
	ds_read_b128 v[74:77], v70
	v_add_nc_u32_e32 v72, 1, v72
	v_add_nc_u32_e32 v70, 16, v70
	;; [unrolled: 1-line block ×3, first 2 shown]
	v_cmp_lt_u32_e32 vcc_lo, 10, v72
	s_or_b32 s38, vcc_lo, s38
	s_waitcnt vmcnt(2) lgkmcnt(0)
	v_mul_f64 v[82:83], v[76:77], v[78:79]
	v_mul_f64 v[78:79], v[74:75], v[78:79]
	s_waitcnt vmcnt(0)
	v_fma_f64 v[74:75], v[74:75], v[80:81], -v[82:83]
	v_fma_f64 v[76:77], v[76:77], v[80:81], v[78:79]
	v_add_f64 v[1:2], v[1:2], v[74:75]
	v_add_f64 v[3:4], v[3:4], v[76:77]
	s_andn2_b32 exec_lo, exec_lo, s38
	s_cbranch_execnz .LBB94_332
; %bb.333:
	s_or_b32 exec_lo, exec_lo, s38
.LBB94_334:
	s_or_b32 exec_lo, exec_lo, s8
	v_mov_b32_e32 v70, 0
	ds_read_b128 v[74:77], v70 offset:192
	s_waitcnt lgkmcnt(0)
	v_mul_f64 v[70:71], v[3:4], v[76:77]
	v_mul_f64 v[76:77], v[1:2], v[76:77]
	v_fma_f64 v[1:2], v[1:2], v[74:75], -v[70:71]
	v_fma_f64 v[3:4], v[3:4], v[74:75], v[76:77]
	buffer_store_dword v2, off, s[0:3], 0 offset:196
	buffer_store_dword v1, off, s[0:3], 0 offset:192
	;; [unrolled: 1-line block ×4, first 2 shown]
.LBB94_335:
	s_or_b32 exec_lo, exec_lo, s4
	v_mov_b32_e32 v4, s24
	s_mov_b32 s4, exec_lo
	s_clause 0x3
	buffer_load_dword v1, v4, s[0:3], 0 offen
	buffer_load_dword v2, v4, s[0:3], 0 offen offset:4
	buffer_load_dword v3, v4, s[0:3], 0 offen offset:8
	;; [unrolled: 1-line block ×3, first 2 shown]
	s_waitcnt vmcnt(0)
	ds_write_b128 v68, v[1:4]
	s_waitcnt lgkmcnt(0)
	s_waitcnt_vscnt null, 0x0
	s_barrier
	buffer_gl0_inv
	v_cmpx_gt_u32_e32 13, v0
	s_cbranch_execz .LBB94_343
; %bb.336:
	ds_read_b128 v[1:4], v68
	v_cmp_ne_u32_e32 vcc_lo, 1, v69
	s_cbranch_vccnz .LBB94_338
; %bb.337:
	s_clause 0x3
	buffer_load_dword v70, v67, s[0:3], 0 offen offset:8
	buffer_load_dword v71, v67, s[0:3], 0 offen offset:12
	buffer_load_dword v74, v67, s[0:3], 0 offen
	buffer_load_dword v75, v67, s[0:3], 0 offen offset:4
	s_waitcnt vmcnt(2) lgkmcnt(0)
	v_mul_f64 v[76:77], v[3:4], v[70:71]
	v_mul_f64 v[70:71], v[1:2], v[70:71]
	s_waitcnt vmcnt(0)
	v_fma_f64 v[1:2], v[1:2], v[74:75], -v[76:77]
	v_fma_f64 v[3:4], v[3:4], v[74:75], v[70:71]
.LBB94_338:
	s_mov_b32 s8, exec_lo
	v_cmpx_ne_u32_e32 12, v0
	s_cbranch_execz .LBB94_342
; %bb.339:
	v_add_nc_u32_e32 v70, 0x200, v73
	v_add3_u32 v71, 0, v73, 16
	v_mov_b32_e32 v72, v0
	s_mov_b32 s38, 0
	.p2align	6
.LBB94_340:                             ; =>This Inner Loop Header: Depth=1
	s_clause 0x3
	buffer_load_dword v78, v71, s[0:3], 0 offen offset:8
	buffer_load_dword v79, v71, s[0:3], 0 offen offset:12
	buffer_load_dword v80, v71, s[0:3], 0 offen
	buffer_load_dword v81, v71, s[0:3], 0 offen offset:4
	ds_read_b128 v[74:77], v70
	v_add_nc_u32_e32 v72, 1, v72
	v_add_nc_u32_e32 v70, 16, v70
	;; [unrolled: 1-line block ×3, first 2 shown]
	v_cmp_lt_u32_e32 vcc_lo, 11, v72
	s_or_b32 s38, vcc_lo, s38
	s_waitcnt vmcnt(2) lgkmcnt(0)
	v_mul_f64 v[82:83], v[76:77], v[78:79]
	v_mul_f64 v[78:79], v[74:75], v[78:79]
	s_waitcnt vmcnt(0)
	v_fma_f64 v[74:75], v[74:75], v[80:81], -v[82:83]
	v_fma_f64 v[76:77], v[76:77], v[80:81], v[78:79]
	v_add_f64 v[1:2], v[1:2], v[74:75]
	v_add_f64 v[3:4], v[3:4], v[76:77]
	s_andn2_b32 exec_lo, exec_lo, s38
	s_cbranch_execnz .LBB94_340
; %bb.341:
	s_or_b32 exec_lo, exec_lo, s38
.LBB94_342:
	s_or_b32 exec_lo, exec_lo, s8
	v_mov_b32_e32 v70, 0
	ds_read_b128 v[74:77], v70 offset:208
	s_waitcnt lgkmcnt(0)
	v_mul_f64 v[70:71], v[3:4], v[76:77]
	v_mul_f64 v[76:77], v[1:2], v[76:77]
	v_fma_f64 v[1:2], v[1:2], v[74:75], -v[70:71]
	v_fma_f64 v[3:4], v[3:4], v[74:75], v[76:77]
	buffer_store_dword v2, off, s[0:3], 0 offset:212
	buffer_store_dword v1, off, s[0:3], 0 offset:208
	;; [unrolled: 1-line block ×4, first 2 shown]
.LBB94_343:
	s_or_b32 exec_lo, exec_lo, s4
	v_mov_b32_e32 v4, s23
	s_mov_b32 s4, exec_lo
	s_clause 0x3
	buffer_load_dword v1, v4, s[0:3], 0 offen
	buffer_load_dword v2, v4, s[0:3], 0 offen offset:4
	buffer_load_dword v3, v4, s[0:3], 0 offen offset:8
	;; [unrolled: 1-line block ×3, first 2 shown]
	s_waitcnt vmcnt(0)
	ds_write_b128 v68, v[1:4]
	s_waitcnt lgkmcnt(0)
	s_waitcnt_vscnt null, 0x0
	s_barrier
	buffer_gl0_inv
	v_cmpx_gt_u32_e32 14, v0
	s_cbranch_execz .LBB94_351
; %bb.344:
	ds_read_b128 v[1:4], v68
	v_cmp_ne_u32_e32 vcc_lo, 1, v69
	s_cbranch_vccnz .LBB94_346
; %bb.345:
	s_clause 0x3
	buffer_load_dword v70, v67, s[0:3], 0 offen offset:8
	buffer_load_dword v71, v67, s[0:3], 0 offen offset:12
	buffer_load_dword v74, v67, s[0:3], 0 offen
	buffer_load_dword v75, v67, s[0:3], 0 offen offset:4
	s_waitcnt vmcnt(2) lgkmcnt(0)
	v_mul_f64 v[76:77], v[3:4], v[70:71]
	v_mul_f64 v[70:71], v[1:2], v[70:71]
	s_waitcnt vmcnt(0)
	v_fma_f64 v[1:2], v[1:2], v[74:75], -v[76:77]
	v_fma_f64 v[3:4], v[3:4], v[74:75], v[70:71]
.LBB94_346:
	s_mov_b32 s8, exec_lo
	v_cmpx_ne_u32_e32 13, v0
	s_cbranch_execz .LBB94_350
; %bb.347:
	v_add_nc_u32_e32 v70, 0x200, v73
	v_add3_u32 v71, 0, v73, 16
	v_mov_b32_e32 v72, v0
	s_mov_b32 s38, 0
	.p2align	6
.LBB94_348:                             ; =>This Inner Loop Header: Depth=1
	s_clause 0x3
	buffer_load_dword v78, v71, s[0:3], 0 offen offset:8
	buffer_load_dword v79, v71, s[0:3], 0 offen offset:12
	buffer_load_dword v80, v71, s[0:3], 0 offen
	buffer_load_dword v81, v71, s[0:3], 0 offen offset:4
	ds_read_b128 v[74:77], v70
	v_add_nc_u32_e32 v72, 1, v72
	v_add_nc_u32_e32 v70, 16, v70
	;; [unrolled: 1-line block ×3, first 2 shown]
	v_cmp_lt_u32_e32 vcc_lo, 12, v72
	s_or_b32 s38, vcc_lo, s38
	s_waitcnt vmcnt(2) lgkmcnt(0)
	v_mul_f64 v[82:83], v[76:77], v[78:79]
	v_mul_f64 v[78:79], v[74:75], v[78:79]
	s_waitcnt vmcnt(0)
	v_fma_f64 v[74:75], v[74:75], v[80:81], -v[82:83]
	v_fma_f64 v[76:77], v[76:77], v[80:81], v[78:79]
	v_add_f64 v[1:2], v[1:2], v[74:75]
	v_add_f64 v[3:4], v[3:4], v[76:77]
	s_andn2_b32 exec_lo, exec_lo, s38
	s_cbranch_execnz .LBB94_348
; %bb.349:
	s_or_b32 exec_lo, exec_lo, s38
.LBB94_350:
	s_or_b32 exec_lo, exec_lo, s8
	v_mov_b32_e32 v70, 0
	ds_read_b128 v[74:77], v70 offset:224
	s_waitcnt lgkmcnt(0)
	v_mul_f64 v[70:71], v[3:4], v[76:77]
	v_mul_f64 v[76:77], v[1:2], v[76:77]
	v_fma_f64 v[1:2], v[1:2], v[74:75], -v[70:71]
	v_fma_f64 v[3:4], v[3:4], v[74:75], v[76:77]
	buffer_store_dword v2, off, s[0:3], 0 offset:228
	buffer_store_dword v1, off, s[0:3], 0 offset:224
	;; [unrolled: 1-line block ×4, first 2 shown]
.LBB94_351:
	s_or_b32 exec_lo, exec_lo, s4
	v_mov_b32_e32 v4, s22
	s_mov_b32 s4, exec_lo
	s_clause 0x3
	buffer_load_dword v1, v4, s[0:3], 0 offen
	buffer_load_dword v2, v4, s[0:3], 0 offen offset:4
	buffer_load_dword v3, v4, s[0:3], 0 offen offset:8
	;; [unrolled: 1-line block ×3, first 2 shown]
	s_waitcnt vmcnt(0)
	ds_write_b128 v68, v[1:4]
	s_waitcnt lgkmcnt(0)
	s_waitcnt_vscnt null, 0x0
	s_barrier
	buffer_gl0_inv
	v_cmpx_gt_u32_e32 15, v0
	s_cbranch_execz .LBB94_359
; %bb.352:
	ds_read_b128 v[1:4], v68
	v_cmp_ne_u32_e32 vcc_lo, 1, v69
	s_cbranch_vccnz .LBB94_354
; %bb.353:
	s_clause 0x3
	buffer_load_dword v70, v67, s[0:3], 0 offen offset:8
	buffer_load_dword v71, v67, s[0:3], 0 offen offset:12
	buffer_load_dword v74, v67, s[0:3], 0 offen
	buffer_load_dword v75, v67, s[0:3], 0 offen offset:4
	s_waitcnt vmcnt(2) lgkmcnt(0)
	v_mul_f64 v[76:77], v[3:4], v[70:71]
	v_mul_f64 v[70:71], v[1:2], v[70:71]
	s_waitcnt vmcnt(0)
	v_fma_f64 v[1:2], v[1:2], v[74:75], -v[76:77]
	v_fma_f64 v[3:4], v[3:4], v[74:75], v[70:71]
.LBB94_354:
	s_mov_b32 s8, exec_lo
	v_cmpx_ne_u32_e32 14, v0
	s_cbranch_execz .LBB94_358
; %bb.355:
	v_add_nc_u32_e32 v70, 0x200, v73
	v_add3_u32 v71, 0, v73, 16
	v_mov_b32_e32 v72, v0
	s_mov_b32 s38, 0
	.p2align	6
.LBB94_356:                             ; =>This Inner Loop Header: Depth=1
	s_clause 0x3
	buffer_load_dword v78, v71, s[0:3], 0 offen offset:8
	buffer_load_dword v79, v71, s[0:3], 0 offen offset:12
	buffer_load_dword v80, v71, s[0:3], 0 offen
	buffer_load_dword v81, v71, s[0:3], 0 offen offset:4
	ds_read_b128 v[74:77], v70
	v_add_nc_u32_e32 v72, 1, v72
	v_add_nc_u32_e32 v70, 16, v70
	;; [unrolled: 1-line block ×3, first 2 shown]
	v_cmp_lt_u32_e32 vcc_lo, 13, v72
	s_or_b32 s38, vcc_lo, s38
	s_waitcnt vmcnt(2) lgkmcnt(0)
	v_mul_f64 v[82:83], v[76:77], v[78:79]
	v_mul_f64 v[78:79], v[74:75], v[78:79]
	s_waitcnt vmcnt(0)
	v_fma_f64 v[74:75], v[74:75], v[80:81], -v[82:83]
	v_fma_f64 v[76:77], v[76:77], v[80:81], v[78:79]
	v_add_f64 v[1:2], v[1:2], v[74:75]
	v_add_f64 v[3:4], v[3:4], v[76:77]
	s_andn2_b32 exec_lo, exec_lo, s38
	s_cbranch_execnz .LBB94_356
; %bb.357:
	s_or_b32 exec_lo, exec_lo, s38
.LBB94_358:
	s_or_b32 exec_lo, exec_lo, s8
	v_mov_b32_e32 v70, 0
	ds_read_b128 v[74:77], v70 offset:240
	s_waitcnt lgkmcnt(0)
	v_mul_f64 v[70:71], v[3:4], v[76:77]
	v_mul_f64 v[76:77], v[1:2], v[76:77]
	v_fma_f64 v[1:2], v[1:2], v[74:75], -v[70:71]
	v_fma_f64 v[3:4], v[3:4], v[74:75], v[76:77]
	buffer_store_dword v2, off, s[0:3], 0 offset:244
	buffer_store_dword v1, off, s[0:3], 0 offset:240
	;; [unrolled: 1-line block ×4, first 2 shown]
.LBB94_359:
	s_or_b32 exec_lo, exec_lo, s4
	v_mov_b32_e32 v4, s21
	s_mov_b32 s4, exec_lo
	s_clause 0x3
	buffer_load_dword v1, v4, s[0:3], 0 offen
	buffer_load_dword v2, v4, s[0:3], 0 offen offset:4
	buffer_load_dword v3, v4, s[0:3], 0 offen offset:8
	;; [unrolled: 1-line block ×3, first 2 shown]
	s_waitcnt vmcnt(0)
	ds_write_b128 v68, v[1:4]
	s_waitcnt lgkmcnt(0)
	s_waitcnt_vscnt null, 0x0
	s_barrier
	buffer_gl0_inv
	v_cmpx_gt_u32_e32 16, v0
	s_cbranch_execz .LBB94_367
; %bb.360:
	ds_read_b128 v[1:4], v68
	v_cmp_ne_u32_e32 vcc_lo, 1, v69
	s_cbranch_vccnz .LBB94_362
; %bb.361:
	s_clause 0x3
	buffer_load_dword v70, v67, s[0:3], 0 offen offset:8
	buffer_load_dword v71, v67, s[0:3], 0 offen offset:12
	buffer_load_dword v74, v67, s[0:3], 0 offen
	buffer_load_dword v75, v67, s[0:3], 0 offen offset:4
	s_waitcnt vmcnt(2) lgkmcnt(0)
	v_mul_f64 v[76:77], v[3:4], v[70:71]
	v_mul_f64 v[70:71], v[1:2], v[70:71]
	s_waitcnt vmcnt(0)
	v_fma_f64 v[1:2], v[1:2], v[74:75], -v[76:77]
	v_fma_f64 v[3:4], v[3:4], v[74:75], v[70:71]
.LBB94_362:
	s_mov_b32 s8, exec_lo
	v_cmpx_ne_u32_e32 15, v0
	s_cbranch_execz .LBB94_366
; %bb.363:
	v_add_nc_u32_e32 v70, 0x200, v73
	v_add3_u32 v71, 0, v73, 16
	v_mov_b32_e32 v72, v0
	s_mov_b32 s38, 0
	.p2align	6
.LBB94_364:                             ; =>This Inner Loop Header: Depth=1
	s_clause 0x3
	buffer_load_dword v78, v71, s[0:3], 0 offen offset:8
	buffer_load_dword v79, v71, s[0:3], 0 offen offset:12
	buffer_load_dword v80, v71, s[0:3], 0 offen
	buffer_load_dword v81, v71, s[0:3], 0 offen offset:4
	ds_read_b128 v[74:77], v70
	v_add_nc_u32_e32 v72, 1, v72
	v_add_nc_u32_e32 v70, 16, v70
	;; [unrolled: 1-line block ×3, first 2 shown]
	v_cmp_lt_u32_e32 vcc_lo, 14, v72
	s_or_b32 s38, vcc_lo, s38
	s_waitcnt vmcnt(2) lgkmcnt(0)
	v_mul_f64 v[82:83], v[76:77], v[78:79]
	v_mul_f64 v[78:79], v[74:75], v[78:79]
	s_waitcnt vmcnt(0)
	v_fma_f64 v[74:75], v[74:75], v[80:81], -v[82:83]
	v_fma_f64 v[76:77], v[76:77], v[80:81], v[78:79]
	v_add_f64 v[1:2], v[1:2], v[74:75]
	v_add_f64 v[3:4], v[3:4], v[76:77]
	s_andn2_b32 exec_lo, exec_lo, s38
	s_cbranch_execnz .LBB94_364
; %bb.365:
	s_or_b32 exec_lo, exec_lo, s38
.LBB94_366:
	s_or_b32 exec_lo, exec_lo, s8
	v_mov_b32_e32 v70, 0
	ds_read_b128 v[74:77], v70 offset:256
	s_waitcnt lgkmcnt(0)
	v_mul_f64 v[70:71], v[3:4], v[76:77]
	v_mul_f64 v[76:77], v[1:2], v[76:77]
	v_fma_f64 v[1:2], v[1:2], v[74:75], -v[70:71]
	v_fma_f64 v[3:4], v[3:4], v[74:75], v[76:77]
	buffer_store_dword v2, off, s[0:3], 0 offset:260
	buffer_store_dword v1, off, s[0:3], 0 offset:256
	;; [unrolled: 1-line block ×4, first 2 shown]
.LBB94_367:
	s_or_b32 exec_lo, exec_lo, s4
	v_mov_b32_e32 v4, s20
	s_mov_b32 s4, exec_lo
	s_clause 0x3
	buffer_load_dword v1, v4, s[0:3], 0 offen
	buffer_load_dword v2, v4, s[0:3], 0 offen offset:4
	buffer_load_dword v3, v4, s[0:3], 0 offen offset:8
	;; [unrolled: 1-line block ×3, first 2 shown]
	s_waitcnt vmcnt(0)
	ds_write_b128 v68, v[1:4]
	s_waitcnt lgkmcnt(0)
	s_waitcnt_vscnt null, 0x0
	s_barrier
	buffer_gl0_inv
	v_cmpx_gt_u32_e32 17, v0
	s_cbranch_execz .LBB94_375
; %bb.368:
	ds_read_b128 v[1:4], v68
	v_cmp_ne_u32_e32 vcc_lo, 1, v69
	s_cbranch_vccnz .LBB94_370
; %bb.369:
	s_clause 0x3
	buffer_load_dword v70, v67, s[0:3], 0 offen offset:8
	buffer_load_dword v71, v67, s[0:3], 0 offen offset:12
	buffer_load_dword v74, v67, s[0:3], 0 offen
	buffer_load_dword v75, v67, s[0:3], 0 offen offset:4
	s_waitcnt vmcnt(2) lgkmcnt(0)
	v_mul_f64 v[76:77], v[3:4], v[70:71]
	v_mul_f64 v[70:71], v[1:2], v[70:71]
	s_waitcnt vmcnt(0)
	v_fma_f64 v[1:2], v[1:2], v[74:75], -v[76:77]
	v_fma_f64 v[3:4], v[3:4], v[74:75], v[70:71]
.LBB94_370:
	s_mov_b32 s8, exec_lo
	v_cmpx_ne_u32_e32 16, v0
	s_cbranch_execz .LBB94_374
; %bb.371:
	v_add_nc_u32_e32 v70, 0x200, v73
	v_add3_u32 v71, 0, v73, 16
	v_mov_b32_e32 v72, v0
	s_mov_b32 s38, 0
	.p2align	6
.LBB94_372:                             ; =>This Inner Loop Header: Depth=1
	s_clause 0x3
	buffer_load_dword v78, v71, s[0:3], 0 offen offset:8
	buffer_load_dword v79, v71, s[0:3], 0 offen offset:12
	buffer_load_dword v80, v71, s[0:3], 0 offen
	buffer_load_dword v81, v71, s[0:3], 0 offen offset:4
	ds_read_b128 v[74:77], v70
	v_add_nc_u32_e32 v72, 1, v72
	v_add_nc_u32_e32 v70, 16, v70
	;; [unrolled: 1-line block ×3, first 2 shown]
	v_cmp_lt_u32_e32 vcc_lo, 15, v72
	s_or_b32 s38, vcc_lo, s38
	s_waitcnt vmcnt(2) lgkmcnt(0)
	v_mul_f64 v[82:83], v[76:77], v[78:79]
	v_mul_f64 v[78:79], v[74:75], v[78:79]
	s_waitcnt vmcnt(0)
	v_fma_f64 v[74:75], v[74:75], v[80:81], -v[82:83]
	v_fma_f64 v[76:77], v[76:77], v[80:81], v[78:79]
	v_add_f64 v[1:2], v[1:2], v[74:75]
	v_add_f64 v[3:4], v[3:4], v[76:77]
	s_andn2_b32 exec_lo, exec_lo, s38
	s_cbranch_execnz .LBB94_372
; %bb.373:
	s_or_b32 exec_lo, exec_lo, s38
.LBB94_374:
	s_or_b32 exec_lo, exec_lo, s8
	v_mov_b32_e32 v70, 0
	ds_read_b128 v[74:77], v70 offset:272
	s_waitcnt lgkmcnt(0)
	v_mul_f64 v[70:71], v[3:4], v[76:77]
	v_mul_f64 v[76:77], v[1:2], v[76:77]
	v_fma_f64 v[1:2], v[1:2], v[74:75], -v[70:71]
	v_fma_f64 v[3:4], v[3:4], v[74:75], v[76:77]
	buffer_store_dword v2, off, s[0:3], 0 offset:276
	buffer_store_dword v1, off, s[0:3], 0 offset:272
	;; [unrolled: 1-line block ×4, first 2 shown]
.LBB94_375:
	s_or_b32 exec_lo, exec_lo, s4
	v_mov_b32_e32 v4, s19
	s_mov_b32 s4, exec_lo
	s_clause 0x3
	buffer_load_dword v1, v4, s[0:3], 0 offen
	buffer_load_dword v2, v4, s[0:3], 0 offen offset:4
	buffer_load_dword v3, v4, s[0:3], 0 offen offset:8
	;; [unrolled: 1-line block ×3, first 2 shown]
	s_waitcnt vmcnt(0)
	ds_write_b128 v68, v[1:4]
	s_waitcnt lgkmcnt(0)
	s_waitcnt_vscnt null, 0x0
	s_barrier
	buffer_gl0_inv
	v_cmpx_gt_u32_e32 18, v0
	s_cbranch_execz .LBB94_383
; %bb.376:
	ds_read_b128 v[1:4], v68
	v_cmp_ne_u32_e32 vcc_lo, 1, v69
	s_cbranch_vccnz .LBB94_378
; %bb.377:
	s_clause 0x3
	buffer_load_dword v70, v67, s[0:3], 0 offen offset:8
	buffer_load_dword v71, v67, s[0:3], 0 offen offset:12
	buffer_load_dword v74, v67, s[0:3], 0 offen
	buffer_load_dword v75, v67, s[0:3], 0 offen offset:4
	s_waitcnt vmcnt(2) lgkmcnt(0)
	v_mul_f64 v[76:77], v[3:4], v[70:71]
	v_mul_f64 v[70:71], v[1:2], v[70:71]
	s_waitcnt vmcnt(0)
	v_fma_f64 v[1:2], v[1:2], v[74:75], -v[76:77]
	v_fma_f64 v[3:4], v[3:4], v[74:75], v[70:71]
.LBB94_378:
	s_mov_b32 s8, exec_lo
	v_cmpx_ne_u32_e32 17, v0
	s_cbranch_execz .LBB94_382
; %bb.379:
	v_add_nc_u32_e32 v70, 0x200, v73
	v_add3_u32 v71, 0, v73, 16
	v_mov_b32_e32 v72, v0
	s_mov_b32 s38, 0
	.p2align	6
.LBB94_380:                             ; =>This Inner Loop Header: Depth=1
	s_clause 0x3
	buffer_load_dword v78, v71, s[0:3], 0 offen offset:8
	buffer_load_dword v79, v71, s[0:3], 0 offen offset:12
	buffer_load_dword v80, v71, s[0:3], 0 offen
	buffer_load_dword v81, v71, s[0:3], 0 offen offset:4
	ds_read_b128 v[74:77], v70
	v_add_nc_u32_e32 v72, 1, v72
	v_add_nc_u32_e32 v70, 16, v70
	;; [unrolled: 1-line block ×3, first 2 shown]
	v_cmp_lt_u32_e32 vcc_lo, 16, v72
	s_or_b32 s38, vcc_lo, s38
	s_waitcnt vmcnt(2) lgkmcnt(0)
	v_mul_f64 v[82:83], v[76:77], v[78:79]
	v_mul_f64 v[78:79], v[74:75], v[78:79]
	s_waitcnt vmcnt(0)
	v_fma_f64 v[74:75], v[74:75], v[80:81], -v[82:83]
	v_fma_f64 v[76:77], v[76:77], v[80:81], v[78:79]
	v_add_f64 v[1:2], v[1:2], v[74:75]
	v_add_f64 v[3:4], v[3:4], v[76:77]
	s_andn2_b32 exec_lo, exec_lo, s38
	s_cbranch_execnz .LBB94_380
; %bb.381:
	s_or_b32 exec_lo, exec_lo, s38
.LBB94_382:
	s_or_b32 exec_lo, exec_lo, s8
	v_mov_b32_e32 v70, 0
	ds_read_b128 v[74:77], v70 offset:288
	s_waitcnt lgkmcnt(0)
	v_mul_f64 v[70:71], v[3:4], v[76:77]
	v_mul_f64 v[76:77], v[1:2], v[76:77]
	v_fma_f64 v[1:2], v[1:2], v[74:75], -v[70:71]
	v_fma_f64 v[3:4], v[3:4], v[74:75], v[76:77]
	buffer_store_dword v2, off, s[0:3], 0 offset:292
	buffer_store_dword v1, off, s[0:3], 0 offset:288
	;; [unrolled: 1-line block ×4, first 2 shown]
.LBB94_383:
	s_or_b32 exec_lo, exec_lo, s4
	v_mov_b32_e32 v4, s18
	s_mov_b32 s4, exec_lo
	s_clause 0x3
	buffer_load_dword v1, v4, s[0:3], 0 offen
	buffer_load_dword v2, v4, s[0:3], 0 offen offset:4
	buffer_load_dword v3, v4, s[0:3], 0 offen offset:8
	;; [unrolled: 1-line block ×3, first 2 shown]
	s_waitcnt vmcnt(0)
	ds_write_b128 v68, v[1:4]
	s_waitcnt lgkmcnt(0)
	s_waitcnt_vscnt null, 0x0
	s_barrier
	buffer_gl0_inv
	v_cmpx_gt_u32_e32 19, v0
	s_cbranch_execz .LBB94_391
; %bb.384:
	ds_read_b128 v[1:4], v68
	v_cmp_ne_u32_e32 vcc_lo, 1, v69
	s_cbranch_vccnz .LBB94_386
; %bb.385:
	s_clause 0x3
	buffer_load_dword v70, v67, s[0:3], 0 offen offset:8
	buffer_load_dword v71, v67, s[0:3], 0 offen offset:12
	buffer_load_dword v74, v67, s[0:3], 0 offen
	buffer_load_dword v75, v67, s[0:3], 0 offen offset:4
	s_waitcnt vmcnt(2) lgkmcnt(0)
	v_mul_f64 v[76:77], v[3:4], v[70:71]
	v_mul_f64 v[70:71], v[1:2], v[70:71]
	s_waitcnt vmcnt(0)
	v_fma_f64 v[1:2], v[1:2], v[74:75], -v[76:77]
	v_fma_f64 v[3:4], v[3:4], v[74:75], v[70:71]
.LBB94_386:
	s_mov_b32 s8, exec_lo
	v_cmpx_ne_u32_e32 18, v0
	s_cbranch_execz .LBB94_390
; %bb.387:
	v_add_nc_u32_e32 v70, 0x200, v73
	v_add3_u32 v71, 0, v73, 16
	v_mov_b32_e32 v72, v0
	s_mov_b32 s38, 0
	.p2align	6
.LBB94_388:                             ; =>This Inner Loop Header: Depth=1
	s_clause 0x3
	buffer_load_dword v78, v71, s[0:3], 0 offen offset:8
	buffer_load_dword v79, v71, s[0:3], 0 offen offset:12
	buffer_load_dword v80, v71, s[0:3], 0 offen
	buffer_load_dword v81, v71, s[0:3], 0 offen offset:4
	ds_read_b128 v[74:77], v70
	v_add_nc_u32_e32 v72, 1, v72
	v_add_nc_u32_e32 v70, 16, v70
	;; [unrolled: 1-line block ×3, first 2 shown]
	v_cmp_lt_u32_e32 vcc_lo, 17, v72
	s_or_b32 s38, vcc_lo, s38
	s_waitcnt vmcnt(2) lgkmcnt(0)
	v_mul_f64 v[82:83], v[76:77], v[78:79]
	v_mul_f64 v[78:79], v[74:75], v[78:79]
	s_waitcnt vmcnt(0)
	v_fma_f64 v[74:75], v[74:75], v[80:81], -v[82:83]
	v_fma_f64 v[76:77], v[76:77], v[80:81], v[78:79]
	v_add_f64 v[1:2], v[1:2], v[74:75]
	v_add_f64 v[3:4], v[3:4], v[76:77]
	s_andn2_b32 exec_lo, exec_lo, s38
	s_cbranch_execnz .LBB94_388
; %bb.389:
	s_or_b32 exec_lo, exec_lo, s38
.LBB94_390:
	s_or_b32 exec_lo, exec_lo, s8
	v_mov_b32_e32 v70, 0
	ds_read_b128 v[74:77], v70 offset:304
	s_waitcnt lgkmcnt(0)
	v_mul_f64 v[70:71], v[3:4], v[76:77]
	v_mul_f64 v[76:77], v[1:2], v[76:77]
	v_fma_f64 v[1:2], v[1:2], v[74:75], -v[70:71]
	v_fma_f64 v[3:4], v[3:4], v[74:75], v[76:77]
	buffer_store_dword v2, off, s[0:3], 0 offset:308
	buffer_store_dword v1, off, s[0:3], 0 offset:304
	;; [unrolled: 1-line block ×4, first 2 shown]
.LBB94_391:
	s_or_b32 exec_lo, exec_lo, s4
	v_mov_b32_e32 v4, s17
	s_mov_b32 s4, exec_lo
	s_clause 0x3
	buffer_load_dword v1, v4, s[0:3], 0 offen
	buffer_load_dword v2, v4, s[0:3], 0 offen offset:4
	buffer_load_dword v3, v4, s[0:3], 0 offen offset:8
	;; [unrolled: 1-line block ×3, first 2 shown]
	s_waitcnt vmcnt(0)
	ds_write_b128 v68, v[1:4]
	s_waitcnt lgkmcnt(0)
	s_waitcnt_vscnt null, 0x0
	s_barrier
	buffer_gl0_inv
	v_cmpx_gt_u32_e32 20, v0
	s_cbranch_execz .LBB94_399
; %bb.392:
	ds_read_b128 v[1:4], v68
	v_cmp_ne_u32_e32 vcc_lo, 1, v69
	s_cbranch_vccnz .LBB94_394
; %bb.393:
	s_clause 0x3
	buffer_load_dword v70, v67, s[0:3], 0 offen offset:8
	buffer_load_dword v71, v67, s[0:3], 0 offen offset:12
	buffer_load_dword v74, v67, s[0:3], 0 offen
	buffer_load_dword v75, v67, s[0:3], 0 offen offset:4
	s_waitcnt vmcnt(2) lgkmcnt(0)
	v_mul_f64 v[76:77], v[3:4], v[70:71]
	v_mul_f64 v[70:71], v[1:2], v[70:71]
	s_waitcnt vmcnt(0)
	v_fma_f64 v[1:2], v[1:2], v[74:75], -v[76:77]
	v_fma_f64 v[3:4], v[3:4], v[74:75], v[70:71]
.LBB94_394:
	s_mov_b32 s8, exec_lo
	v_cmpx_ne_u32_e32 19, v0
	s_cbranch_execz .LBB94_398
; %bb.395:
	v_add_nc_u32_e32 v70, 0x200, v73
	v_add3_u32 v71, 0, v73, 16
	v_mov_b32_e32 v72, v0
	s_mov_b32 s38, 0
	.p2align	6
.LBB94_396:                             ; =>This Inner Loop Header: Depth=1
	s_clause 0x3
	buffer_load_dword v78, v71, s[0:3], 0 offen offset:8
	buffer_load_dword v79, v71, s[0:3], 0 offen offset:12
	buffer_load_dword v80, v71, s[0:3], 0 offen
	buffer_load_dword v81, v71, s[0:3], 0 offen offset:4
	ds_read_b128 v[74:77], v70
	v_add_nc_u32_e32 v72, 1, v72
	v_add_nc_u32_e32 v70, 16, v70
	;; [unrolled: 1-line block ×3, first 2 shown]
	v_cmp_lt_u32_e32 vcc_lo, 18, v72
	s_or_b32 s38, vcc_lo, s38
	s_waitcnt vmcnt(2) lgkmcnt(0)
	v_mul_f64 v[82:83], v[76:77], v[78:79]
	v_mul_f64 v[78:79], v[74:75], v[78:79]
	s_waitcnt vmcnt(0)
	v_fma_f64 v[74:75], v[74:75], v[80:81], -v[82:83]
	v_fma_f64 v[76:77], v[76:77], v[80:81], v[78:79]
	v_add_f64 v[1:2], v[1:2], v[74:75]
	v_add_f64 v[3:4], v[3:4], v[76:77]
	s_andn2_b32 exec_lo, exec_lo, s38
	s_cbranch_execnz .LBB94_396
; %bb.397:
	s_or_b32 exec_lo, exec_lo, s38
.LBB94_398:
	s_or_b32 exec_lo, exec_lo, s8
	v_mov_b32_e32 v70, 0
	ds_read_b128 v[74:77], v70 offset:320
	s_waitcnt lgkmcnt(0)
	v_mul_f64 v[70:71], v[3:4], v[76:77]
	v_mul_f64 v[76:77], v[1:2], v[76:77]
	v_fma_f64 v[1:2], v[1:2], v[74:75], -v[70:71]
	v_fma_f64 v[3:4], v[3:4], v[74:75], v[76:77]
	buffer_store_dword v2, off, s[0:3], 0 offset:324
	buffer_store_dword v1, off, s[0:3], 0 offset:320
	;; [unrolled: 1-line block ×4, first 2 shown]
.LBB94_399:
	s_or_b32 exec_lo, exec_lo, s4
	v_mov_b32_e32 v4, s16
	s_mov_b32 s4, exec_lo
	s_clause 0x3
	buffer_load_dword v1, v4, s[0:3], 0 offen
	buffer_load_dword v2, v4, s[0:3], 0 offen offset:4
	buffer_load_dword v3, v4, s[0:3], 0 offen offset:8
	;; [unrolled: 1-line block ×3, first 2 shown]
	s_waitcnt vmcnt(0)
	ds_write_b128 v68, v[1:4]
	s_waitcnt lgkmcnt(0)
	s_waitcnt_vscnt null, 0x0
	s_barrier
	buffer_gl0_inv
	v_cmpx_gt_u32_e32 21, v0
	s_cbranch_execz .LBB94_407
; %bb.400:
	ds_read_b128 v[1:4], v68
	v_cmp_ne_u32_e32 vcc_lo, 1, v69
	s_cbranch_vccnz .LBB94_402
; %bb.401:
	s_clause 0x3
	buffer_load_dword v70, v67, s[0:3], 0 offen offset:8
	buffer_load_dword v71, v67, s[0:3], 0 offen offset:12
	buffer_load_dword v74, v67, s[0:3], 0 offen
	buffer_load_dword v75, v67, s[0:3], 0 offen offset:4
	s_waitcnt vmcnt(2) lgkmcnt(0)
	v_mul_f64 v[76:77], v[3:4], v[70:71]
	v_mul_f64 v[70:71], v[1:2], v[70:71]
	s_waitcnt vmcnt(0)
	v_fma_f64 v[1:2], v[1:2], v[74:75], -v[76:77]
	v_fma_f64 v[3:4], v[3:4], v[74:75], v[70:71]
.LBB94_402:
	s_mov_b32 s8, exec_lo
	v_cmpx_ne_u32_e32 20, v0
	s_cbranch_execz .LBB94_406
; %bb.403:
	v_add_nc_u32_e32 v70, 0x200, v73
	v_add3_u32 v71, 0, v73, 16
	v_mov_b32_e32 v72, v0
	s_mov_b32 s38, 0
	.p2align	6
.LBB94_404:                             ; =>This Inner Loop Header: Depth=1
	s_clause 0x3
	buffer_load_dword v78, v71, s[0:3], 0 offen offset:8
	buffer_load_dword v79, v71, s[0:3], 0 offen offset:12
	buffer_load_dword v80, v71, s[0:3], 0 offen
	buffer_load_dword v81, v71, s[0:3], 0 offen offset:4
	ds_read_b128 v[74:77], v70
	v_add_nc_u32_e32 v72, 1, v72
	v_add_nc_u32_e32 v70, 16, v70
	;; [unrolled: 1-line block ×3, first 2 shown]
	v_cmp_lt_u32_e32 vcc_lo, 19, v72
	s_or_b32 s38, vcc_lo, s38
	s_waitcnt vmcnt(2) lgkmcnt(0)
	v_mul_f64 v[82:83], v[76:77], v[78:79]
	v_mul_f64 v[78:79], v[74:75], v[78:79]
	s_waitcnt vmcnt(0)
	v_fma_f64 v[74:75], v[74:75], v[80:81], -v[82:83]
	v_fma_f64 v[76:77], v[76:77], v[80:81], v[78:79]
	v_add_f64 v[1:2], v[1:2], v[74:75]
	v_add_f64 v[3:4], v[3:4], v[76:77]
	s_andn2_b32 exec_lo, exec_lo, s38
	s_cbranch_execnz .LBB94_404
; %bb.405:
	s_or_b32 exec_lo, exec_lo, s38
.LBB94_406:
	s_or_b32 exec_lo, exec_lo, s8
	v_mov_b32_e32 v70, 0
	ds_read_b128 v[74:77], v70 offset:336
	s_waitcnt lgkmcnt(0)
	v_mul_f64 v[70:71], v[3:4], v[76:77]
	v_mul_f64 v[76:77], v[1:2], v[76:77]
	v_fma_f64 v[1:2], v[1:2], v[74:75], -v[70:71]
	v_fma_f64 v[3:4], v[3:4], v[74:75], v[76:77]
	buffer_store_dword v2, off, s[0:3], 0 offset:340
	buffer_store_dword v1, off, s[0:3], 0 offset:336
	;; [unrolled: 1-line block ×4, first 2 shown]
.LBB94_407:
	s_or_b32 exec_lo, exec_lo, s4
	v_mov_b32_e32 v4, s15
	s_mov_b32 s4, exec_lo
	s_clause 0x3
	buffer_load_dword v1, v4, s[0:3], 0 offen
	buffer_load_dword v2, v4, s[0:3], 0 offen offset:4
	buffer_load_dword v3, v4, s[0:3], 0 offen offset:8
	;; [unrolled: 1-line block ×3, first 2 shown]
	s_waitcnt vmcnt(0)
	ds_write_b128 v68, v[1:4]
	s_waitcnt lgkmcnt(0)
	s_waitcnt_vscnt null, 0x0
	s_barrier
	buffer_gl0_inv
	v_cmpx_gt_u32_e32 22, v0
	s_cbranch_execz .LBB94_415
; %bb.408:
	ds_read_b128 v[1:4], v68
	v_cmp_ne_u32_e32 vcc_lo, 1, v69
	s_cbranch_vccnz .LBB94_410
; %bb.409:
	s_clause 0x3
	buffer_load_dword v70, v67, s[0:3], 0 offen offset:8
	buffer_load_dword v71, v67, s[0:3], 0 offen offset:12
	buffer_load_dword v74, v67, s[0:3], 0 offen
	buffer_load_dword v75, v67, s[0:3], 0 offen offset:4
	s_waitcnt vmcnt(2) lgkmcnt(0)
	v_mul_f64 v[76:77], v[3:4], v[70:71]
	v_mul_f64 v[70:71], v[1:2], v[70:71]
	s_waitcnt vmcnt(0)
	v_fma_f64 v[1:2], v[1:2], v[74:75], -v[76:77]
	v_fma_f64 v[3:4], v[3:4], v[74:75], v[70:71]
.LBB94_410:
	s_mov_b32 s8, exec_lo
	v_cmpx_ne_u32_e32 21, v0
	s_cbranch_execz .LBB94_414
; %bb.411:
	v_add_nc_u32_e32 v70, 0x200, v73
	v_add3_u32 v71, 0, v73, 16
	v_mov_b32_e32 v72, v0
	s_mov_b32 s38, 0
	.p2align	6
.LBB94_412:                             ; =>This Inner Loop Header: Depth=1
	s_clause 0x3
	buffer_load_dword v78, v71, s[0:3], 0 offen offset:8
	buffer_load_dword v79, v71, s[0:3], 0 offen offset:12
	buffer_load_dword v80, v71, s[0:3], 0 offen
	buffer_load_dword v81, v71, s[0:3], 0 offen offset:4
	ds_read_b128 v[74:77], v70
	v_add_nc_u32_e32 v72, 1, v72
	v_add_nc_u32_e32 v70, 16, v70
	;; [unrolled: 1-line block ×3, first 2 shown]
	v_cmp_lt_u32_e32 vcc_lo, 20, v72
	s_or_b32 s38, vcc_lo, s38
	s_waitcnt vmcnt(2) lgkmcnt(0)
	v_mul_f64 v[82:83], v[76:77], v[78:79]
	v_mul_f64 v[78:79], v[74:75], v[78:79]
	s_waitcnt vmcnt(0)
	v_fma_f64 v[74:75], v[74:75], v[80:81], -v[82:83]
	v_fma_f64 v[76:77], v[76:77], v[80:81], v[78:79]
	v_add_f64 v[1:2], v[1:2], v[74:75]
	v_add_f64 v[3:4], v[3:4], v[76:77]
	s_andn2_b32 exec_lo, exec_lo, s38
	s_cbranch_execnz .LBB94_412
; %bb.413:
	s_or_b32 exec_lo, exec_lo, s38
.LBB94_414:
	s_or_b32 exec_lo, exec_lo, s8
	v_mov_b32_e32 v70, 0
	ds_read_b128 v[74:77], v70 offset:352
	s_waitcnt lgkmcnt(0)
	v_mul_f64 v[70:71], v[3:4], v[76:77]
	v_mul_f64 v[76:77], v[1:2], v[76:77]
	v_fma_f64 v[1:2], v[1:2], v[74:75], -v[70:71]
	v_fma_f64 v[3:4], v[3:4], v[74:75], v[76:77]
	buffer_store_dword v2, off, s[0:3], 0 offset:356
	buffer_store_dword v1, off, s[0:3], 0 offset:352
	;; [unrolled: 1-line block ×4, first 2 shown]
.LBB94_415:
	s_or_b32 exec_lo, exec_lo, s4
	v_mov_b32_e32 v4, s14
	s_mov_b32 s4, exec_lo
	s_clause 0x3
	buffer_load_dword v1, v4, s[0:3], 0 offen
	buffer_load_dword v2, v4, s[0:3], 0 offen offset:4
	buffer_load_dword v3, v4, s[0:3], 0 offen offset:8
	;; [unrolled: 1-line block ×3, first 2 shown]
	s_waitcnt vmcnt(0)
	ds_write_b128 v68, v[1:4]
	s_waitcnt lgkmcnt(0)
	s_waitcnt_vscnt null, 0x0
	s_barrier
	buffer_gl0_inv
	v_cmpx_gt_u32_e32 23, v0
	s_cbranch_execz .LBB94_423
; %bb.416:
	ds_read_b128 v[1:4], v68
	v_cmp_ne_u32_e32 vcc_lo, 1, v69
	s_cbranch_vccnz .LBB94_418
; %bb.417:
	s_clause 0x3
	buffer_load_dword v70, v67, s[0:3], 0 offen offset:8
	buffer_load_dword v71, v67, s[0:3], 0 offen offset:12
	buffer_load_dword v74, v67, s[0:3], 0 offen
	buffer_load_dword v75, v67, s[0:3], 0 offen offset:4
	s_waitcnt vmcnt(2) lgkmcnt(0)
	v_mul_f64 v[76:77], v[3:4], v[70:71]
	v_mul_f64 v[70:71], v[1:2], v[70:71]
	s_waitcnt vmcnt(0)
	v_fma_f64 v[1:2], v[1:2], v[74:75], -v[76:77]
	v_fma_f64 v[3:4], v[3:4], v[74:75], v[70:71]
.LBB94_418:
	s_mov_b32 s8, exec_lo
	v_cmpx_ne_u32_e32 22, v0
	s_cbranch_execz .LBB94_422
; %bb.419:
	v_add_nc_u32_e32 v70, 0x200, v73
	v_add3_u32 v71, 0, v73, 16
	v_mov_b32_e32 v72, v0
	s_mov_b32 s38, 0
	.p2align	6
.LBB94_420:                             ; =>This Inner Loop Header: Depth=1
	s_clause 0x3
	buffer_load_dword v78, v71, s[0:3], 0 offen offset:8
	buffer_load_dword v79, v71, s[0:3], 0 offen offset:12
	buffer_load_dword v80, v71, s[0:3], 0 offen
	buffer_load_dword v81, v71, s[0:3], 0 offen offset:4
	ds_read_b128 v[74:77], v70
	v_add_nc_u32_e32 v72, 1, v72
	v_add_nc_u32_e32 v70, 16, v70
	;; [unrolled: 1-line block ×3, first 2 shown]
	v_cmp_lt_u32_e32 vcc_lo, 21, v72
	s_or_b32 s38, vcc_lo, s38
	s_waitcnt vmcnt(2) lgkmcnt(0)
	v_mul_f64 v[82:83], v[76:77], v[78:79]
	v_mul_f64 v[78:79], v[74:75], v[78:79]
	s_waitcnt vmcnt(0)
	v_fma_f64 v[74:75], v[74:75], v[80:81], -v[82:83]
	v_fma_f64 v[76:77], v[76:77], v[80:81], v[78:79]
	v_add_f64 v[1:2], v[1:2], v[74:75]
	v_add_f64 v[3:4], v[3:4], v[76:77]
	s_andn2_b32 exec_lo, exec_lo, s38
	s_cbranch_execnz .LBB94_420
; %bb.421:
	s_or_b32 exec_lo, exec_lo, s38
.LBB94_422:
	s_or_b32 exec_lo, exec_lo, s8
	v_mov_b32_e32 v70, 0
	ds_read_b128 v[74:77], v70 offset:368
	s_waitcnt lgkmcnt(0)
	v_mul_f64 v[70:71], v[3:4], v[76:77]
	v_mul_f64 v[76:77], v[1:2], v[76:77]
	v_fma_f64 v[1:2], v[1:2], v[74:75], -v[70:71]
	v_fma_f64 v[3:4], v[3:4], v[74:75], v[76:77]
	buffer_store_dword v2, off, s[0:3], 0 offset:372
	buffer_store_dword v1, off, s[0:3], 0 offset:368
	;; [unrolled: 1-line block ×4, first 2 shown]
.LBB94_423:
	s_or_b32 exec_lo, exec_lo, s4
	v_mov_b32_e32 v4, s13
	s_mov_b32 s4, exec_lo
	s_clause 0x3
	buffer_load_dword v1, v4, s[0:3], 0 offen
	buffer_load_dword v2, v4, s[0:3], 0 offen offset:4
	buffer_load_dword v3, v4, s[0:3], 0 offen offset:8
	;; [unrolled: 1-line block ×3, first 2 shown]
	s_waitcnt vmcnt(0)
	ds_write_b128 v68, v[1:4]
	s_waitcnt lgkmcnt(0)
	s_waitcnt_vscnt null, 0x0
	s_barrier
	buffer_gl0_inv
	v_cmpx_gt_u32_e32 24, v0
	s_cbranch_execz .LBB94_431
; %bb.424:
	ds_read_b128 v[1:4], v68
	v_cmp_ne_u32_e32 vcc_lo, 1, v69
	s_cbranch_vccnz .LBB94_426
; %bb.425:
	s_clause 0x3
	buffer_load_dword v70, v67, s[0:3], 0 offen offset:8
	buffer_load_dword v71, v67, s[0:3], 0 offen offset:12
	buffer_load_dword v74, v67, s[0:3], 0 offen
	buffer_load_dword v75, v67, s[0:3], 0 offen offset:4
	s_waitcnt vmcnt(2) lgkmcnt(0)
	v_mul_f64 v[76:77], v[3:4], v[70:71]
	v_mul_f64 v[70:71], v[1:2], v[70:71]
	s_waitcnt vmcnt(0)
	v_fma_f64 v[1:2], v[1:2], v[74:75], -v[76:77]
	v_fma_f64 v[3:4], v[3:4], v[74:75], v[70:71]
.LBB94_426:
	s_mov_b32 s8, exec_lo
	v_cmpx_ne_u32_e32 23, v0
	s_cbranch_execz .LBB94_430
; %bb.427:
	v_add_nc_u32_e32 v70, 0x200, v73
	v_add3_u32 v71, 0, v73, 16
	v_mov_b32_e32 v72, v0
	s_mov_b32 s38, 0
	.p2align	6
.LBB94_428:                             ; =>This Inner Loop Header: Depth=1
	s_clause 0x3
	buffer_load_dword v78, v71, s[0:3], 0 offen offset:8
	buffer_load_dword v79, v71, s[0:3], 0 offen offset:12
	buffer_load_dword v80, v71, s[0:3], 0 offen
	buffer_load_dword v81, v71, s[0:3], 0 offen offset:4
	ds_read_b128 v[74:77], v70
	v_add_nc_u32_e32 v72, 1, v72
	v_add_nc_u32_e32 v70, 16, v70
	;; [unrolled: 1-line block ×3, first 2 shown]
	v_cmp_lt_u32_e32 vcc_lo, 22, v72
	s_or_b32 s38, vcc_lo, s38
	s_waitcnt vmcnt(2) lgkmcnt(0)
	v_mul_f64 v[82:83], v[76:77], v[78:79]
	v_mul_f64 v[78:79], v[74:75], v[78:79]
	s_waitcnt vmcnt(0)
	v_fma_f64 v[74:75], v[74:75], v[80:81], -v[82:83]
	v_fma_f64 v[76:77], v[76:77], v[80:81], v[78:79]
	v_add_f64 v[1:2], v[1:2], v[74:75]
	v_add_f64 v[3:4], v[3:4], v[76:77]
	s_andn2_b32 exec_lo, exec_lo, s38
	s_cbranch_execnz .LBB94_428
; %bb.429:
	s_or_b32 exec_lo, exec_lo, s38
.LBB94_430:
	s_or_b32 exec_lo, exec_lo, s8
	v_mov_b32_e32 v70, 0
	ds_read_b128 v[74:77], v70 offset:384
	s_waitcnt lgkmcnt(0)
	v_mul_f64 v[70:71], v[3:4], v[76:77]
	v_mul_f64 v[76:77], v[1:2], v[76:77]
	v_fma_f64 v[1:2], v[1:2], v[74:75], -v[70:71]
	v_fma_f64 v[3:4], v[3:4], v[74:75], v[76:77]
	buffer_store_dword v2, off, s[0:3], 0 offset:388
	buffer_store_dword v1, off, s[0:3], 0 offset:384
	;; [unrolled: 1-line block ×4, first 2 shown]
.LBB94_431:
	s_or_b32 exec_lo, exec_lo, s4
	v_mov_b32_e32 v4, s12
	s_mov_b32 s4, exec_lo
	s_clause 0x3
	buffer_load_dword v1, v4, s[0:3], 0 offen
	buffer_load_dword v2, v4, s[0:3], 0 offen offset:4
	buffer_load_dword v3, v4, s[0:3], 0 offen offset:8
	;; [unrolled: 1-line block ×3, first 2 shown]
	s_waitcnt vmcnt(0)
	ds_write_b128 v68, v[1:4]
	s_waitcnt lgkmcnt(0)
	s_waitcnt_vscnt null, 0x0
	s_barrier
	buffer_gl0_inv
	v_cmpx_gt_u32_e32 25, v0
	s_cbranch_execz .LBB94_439
; %bb.432:
	ds_read_b128 v[1:4], v68
	v_cmp_ne_u32_e32 vcc_lo, 1, v69
	s_cbranch_vccnz .LBB94_434
; %bb.433:
	s_clause 0x3
	buffer_load_dword v70, v67, s[0:3], 0 offen offset:8
	buffer_load_dword v71, v67, s[0:3], 0 offen offset:12
	buffer_load_dword v74, v67, s[0:3], 0 offen
	buffer_load_dword v75, v67, s[0:3], 0 offen offset:4
	s_waitcnt vmcnt(2) lgkmcnt(0)
	v_mul_f64 v[76:77], v[3:4], v[70:71]
	v_mul_f64 v[70:71], v[1:2], v[70:71]
	s_waitcnt vmcnt(0)
	v_fma_f64 v[1:2], v[1:2], v[74:75], -v[76:77]
	v_fma_f64 v[3:4], v[3:4], v[74:75], v[70:71]
.LBB94_434:
	s_mov_b32 s8, exec_lo
	v_cmpx_ne_u32_e32 24, v0
	s_cbranch_execz .LBB94_438
; %bb.435:
	v_add_nc_u32_e32 v70, 0x200, v73
	v_add3_u32 v71, 0, v73, 16
	v_mov_b32_e32 v72, v0
	s_mov_b32 s38, 0
	.p2align	6
.LBB94_436:                             ; =>This Inner Loop Header: Depth=1
	s_clause 0x3
	buffer_load_dword v78, v71, s[0:3], 0 offen offset:8
	buffer_load_dword v79, v71, s[0:3], 0 offen offset:12
	buffer_load_dword v80, v71, s[0:3], 0 offen
	buffer_load_dword v81, v71, s[0:3], 0 offen offset:4
	ds_read_b128 v[74:77], v70
	v_add_nc_u32_e32 v72, 1, v72
	v_add_nc_u32_e32 v70, 16, v70
	;; [unrolled: 1-line block ×3, first 2 shown]
	v_cmp_lt_u32_e32 vcc_lo, 23, v72
	s_or_b32 s38, vcc_lo, s38
	s_waitcnt vmcnt(2) lgkmcnt(0)
	v_mul_f64 v[82:83], v[76:77], v[78:79]
	v_mul_f64 v[78:79], v[74:75], v[78:79]
	s_waitcnt vmcnt(0)
	v_fma_f64 v[74:75], v[74:75], v[80:81], -v[82:83]
	v_fma_f64 v[76:77], v[76:77], v[80:81], v[78:79]
	v_add_f64 v[1:2], v[1:2], v[74:75]
	v_add_f64 v[3:4], v[3:4], v[76:77]
	s_andn2_b32 exec_lo, exec_lo, s38
	s_cbranch_execnz .LBB94_436
; %bb.437:
	s_or_b32 exec_lo, exec_lo, s38
.LBB94_438:
	s_or_b32 exec_lo, exec_lo, s8
	v_mov_b32_e32 v70, 0
	ds_read_b128 v[74:77], v70 offset:400
	s_waitcnt lgkmcnt(0)
	v_mul_f64 v[70:71], v[3:4], v[76:77]
	v_mul_f64 v[76:77], v[1:2], v[76:77]
	v_fma_f64 v[1:2], v[1:2], v[74:75], -v[70:71]
	v_fma_f64 v[3:4], v[3:4], v[74:75], v[76:77]
	buffer_store_dword v2, off, s[0:3], 0 offset:404
	buffer_store_dword v1, off, s[0:3], 0 offset:400
	;; [unrolled: 1-line block ×4, first 2 shown]
.LBB94_439:
	s_or_b32 exec_lo, exec_lo, s4
	v_mov_b32_e32 v4, s11
	s_mov_b32 s4, exec_lo
	s_clause 0x3
	buffer_load_dword v1, v4, s[0:3], 0 offen
	buffer_load_dword v2, v4, s[0:3], 0 offen offset:4
	buffer_load_dword v3, v4, s[0:3], 0 offen offset:8
	;; [unrolled: 1-line block ×3, first 2 shown]
	s_waitcnt vmcnt(0)
	ds_write_b128 v68, v[1:4]
	s_waitcnt lgkmcnt(0)
	s_waitcnt_vscnt null, 0x0
	s_barrier
	buffer_gl0_inv
	v_cmpx_gt_u32_e32 26, v0
	s_cbranch_execz .LBB94_447
; %bb.440:
	ds_read_b128 v[1:4], v68
	v_cmp_ne_u32_e32 vcc_lo, 1, v69
	s_cbranch_vccnz .LBB94_442
; %bb.441:
	s_clause 0x3
	buffer_load_dword v70, v67, s[0:3], 0 offen offset:8
	buffer_load_dword v71, v67, s[0:3], 0 offen offset:12
	buffer_load_dword v74, v67, s[0:3], 0 offen
	buffer_load_dword v75, v67, s[0:3], 0 offen offset:4
	s_waitcnt vmcnt(2) lgkmcnt(0)
	v_mul_f64 v[76:77], v[3:4], v[70:71]
	v_mul_f64 v[70:71], v[1:2], v[70:71]
	s_waitcnt vmcnt(0)
	v_fma_f64 v[1:2], v[1:2], v[74:75], -v[76:77]
	v_fma_f64 v[3:4], v[3:4], v[74:75], v[70:71]
.LBB94_442:
	s_mov_b32 s8, exec_lo
	v_cmpx_ne_u32_e32 25, v0
	s_cbranch_execz .LBB94_446
; %bb.443:
	v_add_nc_u32_e32 v70, 0x200, v73
	v_add3_u32 v71, 0, v73, 16
	v_mov_b32_e32 v72, v0
	s_mov_b32 s38, 0
	.p2align	6
.LBB94_444:                             ; =>This Inner Loop Header: Depth=1
	s_clause 0x3
	buffer_load_dword v78, v71, s[0:3], 0 offen offset:8
	buffer_load_dword v79, v71, s[0:3], 0 offen offset:12
	buffer_load_dword v80, v71, s[0:3], 0 offen
	buffer_load_dword v81, v71, s[0:3], 0 offen offset:4
	ds_read_b128 v[74:77], v70
	v_add_nc_u32_e32 v72, 1, v72
	v_add_nc_u32_e32 v70, 16, v70
	;; [unrolled: 1-line block ×3, first 2 shown]
	v_cmp_lt_u32_e32 vcc_lo, 24, v72
	s_or_b32 s38, vcc_lo, s38
	s_waitcnt vmcnt(2) lgkmcnt(0)
	v_mul_f64 v[82:83], v[76:77], v[78:79]
	v_mul_f64 v[78:79], v[74:75], v[78:79]
	s_waitcnt vmcnt(0)
	v_fma_f64 v[74:75], v[74:75], v[80:81], -v[82:83]
	v_fma_f64 v[76:77], v[76:77], v[80:81], v[78:79]
	v_add_f64 v[1:2], v[1:2], v[74:75]
	v_add_f64 v[3:4], v[3:4], v[76:77]
	s_andn2_b32 exec_lo, exec_lo, s38
	s_cbranch_execnz .LBB94_444
; %bb.445:
	s_or_b32 exec_lo, exec_lo, s38
.LBB94_446:
	s_or_b32 exec_lo, exec_lo, s8
	v_mov_b32_e32 v70, 0
	ds_read_b128 v[74:77], v70 offset:416
	s_waitcnt lgkmcnt(0)
	v_mul_f64 v[70:71], v[3:4], v[76:77]
	v_mul_f64 v[76:77], v[1:2], v[76:77]
	v_fma_f64 v[1:2], v[1:2], v[74:75], -v[70:71]
	v_fma_f64 v[3:4], v[3:4], v[74:75], v[76:77]
	buffer_store_dword v2, off, s[0:3], 0 offset:420
	buffer_store_dword v1, off, s[0:3], 0 offset:416
	;; [unrolled: 1-line block ×4, first 2 shown]
.LBB94_447:
	s_or_b32 exec_lo, exec_lo, s4
	v_mov_b32_e32 v4, s10
	s_mov_b32 s4, exec_lo
	s_clause 0x3
	buffer_load_dword v1, v4, s[0:3], 0 offen
	buffer_load_dword v2, v4, s[0:3], 0 offen offset:4
	buffer_load_dword v3, v4, s[0:3], 0 offen offset:8
	;; [unrolled: 1-line block ×3, first 2 shown]
	s_waitcnt vmcnt(0)
	ds_write_b128 v68, v[1:4]
	s_waitcnt lgkmcnt(0)
	s_waitcnt_vscnt null, 0x0
	s_barrier
	buffer_gl0_inv
	v_cmpx_gt_u32_e32 27, v0
	s_cbranch_execz .LBB94_455
; %bb.448:
	ds_read_b128 v[1:4], v68
	v_cmp_ne_u32_e32 vcc_lo, 1, v69
	s_cbranch_vccnz .LBB94_450
; %bb.449:
	s_clause 0x3
	buffer_load_dword v70, v67, s[0:3], 0 offen offset:8
	buffer_load_dword v71, v67, s[0:3], 0 offen offset:12
	buffer_load_dword v74, v67, s[0:3], 0 offen
	buffer_load_dword v75, v67, s[0:3], 0 offen offset:4
	s_waitcnt vmcnt(2) lgkmcnt(0)
	v_mul_f64 v[76:77], v[3:4], v[70:71]
	v_mul_f64 v[70:71], v[1:2], v[70:71]
	s_waitcnt vmcnt(0)
	v_fma_f64 v[1:2], v[1:2], v[74:75], -v[76:77]
	v_fma_f64 v[3:4], v[3:4], v[74:75], v[70:71]
.LBB94_450:
	s_mov_b32 s8, exec_lo
	v_cmpx_ne_u32_e32 26, v0
	s_cbranch_execz .LBB94_454
; %bb.451:
	v_add_nc_u32_e32 v70, 0x200, v73
	v_add3_u32 v71, 0, v73, 16
	v_mov_b32_e32 v72, v0
	s_mov_b32 s38, 0
	.p2align	6
.LBB94_452:                             ; =>This Inner Loop Header: Depth=1
	s_clause 0x3
	buffer_load_dword v78, v71, s[0:3], 0 offen offset:8
	buffer_load_dword v79, v71, s[0:3], 0 offen offset:12
	buffer_load_dword v80, v71, s[0:3], 0 offen
	buffer_load_dword v81, v71, s[0:3], 0 offen offset:4
	ds_read_b128 v[74:77], v70
	v_add_nc_u32_e32 v72, 1, v72
	v_add_nc_u32_e32 v70, 16, v70
	;; [unrolled: 1-line block ×3, first 2 shown]
	v_cmp_lt_u32_e32 vcc_lo, 25, v72
	s_or_b32 s38, vcc_lo, s38
	s_waitcnt vmcnt(2) lgkmcnt(0)
	v_mul_f64 v[82:83], v[76:77], v[78:79]
	v_mul_f64 v[78:79], v[74:75], v[78:79]
	s_waitcnt vmcnt(0)
	v_fma_f64 v[74:75], v[74:75], v[80:81], -v[82:83]
	v_fma_f64 v[76:77], v[76:77], v[80:81], v[78:79]
	v_add_f64 v[1:2], v[1:2], v[74:75]
	v_add_f64 v[3:4], v[3:4], v[76:77]
	s_andn2_b32 exec_lo, exec_lo, s38
	s_cbranch_execnz .LBB94_452
; %bb.453:
	s_or_b32 exec_lo, exec_lo, s38
.LBB94_454:
	s_or_b32 exec_lo, exec_lo, s8
	v_mov_b32_e32 v70, 0
	ds_read_b128 v[74:77], v70 offset:432
	s_waitcnt lgkmcnt(0)
	v_mul_f64 v[70:71], v[3:4], v[76:77]
	v_mul_f64 v[76:77], v[1:2], v[76:77]
	v_fma_f64 v[1:2], v[1:2], v[74:75], -v[70:71]
	v_fma_f64 v[3:4], v[3:4], v[74:75], v[76:77]
	buffer_store_dword v2, off, s[0:3], 0 offset:436
	buffer_store_dword v1, off, s[0:3], 0 offset:432
	;; [unrolled: 1-line block ×4, first 2 shown]
.LBB94_455:
	s_or_b32 exec_lo, exec_lo, s4
	v_mov_b32_e32 v4, s9
	s_mov_b32 s4, exec_lo
	s_clause 0x3
	buffer_load_dword v1, v4, s[0:3], 0 offen
	buffer_load_dword v2, v4, s[0:3], 0 offen offset:4
	buffer_load_dword v3, v4, s[0:3], 0 offen offset:8
	buffer_load_dword v4, v4, s[0:3], 0 offen offset:12
	s_waitcnt vmcnt(0)
	ds_write_b128 v68, v[1:4]
	s_waitcnt lgkmcnt(0)
	s_waitcnt_vscnt null, 0x0
	s_barrier
	buffer_gl0_inv
	v_cmpx_gt_u32_e32 28, v0
	s_cbranch_execz .LBB94_463
; %bb.456:
	ds_read_b128 v[1:4], v68
	v_cmp_ne_u32_e32 vcc_lo, 1, v69
	s_cbranch_vccnz .LBB94_458
; %bb.457:
	s_clause 0x3
	buffer_load_dword v70, v67, s[0:3], 0 offen offset:8
	buffer_load_dword v71, v67, s[0:3], 0 offen offset:12
	buffer_load_dword v74, v67, s[0:3], 0 offen
	buffer_load_dword v75, v67, s[0:3], 0 offen offset:4
	s_waitcnt vmcnt(2) lgkmcnt(0)
	v_mul_f64 v[76:77], v[3:4], v[70:71]
	v_mul_f64 v[70:71], v[1:2], v[70:71]
	s_waitcnt vmcnt(0)
	v_fma_f64 v[1:2], v[1:2], v[74:75], -v[76:77]
	v_fma_f64 v[3:4], v[3:4], v[74:75], v[70:71]
.LBB94_458:
	s_mov_b32 s8, exec_lo
	v_cmpx_ne_u32_e32 27, v0
	s_cbranch_execz .LBB94_462
; %bb.459:
	v_add_nc_u32_e32 v70, 0x200, v73
	v_add3_u32 v71, 0, v73, 16
	v_mov_b32_e32 v72, v0
	s_mov_b32 s38, 0
	.p2align	6
.LBB94_460:                             ; =>This Inner Loop Header: Depth=1
	s_clause 0x3
	buffer_load_dword v78, v71, s[0:3], 0 offen offset:8
	buffer_load_dword v79, v71, s[0:3], 0 offen offset:12
	buffer_load_dword v80, v71, s[0:3], 0 offen
	buffer_load_dword v81, v71, s[0:3], 0 offen offset:4
	ds_read_b128 v[74:77], v70
	v_add_nc_u32_e32 v72, 1, v72
	v_add_nc_u32_e32 v70, 16, v70
	;; [unrolled: 1-line block ×3, first 2 shown]
	v_cmp_lt_u32_e32 vcc_lo, 26, v72
	s_or_b32 s38, vcc_lo, s38
	s_waitcnt vmcnt(2) lgkmcnt(0)
	v_mul_f64 v[82:83], v[76:77], v[78:79]
	v_mul_f64 v[78:79], v[74:75], v[78:79]
	s_waitcnt vmcnt(0)
	v_fma_f64 v[74:75], v[74:75], v[80:81], -v[82:83]
	v_fma_f64 v[76:77], v[76:77], v[80:81], v[78:79]
	v_add_f64 v[1:2], v[1:2], v[74:75]
	v_add_f64 v[3:4], v[3:4], v[76:77]
	s_andn2_b32 exec_lo, exec_lo, s38
	s_cbranch_execnz .LBB94_460
; %bb.461:
	s_or_b32 exec_lo, exec_lo, s38
.LBB94_462:
	s_or_b32 exec_lo, exec_lo, s8
	v_mov_b32_e32 v70, 0
	ds_read_b128 v[74:77], v70 offset:448
	s_waitcnt lgkmcnt(0)
	v_mul_f64 v[70:71], v[3:4], v[76:77]
	v_mul_f64 v[76:77], v[1:2], v[76:77]
	v_fma_f64 v[1:2], v[1:2], v[74:75], -v[70:71]
	v_fma_f64 v[3:4], v[3:4], v[74:75], v[76:77]
	buffer_store_dword v2, off, s[0:3], 0 offset:452
	buffer_store_dword v1, off, s[0:3], 0 offset:448
	;; [unrolled: 1-line block ×4, first 2 shown]
.LBB94_463:
	s_or_b32 exec_lo, exec_lo, s4
	v_mov_b32_e32 v4, s7
	v_cmp_gt_u32_e64 s4, 29, v0
	s_clause 0x3
	buffer_load_dword v1, v4, s[0:3], 0 offen
	buffer_load_dword v2, v4, s[0:3], 0 offen offset:4
	buffer_load_dword v3, v4, s[0:3], 0 offen offset:8
	;; [unrolled: 1-line block ×3, first 2 shown]
	s_waitcnt vmcnt(0)
	ds_write_b128 v68, v[1:4]
	s_waitcnt lgkmcnt(0)
	s_waitcnt_vscnt null, 0x0
	s_barrier
	buffer_gl0_inv
	s_and_saveexec_b32 s8, s4
	s_cbranch_execz .LBB94_471
; %bb.464:
	ds_read_b128 v[1:4], v68
	v_cmp_ne_u32_e32 vcc_lo, 1, v69
	s_cbranch_vccnz .LBB94_466
; %bb.465:
	s_clause 0x3
	buffer_load_dword v70, v67, s[0:3], 0 offen offset:8
	buffer_load_dword v71, v67, s[0:3], 0 offen offset:12
	buffer_load_dword v74, v67, s[0:3], 0 offen
	buffer_load_dword v75, v67, s[0:3], 0 offen offset:4
	s_waitcnt vmcnt(2) lgkmcnt(0)
	v_mul_f64 v[76:77], v[3:4], v[70:71]
	v_mul_f64 v[70:71], v[1:2], v[70:71]
	s_waitcnt vmcnt(0)
	v_fma_f64 v[1:2], v[1:2], v[74:75], -v[76:77]
	v_fma_f64 v[3:4], v[3:4], v[74:75], v[70:71]
.LBB94_466:
	s_mov_b32 s38, exec_lo
	v_cmpx_ne_u32_e32 28, v0
	s_cbranch_execz .LBB94_470
; %bb.467:
	v_add_nc_u32_e32 v70, 0x200, v73
	v_add3_u32 v71, 0, v73, 16
	v_mov_b32_e32 v72, v0
	s_mov_b32 s39, 0
	.p2align	6
.LBB94_468:                             ; =>This Inner Loop Header: Depth=1
	s_clause 0x3
	buffer_load_dword v78, v71, s[0:3], 0 offen offset:8
	buffer_load_dword v79, v71, s[0:3], 0 offen offset:12
	buffer_load_dword v80, v71, s[0:3], 0 offen
	buffer_load_dword v81, v71, s[0:3], 0 offen offset:4
	ds_read_b128 v[74:77], v70
	v_add_nc_u32_e32 v72, 1, v72
	v_add_nc_u32_e32 v70, 16, v70
	;; [unrolled: 1-line block ×3, first 2 shown]
	v_cmp_lt_u32_e32 vcc_lo, 27, v72
	s_or_b32 s39, vcc_lo, s39
	s_waitcnt vmcnt(2) lgkmcnt(0)
	v_mul_f64 v[82:83], v[76:77], v[78:79]
	v_mul_f64 v[78:79], v[74:75], v[78:79]
	s_waitcnt vmcnt(0)
	v_fma_f64 v[74:75], v[74:75], v[80:81], -v[82:83]
	v_fma_f64 v[76:77], v[76:77], v[80:81], v[78:79]
	v_add_f64 v[1:2], v[1:2], v[74:75]
	v_add_f64 v[3:4], v[3:4], v[76:77]
	s_andn2_b32 exec_lo, exec_lo, s39
	s_cbranch_execnz .LBB94_468
; %bb.469:
	s_or_b32 exec_lo, exec_lo, s39
.LBB94_470:
	s_or_b32 exec_lo, exec_lo, s38
	v_mov_b32_e32 v70, 0
	ds_read_b128 v[74:77], v70 offset:464
	s_waitcnt lgkmcnt(0)
	v_mul_f64 v[70:71], v[3:4], v[76:77]
	v_mul_f64 v[76:77], v[1:2], v[76:77]
	v_fma_f64 v[1:2], v[1:2], v[74:75], -v[70:71]
	v_fma_f64 v[3:4], v[3:4], v[74:75], v[76:77]
	buffer_store_dword v2, off, s[0:3], 0 offset:468
	buffer_store_dword v1, off, s[0:3], 0 offset:464
	;; [unrolled: 1-line block ×4, first 2 shown]
.LBB94_471:
	s_or_b32 exec_lo, exec_lo, s8
	v_mov_b32_e32 v4, s6
	s_mov_b32 s8, exec_lo
                                        ; implicit-def: $sgpr40
	s_clause 0x3
	buffer_load_dword v1, v4, s[0:3], 0 offen
	buffer_load_dword v2, v4, s[0:3], 0 offen offset:4
	buffer_load_dword v3, v4, s[0:3], 0 offen offset:8
	;; [unrolled: 1-line block ×3, first 2 shown]
	s_waitcnt vmcnt(0)
	ds_write_b128 v68, v[1:4]
	s_waitcnt lgkmcnt(0)
	s_waitcnt_vscnt null, 0x0
	s_barrier
	buffer_gl0_inv
                                        ; implicit-def: $vgpr1_vgpr2
	v_cmpx_ne_u32_e32 30, v0
	s_cbranch_execz .LBB94_479
; %bb.472:
	ds_read_b128 v[1:4], v68
	v_cmp_ne_u32_e32 vcc_lo, 1, v69
	s_cbranch_vccnz .LBB94_474
; %bb.473:
	s_clause 0x3
	buffer_load_dword v68, v67, s[0:3], 0 offen offset:8
	buffer_load_dword v69, v67, s[0:3], 0 offen offset:12
	buffer_load_dword v70, v67, s[0:3], 0 offen
	buffer_load_dword v71, v67, s[0:3], 0 offen offset:4
	s_waitcnt vmcnt(2) lgkmcnt(0)
	v_mul_f64 v[74:75], v[3:4], v[68:69]
	v_mul_f64 v[67:68], v[1:2], v[68:69]
	s_waitcnt vmcnt(0)
	v_fma_f64 v[1:2], v[1:2], v[70:71], -v[74:75]
	v_fma_f64 v[3:4], v[3:4], v[70:71], v[67:68]
.LBB94_474:
	s_and_saveexec_b32 s38, s4
	s_cbranch_execz .LBB94_478
; %bb.475:
	v_add_nc_u32_e32 v67, 0x200, v73
	v_add3_u32 v68, 0, v73, 16
	s_mov_b32 s4, 0
	.p2align	6
.LBB94_476:                             ; =>This Inner Loop Header: Depth=1
	s_clause 0x3
	buffer_load_dword v73, v68, s[0:3], 0 offen offset:8
	buffer_load_dword v74, v68, s[0:3], 0 offen offset:12
	buffer_load_dword v75, v68, s[0:3], 0 offen
	buffer_load_dword v76, v68, s[0:3], 0 offen offset:4
	ds_read_b128 v[69:72], v67
	v_add_nc_u32_e32 v0, 1, v0
	v_add_nc_u32_e32 v67, 16, v67
	;; [unrolled: 1-line block ×3, first 2 shown]
	v_cmp_lt_u32_e32 vcc_lo, 28, v0
	s_or_b32 s4, vcc_lo, s4
	s_waitcnt vmcnt(2) lgkmcnt(0)
	v_mul_f64 v[77:78], v[71:72], v[73:74]
	v_mul_f64 v[73:74], v[69:70], v[73:74]
	s_waitcnt vmcnt(0)
	v_fma_f64 v[69:70], v[69:70], v[75:76], -v[77:78]
	v_fma_f64 v[71:72], v[71:72], v[75:76], v[73:74]
	v_add_f64 v[1:2], v[1:2], v[69:70]
	v_add_f64 v[3:4], v[3:4], v[71:72]
	s_andn2_b32 exec_lo, exec_lo, s4
	s_cbranch_execnz .LBB94_476
; %bb.477:
	s_or_b32 exec_lo, exec_lo, s4
.LBB94_478:
	s_or_b32 exec_lo, exec_lo, s38
	v_mov_b32_e32 v0, 0
	s_movk_i32 s40, 0x1e8
	s_or_b32 s5, s5, exec_lo
	ds_read_b128 v[67:70], v0 offset:480
	s_waitcnt lgkmcnt(0)
	v_mul_f64 v[71:72], v[3:4], v[69:70]
	v_mul_f64 v[69:70], v[1:2], v[69:70]
	v_fma_f64 v[71:72], v[1:2], v[67:68], -v[71:72]
	v_fma_f64 v[1:2], v[3:4], v[67:68], v[69:70]
	buffer_store_dword v72, off, s[0:3], 0 offset:484
	buffer_store_dword v71, off, s[0:3], 0 offset:480
.LBB94_479:
	s_or_b32 exec_lo, exec_lo, s8
.LBB94_480:
	s_and_saveexec_b32 s4, s5
	s_cbranch_execz .LBB94_482
; %bb.481:
	v_mov_b32_e32 v0, s40
	buffer_store_dword v2, v0, s[0:3], 0 offen offset:4
	buffer_store_dword v1, v0, s[0:3], 0 offen
.LBB94_482:
	s_or_b32 exec_lo, exec_lo, s4
	s_clause 0x3
	buffer_load_dword v0, off, s[0:3], 0
	buffer_load_dword v1, off, s[0:3], 0 offset:4
	buffer_load_dword v2, off, s[0:3], 0 offset:8
	;; [unrolled: 1-line block ×3, first 2 shown]
	v_mov_b32_e32 v4, s37
	s_waitcnt vmcnt(0)
	flat_store_dwordx4 v[5:6], v[0:3]
	s_clause 0x3
	buffer_load_dword v0, v4, s[0:3], 0 offen
	buffer_load_dword v1, v4, s[0:3], 0 offen offset:4
	buffer_load_dword v2, v4, s[0:3], 0 offen offset:8
	buffer_load_dword v3, v4, s[0:3], 0 offen offset:12
	v_mov_b32_e32 v4, s36
	s_waitcnt vmcnt(0)
	flat_store_dwordx4 v[59:60], v[0:3]
	s_clause 0x3
	buffer_load_dword v0, v4, s[0:3], 0 offen
	buffer_load_dword v1, v4, s[0:3], 0 offen offset:4
	buffer_load_dword v2, v4, s[0:3], 0 offen offset:8
	buffer_load_dword v3, v4, s[0:3], 0 offen offset:12
	;; [unrolled: 8-line block ×30, first 2 shown]
	s_waitcnt vmcnt(0)
	flat_store_dwordx4 v[65:66], v[0:3]
.LBB94_483:
	s_endpgm
	.section	.rodata,"a",@progbits
	.p2align	6, 0x0
	.amdhsa_kernel _ZN9rocsolver6v33100L18trti2_kernel_smallILi31E19rocblas_complex_numIdEPKPS3_EEv13rocblas_fill_17rocblas_diagonal_T1_iil
		.amdhsa_group_segment_fixed_size 992
		.amdhsa_private_segment_fixed_size 512
		.amdhsa_kernarg_size 32
		.amdhsa_user_sgpr_count 6
		.amdhsa_user_sgpr_private_segment_buffer 1
		.amdhsa_user_sgpr_dispatch_ptr 0
		.amdhsa_user_sgpr_queue_ptr 0
		.amdhsa_user_sgpr_kernarg_segment_ptr 1
		.amdhsa_user_sgpr_dispatch_id 0
		.amdhsa_user_sgpr_flat_scratch_init 0
		.amdhsa_user_sgpr_private_segment_size 0
		.amdhsa_wavefront_size32 1
		.amdhsa_uses_dynamic_stack 0
		.amdhsa_system_sgpr_private_segment_wavefront_offset 1
		.amdhsa_system_sgpr_workgroup_id_x 1
		.amdhsa_system_sgpr_workgroup_id_y 0
		.amdhsa_system_sgpr_workgroup_id_z 0
		.amdhsa_system_sgpr_workgroup_info 0
		.amdhsa_system_vgpr_workitem_id 0
		.amdhsa_next_free_vgpr 84
		.amdhsa_next_free_sgpr 51
		.amdhsa_reserve_vcc 1
		.amdhsa_reserve_flat_scratch 0
		.amdhsa_float_round_mode_32 0
		.amdhsa_float_round_mode_16_64 0
		.amdhsa_float_denorm_mode_32 3
		.amdhsa_float_denorm_mode_16_64 3
		.amdhsa_dx10_clamp 1
		.amdhsa_ieee_mode 1
		.amdhsa_fp16_overflow 0
		.amdhsa_workgroup_processor_mode 1
		.amdhsa_memory_ordered 1
		.amdhsa_forward_progress 1
		.amdhsa_shared_vgpr_count 0
		.amdhsa_exception_fp_ieee_invalid_op 0
		.amdhsa_exception_fp_denorm_src 0
		.amdhsa_exception_fp_ieee_div_zero 0
		.amdhsa_exception_fp_ieee_overflow 0
		.amdhsa_exception_fp_ieee_underflow 0
		.amdhsa_exception_fp_ieee_inexact 0
		.amdhsa_exception_int_div_zero 0
	.end_amdhsa_kernel
	.section	.text._ZN9rocsolver6v33100L18trti2_kernel_smallILi31E19rocblas_complex_numIdEPKPS3_EEv13rocblas_fill_17rocblas_diagonal_T1_iil,"axG",@progbits,_ZN9rocsolver6v33100L18trti2_kernel_smallILi31E19rocblas_complex_numIdEPKPS3_EEv13rocblas_fill_17rocblas_diagonal_T1_iil,comdat
.Lfunc_end94:
	.size	_ZN9rocsolver6v33100L18trti2_kernel_smallILi31E19rocblas_complex_numIdEPKPS3_EEv13rocblas_fill_17rocblas_diagonal_T1_iil, .Lfunc_end94-_ZN9rocsolver6v33100L18trti2_kernel_smallILi31E19rocblas_complex_numIdEPKPS3_EEv13rocblas_fill_17rocblas_diagonal_T1_iil
                                        ; -- End function
	.set _ZN9rocsolver6v33100L18trti2_kernel_smallILi31E19rocblas_complex_numIdEPKPS3_EEv13rocblas_fill_17rocblas_diagonal_T1_iil.num_vgpr, 84
	.set _ZN9rocsolver6v33100L18trti2_kernel_smallILi31E19rocblas_complex_numIdEPKPS3_EEv13rocblas_fill_17rocblas_diagonal_T1_iil.num_agpr, 0
	.set _ZN9rocsolver6v33100L18trti2_kernel_smallILi31E19rocblas_complex_numIdEPKPS3_EEv13rocblas_fill_17rocblas_diagonal_T1_iil.numbered_sgpr, 51
	.set _ZN9rocsolver6v33100L18trti2_kernel_smallILi31E19rocblas_complex_numIdEPKPS3_EEv13rocblas_fill_17rocblas_diagonal_T1_iil.num_named_barrier, 0
	.set _ZN9rocsolver6v33100L18trti2_kernel_smallILi31E19rocblas_complex_numIdEPKPS3_EEv13rocblas_fill_17rocblas_diagonal_T1_iil.private_seg_size, 512
	.set _ZN9rocsolver6v33100L18trti2_kernel_smallILi31E19rocblas_complex_numIdEPKPS3_EEv13rocblas_fill_17rocblas_diagonal_T1_iil.uses_vcc, 1
	.set _ZN9rocsolver6v33100L18trti2_kernel_smallILi31E19rocblas_complex_numIdEPKPS3_EEv13rocblas_fill_17rocblas_diagonal_T1_iil.uses_flat_scratch, 0
	.set _ZN9rocsolver6v33100L18trti2_kernel_smallILi31E19rocblas_complex_numIdEPKPS3_EEv13rocblas_fill_17rocblas_diagonal_T1_iil.has_dyn_sized_stack, 0
	.set _ZN9rocsolver6v33100L18trti2_kernel_smallILi31E19rocblas_complex_numIdEPKPS3_EEv13rocblas_fill_17rocblas_diagonal_T1_iil.has_recursion, 0
	.set _ZN9rocsolver6v33100L18trti2_kernel_smallILi31E19rocblas_complex_numIdEPKPS3_EEv13rocblas_fill_17rocblas_diagonal_T1_iil.has_indirect_call, 0
	.section	.AMDGPU.csdata,"",@progbits
; Kernel info:
; codeLenInByte = 31296
; TotalNumSgprs: 53
; NumVgprs: 84
; ScratchSize: 512
; MemoryBound: 0
; FloatMode: 240
; IeeeMode: 1
; LDSByteSize: 992 bytes/workgroup (compile time only)
; SGPRBlocks: 0
; VGPRBlocks: 10
; NumSGPRsForWavesPerEU: 53
; NumVGPRsForWavesPerEU: 84
; Occupancy: 10
; WaveLimiterHint : 1
; COMPUTE_PGM_RSRC2:SCRATCH_EN: 1
; COMPUTE_PGM_RSRC2:USER_SGPR: 6
; COMPUTE_PGM_RSRC2:TRAP_HANDLER: 0
; COMPUTE_PGM_RSRC2:TGID_X_EN: 1
; COMPUTE_PGM_RSRC2:TGID_Y_EN: 0
; COMPUTE_PGM_RSRC2:TGID_Z_EN: 0
; COMPUTE_PGM_RSRC2:TIDIG_COMP_CNT: 0
	.section	.text._ZN9rocsolver6v33100L18trti2_kernel_smallILi32E19rocblas_complex_numIdEPKPS3_EEv13rocblas_fill_17rocblas_diagonal_T1_iil,"axG",@progbits,_ZN9rocsolver6v33100L18trti2_kernel_smallILi32E19rocblas_complex_numIdEPKPS3_EEv13rocblas_fill_17rocblas_diagonal_T1_iil,comdat
	.globl	_ZN9rocsolver6v33100L18trti2_kernel_smallILi32E19rocblas_complex_numIdEPKPS3_EEv13rocblas_fill_17rocblas_diagonal_T1_iil ; -- Begin function _ZN9rocsolver6v33100L18trti2_kernel_smallILi32E19rocblas_complex_numIdEPKPS3_EEv13rocblas_fill_17rocblas_diagonal_T1_iil
	.p2align	8
	.type	_ZN9rocsolver6v33100L18trti2_kernel_smallILi32E19rocblas_complex_numIdEPKPS3_EEv13rocblas_fill_17rocblas_diagonal_T1_iil,@function
_ZN9rocsolver6v33100L18trti2_kernel_smallILi32E19rocblas_complex_numIdEPKPS3_EEv13rocblas_fill_17rocblas_diagonal_T1_iil: ; @_ZN9rocsolver6v33100L18trti2_kernel_smallILi32E19rocblas_complex_numIdEPKPS3_EEv13rocblas_fill_17rocblas_diagonal_T1_iil
; %bb.0:
	s_add_u32 s0, s0, s7
	s_addc_u32 s1, s1, 0
	s_mov_b32 s7, exec_lo
	v_cmpx_gt_u32_e32 32, v0
	s_cbranch_execz .LBB95_499
; %bb.1:
	s_clause 0x1
	s_load_dwordx2 s[12:13], s[4:5], 0x10
	s_load_dwordx4 s[8:11], s[4:5], 0x0
	s_ashr_i32 s7, s6, 31
	v_lshlrev_b32_e32 v75, 4, v0
	s_lshl_b64 s[4:5], s[6:7], 3
	s_movk_i32 s14, 0xd0
	s_movk_i32 s15, 0xe0
	;; [unrolled: 1-line block ×15, first 2 shown]
	s_waitcnt lgkmcnt(0)
	s_ashr_i32 s7, s12, 31
	s_add_u32 s4, s10, s4
	s_addc_u32 s5, s11, s5
	s_mov_b32 s6, s12
	s_load_dwordx2 s[4:5], s[4:5], 0x0
	s_lshl_b64 s[6:7], s[6:7], 4
	v_add3_u32 v7, s13, s13, v0
	s_movk_i32 s10, 0x90
	s_movk_i32 s11, 0xa0
	s_movk_i32 s12, 0xb0
	s_movk_i32 s49, 0x1c0
	v_ashrrev_i32_e32 v8, 31, v7
	s_movk_i32 s50, 0x1d0
	s_movk_i32 s51, 0x1e0
	;; [unrolled: 1-line block ×3, first 2 shown]
	v_lshlrev_b64 v[8:9], 4, v[7:8]
	v_add_nc_u32_e32 v7, s13, v7
	s_waitcnt lgkmcnt(0)
	s_add_u32 s6, s4, s6
	s_addc_u32 s7, s5, s7
	v_add_co_u32 v5, s4, s6, v75
	v_add_co_ci_u32_e64 v6, null, s7, 0, s4
	s_mov_b32 s4, s13
	s_ashr_i32 s5, s13, 31
	s_lshl_b64 s[4:5], s[4:5], 4
	flat_load_dwordx4 v[1:4], v[5:6]
	v_add_co_u32 v59, vcc_lo, v5, s4
	v_add_co_ci_u32_e64 v60, null, s5, v6, vcc_lo
	v_add_co_u32 v57, vcc_lo, s6, v8
	v_add_co_ci_u32_e64 v58, null, s7, v9, vcc_lo
	v_ashrrev_i32_e32 v8, 31, v7
	s_cmpk_lg_i32 s9, 0x84
	s_movk_i32 s4, 0x50
	s_movk_i32 s5, 0x60
	s_cselect_b32 s40, -1, 0
	v_lshlrev_b64 v[8:9], 4, v[7:8]
	v_add_nc_u32_e32 v7, s13, v7
	s_cmpk_eq_i32 s9, 0x84
	s_waitcnt vmcnt(0) lgkmcnt(0)
	buffer_store_dword v4, off, s[0:3], 0 offset:12
	buffer_store_dword v3, off, s[0:3], 0 offset:8
	;; [unrolled: 1-line block ×3, first 2 shown]
	buffer_store_dword v1, off, s[0:3], 0
	flat_load_dwordx4 v[1:4], v[59:60]
	v_add_co_u32 v55, vcc_lo, s6, v8
	v_add_co_ci_u32_e64 v56, null, s7, v9, vcc_lo
	v_ashrrev_i32_e32 v8, 31, v7
	s_waitcnt vmcnt(0) lgkmcnt(0)
	buffer_store_dword v4, off, s[0:3], 0 offset:28
	buffer_store_dword v3, off, s[0:3], 0 offset:24
	;; [unrolled: 1-line block ×4, first 2 shown]
	flat_load_dwordx4 v[1:4], v[57:58]
	v_lshlrev_b64 v[8:9], 4, v[7:8]
	v_add_nc_u32_e32 v7, s13, v7
	s_waitcnt vmcnt(0) lgkmcnt(0)
	buffer_store_dword v4, off, s[0:3], 0 offset:44
	buffer_store_dword v3, off, s[0:3], 0 offset:40
	;; [unrolled: 1-line block ×4, first 2 shown]
	flat_load_dwordx4 v[1:4], v[55:56]
	v_add_co_u32 v53, vcc_lo, s6, v8
	v_add_co_ci_u32_e64 v54, null, s7, v9, vcc_lo
	v_ashrrev_i32_e32 v8, 31, v7
	s_waitcnt vmcnt(0) lgkmcnt(0)
	buffer_store_dword v4, off, s[0:3], 0 offset:60
	buffer_store_dword v3, off, s[0:3], 0 offset:56
	;; [unrolled: 1-line block ×4, first 2 shown]
	flat_load_dwordx4 v[1:4], v[53:54]
	v_lshlrev_b64 v[8:9], 4, v[7:8]
	v_add_nc_u32_e32 v7, s13, v7
	s_waitcnt vmcnt(0) lgkmcnt(0)
	buffer_store_dword v4, off, s[0:3], 0 offset:76
	buffer_store_dword v3, off, s[0:3], 0 offset:72
	;; [unrolled: 1-line block ×4, first 2 shown]
	v_add_co_u32 v49, vcc_lo, s6, v8
	v_add_co_ci_u32_e64 v50, null, s7, v9, vcc_lo
	v_ashrrev_i32_e32 v8, 31, v7
	flat_load_dwordx4 v[1:4], v[49:50]
	s_waitcnt vmcnt(0) lgkmcnt(0)
	buffer_store_dword v4, off, s[0:3], 0 offset:92
	buffer_store_dword v3, off, s[0:3], 0 offset:88
	buffer_store_dword v2, off, s[0:3], 0 offset:84
	buffer_store_dword v1, off, s[0:3], 0 offset:80
	v_lshlrev_b64 v[8:9], 4, v[7:8]
	v_add_nc_u32_e32 v7, s13, v7
	v_add_co_u32 v47, vcc_lo, s6, v8
	v_add_co_ci_u32_e64 v48, null, s7, v9, vcc_lo
	v_ashrrev_i32_e32 v8, 31, v7
	flat_load_dwordx4 v[1:4], v[47:48]
	s_waitcnt vmcnt(0) lgkmcnt(0)
	buffer_store_dword v4, off, s[0:3], 0 offset:108
	buffer_store_dword v3, off, s[0:3], 0 offset:104
	buffer_store_dword v2, off, s[0:3], 0 offset:100
	buffer_store_dword v1, off, s[0:3], 0 offset:96
	v_lshlrev_b64 v[8:9], 4, v[7:8]
	v_add_nc_u32_e32 v7, s13, v7
	;; [unrolled: 11-line block ×18, first 2 shown]
	v_add_co_u32 v11, vcc_lo, s6, v8
	v_add_co_ci_u32_e64 v12, null, s7, v9, vcc_lo
	v_ashrrev_i32_e32 v8, 31, v7
	v_add_nc_u32_e32 v33, s13, v7
	flat_load_dwordx4 v[1:4], v[11:12]
	s_waitcnt vmcnt(0) lgkmcnt(0)
	buffer_store_dword v4, off, s[0:3], 0 offset:380
	buffer_store_dword v3, off, s[0:3], 0 offset:376
	;; [unrolled: 1-line block ×4, first 2 shown]
	v_lshlrev_b64 v[9:10], 4, v[7:8]
	v_ashrrev_i32_e32 v34, 31, v33
	v_add_nc_u32_e32 v51, s13, v33
	v_add_co_u32 v9, vcc_lo, s6, v9
	v_add_co_ci_u32_e64 v10, null, s7, v10, vcc_lo
	v_lshlrev_b64 v[7:8], 4, v[33:34]
	v_ashrrev_i32_e32 v52, 31, v51
	v_add_nc_u32_e32 v61, s13, v51
	flat_load_dwordx4 v[1:4], v[9:10]
	s_waitcnt vmcnt(0) lgkmcnt(0)
	buffer_store_dword v4, off, s[0:3], 0 offset:396
	buffer_store_dword v3, off, s[0:3], 0 offset:392
	buffer_store_dword v2, off, s[0:3], 0 offset:388
	buffer_store_dword v1, off, s[0:3], 0 offset:384
	v_add_co_u32 v7, vcc_lo, s6, v7
	v_add_co_ci_u32_e64 v8, null, s7, v8, vcc_lo
	v_lshlrev_b64 v[33:34], 4, v[51:52]
	v_ashrrev_i32_e32 v62, 31, v61
	v_add_nc_u32_e32 v63, s13, v61
	flat_load_dwordx4 v[1:4], v[7:8]
	s_waitcnt vmcnt(0) lgkmcnt(0)
	buffer_store_dword v4, off, s[0:3], 0 offset:412
	buffer_store_dword v3, off, s[0:3], 0 offset:408
	buffer_store_dword v2, off, s[0:3], 0 offset:404
	buffer_store_dword v1, off, s[0:3], 0 offset:400
	;; [unrolled: 11-line block ×4, first 2 shown]
	v_add_co_u32 v61, vcc_lo, s6, v61
	v_add_co_ci_u32_e64 v62, null, s7, v62, vcc_lo
	v_lshlrev_b64 v[63:64], 4, v[65:66]
	v_ashrrev_i32_e32 v68, 31, v67
	flat_load_dwordx4 v[1:4], v[61:62]
	s_waitcnt vmcnt(0) lgkmcnt(0)
	buffer_store_dword v4, off, s[0:3], 0 offset:460
	buffer_store_dword v3, off, s[0:3], 0 offset:456
	;; [unrolled: 1-line block ×4, first 2 shown]
	v_add_co_u32 v63, vcc_lo, s6, v63
	v_add_co_ci_u32_e64 v64, null, s7, v64, vcc_lo
	v_lshlrev_b64 v[65:66], 4, v[67:68]
	v_add_nc_u32_e32 v67, s13, v67
	s_movk_i32 s13, 0xc0
	flat_load_dwordx4 v[1:4], v[63:64]
	s_waitcnt vmcnt(0) lgkmcnt(0)
	buffer_store_dword v4, off, s[0:3], 0 offset:476
	buffer_store_dword v3, off, s[0:3], 0 offset:472
	;; [unrolled: 1-line block ×4, first 2 shown]
	v_add_co_u32 v65, vcc_lo, s6, v65
	v_add_co_ci_u32_e64 v66, null, s7, v66, vcc_lo
	v_ashrrev_i32_e32 v68, 31, v67
	flat_load_dwordx4 v[1:4], v[65:66]
	s_waitcnt vmcnt(0) lgkmcnt(0)
	buffer_store_dword v4, off, s[0:3], 0 offset:492
	buffer_store_dword v3, off, s[0:3], 0 offset:488
	;; [unrolled: 1-line block ×4, first 2 shown]
	v_lshlrev_b64 v[67:68], 4, v[67:68]
	v_add_co_u32 v67, vcc_lo, s6, v67
	v_add_co_ci_u32_e64 v68, null, s7, v68, vcc_lo
	s_movk_i32 s6, 0x70
	s_movk_i32 s7, 0x80
	flat_load_dwordx4 v[1:4], v[67:68]
	s_waitcnt vmcnt(0) lgkmcnt(0)
	buffer_store_dword v4, off, s[0:3], 0 offset:508
	buffer_store_dword v3, off, s[0:3], 0 offset:504
	buffer_store_dword v2, off, s[0:3], 0 offset:500
	buffer_store_dword v1, off, s[0:3], 0 offset:496
	s_cbranch_scc1 .LBB95_7
; %bb.2:
	v_lshl_add_u32 v76, v0, 4, 0
                                        ; implicit-def: $vgpr71_vgpr72
                                        ; implicit-def: $vgpr3_vgpr4
	s_clause 0x3
	buffer_load_dword v69, v76, s[0:3], 0 offen
	buffer_load_dword v70, v76, s[0:3], 0 offen offset:4
	buffer_load_dword v73, v76, s[0:3], 0 offen offset:8
	buffer_load_dword v74, v76, s[0:3], 0 offen offset:12
	s_waitcnt vmcnt(0)
	v_cmp_ngt_f64_e64 s9, |v[69:70]|, |v[73:74]|
	s_and_saveexec_b32 s21, s9
	s_xor_b32 s9, exec_lo, s21
	s_cbranch_execz .LBB95_4
; %bb.3:
	v_div_scale_f64 v[1:2], null, v[73:74], v[73:74], v[69:70]
	v_div_scale_f64 v[77:78], vcc_lo, v[69:70], v[73:74], v[69:70]
	v_rcp_f64_e32 v[3:4], v[1:2]
	v_fma_f64 v[71:72], -v[1:2], v[3:4], 1.0
	v_fma_f64 v[3:4], v[3:4], v[71:72], v[3:4]
	v_fma_f64 v[71:72], -v[1:2], v[3:4], 1.0
	v_fma_f64 v[3:4], v[3:4], v[71:72], v[3:4]
	v_mul_f64 v[71:72], v[77:78], v[3:4]
	v_fma_f64 v[1:2], -v[1:2], v[71:72], v[77:78]
	v_div_fmas_f64 v[1:2], v[1:2], v[3:4], v[71:72]
	v_div_fixup_f64 v[1:2], v[1:2], v[73:74], v[69:70]
	v_fma_f64 v[3:4], v[69:70], v[1:2], v[73:74]
	v_div_scale_f64 v[69:70], null, v[3:4], v[3:4], 1.0
	v_div_scale_f64 v[77:78], vcc_lo, 1.0, v[3:4], 1.0
	v_rcp_f64_e32 v[71:72], v[69:70]
	v_fma_f64 v[73:74], -v[69:70], v[71:72], 1.0
	v_fma_f64 v[71:72], v[71:72], v[73:74], v[71:72]
	v_fma_f64 v[73:74], -v[69:70], v[71:72], 1.0
	v_fma_f64 v[71:72], v[71:72], v[73:74], v[71:72]
	v_mul_f64 v[73:74], v[77:78], v[71:72]
	v_fma_f64 v[69:70], -v[69:70], v[73:74], v[77:78]
	v_div_fmas_f64 v[69:70], v[69:70], v[71:72], v[73:74]
                                        ; implicit-def: $vgpr73_vgpr74
	v_div_fixup_f64 v[3:4], v[69:70], v[3:4], 1.0
                                        ; implicit-def: $vgpr69_vgpr70
	v_mul_f64 v[71:72], v[1:2], v[3:4]
	v_xor_b32_e32 v4, 0x80000000, v4
	v_xor_b32_e32 v2, 0x80000000, v72
	v_mov_b32_e32 v1, v71
.LBB95_4:
	s_andn2_saveexec_b32 s9, s9
	s_cbranch_execz .LBB95_6
; %bb.5:
	v_div_scale_f64 v[1:2], null, v[69:70], v[69:70], v[73:74]
	v_div_scale_f64 v[77:78], vcc_lo, v[73:74], v[69:70], v[73:74]
	v_rcp_f64_e32 v[3:4], v[1:2]
	v_fma_f64 v[71:72], -v[1:2], v[3:4], 1.0
	v_fma_f64 v[3:4], v[3:4], v[71:72], v[3:4]
	v_fma_f64 v[71:72], -v[1:2], v[3:4], 1.0
	v_fma_f64 v[3:4], v[3:4], v[71:72], v[3:4]
	v_mul_f64 v[71:72], v[77:78], v[3:4]
	v_fma_f64 v[1:2], -v[1:2], v[71:72], v[77:78]
	v_div_fmas_f64 v[1:2], v[1:2], v[3:4], v[71:72]
	v_div_fixup_f64 v[1:2], v[1:2], v[69:70], v[73:74]
	v_fma_f64 v[3:4], v[73:74], v[1:2], v[69:70]
	v_div_scale_f64 v[69:70], null, v[3:4], v[3:4], 1.0
	v_rcp_f64_e32 v[71:72], v[69:70]
	v_fma_f64 v[73:74], -v[69:70], v[71:72], 1.0
	v_fma_f64 v[71:72], v[71:72], v[73:74], v[71:72]
	v_fma_f64 v[73:74], -v[69:70], v[71:72], 1.0
	v_fma_f64 v[71:72], v[71:72], v[73:74], v[71:72]
	v_div_scale_f64 v[73:74], vcc_lo, 1.0, v[3:4], 1.0
	v_mul_f64 v[77:78], v[73:74], v[71:72]
	v_fma_f64 v[69:70], -v[69:70], v[77:78], v[73:74]
	v_div_fmas_f64 v[69:70], v[69:70], v[71:72], v[77:78]
	v_div_fixup_f64 v[71:72], v[69:70], v[3:4], 1.0
	v_mul_f64 v[3:4], v[1:2], -v[71:72]
	v_xor_b32_e32 v2, 0x80000000, v72
	v_mov_b32_e32 v1, v71
.LBB95_6:
	s_or_b32 exec_lo, exec_lo, s9
	buffer_store_dword v4, v76, s[0:3], 0 offen offset:12
	v_xor_b32_e32 v4, 0x80000000, v4
	buffer_store_dword v72, v76, s[0:3], 0 offen offset:4
	buffer_store_dword v71, v76, s[0:3], 0 offen
	buffer_store_dword v3, v76, s[0:3], 0 offen offset:8
	s_branch .LBB95_8
.LBB95_7:
	v_mov_b32_e32 v1, 0
	v_mov_b32_e32 v3, 0
	v_mov_b32_e32 v2, 0xbff00000
	v_mov_b32_e32 v4, 0
.LBB95_8:
	v_add_nc_u32_e32 v70, 0x200, v75
	v_mov_b32_e32 v69, v75
	s_mov_b32 s39, 16
	s_mov_b32 s38, 32
	;; [unrolled: 1-line block ×30, first 2 shown]
	s_cmpk_eq_i32 s8, 0x79
	ds_write_b128 v75, v[1:4]
	s_cbranch_scc1 .LBB95_252
; %bb.9:
	v_mov_b32_e32 v4, s9
	v_cmp_eq_u32_e64 s4, 31, v0
	s_clause 0x3
	buffer_load_dword v1, v4, s[0:3], 0 offen
	buffer_load_dword v2, v4, s[0:3], 0 offen offset:4
	buffer_load_dword v3, v4, s[0:3], 0 offen offset:8
	;; [unrolled: 1-line block ×3, first 2 shown]
	s_waitcnt vmcnt(0)
	ds_write_b128 v70, v[1:4]
	s_waitcnt lgkmcnt(0)
	s_waitcnt_vscnt null, 0x0
	s_barrier
	buffer_gl0_inv
	s_and_saveexec_b32 s5, s4
	s_cbranch_execz .LBB95_13
; %bb.10:
	ds_read_b128 v[1:4], v70
	s_andn2_b32 vcc_lo, exec_lo, s40
	s_cbranch_vccnz .LBB95_12
; %bb.11:
	s_clause 0x3
	buffer_load_dword v71, v69, s[0:3], 0 offen offset:8
	buffer_load_dword v72, v69, s[0:3], 0 offen offset:12
	buffer_load_dword v73, v69, s[0:3], 0 offen
	buffer_load_dword v74, v69, s[0:3], 0 offen offset:4
	s_waitcnt vmcnt(2) lgkmcnt(0)
	v_mul_f64 v[76:77], v[3:4], v[71:72]
	v_mul_f64 v[71:72], v[1:2], v[71:72]
	s_waitcnt vmcnt(0)
	v_fma_f64 v[1:2], v[1:2], v[73:74], -v[76:77]
	v_fma_f64 v[3:4], v[3:4], v[73:74], v[71:72]
.LBB95_12:
	v_mov_b32_e32 v71, 0
	ds_read_b128 v[71:74], v71 offset:480
	s_waitcnt lgkmcnt(0)
	v_mul_f64 v[76:77], v[3:4], v[73:74]
	v_mul_f64 v[73:74], v[1:2], v[73:74]
	v_fma_f64 v[1:2], v[1:2], v[71:72], -v[76:77]
	v_fma_f64 v[3:4], v[3:4], v[71:72], v[73:74]
	buffer_store_dword v2, off, s[0:3], 0 offset:484
	buffer_store_dword v1, off, s[0:3], 0 offset:480
	;; [unrolled: 1-line block ×4, first 2 shown]
.LBB95_13:
	s_or_b32 exec_lo, exec_lo, s5
	v_mov_b32_e32 v4, s10
	v_cmp_lt_u32_e64 s5, 29, v0
	s_clause 0x3
	buffer_load_dword v1, v4, s[0:3], 0 offen
	buffer_load_dword v2, v4, s[0:3], 0 offen offset:4
	buffer_load_dword v3, v4, s[0:3], 0 offen offset:8
	;; [unrolled: 1-line block ×3, first 2 shown]
	s_waitcnt vmcnt(0)
	ds_write_b128 v70, v[1:4]
	s_waitcnt lgkmcnt(0)
	s_waitcnt_vscnt null, 0x0
	s_barrier
	buffer_gl0_inv
	s_and_saveexec_b32 s6, s5
	s_cbranch_execz .LBB95_19
; %bb.14:
	ds_read_b128 v[1:4], v70
	s_andn2_b32 vcc_lo, exec_lo, s40
	s_cbranch_vccnz .LBB95_16
; %bb.15:
	s_clause 0x3
	buffer_load_dword v71, v69, s[0:3], 0 offen offset:8
	buffer_load_dword v72, v69, s[0:3], 0 offen offset:12
	buffer_load_dword v73, v69, s[0:3], 0 offen
	buffer_load_dword v74, v69, s[0:3], 0 offen offset:4
	s_waitcnt vmcnt(2) lgkmcnt(0)
	v_mul_f64 v[76:77], v[3:4], v[71:72]
	v_mul_f64 v[71:72], v[1:2], v[71:72]
	s_waitcnt vmcnt(0)
	v_fma_f64 v[1:2], v[1:2], v[73:74], -v[76:77]
	v_fma_f64 v[3:4], v[3:4], v[73:74], v[71:72]
.LBB95_16:
	s_and_saveexec_b32 s8, s4
	s_cbranch_execz .LBB95_18
; %bb.17:
	s_clause 0x3
	buffer_load_dword v76, off, s[0:3], 0 offset:488
	buffer_load_dword v77, off, s[0:3], 0 offset:492
	buffer_load_dword v78, off, s[0:3], 0 offset:480
	buffer_load_dword v79, off, s[0:3], 0 offset:484
	v_mov_b32_e32 v71, 0
	ds_read_b128 v[71:74], v71 offset:992
	s_waitcnt vmcnt(2) lgkmcnt(0)
	v_mul_f64 v[80:81], v[71:72], v[76:77]
	v_mul_f64 v[76:77], v[73:74], v[76:77]
	s_waitcnt vmcnt(0)
	v_fma_f64 v[73:74], v[73:74], v[78:79], v[80:81]
	v_fma_f64 v[71:72], v[71:72], v[78:79], -v[76:77]
	v_add_f64 v[3:4], v[3:4], v[73:74]
	v_add_f64 v[1:2], v[1:2], v[71:72]
.LBB95_18:
	s_or_b32 exec_lo, exec_lo, s8
	v_mov_b32_e32 v71, 0
	ds_read_b128 v[71:74], v71 offset:464
	s_waitcnt lgkmcnt(0)
	v_mul_f64 v[76:77], v[3:4], v[73:74]
	v_mul_f64 v[73:74], v[1:2], v[73:74]
	v_fma_f64 v[1:2], v[1:2], v[71:72], -v[76:77]
	v_fma_f64 v[3:4], v[3:4], v[71:72], v[73:74]
	buffer_store_dword v2, off, s[0:3], 0 offset:468
	buffer_store_dword v1, off, s[0:3], 0 offset:464
	;; [unrolled: 1-line block ×4, first 2 shown]
.LBB95_19:
	s_or_b32 exec_lo, exec_lo, s6
	v_mov_b32_e32 v4, s11
	v_cmp_lt_u32_e64 s4, 28, v0
	s_clause 0x3
	buffer_load_dword v1, v4, s[0:3], 0 offen
	buffer_load_dword v2, v4, s[0:3], 0 offen offset:4
	buffer_load_dword v3, v4, s[0:3], 0 offen offset:8
	;; [unrolled: 1-line block ×3, first 2 shown]
	s_waitcnt vmcnt(0)
	ds_write_b128 v70, v[1:4]
	s_waitcnt lgkmcnt(0)
	s_waitcnt_vscnt null, 0x0
	s_barrier
	buffer_gl0_inv
	s_and_saveexec_b32 s6, s4
	s_cbranch_execz .LBB95_27
; %bb.20:
	ds_read_b128 v[1:4], v70
	s_andn2_b32 vcc_lo, exec_lo, s40
	s_cbranch_vccnz .LBB95_22
; %bb.21:
	s_clause 0x3
	buffer_load_dword v71, v69, s[0:3], 0 offen offset:8
	buffer_load_dword v72, v69, s[0:3], 0 offen offset:12
	buffer_load_dword v73, v69, s[0:3], 0 offen
	buffer_load_dword v74, v69, s[0:3], 0 offen offset:4
	s_waitcnt vmcnt(2) lgkmcnt(0)
	v_mul_f64 v[76:77], v[3:4], v[71:72]
	v_mul_f64 v[71:72], v[1:2], v[71:72]
	s_waitcnt vmcnt(0)
	v_fma_f64 v[1:2], v[1:2], v[73:74], -v[76:77]
	v_fma_f64 v[3:4], v[3:4], v[73:74], v[71:72]
.LBB95_22:
	s_and_saveexec_b32 s8, s5
	s_cbranch_execz .LBB95_26
; %bb.23:
	v_subrev_nc_u32_e32 v71, 29, v0
	s_movk_i32 s41, 0x3d0
	s_mov_b32 s5, 0
	s_mov_b32 s42, s10
	.p2align	6
.LBB95_24:                              ; =>This Inner Loop Header: Depth=1
	v_mov_b32_e32 v74, s42
	v_add_nc_u32_e32 v71, -1, v71
	s_add_i32 s42, s42, 16
	s_clause 0x3
	buffer_load_dword v72, v74, s[0:3], 0 offen offset:8
	buffer_load_dword v73, v74, s[0:3], 0 offen offset:12
	buffer_load_dword v80, v74, s[0:3], 0 offen
	buffer_load_dword v81, v74, s[0:3], 0 offen offset:4
	v_mov_b32_e32 v74, s41
	v_cmp_eq_u32_e32 vcc_lo, 0, v71
	s_add_i32 s41, s41, 16
	ds_read_b128 v[76:79], v74
	s_or_b32 s5, vcc_lo, s5
	s_waitcnt vmcnt(2) lgkmcnt(0)
	v_mul_f64 v[82:83], v[78:79], v[72:73]
	v_mul_f64 v[72:73], v[76:77], v[72:73]
	s_waitcnt vmcnt(0)
	v_fma_f64 v[76:77], v[76:77], v[80:81], -v[82:83]
	v_fma_f64 v[72:73], v[78:79], v[80:81], v[72:73]
	v_add_f64 v[1:2], v[1:2], v[76:77]
	v_add_f64 v[3:4], v[3:4], v[72:73]
	s_andn2_b32 exec_lo, exec_lo, s5
	s_cbranch_execnz .LBB95_24
; %bb.25:
	s_or_b32 exec_lo, exec_lo, s5
.LBB95_26:
	s_or_b32 exec_lo, exec_lo, s8
	v_mov_b32_e32 v71, 0
	ds_read_b128 v[71:74], v71 offset:448
	s_waitcnt lgkmcnt(0)
	v_mul_f64 v[76:77], v[3:4], v[73:74]
	v_mul_f64 v[73:74], v[1:2], v[73:74]
	v_fma_f64 v[1:2], v[1:2], v[71:72], -v[76:77]
	v_fma_f64 v[3:4], v[3:4], v[71:72], v[73:74]
	buffer_store_dword v2, off, s[0:3], 0 offset:452
	buffer_store_dword v1, off, s[0:3], 0 offset:448
	;; [unrolled: 1-line block ×4, first 2 shown]
.LBB95_27:
	s_or_b32 exec_lo, exec_lo, s6
	v_mov_b32_e32 v4, s12
	v_cmp_lt_u32_e64 s5, 27, v0
	s_clause 0x3
	buffer_load_dword v1, v4, s[0:3], 0 offen
	buffer_load_dword v2, v4, s[0:3], 0 offen offset:4
	buffer_load_dword v3, v4, s[0:3], 0 offen offset:8
	;; [unrolled: 1-line block ×3, first 2 shown]
	s_waitcnt vmcnt(0)
	ds_write_b128 v70, v[1:4]
	s_waitcnt lgkmcnt(0)
	s_waitcnt_vscnt null, 0x0
	s_barrier
	buffer_gl0_inv
	s_and_saveexec_b32 s6, s5
	s_cbranch_execz .LBB95_35
; %bb.28:
	ds_read_b128 v[1:4], v70
	s_andn2_b32 vcc_lo, exec_lo, s40
	s_cbranch_vccnz .LBB95_30
; %bb.29:
	s_clause 0x3
	buffer_load_dword v71, v69, s[0:3], 0 offen offset:8
	buffer_load_dword v72, v69, s[0:3], 0 offen offset:12
	buffer_load_dword v73, v69, s[0:3], 0 offen
	buffer_load_dword v74, v69, s[0:3], 0 offen offset:4
	s_waitcnt vmcnt(2) lgkmcnt(0)
	v_mul_f64 v[76:77], v[3:4], v[71:72]
	v_mul_f64 v[71:72], v[1:2], v[71:72]
	s_waitcnt vmcnt(0)
	v_fma_f64 v[1:2], v[1:2], v[73:74], -v[76:77]
	v_fma_f64 v[3:4], v[3:4], v[73:74], v[71:72]
.LBB95_30:
	s_and_saveexec_b32 s8, s4
	s_cbranch_execz .LBB95_34
; %bb.31:
	v_subrev_nc_u32_e32 v71, 28, v0
	s_movk_i32 s41, 0x3c0
	s_mov_b32 s4, 0
	s_mov_b32 s42, s11
	.p2align	6
.LBB95_32:                              ; =>This Inner Loop Header: Depth=1
	v_mov_b32_e32 v74, s42
	v_add_nc_u32_e32 v71, -1, v71
	s_add_i32 s42, s42, 16
	s_clause 0x3
	buffer_load_dword v72, v74, s[0:3], 0 offen offset:8
	buffer_load_dword v73, v74, s[0:3], 0 offen offset:12
	buffer_load_dword v80, v74, s[0:3], 0 offen
	buffer_load_dword v81, v74, s[0:3], 0 offen offset:4
	v_mov_b32_e32 v74, s41
	v_cmp_eq_u32_e32 vcc_lo, 0, v71
	s_add_i32 s41, s41, 16
	ds_read_b128 v[76:79], v74
	s_or_b32 s4, vcc_lo, s4
	s_waitcnt vmcnt(2) lgkmcnt(0)
	v_mul_f64 v[82:83], v[78:79], v[72:73]
	v_mul_f64 v[72:73], v[76:77], v[72:73]
	s_waitcnt vmcnt(0)
	v_fma_f64 v[76:77], v[76:77], v[80:81], -v[82:83]
	v_fma_f64 v[72:73], v[78:79], v[80:81], v[72:73]
	v_add_f64 v[1:2], v[1:2], v[76:77]
	v_add_f64 v[3:4], v[3:4], v[72:73]
	s_andn2_b32 exec_lo, exec_lo, s4
	s_cbranch_execnz .LBB95_32
; %bb.33:
	s_or_b32 exec_lo, exec_lo, s4
.LBB95_34:
	s_or_b32 exec_lo, exec_lo, s8
	v_mov_b32_e32 v71, 0
	ds_read_b128 v[71:74], v71 offset:432
	s_waitcnt lgkmcnt(0)
	v_mul_f64 v[76:77], v[3:4], v[73:74]
	v_mul_f64 v[73:74], v[1:2], v[73:74]
	v_fma_f64 v[1:2], v[1:2], v[71:72], -v[76:77]
	v_fma_f64 v[3:4], v[3:4], v[71:72], v[73:74]
	buffer_store_dword v2, off, s[0:3], 0 offset:436
	buffer_store_dword v1, off, s[0:3], 0 offset:432
	;; [unrolled: 1-line block ×4, first 2 shown]
.LBB95_35:
	s_or_b32 exec_lo, exec_lo, s6
	v_mov_b32_e32 v4, s13
	v_cmp_lt_u32_e64 s4, 26, v0
	s_clause 0x3
	buffer_load_dword v1, v4, s[0:3], 0 offen
	buffer_load_dword v2, v4, s[0:3], 0 offen offset:4
	buffer_load_dword v3, v4, s[0:3], 0 offen offset:8
	;; [unrolled: 1-line block ×3, first 2 shown]
	s_waitcnt vmcnt(0)
	ds_write_b128 v70, v[1:4]
	s_waitcnt lgkmcnt(0)
	s_waitcnt_vscnt null, 0x0
	s_barrier
	buffer_gl0_inv
	s_and_saveexec_b32 s6, s4
	s_cbranch_execz .LBB95_43
; %bb.36:
	ds_read_b128 v[1:4], v70
	s_andn2_b32 vcc_lo, exec_lo, s40
	s_cbranch_vccnz .LBB95_38
; %bb.37:
	s_clause 0x3
	buffer_load_dword v71, v69, s[0:3], 0 offen offset:8
	buffer_load_dword v72, v69, s[0:3], 0 offen offset:12
	buffer_load_dword v73, v69, s[0:3], 0 offen
	buffer_load_dword v74, v69, s[0:3], 0 offen offset:4
	s_waitcnt vmcnt(2) lgkmcnt(0)
	v_mul_f64 v[76:77], v[3:4], v[71:72]
	v_mul_f64 v[71:72], v[1:2], v[71:72]
	s_waitcnt vmcnt(0)
	v_fma_f64 v[1:2], v[1:2], v[73:74], -v[76:77]
	v_fma_f64 v[3:4], v[3:4], v[73:74], v[71:72]
.LBB95_38:
	s_and_saveexec_b32 s8, s5
	s_cbranch_execz .LBB95_42
; %bb.39:
	v_subrev_nc_u32_e32 v71, 27, v0
	s_movk_i32 s41, 0x3b0
	s_mov_b32 s5, 0
	s_mov_b32 s42, s12
	.p2align	6
.LBB95_40:                              ; =>This Inner Loop Header: Depth=1
	v_mov_b32_e32 v74, s42
	v_add_nc_u32_e32 v71, -1, v71
	s_add_i32 s42, s42, 16
	s_clause 0x3
	buffer_load_dword v72, v74, s[0:3], 0 offen offset:8
	buffer_load_dword v73, v74, s[0:3], 0 offen offset:12
	buffer_load_dword v80, v74, s[0:3], 0 offen
	buffer_load_dword v81, v74, s[0:3], 0 offen offset:4
	v_mov_b32_e32 v74, s41
	v_cmp_eq_u32_e32 vcc_lo, 0, v71
	s_add_i32 s41, s41, 16
	ds_read_b128 v[76:79], v74
	s_or_b32 s5, vcc_lo, s5
	s_waitcnt vmcnt(2) lgkmcnt(0)
	v_mul_f64 v[82:83], v[78:79], v[72:73]
	v_mul_f64 v[72:73], v[76:77], v[72:73]
	s_waitcnt vmcnt(0)
	v_fma_f64 v[76:77], v[76:77], v[80:81], -v[82:83]
	v_fma_f64 v[72:73], v[78:79], v[80:81], v[72:73]
	v_add_f64 v[1:2], v[1:2], v[76:77]
	v_add_f64 v[3:4], v[3:4], v[72:73]
	s_andn2_b32 exec_lo, exec_lo, s5
	s_cbranch_execnz .LBB95_40
; %bb.41:
	s_or_b32 exec_lo, exec_lo, s5
.LBB95_42:
	s_or_b32 exec_lo, exec_lo, s8
	v_mov_b32_e32 v71, 0
	ds_read_b128 v[71:74], v71 offset:416
	s_waitcnt lgkmcnt(0)
	v_mul_f64 v[76:77], v[3:4], v[73:74]
	v_mul_f64 v[73:74], v[1:2], v[73:74]
	v_fma_f64 v[1:2], v[1:2], v[71:72], -v[76:77]
	v_fma_f64 v[3:4], v[3:4], v[71:72], v[73:74]
	buffer_store_dword v2, off, s[0:3], 0 offset:420
	buffer_store_dword v1, off, s[0:3], 0 offset:416
	;; [unrolled: 1-line block ×4, first 2 shown]
.LBB95_43:
	s_or_b32 exec_lo, exec_lo, s6
	v_mov_b32_e32 v4, s14
	v_cmp_lt_u32_e64 s5, 25, v0
	s_clause 0x3
	buffer_load_dword v1, v4, s[0:3], 0 offen
	buffer_load_dword v2, v4, s[0:3], 0 offen offset:4
	buffer_load_dword v3, v4, s[0:3], 0 offen offset:8
	;; [unrolled: 1-line block ×3, first 2 shown]
	s_waitcnt vmcnt(0)
	ds_write_b128 v70, v[1:4]
	s_waitcnt lgkmcnt(0)
	s_waitcnt_vscnt null, 0x0
	s_barrier
	buffer_gl0_inv
	s_and_saveexec_b32 s6, s5
	s_cbranch_execz .LBB95_51
; %bb.44:
	ds_read_b128 v[1:4], v70
	s_andn2_b32 vcc_lo, exec_lo, s40
	s_cbranch_vccnz .LBB95_46
; %bb.45:
	s_clause 0x3
	buffer_load_dword v71, v69, s[0:3], 0 offen offset:8
	buffer_load_dword v72, v69, s[0:3], 0 offen offset:12
	buffer_load_dword v73, v69, s[0:3], 0 offen
	buffer_load_dword v74, v69, s[0:3], 0 offen offset:4
	s_waitcnt vmcnt(2) lgkmcnt(0)
	v_mul_f64 v[76:77], v[3:4], v[71:72]
	v_mul_f64 v[71:72], v[1:2], v[71:72]
	s_waitcnt vmcnt(0)
	v_fma_f64 v[1:2], v[1:2], v[73:74], -v[76:77]
	v_fma_f64 v[3:4], v[3:4], v[73:74], v[71:72]
.LBB95_46:
	s_and_saveexec_b32 s8, s4
	s_cbranch_execz .LBB95_50
; %bb.47:
	v_subrev_nc_u32_e32 v71, 26, v0
	s_movk_i32 s41, 0x3a0
	s_mov_b32 s4, 0
	s_mov_b32 s42, s13
	.p2align	6
.LBB95_48:                              ; =>This Inner Loop Header: Depth=1
	v_mov_b32_e32 v74, s42
	v_add_nc_u32_e32 v71, -1, v71
	s_add_i32 s42, s42, 16
	s_clause 0x3
	buffer_load_dword v72, v74, s[0:3], 0 offen offset:8
	buffer_load_dword v73, v74, s[0:3], 0 offen offset:12
	buffer_load_dword v80, v74, s[0:3], 0 offen
	buffer_load_dword v81, v74, s[0:3], 0 offen offset:4
	v_mov_b32_e32 v74, s41
	v_cmp_eq_u32_e32 vcc_lo, 0, v71
	s_add_i32 s41, s41, 16
	ds_read_b128 v[76:79], v74
	s_or_b32 s4, vcc_lo, s4
	s_waitcnt vmcnt(2) lgkmcnt(0)
	v_mul_f64 v[82:83], v[78:79], v[72:73]
	v_mul_f64 v[72:73], v[76:77], v[72:73]
	s_waitcnt vmcnt(0)
	v_fma_f64 v[76:77], v[76:77], v[80:81], -v[82:83]
	v_fma_f64 v[72:73], v[78:79], v[80:81], v[72:73]
	v_add_f64 v[1:2], v[1:2], v[76:77]
	v_add_f64 v[3:4], v[3:4], v[72:73]
	s_andn2_b32 exec_lo, exec_lo, s4
	s_cbranch_execnz .LBB95_48
; %bb.49:
	s_or_b32 exec_lo, exec_lo, s4
.LBB95_50:
	s_or_b32 exec_lo, exec_lo, s8
	v_mov_b32_e32 v71, 0
	ds_read_b128 v[71:74], v71 offset:400
	s_waitcnt lgkmcnt(0)
	v_mul_f64 v[76:77], v[3:4], v[73:74]
	v_mul_f64 v[73:74], v[1:2], v[73:74]
	v_fma_f64 v[1:2], v[1:2], v[71:72], -v[76:77]
	v_fma_f64 v[3:4], v[3:4], v[71:72], v[73:74]
	buffer_store_dword v2, off, s[0:3], 0 offset:404
	buffer_store_dword v1, off, s[0:3], 0 offset:400
	;; [unrolled: 1-line block ×4, first 2 shown]
.LBB95_51:
	s_or_b32 exec_lo, exec_lo, s6
	v_mov_b32_e32 v4, s15
	v_cmp_lt_u32_e64 s4, 24, v0
	s_clause 0x3
	buffer_load_dword v1, v4, s[0:3], 0 offen
	buffer_load_dword v2, v4, s[0:3], 0 offen offset:4
	buffer_load_dword v3, v4, s[0:3], 0 offen offset:8
	;; [unrolled: 1-line block ×3, first 2 shown]
	s_waitcnt vmcnt(0)
	ds_write_b128 v70, v[1:4]
	s_waitcnt lgkmcnt(0)
	s_waitcnt_vscnt null, 0x0
	s_barrier
	buffer_gl0_inv
	s_and_saveexec_b32 s6, s4
	s_cbranch_execz .LBB95_59
; %bb.52:
	ds_read_b128 v[1:4], v70
	s_andn2_b32 vcc_lo, exec_lo, s40
	s_cbranch_vccnz .LBB95_54
; %bb.53:
	s_clause 0x3
	buffer_load_dword v71, v69, s[0:3], 0 offen offset:8
	buffer_load_dword v72, v69, s[0:3], 0 offen offset:12
	buffer_load_dword v73, v69, s[0:3], 0 offen
	buffer_load_dword v74, v69, s[0:3], 0 offen offset:4
	s_waitcnt vmcnt(2) lgkmcnt(0)
	v_mul_f64 v[76:77], v[3:4], v[71:72]
	v_mul_f64 v[71:72], v[1:2], v[71:72]
	s_waitcnt vmcnt(0)
	v_fma_f64 v[1:2], v[1:2], v[73:74], -v[76:77]
	v_fma_f64 v[3:4], v[3:4], v[73:74], v[71:72]
.LBB95_54:
	s_and_saveexec_b32 s8, s5
	s_cbranch_execz .LBB95_58
; %bb.55:
	v_subrev_nc_u32_e32 v71, 25, v0
	s_movk_i32 s41, 0x390
	s_mov_b32 s5, 0
	s_mov_b32 s42, s14
	.p2align	6
.LBB95_56:                              ; =>This Inner Loop Header: Depth=1
	v_mov_b32_e32 v74, s42
	v_add_nc_u32_e32 v71, -1, v71
	s_add_i32 s42, s42, 16
	s_clause 0x3
	buffer_load_dword v72, v74, s[0:3], 0 offen offset:8
	buffer_load_dword v73, v74, s[0:3], 0 offen offset:12
	buffer_load_dword v80, v74, s[0:3], 0 offen
	buffer_load_dword v81, v74, s[0:3], 0 offen offset:4
	v_mov_b32_e32 v74, s41
	v_cmp_eq_u32_e32 vcc_lo, 0, v71
	s_add_i32 s41, s41, 16
	ds_read_b128 v[76:79], v74
	s_or_b32 s5, vcc_lo, s5
	s_waitcnt vmcnt(2) lgkmcnt(0)
	v_mul_f64 v[82:83], v[78:79], v[72:73]
	v_mul_f64 v[72:73], v[76:77], v[72:73]
	s_waitcnt vmcnt(0)
	v_fma_f64 v[76:77], v[76:77], v[80:81], -v[82:83]
	v_fma_f64 v[72:73], v[78:79], v[80:81], v[72:73]
	v_add_f64 v[1:2], v[1:2], v[76:77]
	v_add_f64 v[3:4], v[3:4], v[72:73]
	s_andn2_b32 exec_lo, exec_lo, s5
	s_cbranch_execnz .LBB95_56
; %bb.57:
	s_or_b32 exec_lo, exec_lo, s5
.LBB95_58:
	s_or_b32 exec_lo, exec_lo, s8
	v_mov_b32_e32 v71, 0
	ds_read_b128 v[71:74], v71 offset:384
	s_waitcnt lgkmcnt(0)
	v_mul_f64 v[76:77], v[3:4], v[73:74]
	v_mul_f64 v[73:74], v[1:2], v[73:74]
	v_fma_f64 v[1:2], v[1:2], v[71:72], -v[76:77]
	v_fma_f64 v[3:4], v[3:4], v[71:72], v[73:74]
	buffer_store_dword v2, off, s[0:3], 0 offset:388
	buffer_store_dword v1, off, s[0:3], 0 offset:384
	;; [unrolled: 1-line block ×4, first 2 shown]
.LBB95_59:
	s_or_b32 exec_lo, exec_lo, s6
	v_mov_b32_e32 v4, s16
	v_cmp_lt_u32_e64 s5, 23, v0
	s_clause 0x3
	buffer_load_dword v1, v4, s[0:3], 0 offen
	buffer_load_dword v2, v4, s[0:3], 0 offen offset:4
	buffer_load_dword v3, v4, s[0:3], 0 offen offset:8
	buffer_load_dword v4, v4, s[0:3], 0 offen offset:12
	s_waitcnt vmcnt(0)
	ds_write_b128 v70, v[1:4]
	s_waitcnt lgkmcnt(0)
	s_waitcnt_vscnt null, 0x0
	s_barrier
	buffer_gl0_inv
	s_and_saveexec_b32 s6, s5
	s_cbranch_execz .LBB95_67
; %bb.60:
	ds_read_b128 v[1:4], v70
	s_andn2_b32 vcc_lo, exec_lo, s40
	s_cbranch_vccnz .LBB95_62
; %bb.61:
	s_clause 0x3
	buffer_load_dword v71, v69, s[0:3], 0 offen offset:8
	buffer_load_dword v72, v69, s[0:3], 0 offen offset:12
	buffer_load_dword v73, v69, s[0:3], 0 offen
	buffer_load_dword v74, v69, s[0:3], 0 offen offset:4
	s_waitcnt vmcnt(2) lgkmcnt(0)
	v_mul_f64 v[76:77], v[3:4], v[71:72]
	v_mul_f64 v[71:72], v[1:2], v[71:72]
	s_waitcnt vmcnt(0)
	v_fma_f64 v[1:2], v[1:2], v[73:74], -v[76:77]
	v_fma_f64 v[3:4], v[3:4], v[73:74], v[71:72]
.LBB95_62:
	s_and_saveexec_b32 s8, s4
	s_cbranch_execz .LBB95_66
; %bb.63:
	v_subrev_nc_u32_e32 v71, 24, v0
	s_movk_i32 s41, 0x380
	s_mov_b32 s4, 0
	s_mov_b32 s42, s15
	.p2align	6
.LBB95_64:                              ; =>This Inner Loop Header: Depth=1
	v_mov_b32_e32 v74, s42
	v_add_nc_u32_e32 v71, -1, v71
	s_add_i32 s42, s42, 16
	s_clause 0x3
	buffer_load_dword v72, v74, s[0:3], 0 offen offset:8
	buffer_load_dword v73, v74, s[0:3], 0 offen offset:12
	buffer_load_dword v80, v74, s[0:3], 0 offen
	buffer_load_dword v81, v74, s[0:3], 0 offen offset:4
	v_mov_b32_e32 v74, s41
	v_cmp_eq_u32_e32 vcc_lo, 0, v71
	s_add_i32 s41, s41, 16
	ds_read_b128 v[76:79], v74
	s_or_b32 s4, vcc_lo, s4
	s_waitcnt vmcnt(2) lgkmcnt(0)
	v_mul_f64 v[82:83], v[78:79], v[72:73]
	v_mul_f64 v[72:73], v[76:77], v[72:73]
	s_waitcnt vmcnt(0)
	v_fma_f64 v[76:77], v[76:77], v[80:81], -v[82:83]
	v_fma_f64 v[72:73], v[78:79], v[80:81], v[72:73]
	v_add_f64 v[1:2], v[1:2], v[76:77]
	v_add_f64 v[3:4], v[3:4], v[72:73]
	s_andn2_b32 exec_lo, exec_lo, s4
	s_cbranch_execnz .LBB95_64
; %bb.65:
	s_or_b32 exec_lo, exec_lo, s4
.LBB95_66:
	s_or_b32 exec_lo, exec_lo, s8
	v_mov_b32_e32 v71, 0
	ds_read_b128 v[71:74], v71 offset:368
	s_waitcnt lgkmcnt(0)
	v_mul_f64 v[76:77], v[3:4], v[73:74]
	v_mul_f64 v[73:74], v[1:2], v[73:74]
	v_fma_f64 v[1:2], v[1:2], v[71:72], -v[76:77]
	v_fma_f64 v[3:4], v[3:4], v[71:72], v[73:74]
	buffer_store_dword v2, off, s[0:3], 0 offset:372
	buffer_store_dword v1, off, s[0:3], 0 offset:368
	;; [unrolled: 1-line block ×4, first 2 shown]
.LBB95_67:
	s_or_b32 exec_lo, exec_lo, s6
	v_mov_b32_e32 v4, s17
	v_cmp_lt_u32_e64 s4, 22, v0
	s_clause 0x3
	buffer_load_dword v1, v4, s[0:3], 0 offen
	buffer_load_dword v2, v4, s[0:3], 0 offen offset:4
	buffer_load_dword v3, v4, s[0:3], 0 offen offset:8
	;; [unrolled: 1-line block ×3, first 2 shown]
	s_waitcnt vmcnt(0)
	ds_write_b128 v70, v[1:4]
	s_waitcnt lgkmcnt(0)
	s_waitcnt_vscnt null, 0x0
	s_barrier
	buffer_gl0_inv
	s_and_saveexec_b32 s6, s4
	s_cbranch_execz .LBB95_75
; %bb.68:
	ds_read_b128 v[1:4], v70
	s_andn2_b32 vcc_lo, exec_lo, s40
	s_cbranch_vccnz .LBB95_70
; %bb.69:
	s_clause 0x3
	buffer_load_dword v71, v69, s[0:3], 0 offen offset:8
	buffer_load_dword v72, v69, s[0:3], 0 offen offset:12
	buffer_load_dword v73, v69, s[0:3], 0 offen
	buffer_load_dword v74, v69, s[0:3], 0 offen offset:4
	s_waitcnt vmcnt(2) lgkmcnt(0)
	v_mul_f64 v[76:77], v[3:4], v[71:72]
	v_mul_f64 v[71:72], v[1:2], v[71:72]
	s_waitcnt vmcnt(0)
	v_fma_f64 v[1:2], v[1:2], v[73:74], -v[76:77]
	v_fma_f64 v[3:4], v[3:4], v[73:74], v[71:72]
.LBB95_70:
	s_and_saveexec_b32 s8, s5
	s_cbranch_execz .LBB95_74
; %bb.71:
	v_subrev_nc_u32_e32 v71, 23, v0
	s_movk_i32 s41, 0x370
	s_mov_b32 s5, 0
	s_mov_b32 s42, s16
	.p2align	6
.LBB95_72:                              ; =>This Inner Loop Header: Depth=1
	v_mov_b32_e32 v74, s42
	v_add_nc_u32_e32 v71, -1, v71
	s_add_i32 s42, s42, 16
	s_clause 0x3
	buffer_load_dword v72, v74, s[0:3], 0 offen offset:8
	buffer_load_dword v73, v74, s[0:3], 0 offen offset:12
	buffer_load_dword v80, v74, s[0:3], 0 offen
	buffer_load_dword v81, v74, s[0:3], 0 offen offset:4
	v_mov_b32_e32 v74, s41
	v_cmp_eq_u32_e32 vcc_lo, 0, v71
	s_add_i32 s41, s41, 16
	ds_read_b128 v[76:79], v74
	s_or_b32 s5, vcc_lo, s5
	s_waitcnt vmcnt(2) lgkmcnt(0)
	v_mul_f64 v[82:83], v[78:79], v[72:73]
	v_mul_f64 v[72:73], v[76:77], v[72:73]
	s_waitcnt vmcnt(0)
	v_fma_f64 v[76:77], v[76:77], v[80:81], -v[82:83]
	v_fma_f64 v[72:73], v[78:79], v[80:81], v[72:73]
	v_add_f64 v[1:2], v[1:2], v[76:77]
	v_add_f64 v[3:4], v[3:4], v[72:73]
	s_andn2_b32 exec_lo, exec_lo, s5
	s_cbranch_execnz .LBB95_72
; %bb.73:
	s_or_b32 exec_lo, exec_lo, s5
.LBB95_74:
	s_or_b32 exec_lo, exec_lo, s8
	v_mov_b32_e32 v71, 0
	ds_read_b128 v[71:74], v71 offset:352
	s_waitcnt lgkmcnt(0)
	v_mul_f64 v[76:77], v[3:4], v[73:74]
	v_mul_f64 v[73:74], v[1:2], v[73:74]
	v_fma_f64 v[1:2], v[1:2], v[71:72], -v[76:77]
	v_fma_f64 v[3:4], v[3:4], v[71:72], v[73:74]
	buffer_store_dword v2, off, s[0:3], 0 offset:356
	buffer_store_dword v1, off, s[0:3], 0 offset:352
	;; [unrolled: 1-line block ×4, first 2 shown]
.LBB95_75:
	s_or_b32 exec_lo, exec_lo, s6
	v_mov_b32_e32 v4, s18
	v_cmp_lt_u32_e64 s5, 21, v0
	s_clause 0x3
	buffer_load_dword v1, v4, s[0:3], 0 offen
	buffer_load_dword v2, v4, s[0:3], 0 offen offset:4
	buffer_load_dword v3, v4, s[0:3], 0 offen offset:8
	;; [unrolled: 1-line block ×3, first 2 shown]
	s_waitcnt vmcnt(0)
	ds_write_b128 v70, v[1:4]
	s_waitcnt lgkmcnt(0)
	s_waitcnt_vscnt null, 0x0
	s_barrier
	buffer_gl0_inv
	s_and_saveexec_b32 s6, s5
	s_cbranch_execz .LBB95_83
; %bb.76:
	ds_read_b128 v[1:4], v70
	s_andn2_b32 vcc_lo, exec_lo, s40
	s_cbranch_vccnz .LBB95_78
; %bb.77:
	s_clause 0x3
	buffer_load_dword v71, v69, s[0:3], 0 offen offset:8
	buffer_load_dword v72, v69, s[0:3], 0 offen offset:12
	buffer_load_dword v73, v69, s[0:3], 0 offen
	buffer_load_dword v74, v69, s[0:3], 0 offen offset:4
	s_waitcnt vmcnt(2) lgkmcnt(0)
	v_mul_f64 v[76:77], v[3:4], v[71:72]
	v_mul_f64 v[71:72], v[1:2], v[71:72]
	s_waitcnt vmcnt(0)
	v_fma_f64 v[1:2], v[1:2], v[73:74], -v[76:77]
	v_fma_f64 v[3:4], v[3:4], v[73:74], v[71:72]
.LBB95_78:
	s_and_saveexec_b32 s8, s4
	s_cbranch_execz .LBB95_82
; %bb.79:
	v_subrev_nc_u32_e32 v71, 22, v0
	s_movk_i32 s41, 0x360
	s_mov_b32 s4, 0
	s_mov_b32 s42, s17
	.p2align	6
.LBB95_80:                              ; =>This Inner Loop Header: Depth=1
	v_mov_b32_e32 v74, s42
	v_add_nc_u32_e32 v71, -1, v71
	s_add_i32 s42, s42, 16
	s_clause 0x3
	buffer_load_dword v72, v74, s[0:3], 0 offen offset:8
	buffer_load_dword v73, v74, s[0:3], 0 offen offset:12
	buffer_load_dword v80, v74, s[0:3], 0 offen
	buffer_load_dword v81, v74, s[0:3], 0 offen offset:4
	v_mov_b32_e32 v74, s41
	v_cmp_eq_u32_e32 vcc_lo, 0, v71
	s_add_i32 s41, s41, 16
	ds_read_b128 v[76:79], v74
	s_or_b32 s4, vcc_lo, s4
	s_waitcnt vmcnt(2) lgkmcnt(0)
	v_mul_f64 v[82:83], v[78:79], v[72:73]
	v_mul_f64 v[72:73], v[76:77], v[72:73]
	s_waitcnt vmcnt(0)
	v_fma_f64 v[76:77], v[76:77], v[80:81], -v[82:83]
	v_fma_f64 v[72:73], v[78:79], v[80:81], v[72:73]
	v_add_f64 v[1:2], v[1:2], v[76:77]
	v_add_f64 v[3:4], v[3:4], v[72:73]
	s_andn2_b32 exec_lo, exec_lo, s4
	s_cbranch_execnz .LBB95_80
; %bb.81:
	s_or_b32 exec_lo, exec_lo, s4
.LBB95_82:
	s_or_b32 exec_lo, exec_lo, s8
	v_mov_b32_e32 v71, 0
	ds_read_b128 v[71:74], v71 offset:336
	s_waitcnt lgkmcnt(0)
	v_mul_f64 v[76:77], v[3:4], v[73:74]
	v_mul_f64 v[73:74], v[1:2], v[73:74]
	v_fma_f64 v[1:2], v[1:2], v[71:72], -v[76:77]
	v_fma_f64 v[3:4], v[3:4], v[71:72], v[73:74]
	buffer_store_dword v2, off, s[0:3], 0 offset:340
	buffer_store_dword v1, off, s[0:3], 0 offset:336
	;; [unrolled: 1-line block ×4, first 2 shown]
.LBB95_83:
	s_or_b32 exec_lo, exec_lo, s6
	v_mov_b32_e32 v4, s19
	v_cmp_lt_u32_e64 s4, 20, v0
	s_clause 0x3
	buffer_load_dword v1, v4, s[0:3], 0 offen
	buffer_load_dword v2, v4, s[0:3], 0 offen offset:4
	buffer_load_dword v3, v4, s[0:3], 0 offen offset:8
	;; [unrolled: 1-line block ×3, first 2 shown]
	s_waitcnt vmcnt(0)
	ds_write_b128 v70, v[1:4]
	s_waitcnt lgkmcnt(0)
	s_waitcnt_vscnt null, 0x0
	s_barrier
	buffer_gl0_inv
	s_and_saveexec_b32 s6, s4
	s_cbranch_execz .LBB95_91
; %bb.84:
	ds_read_b128 v[1:4], v70
	s_andn2_b32 vcc_lo, exec_lo, s40
	s_cbranch_vccnz .LBB95_86
; %bb.85:
	s_clause 0x3
	buffer_load_dword v71, v69, s[0:3], 0 offen offset:8
	buffer_load_dword v72, v69, s[0:3], 0 offen offset:12
	buffer_load_dword v73, v69, s[0:3], 0 offen
	buffer_load_dword v74, v69, s[0:3], 0 offen offset:4
	s_waitcnt vmcnt(2) lgkmcnt(0)
	v_mul_f64 v[76:77], v[3:4], v[71:72]
	v_mul_f64 v[71:72], v[1:2], v[71:72]
	s_waitcnt vmcnt(0)
	v_fma_f64 v[1:2], v[1:2], v[73:74], -v[76:77]
	v_fma_f64 v[3:4], v[3:4], v[73:74], v[71:72]
.LBB95_86:
	s_and_saveexec_b32 s8, s5
	s_cbranch_execz .LBB95_90
; %bb.87:
	v_subrev_nc_u32_e32 v71, 21, v0
	s_movk_i32 s41, 0x350
	s_mov_b32 s5, 0
	s_mov_b32 s42, s18
	.p2align	6
.LBB95_88:                              ; =>This Inner Loop Header: Depth=1
	v_mov_b32_e32 v74, s42
	v_add_nc_u32_e32 v71, -1, v71
	s_add_i32 s42, s42, 16
	s_clause 0x3
	buffer_load_dword v72, v74, s[0:3], 0 offen offset:8
	buffer_load_dword v73, v74, s[0:3], 0 offen offset:12
	buffer_load_dword v80, v74, s[0:3], 0 offen
	buffer_load_dword v81, v74, s[0:3], 0 offen offset:4
	v_mov_b32_e32 v74, s41
	v_cmp_eq_u32_e32 vcc_lo, 0, v71
	s_add_i32 s41, s41, 16
	ds_read_b128 v[76:79], v74
	s_or_b32 s5, vcc_lo, s5
	s_waitcnt vmcnt(2) lgkmcnt(0)
	v_mul_f64 v[82:83], v[78:79], v[72:73]
	v_mul_f64 v[72:73], v[76:77], v[72:73]
	s_waitcnt vmcnt(0)
	v_fma_f64 v[76:77], v[76:77], v[80:81], -v[82:83]
	v_fma_f64 v[72:73], v[78:79], v[80:81], v[72:73]
	v_add_f64 v[1:2], v[1:2], v[76:77]
	v_add_f64 v[3:4], v[3:4], v[72:73]
	s_andn2_b32 exec_lo, exec_lo, s5
	s_cbranch_execnz .LBB95_88
; %bb.89:
	s_or_b32 exec_lo, exec_lo, s5
.LBB95_90:
	s_or_b32 exec_lo, exec_lo, s8
	v_mov_b32_e32 v71, 0
	ds_read_b128 v[71:74], v71 offset:320
	s_waitcnt lgkmcnt(0)
	v_mul_f64 v[76:77], v[3:4], v[73:74]
	v_mul_f64 v[73:74], v[1:2], v[73:74]
	v_fma_f64 v[1:2], v[1:2], v[71:72], -v[76:77]
	v_fma_f64 v[3:4], v[3:4], v[71:72], v[73:74]
	buffer_store_dword v2, off, s[0:3], 0 offset:324
	buffer_store_dword v1, off, s[0:3], 0 offset:320
	;; [unrolled: 1-line block ×4, first 2 shown]
.LBB95_91:
	s_or_b32 exec_lo, exec_lo, s6
	v_mov_b32_e32 v4, s20
	v_cmp_lt_u32_e64 s5, 19, v0
	s_clause 0x3
	buffer_load_dword v1, v4, s[0:3], 0 offen
	buffer_load_dword v2, v4, s[0:3], 0 offen offset:4
	buffer_load_dword v3, v4, s[0:3], 0 offen offset:8
	buffer_load_dword v4, v4, s[0:3], 0 offen offset:12
	s_waitcnt vmcnt(0)
	ds_write_b128 v70, v[1:4]
	s_waitcnt lgkmcnt(0)
	s_waitcnt_vscnt null, 0x0
	s_barrier
	buffer_gl0_inv
	s_and_saveexec_b32 s6, s5
	s_cbranch_execz .LBB95_99
; %bb.92:
	ds_read_b128 v[1:4], v70
	s_andn2_b32 vcc_lo, exec_lo, s40
	s_cbranch_vccnz .LBB95_94
; %bb.93:
	s_clause 0x3
	buffer_load_dword v71, v69, s[0:3], 0 offen offset:8
	buffer_load_dword v72, v69, s[0:3], 0 offen offset:12
	buffer_load_dword v73, v69, s[0:3], 0 offen
	buffer_load_dword v74, v69, s[0:3], 0 offen offset:4
	s_waitcnt vmcnt(2) lgkmcnt(0)
	v_mul_f64 v[76:77], v[3:4], v[71:72]
	v_mul_f64 v[71:72], v[1:2], v[71:72]
	s_waitcnt vmcnt(0)
	v_fma_f64 v[1:2], v[1:2], v[73:74], -v[76:77]
	v_fma_f64 v[3:4], v[3:4], v[73:74], v[71:72]
.LBB95_94:
	s_and_saveexec_b32 s8, s4
	s_cbranch_execz .LBB95_98
; %bb.95:
	v_subrev_nc_u32_e32 v71, 20, v0
	s_movk_i32 s41, 0x340
	s_mov_b32 s4, 0
	s_mov_b32 s42, s19
	.p2align	6
.LBB95_96:                              ; =>This Inner Loop Header: Depth=1
	v_mov_b32_e32 v74, s42
	v_add_nc_u32_e32 v71, -1, v71
	s_add_i32 s42, s42, 16
	s_clause 0x3
	buffer_load_dword v72, v74, s[0:3], 0 offen offset:8
	buffer_load_dword v73, v74, s[0:3], 0 offen offset:12
	buffer_load_dword v80, v74, s[0:3], 0 offen
	buffer_load_dword v81, v74, s[0:3], 0 offen offset:4
	v_mov_b32_e32 v74, s41
	v_cmp_eq_u32_e32 vcc_lo, 0, v71
	s_add_i32 s41, s41, 16
	ds_read_b128 v[76:79], v74
	s_or_b32 s4, vcc_lo, s4
	s_waitcnt vmcnt(2) lgkmcnt(0)
	v_mul_f64 v[82:83], v[78:79], v[72:73]
	v_mul_f64 v[72:73], v[76:77], v[72:73]
	s_waitcnt vmcnt(0)
	v_fma_f64 v[76:77], v[76:77], v[80:81], -v[82:83]
	v_fma_f64 v[72:73], v[78:79], v[80:81], v[72:73]
	v_add_f64 v[1:2], v[1:2], v[76:77]
	v_add_f64 v[3:4], v[3:4], v[72:73]
	s_andn2_b32 exec_lo, exec_lo, s4
	s_cbranch_execnz .LBB95_96
; %bb.97:
	s_or_b32 exec_lo, exec_lo, s4
.LBB95_98:
	s_or_b32 exec_lo, exec_lo, s8
	v_mov_b32_e32 v71, 0
	ds_read_b128 v[71:74], v71 offset:304
	s_waitcnt lgkmcnt(0)
	v_mul_f64 v[76:77], v[3:4], v[73:74]
	v_mul_f64 v[73:74], v[1:2], v[73:74]
	v_fma_f64 v[1:2], v[1:2], v[71:72], -v[76:77]
	v_fma_f64 v[3:4], v[3:4], v[71:72], v[73:74]
	buffer_store_dword v2, off, s[0:3], 0 offset:308
	buffer_store_dword v1, off, s[0:3], 0 offset:304
	;; [unrolled: 1-line block ×4, first 2 shown]
.LBB95_99:
	s_or_b32 exec_lo, exec_lo, s6
	v_mov_b32_e32 v4, s21
	v_cmp_lt_u32_e64 s4, 18, v0
	s_clause 0x3
	buffer_load_dword v1, v4, s[0:3], 0 offen
	buffer_load_dword v2, v4, s[0:3], 0 offen offset:4
	buffer_load_dword v3, v4, s[0:3], 0 offen offset:8
	;; [unrolled: 1-line block ×3, first 2 shown]
	s_waitcnt vmcnt(0)
	ds_write_b128 v70, v[1:4]
	s_waitcnt lgkmcnt(0)
	s_waitcnt_vscnt null, 0x0
	s_barrier
	buffer_gl0_inv
	s_and_saveexec_b32 s6, s4
	s_cbranch_execz .LBB95_107
; %bb.100:
	ds_read_b128 v[1:4], v70
	s_andn2_b32 vcc_lo, exec_lo, s40
	s_cbranch_vccnz .LBB95_102
; %bb.101:
	s_clause 0x3
	buffer_load_dword v71, v69, s[0:3], 0 offen offset:8
	buffer_load_dword v72, v69, s[0:3], 0 offen offset:12
	buffer_load_dword v73, v69, s[0:3], 0 offen
	buffer_load_dword v74, v69, s[0:3], 0 offen offset:4
	s_waitcnt vmcnt(2) lgkmcnt(0)
	v_mul_f64 v[76:77], v[3:4], v[71:72]
	v_mul_f64 v[71:72], v[1:2], v[71:72]
	s_waitcnt vmcnt(0)
	v_fma_f64 v[1:2], v[1:2], v[73:74], -v[76:77]
	v_fma_f64 v[3:4], v[3:4], v[73:74], v[71:72]
.LBB95_102:
	s_and_saveexec_b32 s8, s5
	s_cbranch_execz .LBB95_106
; %bb.103:
	v_subrev_nc_u32_e32 v71, 19, v0
	s_movk_i32 s41, 0x330
	s_mov_b32 s5, 0
	s_mov_b32 s42, s20
	.p2align	6
.LBB95_104:                             ; =>This Inner Loop Header: Depth=1
	v_mov_b32_e32 v74, s42
	v_add_nc_u32_e32 v71, -1, v71
	s_add_i32 s42, s42, 16
	s_clause 0x3
	buffer_load_dword v72, v74, s[0:3], 0 offen offset:8
	buffer_load_dword v73, v74, s[0:3], 0 offen offset:12
	buffer_load_dword v80, v74, s[0:3], 0 offen
	buffer_load_dword v81, v74, s[0:3], 0 offen offset:4
	v_mov_b32_e32 v74, s41
	v_cmp_eq_u32_e32 vcc_lo, 0, v71
	s_add_i32 s41, s41, 16
	ds_read_b128 v[76:79], v74
	s_or_b32 s5, vcc_lo, s5
	s_waitcnt vmcnt(2) lgkmcnt(0)
	v_mul_f64 v[82:83], v[78:79], v[72:73]
	v_mul_f64 v[72:73], v[76:77], v[72:73]
	s_waitcnt vmcnt(0)
	v_fma_f64 v[76:77], v[76:77], v[80:81], -v[82:83]
	v_fma_f64 v[72:73], v[78:79], v[80:81], v[72:73]
	v_add_f64 v[1:2], v[1:2], v[76:77]
	v_add_f64 v[3:4], v[3:4], v[72:73]
	s_andn2_b32 exec_lo, exec_lo, s5
	s_cbranch_execnz .LBB95_104
; %bb.105:
	s_or_b32 exec_lo, exec_lo, s5
.LBB95_106:
	s_or_b32 exec_lo, exec_lo, s8
	v_mov_b32_e32 v71, 0
	ds_read_b128 v[71:74], v71 offset:288
	s_waitcnt lgkmcnt(0)
	v_mul_f64 v[76:77], v[3:4], v[73:74]
	v_mul_f64 v[73:74], v[1:2], v[73:74]
	v_fma_f64 v[1:2], v[1:2], v[71:72], -v[76:77]
	v_fma_f64 v[3:4], v[3:4], v[71:72], v[73:74]
	buffer_store_dword v2, off, s[0:3], 0 offset:292
	buffer_store_dword v1, off, s[0:3], 0 offset:288
	;; [unrolled: 1-line block ×4, first 2 shown]
.LBB95_107:
	s_or_b32 exec_lo, exec_lo, s6
	v_mov_b32_e32 v4, s22
	v_cmp_lt_u32_e64 s5, 17, v0
	s_clause 0x3
	buffer_load_dword v1, v4, s[0:3], 0 offen
	buffer_load_dword v2, v4, s[0:3], 0 offen offset:4
	buffer_load_dword v3, v4, s[0:3], 0 offen offset:8
	;; [unrolled: 1-line block ×3, first 2 shown]
	s_waitcnt vmcnt(0)
	ds_write_b128 v70, v[1:4]
	s_waitcnt lgkmcnt(0)
	s_waitcnt_vscnt null, 0x0
	s_barrier
	buffer_gl0_inv
	s_and_saveexec_b32 s6, s5
	s_cbranch_execz .LBB95_115
; %bb.108:
	ds_read_b128 v[1:4], v70
	s_andn2_b32 vcc_lo, exec_lo, s40
	s_cbranch_vccnz .LBB95_110
; %bb.109:
	s_clause 0x3
	buffer_load_dword v71, v69, s[0:3], 0 offen offset:8
	buffer_load_dword v72, v69, s[0:3], 0 offen offset:12
	buffer_load_dword v73, v69, s[0:3], 0 offen
	buffer_load_dword v74, v69, s[0:3], 0 offen offset:4
	s_waitcnt vmcnt(2) lgkmcnt(0)
	v_mul_f64 v[76:77], v[3:4], v[71:72]
	v_mul_f64 v[71:72], v[1:2], v[71:72]
	s_waitcnt vmcnt(0)
	v_fma_f64 v[1:2], v[1:2], v[73:74], -v[76:77]
	v_fma_f64 v[3:4], v[3:4], v[73:74], v[71:72]
.LBB95_110:
	s_and_saveexec_b32 s8, s4
	s_cbranch_execz .LBB95_114
; %bb.111:
	v_subrev_nc_u32_e32 v71, 18, v0
	s_movk_i32 s41, 0x320
	s_mov_b32 s4, 0
	s_mov_b32 s42, s21
	.p2align	6
.LBB95_112:                             ; =>This Inner Loop Header: Depth=1
	v_mov_b32_e32 v74, s42
	v_add_nc_u32_e32 v71, -1, v71
	s_add_i32 s42, s42, 16
	s_clause 0x3
	buffer_load_dword v72, v74, s[0:3], 0 offen offset:8
	buffer_load_dword v73, v74, s[0:3], 0 offen offset:12
	buffer_load_dword v80, v74, s[0:3], 0 offen
	buffer_load_dword v81, v74, s[0:3], 0 offen offset:4
	v_mov_b32_e32 v74, s41
	v_cmp_eq_u32_e32 vcc_lo, 0, v71
	s_add_i32 s41, s41, 16
	ds_read_b128 v[76:79], v74
	s_or_b32 s4, vcc_lo, s4
	s_waitcnt vmcnt(2) lgkmcnt(0)
	v_mul_f64 v[82:83], v[78:79], v[72:73]
	v_mul_f64 v[72:73], v[76:77], v[72:73]
	s_waitcnt vmcnt(0)
	v_fma_f64 v[76:77], v[76:77], v[80:81], -v[82:83]
	v_fma_f64 v[72:73], v[78:79], v[80:81], v[72:73]
	v_add_f64 v[1:2], v[1:2], v[76:77]
	v_add_f64 v[3:4], v[3:4], v[72:73]
	s_andn2_b32 exec_lo, exec_lo, s4
	s_cbranch_execnz .LBB95_112
; %bb.113:
	s_or_b32 exec_lo, exec_lo, s4
.LBB95_114:
	s_or_b32 exec_lo, exec_lo, s8
	v_mov_b32_e32 v71, 0
	ds_read_b128 v[71:74], v71 offset:272
	s_waitcnt lgkmcnt(0)
	v_mul_f64 v[76:77], v[3:4], v[73:74]
	v_mul_f64 v[73:74], v[1:2], v[73:74]
	v_fma_f64 v[1:2], v[1:2], v[71:72], -v[76:77]
	v_fma_f64 v[3:4], v[3:4], v[71:72], v[73:74]
	buffer_store_dword v2, off, s[0:3], 0 offset:276
	buffer_store_dword v1, off, s[0:3], 0 offset:272
	;; [unrolled: 1-line block ×4, first 2 shown]
.LBB95_115:
	s_or_b32 exec_lo, exec_lo, s6
	v_mov_b32_e32 v4, s23
	v_cmp_lt_u32_e64 s4, 16, v0
	s_clause 0x3
	buffer_load_dword v1, v4, s[0:3], 0 offen
	buffer_load_dword v2, v4, s[0:3], 0 offen offset:4
	buffer_load_dword v3, v4, s[0:3], 0 offen offset:8
	;; [unrolled: 1-line block ×3, first 2 shown]
	s_waitcnt vmcnt(0)
	ds_write_b128 v70, v[1:4]
	s_waitcnt lgkmcnt(0)
	s_waitcnt_vscnt null, 0x0
	s_barrier
	buffer_gl0_inv
	s_and_saveexec_b32 s6, s4
	s_cbranch_execz .LBB95_123
; %bb.116:
	ds_read_b128 v[1:4], v70
	s_andn2_b32 vcc_lo, exec_lo, s40
	s_cbranch_vccnz .LBB95_118
; %bb.117:
	s_clause 0x3
	buffer_load_dword v71, v69, s[0:3], 0 offen offset:8
	buffer_load_dword v72, v69, s[0:3], 0 offen offset:12
	buffer_load_dword v73, v69, s[0:3], 0 offen
	buffer_load_dword v74, v69, s[0:3], 0 offen offset:4
	s_waitcnt vmcnt(2) lgkmcnt(0)
	v_mul_f64 v[76:77], v[3:4], v[71:72]
	v_mul_f64 v[71:72], v[1:2], v[71:72]
	s_waitcnt vmcnt(0)
	v_fma_f64 v[1:2], v[1:2], v[73:74], -v[76:77]
	v_fma_f64 v[3:4], v[3:4], v[73:74], v[71:72]
.LBB95_118:
	s_and_saveexec_b32 s8, s5
	s_cbranch_execz .LBB95_122
; %bb.119:
	v_subrev_nc_u32_e32 v71, 17, v0
	s_movk_i32 s41, 0x310
	s_mov_b32 s5, 0
	s_mov_b32 s42, s22
	.p2align	6
.LBB95_120:                             ; =>This Inner Loop Header: Depth=1
	v_mov_b32_e32 v74, s42
	v_add_nc_u32_e32 v71, -1, v71
	s_add_i32 s42, s42, 16
	s_clause 0x3
	buffer_load_dword v72, v74, s[0:3], 0 offen offset:8
	buffer_load_dword v73, v74, s[0:3], 0 offen offset:12
	buffer_load_dword v80, v74, s[0:3], 0 offen
	buffer_load_dword v81, v74, s[0:3], 0 offen offset:4
	v_mov_b32_e32 v74, s41
	v_cmp_eq_u32_e32 vcc_lo, 0, v71
	s_add_i32 s41, s41, 16
	ds_read_b128 v[76:79], v74
	s_or_b32 s5, vcc_lo, s5
	s_waitcnt vmcnt(2) lgkmcnt(0)
	v_mul_f64 v[82:83], v[78:79], v[72:73]
	v_mul_f64 v[72:73], v[76:77], v[72:73]
	s_waitcnt vmcnt(0)
	v_fma_f64 v[76:77], v[76:77], v[80:81], -v[82:83]
	v_fma_f64 v[72:73], v[78:79], v[80:81], v[72:73]
	v_add_f64 v[1:2], v[1:2], v[76:77]
	v_add_f64 v[3:4], v[3:4], v[72:73]
	s_andn2_b32 exec_lo, exec_lo, s5
	s_cbranch_execnz .LBB95_120
; %bb.121:
	s_or_b32 exec_lo, exec_lo, s5
.LBB95_122:
	s_or_b32 exec_lo, exec_lo, s8
	v_mov_b32_e32 v71, 0
	ds_read_b128 v[71:74], v71 offset:256
	s_waitcnt lgkmcnt(0)
	v_mul_f64 v[76:77], v[3:4], v[73:74]
	v_mul_f64 v[73:74], v[1:2], v[73:74]
	v_fma_f64 v[1:2], v[1:2], v[71:72], -v[76:77]
	v_fma_f64 v[3:4], v[3:4], v[71:72], v[73:74]
	buffer_store_dword v2, off, s[0:3], 0 offset:260
	buffer_store_dword v1, off, s[0:3], 0 offset:256
	;; [unrolled: 1-line block ×4, first 2 shown]
.LBB95_123:
	s_or_b32 exec_lo, exec_lo, s6
	v_mov_b32_e32 v4, s24
	v_cmp_lt_u32_e64 s5, 15, v0
	s_clause 0x3
	buffer_load_dword v1, v4, s[0:3], 0 offen
	buffer_load_dword v2, v4, s[0:3], 0 offen offset:4
	buffer_load_dword v3, v4, s[0:3], 0 offen offset:8
	;; [unrolled: 1-line block ×3, first 2 shown]
	s_waitcnt vmcnt(0)
	ds_write_b128 v70, v[1:4]
	s_waitcnt lgkmcnt(0)
	s_waitcnt_vscnt null, 0x0
	s_barrier
	buffer_gl0_inv
	s_and_saveexec_b32 s6, s5
	s_cbranch_execz .LBB95_131
; %bb.124:
	ds_read_b128 v[1:4], v70
	s_andn2_b32 vcc_lo, exec_lo, s40
	s_cbranch_vccnz .LBB95_126
; %bb.125:
	s_clause 0x3
	buffer_load_dword v71, v69, s[0:3], 0 offen offset:8
	buffer_load_dword v72, v69, s[0:3], 0 offen offset:12
	buffer_load_dword v73, v69, s[0:3], 0 offen
	buffer_load_dword v74, v69, s[0:3], 0 offen offset:4
	s_waitcnt vmcnt(2) lgkmcnt(0)
	v_mul_f64 v[76:77], v[3:4], v[71:72]
	v_mul_f64 v[71:72], v[1:2], v[71:72]
	s_waitcnt vmcnt(0)
	v_fma_f64 v[1:2], v[1:2], v[73:74], -v[76:77]
	v_fma_f64 v[3:4], v[3:4], v[73:74], v[71:72]
.LBB95_126:
	s_and_saveexec_b32 s8, s4
	s_cbranch_execz .LBB95_130
; %bb.127:
	v_add_nc_u32_e32 v71, -16, v0
	s_movk_i32 s41, 0x300
	s_mov_b32 s4, 0
	s_mov_b32 s42, s23
	.p2align	6
.LBB95_128:                             ; =>This Inner Loop Header: Depth=1
	v_mov_b32_e32 v74, s42
	v_add_nc_u32_e32 v71, -1, v71
	s_add_i32 s42, s42, 16
	s_clause 0x3
	buffer_load_dword v72, v74, s[0:3], 0 offen offset:8
	buffer_load_dword v73, v74, s[0:3], 0 offen offset:12
	buffer_load_dword v80, v74, s[0:3], 0 offen
	buffer_load_dword v81, v74, s[0:3], 0 offen offset:4
	v_mov_b32_e32 v74, s41
	v_cmp_eq_u32_e32 vcc_lo, 0, v71
	s_add_i32 s41, s41, 16
	ds_read_b128 v[76:79], v74
	s_or_b32 s4, vcc_lo, s4
	s_waitcnt vmcnt(2) lgkmcnt(0)
	v_mul_f64 v[82:83], v[78:79], v[72:73]
	v_mul_f64 v[72:73], v[76:77], v[72:73]
	s_waitcnt vmcnt(0)
	v_fma_f64 v[76:77], v[76:77], v[80:81], -v[82:83]
	v_fma_f64 v[72:73], v[78:79], v[80:81], v[72:73]
	v_add_f64 v[1:2], v[1:2], v[76:77]
	v_add_f64 v[3:4], v[3:4], v[72:73]
	s_andn2_b32 exec_lo, exec_lo, s4
	s_cbranch_execnz .LBB95_128
; %bb.129:
	s_or_b32 exec_lo, exec_lo, s4
.LBB95_130:
	s_or_b32 exec_lo, exec_lo, s8
	v_mov_b32_e32 v71, 0
	ds_read_b128 v[71:74], v71 offset:240
	s_waitcnt lgkmcnt(0)
	v_mul_f64 v[76:77], v[3:4], v[73:74]
	v_mul_f64 v[73:74], v[1:2], v[73:74]
	v_fma_f64 v[1:2], v[1:2], v[71:72], -v[76:77]
	v_fma_f64 v[3:4], v[3:4], v[71:72], v[73:74]
	buffer_store_dword v2, off, s[0:3], 0 offset:244
	buffer_store_dword v1, off, s[0:3], 0 offset:240
	;; [unrolled: 1-line block ×4, first 2 shown]
.LBB95_131:
	s_or_b32 exec_lo, exec_lo, s6
	v_mov_b32_e32 v4, s25
	v_cmp_lt_u32_e64 s4, 14, v0
	s_clause 0x3
	buffer_load_dword v1, v4, s[0:3], 0 offen
	buffer_load_dword v2, v4, s[0:3], 0 offen offset:4
	buffer_load_dword v3, v4, s[0:3], 0 offen offset:8
	;; [unrolled: 1-line block ×3, first 2 shown]
	s_waitcnt vmcnt(0)
	ds_write_b128 v70, v[1:4]
	s_waitcnt lgkmcnt(0)
	s_waitcnt_vscnt null, 0x0
	s_barrier
	buffer_gl0_inv
	s_and_saveexec_b32 s6, s4
	s_cbranch_execz .LBB95_139
; %bb.132:
	ds_read_b128 v[1:4], v70
	s_andn2_b32 vcc_lo, exec_lo, s40
	s_cbranch_vccnz .LBB95_134
; %bb.133:
	s_clause 0x3
	buffer_load_dword v71, v69, s[0:3], 0 offen offset:8
	buffer_load_dword v72, v69, s[0:3], 0 offen offset:12
	buffer_load_dword v73, v69, s[0:3], 0 offen
	buffer_load_dword v74, v69, s[0:3], 0 offen offset:4
	s_waitcnt vmcnt(2) lgkmcnt(0)
	v_mul_f64 v[76:77], v[3:4], v[71:72]
	v_mul_f64 v[71:72], v[1:2], v[71:72]
	s_waitcnt vmcnt(0)
	v_fma_f64 v[1:2], v[1:2], v[73:74], -v[76:77]
	v_fma_f64 v[3:4], v[3:4], v[73:74], v[71:72]
.LBB95_134:
	s_and_saveexec_b32 s8, s5
	s_cbranch_execz .LBB95_138
; %bb.135:
	v_add_nc_u32_e32 v71, -15, v0
	s_movk_i32 s41, 0x2f0
	s_mov_b32 s5, 0
	s_mov_b32 s42, s24
	.p2align	6
.LBB95_136:                             ; =>This Inner Loop Header: Depth=1
	v_mov_b32_e32 v74, s42
	v_add_nc_u32_e32 v71, -1, v71
	s_add_i32 s42, s42, 16
	s_clause 0x3
	buffer_load_dword v72, v74, s[0:3], 0 offen offset:8
	buffer_load_dword v73, v74, s[0:3], 0 offen offset:12
	buffer_load_dword v80, v74, s[0:3], 0 offen
	buffer_load_dword v81, v74, s[0:3], 0 offen offset:4
	v_mov_b32_e32 v74, s41
	v_cmp_eq_u32_e32 vcc_lo, 0, v71
	s_add_i32 s41, s41, 16
	ds_read_b128 v[76:79], v74
	s_or_b32 s5, vcc_lo, s5
	s_waitcnt vmcnt(2) lgkmcnt(0)
	v_mul_f64 v[82:83], v[78:79], v[72:73]
	v_mul_f64 v[72:73], v[76:77], v[72:73]
	s_waitcnt vmcnt(0)
	v_fma_f64 v[76:77], v[76:77], v[80:81], -v[82:83]
	v_fma_f64 v[72:73], v[78:79], v[80:81], v[72:73]
	v_add_f64 v[1:2], v[1:2], v[76:77]
	v_add_f64 v[3:4], v[3:4], v[72:73]
	s_andn2_b32 exec_lo, exec_lo, s5
	s_cbranch_execnz .LBB95_136
; %bb.137:
	s_or_b32 exec_lo, exec_lo, s5
.LBB95_138:
	s_or_b32 exec_lo, exec_lo, s8
	v_mov_b32_e32 v71, 0
	ds_read_b128 v[71:74], v71 offset:224
	s_waitcnt lgkmcnt(0)
	v_mul_f64 v[76:77], v[3:4], v[73:74]
	v_mul_f64 v[73:74], v[1:2], v[73:74]
	v_fma_f64 v[1:2], v[1:2], v[71:72], -v[76:77]
	v_fma_f64 v[3:4], v[3:4], v[71:72], v[73:74]
	buffer_store_dword v2, off, s[0:3], 0 offset:228
	buffer_store_dword v1, off, s[0:3], 0 offset:224
	;; [unrolled: 1-line block ×4, first 2 shown]
.LBB95_139:
	s_or_b32 exec_lo, exec_lo, s6
	v_mov_b32_e32 v4, s26
	v_cmp_lt_u32_e64 s5, 13, v0
	s_clause 0x3
	buffer_load_dword v1, v4, s[0:3], 0 offen
	buffer_load_dword v2, v4, s[0:3], 0 offen offset:4
	buffer_load_dword v3, v4, s[0:3], 0 offen offset:8
	;; [unrolled: 1-line block ×3, first 2 shown]
	s_waitcnt vmcnt(0)
	ds_write_b128 v70, v[1:4]
	s_waitcnt lgkmcnt(0)
	s_waitcnt_vscnt null, 0x0
	s_barrier
	buffer_gl0_inv
	s_and_saveexec_b32 s6, s5
	s_cbranch_execz .LBB95_147
; %bb.140:
	ds_read_b128 v[1:4], v70
	s_andn2_b32 vcc_lo, exec_lo, s40
	s_cbranch_vccnz .LBB95_142
; %bb.141:
	s_clause 0x3
	buffer_load_dword v71, v69, s[0:3], 0 offen offset:8
	buffer_load_dword v72, v69, s[0:3], 0 offen offset:12
	buffer_load_dword v73, v69, s[0:3], 0 offen
	buffer_load_dword v74, v69, s[0:3], 0 offen offset:4
	s_waitcnt vmcnt(2) lgkmcnt(0)
	v_mul_f64 v[76:77], v[3:4], v[71:72]
	v_mul_f64 v[71:72], v[1:2], v[71:72]
	s_waitcnt vmcnt(0)
	v_fma_f64 v[1:2], v[1:2], v[73:74], -v[76:77]
	v_fma_f64 v[3:4], v[3:4], v[73:74], v[71:72]
.LBB95_142:
	s_and_saveexec_b32 s8, s4
	s_cbranch_execz .LBB95_146
; %bb.143:
	v_add_nc_u32_e32 v71, -14, v0
	s_movk_i32 s41, 0x2e0
	s_mov_b32 s4, 0
	s_mov_b32 s42, s25
	.p2align	6
.LBB95_144:                             ; =>This Inner Loop Header: Depth=1
	v_mov_b32_e32 v74, s42
	v_add_nc_u32_e32 v71, -1, v71
	s_add_i32 s42, s42, 16
	s_clause 0x3
	buffer_load_dword v72, v74, s[0:3], 0 offen offset:8
	buffer_load_dword v73, v74, s[0:3], 0 offen offset:12
	buffer_load_dword v80, v74, s[0:3], 0 offen
	buffer_load_dword v81, v74, s[0:3], 0 offen offset:4
	v_mov_b32_e32 v74, s41
	v_cmp_eq_u32_e32 vcc_lo, 0, v71
	s_add_i32 s41, s41, 16
	ds_read_b128 v[76:79], v74
	s_or_b32 s4, vcc_lo, s4
	s_waitcnt vmcnt(2) lgkmcnt(0)
	v_mul_f64 v[82:83], v[78:79], v[72:73]
	v_mul_f64 v[72:73], v[76:77], v[72:73]
	s_waitcnt vmcnt(0)
	v_fma_f64 v[76:77], v[76:77], v[80:81], -v[82:83]
	v_fma_f64 v[72:73], v[78:79], v[80:81], v[72:73]
	v_add_f64 v[1:2], v[1:2], v[76:77]
	v_add_f64 v[3:4], v[3:4], v[72:73]
	s_andn2_b32 exec_lo, exec_lo, s4
	s_cbranch_execnz .LBB95_144
; %bb.145:
	s_or_b32 exec_lo, exec_lo, s4
.LBB95_146:
	s_or_b32 exec_lo, exec_lo, s8
	v_mov_b32_e32 v71, 0
	ds_read_b128 v[71:74], v71 offset:208
	s_waitcnt lgkmcnt(0)
	v_mul_f64 v[76:77], v[3:4], v[73:74]
	v_mul_f64 v[73:74], v[1:2], v[73:74]
	v_fma_f64 v[1:2], v[1:2], v[71:72], -v[76:77]
	v_fma_f64 v[3:4], v[3:4], v[71:72], v[73:74]
	buffer_store_dword v2, off, s[0:3], 0 offset:212
	buffer_store_dword v1, off, s[0:3], 0 offset:208
	;; [unrolled: 1-line block ×4, first 2 shown]
.LBB95_147:
	s_or_b32 exec_lo, exec_lo, s6
	v_mov_b32_e32 v4, s27
	v_cmp_lt_u32_e64 s4, 12, v0
	s_clause 0x3
	buffer_load_dword v1, v4, s[0:3], 0 offen
	buffer_load_dword v2, v4, s[0:3], 0 offen offset:4
	buffer_load_dword v3, v4, s[0:3], 0 offen offset:8
	;; [unrolled: 1-line block ×3, first 2 shown]
	s_waitcnt vmcnt(0)
	ds_write_b128 v70, v[1:4]
	s_waitcnt lgkmcnt(0)
	s_waitcnt_vscnt null, 0x0
	s_barrier
	buffer_gl0_inv
	s_and_saveexec_b32 s6, s4
	s_cbranch_execz .LBB95_155
; %bb.148:
	ds_read_b128 v[1:4], v70
	s_andn2_b32 vcc_lo, exec_lo, s40
	s_cbranch_vccnz .LBB95_150
; %bb.149:
	s_clause 0x3
	buffer_load_dword v71, v69, s[0:3], 0 offen offset:8
	buffer_load_dword v72, v69, s[0:3], 0 offen offset:12
	buffer_load_dword v73, v69, s[0:3], 0 offen
	buffer_load_dword v74, v69, s[0:3], 0 offen offset:4
	s_waitcnt vmcnt(2) lgkmcnt(0)
	v_mul_f64 v[76:77], v[3:4], v[71:72]
	v_mul_f64 v[71:72], v[1:2], v[71:72]
	s_waitcnt vmcnt(0)
	v_fma_f64 v[1:2], v[1:2], v[73:74], -v[76:77]
	v_fma_f64 v[3:4], v[3:4], v[73:74], v[71:72]
.LBB95_150:
	s_and_saveexec_b32 s8, s5
	s_cbranch_execz .LBB95_154
; %bb.151:
	v_add_nc_u32_e32 v71, -13, v0
	s_movk_i32 s41, 0x2d0
	s_mov_b32 s5, 0
	s_mov_b32 s42, s26
	.p2align	6
.LBB95_152:                             ; =>This Inner Loop Header: Depth=1
	v_mov_b32_e32 v74, s42
	v_add_nc_u32_e32 v71, -1, v71
	s_add_i32 s42, s42, 16
	s_clause 0x3
	buffer_load_dword v72, v74, s[0:3], 0 offen offset:8
	buffer_load_dword v73, v74, s[0:3], 0 offen offset:12
	buffer_load_dword v80, v74, s[0:3], 0 offen
	buffer_load_dword v81, v74, s[0:3], 0 offen offset:4
	v_mov_b32_e32 v74, s41
	v_cmp_eq_u32_e32 vcc_lo, 0, v71
	s_add_i32 s41, s41, 16
	ds_read_b128 v[76:79], v74
	s_or_b32 s5, vcc_lo, s5
	s_waitcnt vmcnt(2) lgkmcnt(0)
	v_mul_f64 v[82:83], v[78:79], v[72:73]
	v_mul_f64 v[72:73], v[76:77], v[72:73]
	s_waitcnt vmcnt(0)
	v_fma_f64 v[76:77], v[76:77], v[80:81], -v[82:83]
	v_fma_f64 v[72:73], v[78:79], v[80:81], v[72:73]
	v_add_f64 v[1:2], v[1:2], v[76:77]
	v_add_f64 v[3:4], v[3:4], v[72:73]
	s_andn2_b32 exec_lo, exec_lo, s5
	s_cbranch_execnz .LBB95_152
; %bb.153:
	s_or_b32 exec_lo, exec_lo, s5
.LBB95_154:
	s_or_b32 exec_lo, exec_lo, s8
	v_mov_b32_e32 v71, 0
	ds_read_b128 v[71:74], v71 offset:192
	s_waitcnt lgkmcnt(0)
	v_mul_f64 v[76:77], v[3:4], v[73:74]
	v_mul_f64 v[73:74], v[1:2], v[73:74]
	v_fma_f64 v[1:2], v[1:2], v[71:72], -v[76:77]
	v_fma_f64 v[3:4], v[3:4], v[71:72], v[73:74]
	buffer_store_dword v2, off, s[0:3], 0 offset:196
	buffer_store_dword v1, off, s[0:3], 0 offset:192
	;; [unrolled: 1-line block ×4, first 2 shown]
.LBB95_155:
	s_or_b32 exec_lo, exec_lo, s6
	v_mov_b32_e32 v4, s28
	v_cmp_lt_u32_e64 s5, 11, v0
	s_clause 0x3
	buffer_load_dword v1, v4, s[0:3], 0 offen
	buffer_load_dword v2, v4, s[0:3], 0 offen offset:4
	buffer_load_dword v3, v4, s[0:3], 0 offen offset:8
	;; [unrolled: 1-line block ×3, first 2 shown]
	s_waitcnt vmcnt(0)
	ds_write_b128 v70, v[1:4]
	s_waitcnt lgkmcnt(0)
	s_waitcnt_vscnt null, 0x0
	s_barrier
	buffer_gl0_inv
	s_and_saveexec_b32 s6, s5
	s_cbranch_execz .LBB95_163
; %bb.156:
	ds_read_b128 v[1:4], v70
	s_andn2_b32 vcc_lo, exec_lo, s40
	s_cbranch_vccnz .LBB95_158
; %bb.157:
	s_clause 0x3
	buffer_load_dword v71, v69, s[0:3], 0 offen offset:8
	buffer_load_dword v72, v69, s[0:3], 0 offen offset:12
	buffer_load_dword v73, v69, s[0:3], 0 offen
	buffer_load_dword v74, v69, s[0:3], 0 offen offset:4
	s_waitcnt vmcnt(2) lgkmcnt(0)
	v_mul_f64 v[76:77], v[3:4], v[71:72]
	v_mul_f64 v[71:72], v[1:2], v[71:72]
	s_waitcnt vmcnt(0)
	v_fma_f64 v[1:2], v[1:2], v[73:74], -v[76:77]
	v_fma_f64 v[3:4], v[3:4], v[73:74], v[71:72]
.LBB95_158:
	s_and_saveexec_b32 s8, s4
	s_cbranch_execz .LBB95_162
; %bb.159:
	v_add_nc_u32_e32 v71, -12, v0
	s_movk_i32 s41, 0x2c0
	s_mov_b32 s4, 0
	s_mov_b32 s42, s27
	.p2align	6
.LBB95_160:                             ; =>This Inner Loop Header: Depth=1
	v_mov_b32_e32 v74, s42
	v_add_nc_u32_e32 v71, -1, v71
	s_add_i32 s42, s42, 16
	s_clause 0x3
	buffer_load_dword v72, v74, s[0:3], 0 offen offset:8
	buffer_load_dword v73, v74, s[0:3], 0 offen offset:12
	buffer_load_dword v80, v74, s[0:3], 0 offen
	buffer_load_dword v81, v74, s[0:3], 0 offen offset:4
	v_mov_b32_e32 v74, s41
	v_cmp_eq_u32_e32 vcc_lo, 0, v71
	s_add_i32 s41, s41, 16
	ds_read_b128 v[76:79], v74
	s_or_b32 s4, vcc_lo, s4
	s_waitcnt vmcnt(2) lgkmcnt(0)
	v_mul_f64 v[82:83], v[78:79], v[72:73]
	v_mul_f64 v[72:73], v[76:77], v[72:73]
	s_waitcnt vmcnt(0)
	v_fma_f64 v[76:77], v[76:77], v[80:81], -v[82:83]
	v_fma_f64 v[72:73], v[78:79], v[80:81], v[72:73]
	v_add_f64 v[1:2], v[1:2], v[76:77]
	v_add_f64 v[3:4], v[3:4], v[72:73]
	s_andn2_b32 exec_lo, exec_lo, s4
	s_cbranch_execnz .LBB95_160
; %bb.161:
	s_or_b32 exec_lo, exec_lo, s4
.LBB95_162:
	s_or_b32 exec_lo, exec_lo, s8
	v_mov_b32_e32 v71, 0
	ds_read_b128 v[71:74], v71 offset:176
	s_waitcnt lgkmcnt(0)
	v_mul_f64 v[76:77], v[3:4], v[73:74]
	v_mul_f64 v[73:74], v[1:2], v[73:74]
	v_fma_f64 v[1:2], v[1:2], v[71:72], -v[76:77]
	v_fma_f64 v[3:4], v[3:4], v[71:72], v[73:74]
	buffer_store_dword v2, off, s[0:3], 0 offset:180
	buffer_store_dword v1, off, s[0:3], 0 offset:176
	;; [unrolled: 1-line block ×4, first 2 shown]
.LBB95_163:
	s_or_b32 exec_lo, exec_lo, s6
	v_mov_b32_e32 v4, s29
	v_cmp_lt_u32_e64 s4, 10, v0
	s_clause 0x3
	buffer_load_dword v1, v4, s[0:3], 0 offen
	buffer_load_dword v2, v4, s[0:3], 0 offen offset:4
	buffer_load_dword v3, v4, s[0:3], 0 offen offset:8
	;; [unrolled: 1-line block ×3, first 2 shown]
	s_waitcnt vmcnt(0)
	ds_write_b128 v70, v[1:4]
	s_waitcnt lgkmcnt(0)
	s_waitcnt_vscnt null, 0x0
	s_barrier
	buffer_gl0_inv
	s_and_saveexec_b32 s6, s4
	s_cbranch_execz .LBB95_171
; %bb.164:
	ds_read_b128 v[1:4], v70
	s_andn2_b32 vcc_lo, exec_lo, s40
	s_cbranch_vccnz .LBB95_166
; %bb.165:
	s_clause 0x3
	buffer_load_dword v71, v69, s[0:3], 0 offen offset:8
	buffer_load_dword v72, v69, s[0:3], 0 offen offset:12
	buffer_load_dword v73, v69, s[0:3], 0 offen
	buffer_load_dword v74, v69, s[0:3], 0 offen offset:4
	s_waitcnt vmcnt(2) lgkmcnt(0)
	v_mul_f64 v[76:77], v[3:4], v[71:72]
	v_mul_f64 v[71:72], v[1:2], v[71:72]
	s_waitcnt vmcnt(0)
	v_fma_f64 v[1:2], v[1:2], v[73:74], -v[76:77]
	v_fma_f64 v[3:4], v[3:4], v[73:74], v[71:72]
.LBB95_166:
	s_and_saveexec_b32 s8, s5
	s_cbranch_execz .LBB95_170
; %bb.167:
	v_add_nc_u32_e32 v71, -11, v0
	s_movk_i32 s41, 0x2b0
	s_mov_b32 s5, 0
	s_mov_b32 s42, s28
	.p2align	6
.LBB95_168:                             ; =>This Inner Loop Header: Depth=1
	v_mov_b32_e32 v74, s42
	v_add_nc_u32_e32 v71, -1, v71
	s_add_i32 s42, s42, 16
	s_clause 0x3
	buffer_load_dword v72, v74, s[0:3], 0 offen offset:8
	buffer_load_dword v73, v74, s[0:3], 0 offen offset:12
	buffer_load_dword v80, v74, s[0:3], 0 offen
	buffer_load_dword v81, v74, s[0:3], 0 offen offset:4
	v_mov_b32_e32 v74, s41
	v_cmp_eq_u32_e32 vcc_lo, 0, v71
	s_add_i32 s41, s41, 16
	ds_read_b128 v[76:79], v74
	s_or_b32 s5, vcc_lo, s5
	s_waitcnt vmcnt(2) lgkmcnt(0)
	v_mul_f64 v[82:83], v[78:79], v[72:73]
	v_mul_f64 v[72:73], v[76:77], v[72:73]
	s_waitcnt vmcnt(0)
	v_fma_f64 v[76:77], v[76:77], v[80:81], -v[82:83]
	v_fma_f64 v[72:73], v[78:79], v[80:81], v[72:73]
	v_add_f64 v[1:2], v[1:2], v[76:77]
	v_add_f64 v[3:4], v[3:4], v[72:73]
	s_andn2_b32 exec_lo, exec_lo, s5
	s_cbranch_execnz .LBB95_168
; %bb.169:
	s_or_b32 exec_lo, exec_lo, s5
.LBB95_170:
	s_or_b32 exec_lo, exec_lo, s8
	v_mov_b32_e32 v71, 0
	ds_read_b128 v[71:74], v71 offset:160
	s_waitcnt lgkmcnt(0)
	v_mul_f64 v[76:77], v[3:4], v[73:74]
	v_mul_f64 v[73:74], v[1:2], v[73:74]
	v_fma_f64 v[1:2], v[1:2], v[71:72], -v[76:77]
	v_fma_f64 v[3:4], v[3:4], v[71:72], v[73:74]
	buffer_store_dword v2, off, s[0:3], 0 offset:164
	buffer_store_dword v1, off, s[0:3], 0 offset:160
	;; [unrolled: 1-line block ×4, first 2 shown]
.LBB95_171:
	s_or_b32 exec_lo, exec_lo, s6
	v_mov_b32_e32 v4, s30
	v_cmp_lt_u32_e64 s5, 9, v0
	s_clause 0x3
	buffer_load_dword v1, v4, s[0:3], 0 offen
	buffer_load_dword v2, v4, s[0:3], 0 offen offset:4
	buffer_load_dword v3, v4, s[0:3], 0 offen offset:8
	;; [unrolled: 1-line block ×3, first 2 shown]
	s_waitcnt vmcnt(0)
	ds_write_b128 v70, v[1:4]
	s_waitcnt lgkmcnt(0)
	s_waitcnt_vscnt null, 0x0
	s_barrier
	buffer_gl0_inv
	s_and_saveexec_b32 s6, s5
	s_cbranch_execz .LBB95_179
; %bb.172:
	ds_read_b128 v[1:4], v70
	s_andn2_b32 vcc_lo, exec_lo, s40
	s_cbranch_vccnz .LBB95_174
; %bb.173:
	s_clause 0x3
	buffer_load_dword v71, v69, s[0:3], 0 offen offset:8
	buffer_load_dword v72, v69, s[0:3], 0 offen offset:12
	buffer_load_dword v73, v69, s[0:3], 0 offen
	buffer_load_dword v74, v69, s[0:3], 0 offen offset:4
	s_waitcnt vmcnt(2) lgkmcnt(0)
	v_mul_f64 v[76:77], v[3:4], v[71:72]
	v_mul_f64 v[71:72], v[1:2], v[71:72]
	s_waitcnt vmcnt(0)
	v_fma_f64 v[1:2], v[1:2], v[73:74], -v[76:77]
	v_fma_f64 v[3:4], v[3:4], v[73:74], v[71:72]
.LBB95_174:
	s_and_saveexec_b32 s8, s4
	s_cbranch_execz .LBB95_178
; %bb.175:
	v_add_nc_u32_e32 v71, -10, v0
	s_movk_i32 s41, 0x2a0
	s_mov_b32 s4, 0
	s_mov_b32 s42, s29
	.p2align	6
.LBB95_176:                             ; =>This Inner Loop Header: Depth=1
	v_mov_b32_e32 v74, s42
	v_add_nc_u32_e32 v71, -1, v71
	s_add_i32 s42, s42, 16
	s_clause 0x3
	buffer_load_dword v72, v74, s[0:3], 0 offen offset:8
	buffer_load_dword v73, v74, s[0:3], 0 offen offset:12
	buffer_load_dword v80, v74, s[0:3], 0 offen
	buffer_load_dword v81, v74, s[0:3], 0 offen offset:4
	v_mov_b32_e32 v74, s41
	v_cmp_eq_u32_e32 vcc_lo, 0, v71
	s_add_i32 s41, s41, 16
	ds_read_b128 v[76:79], v74
	s_or_b32 s4, vcc_lo, s4
	s_waitcnt vmcnt(2) lgkmcnt(0)
	v_mul_f64 v[82:83], v[78:79], v[72:73]
	v_mul_f64 v[72:73], v[76:77], v[72:73]
	s_waitcnt vmcnt(0)
	v_fma_f64 v[76:77], v[76:77], v[80:81], -v[82:83]
	v_fma_f64 v[72:73], v[78:79], v[80:81], v[72:73]
	v_add_f64 v[1:2], v[1:2], v[76:77]
	v_add_f64 v[3:4], v[3:4], v[72:73]
	s_andn2_b32 exec_lo, exec_lo, s4
	s_cbranch_execnz .LBB95_176
; %bb.177:
	s_or_b32 exec_lo, exec_lo, s4
.LBB95_178:
	s_or_b32 exec_lo, exec_lo, s8
	v_mov_b32_e32 v71, 0
	ds_read_b128 v[71:74], v71 offset:144
	s_waitcnt lgkmcnt(0)
	v_mul_f64 v[76:77], v[3:4], v[73:74]
	v_mul_f64 v[73:74], v[1:2], v[73:74]
	v_fma_f64 v[1:2], v[1:2], v[71:72], -v[76:77]
	v_fma_f64 v[3:4], v[3:4], v[71:72], v[73:74]
	buffer_store_dword v2, off, s[0:3], 0 offset:148
	buffer_store_dword v1, off, s[0:3], 0 offset:144
	;; [unrolled: 1-line block ×4, first 2 shown]
.LBB95_179:
	s_or_b32 exec_lo, exec_lo, s6
	v_mov_b32_e32 v4, s31
	v_cmp_lt_u32_e64 s4, 8, v0
	s_clause 0x3
	buffer_load_dword v1, v4, s[0:3], 0 offen
	buffer_load_dword v2, v4, s[0:3], 0 offen offset:4
	buffer_load_dword v3, v4, s[0:3], 0 offen offset:8
	buffer_load_dword v4, v4, s[0:3], 0 offen offset:12
	s_waitcnt vmcnt(0)
	ds_write_b128 v70, v[1:4]
	s_waitcnt lgkmcnt(0)
	s_waitcnt_vscnt null, 0x0
	s_barrier
	buffer_gl0_inv
	s_and_saveexec_b32 s6, s4
	s_cbranch_execz .LBB95_187
; %bb.180:
	ds_read_b128 v[1:4], v70
	s_andn2_b32 vcc_lo, exec_lo, s40
	s_cbranch_vccnz .LBB95_182
; %bb.181:
	s_clause 0x3
	buffer_load_dword v71, v69, s[0:3], 0 offen offset:8
	buffer_load_dword v72, v69, s[0:3], 0 offen offset:12
	buffer_load_dword v73, v69, s[0:3], 0 offen
	buffer_load_dword v74, v69, s[0:3], 0 offen offset:4
	s_waitcnt vmcnt(2) lgkmcnt(0)
	v_mul_f64 v[76:77], v[3:4], v[71:72]
	v_mul_f64 v[71:72], v[1:2], v[71:72]
	s_waitcnt vmcnt(0)
	v_fma_f64 v[1:2], v[1:2], v[73:74], -v[76:77]
	v_fma_f64 v[3:4], v[3:4], v[73:74], v[71:72]
.LBB95_182:
	s_and_saveexec_b32 s8, s5
	s_cbranch_execz .LBB95_186
; %bb.183:
	v_add_nc_u32_e32 v71, -9, v0
	s_movk_i32 s41, 0x290
	s_mov_b32 s5, 0
	s_mov_b32 s42, s30
	.p2align	6
.LBB95_184:                             ; =>This Inner Loop Header: Depth=1
	v_mov_b32_e32 v74, s42
	v_add_nc_u32_e32 v71, -1, v71
	s_add_i32 s42, s42, 16
	s_clause 0x3
	buffer_load_dword v72, v74, s[0:3], 0 offen offset:8
	buffer_load_dword v73, v74, s[0:3], 0 offen offset:12
	buffer_load_dword v80, v74, s[0:3], 0 offen
	buffer_load_dword v81, v74, s[0:3], 0 offen offset:4
	v_mov_b32_e32 v74, s41
	v_cmp_eq_u32_e32 vcc_lo, 0, v71
	s_add_i32 s41, s41, 16
	ds_read_b128 v[76:79], v74
	s_or_b32 s5, vcc_lo, s5
	s_waitcnt vmcnt(2) lgkmcnt(0)
	v_mul_f64 v[82:83], v[78:79], v[72:73]
	v_mul_f64 v[72:73], v[76:77], v[72:73]
	s_waitcnt vmcnt(0)
	v_fma_f64 v[76:77], v[76:77], v[80:81], -v[82:83]
	v_fma_f64 v[72:73], v[78:79], v[80:81], v[72:73]
	v_add_f64 v[1:2], v[1:2], v[76:77]
	v_add_f64 v[3:4], v[3:4], v[72:73]
	s_andn2_b32 exec_lo, exec_lo, s5
	s_cbranch_execnz .LBB95_184
; %bb.185:
	s_or_b32 exec_lo, exec_lo, s5
.LBB95_186:
	s_or_b32 exec_lo, exec_lo, s8
	v_mov_b32_e32 v71, 0
	ds_read_b128 v[71:74], v71 offset:128
	s_waitcnt lgkmcnt(0)
	v_mul_f64 v[76:77], v[3:4], v[73:74]
	v_mul_f64 v[73:74], v[1:2], v[73:74]
	v_fma_f64 v[1:2], v[1:2], v[71:72], -v[76:77]
	v_fma_f64 v[3:4], v[3:4], v[71:72], v[73:74]
	buffer_store_dword v2, off, s[0:3], 0 offset:132
	buffer_store_dword v1, off, s[0:3], 0 offset:128
	;; [unrolled: 1-line block ×4, first 2 shown]
.LBB95_187:
	s_or_b32 exec_lo, exec_lo, s6
	v_mov_b32_e32 v4, s33
	v_cmp_lt_u32_e64 s5, 7, v0
	s_clause 0x3
	buffer_load_dword v1, v4, s[0:3], 0 offen
	buffer_load_dword v2, v4, s[0:3], 0 offen offset:4
	buffer_load_dword v3, v4, s[0:3], 0 offen offset:8
	;; [unrolled: 1-line block ×3, first 2 shown]
	s_waitcnt vmcnt(0)
	ds_write_b128 v70, v[1:4]
	s_waitcnt lgkmcnt(0)
	s_waitcnt_vscnt null, 0x0
	s_barrier
	buffer_gl0_inv
	s_and_saveexec_b32 s6, s5
	s_cbranch_execz .LBB95_195
; %bb.188:
	ds_read_b128 v[1:4], v70
	s_andn2_b32 vcc_lo, exec_lo, s40
	s_cbranch_vccnz .LBB95_190
; %bb.189:
	s_clause 0x3
	buffer_load_dword v71, v69, s[0:3], 0 offen offset:8
	buffer_load_dword v72, v69, s[0:3], 0 offen offset:12
	buffer_load_dword v73, v69, s[0:3], 0 offen
	buffer_load_dword v74, v69, s[0:3], 0 offen offset:4
	s_waitcnt vmcnt(2) lgkmcnt(0)
	v_mul_f64 v[76:77], v[3:4], v[71:72]
	v_mul_f64 v[71:72], v[1:2], v[71:72]
	s_waitcnt vmcnt(0)
	v_fma_f64 v[1:2], v[1:2], v[73:74], -v[76:77]
	v_fma_f64 v[3:4], v[3:4], v[73:74], v[71:72]
.LBB95_190:
	s_and_saveexec_b32 s8, s4
	s_cbranch_execz .LBB95_194
; %bb.191:
	v_add_nc_u32_e32 v71, -8, v0
	s_movk_i32 s41, 0x280
	s_mov_b32 s4, 0
	s_mov_b32 s42, s31
	.p2align	6
.LBB95_192:                             ; =>This Inner Loop Header: Depth=1
	v_mov_b32_e32 v74, s42
	v_add_nc_u32_e32 v71, -1, v71
	s_add_i32 s42, s42, 16
	s_clause 0x3
	buffer_load_dword v72, v74, s[0:3], 0 offen offset:8
	buffer_load_dword v73, v74, s[0:3], 0 offen offset:12
	buffer_load_dword v80, v74, s[0:3], 0 offen
	buffer_load_dword v81, v74, s[0:3], 0 offen offset:4
	v_mov_b32_e32 v74, s41
	v_cmp_eq_u32_e32 vcc_lo, 0, v71
	s_add_i32 s41, s41, 16
	ds_read_b128 v[76:79], v74
	s_or_b32 s4, vcc_lo, s4
	s_waitcnt vmcnt(2) lgkmcnt(0)
	v_mul_f64 v[82:83], v[78:79], v[72:73]
	v_mul_f64 v[72:73], v[76:77], v[72:73]
	s_waitcnt vmcnt(0)
	v_fma_f64 v[76:77], v[76:77], v[80:81], -v[82:83]
	v_fma_f64 v[72:73], v[78:79], v[80:81], v[72:73]
	v_add_f64 v[1:2], v[1:2], v[76:77]
	v_add_f64 v[3:4], v[3:4], v[72:73]
	s_andn2_b32 exec_lo, exec_lo, s4
	s_cbranch_execnz .LBB95_192
; %bb.193:
	s_or_b32 exec_lo, exec_lo, s4
.LBB95_194:
	s_or_b32 exec_lo, exec_lo, s8
	v_mov_b32_e32 v71, 0
	ds_read_b128 v[71:74], v71 offset:112
	s_waitcnt lgkmcnt(0)
	v_mul_f64 v[76:77], v[3:4], v[73:74]
	v_mul_f64 v[73:74], v[1:2], v[73:74]
	v_fma_f64 v[1:2], v[1:2], v[71:72], -v[76:77]
	v_fma_f64 v[3:4], v[3:4], v[71:72], v[73:74]
	buffer_store_dword v2, off, s[0:3], 0 offset:116
	buffer_store_dword v1, off, s[0:3], 0 offset:112
	;; [unrolled: 1-line block ×4, first 2 shown]
.LBB95_195:
	s_or_b32 exec_lo, exec_lo, s6
	v_mov_b32_e32 v4, s34
	v_cmp_lt_u32_e64 s4, 6, v0
	s_clause 0x3
	buffer_load_dword v1, v4, s[0:3], 0 offen
	buffer_load_dword v2, v4, s[0:3], 0 offen offset:4
	buffer_load_dword v3, v4, s[0:3], 0 offen offset:8
	;; [unrolled: 1-line block ×3, first 2 shown]
	s_waitcnt vmcnt(0)
	ds_write_b128 v70, v[1:4]
	s_waitcnt lgkmcnt(0)
	s_waitcnt_vscnt null, 0x0
	s_barrier
	buffer_gl0_inv
	s_and_saveexec_b32 s6, s4
	s_cbranch_execz .LBB95_203
; %bb.196:
	ds_read_b128 v[1:4], v70
	s_andn2_b32 vcc_lo, exec_lo, s40
	s_cbranch_vccnz .LBB95_198
; %bb.197:
	s_clause 0x3
	buffer_load_dword v71, v69, s[0:3], 0 offen offset:8
	buffer_load_dword v72, v69, s[0:3], 0 offen offset:12
	buffer_load_dword v73, v69, s[0:3], 0 offen
	buffer_load_dword v74, v69, s[0:3], 0 offen offset:4
	s_waitcnt vmcnt(2) lgkmcnt(0)
	v_mul_f64 v[76:77], v[3:4], v[71:72]
	v_mul_f64 v[71:72], v[1:2], v[71:72]
	s_waitcnt vmcnt(0)
	v_fma_f64 v[1:2], v[1:2], v[73:74], -v[76:77]
	v_fma_f64 v[3:4], v[3:4], v[73:74], v[71:72]
.LBB95_198:
	s_and_saveexec_b32 s8, s5
	s_cbranch_execz .LBB95_202
; %bb.199:
	v_add_nc_u32_e32 v71, -7, v0
	s_movk_i32 s41, 0x270
	s_mov_b32 s5, 0
	s_mov_b32 s42, s33
	.p2align	6
.LBB95_200:                             ; =>This Inner Loop Header: Depth=1
	v_mov_b32_e32 v74, s42
	v_add_nc_u32_e32 v71, -1, v71
	s_add_i32 s42, s42, 16
	s_clause 0x3
	buffer_load_dword v72, v74, s[0:3], 0 offen offset:8
	buffer_load_dword v73, v74, s[0:3], 0 offen offset:12
	buffer_load_dword v80, v74, s[0:3], 0 offen
	buffer_load_dword v81, v74, s[0:3], 0 offen offset:4
	v_mov_b32_e32 v74, s41
	v_cmp_eq_u32_e32 vcc_lo, 0, v71
	s_add_i32 s41, s41, 16
	ds_read_b128 v[76:79], v74
	s_or_b32 s5, vcc_lo, s5
	s_waitcnt vmcnt(2) lgkmcnt(0)
	v_mul_f64 v[82:83], v[78:79], v[72:73]
	v_mul_f64 v[72:73], v[76:77], v[72:73]
	s_waitcnt vmcnt(0)
	v_fma_f64 v[76:77], v[76:77], v[80:81], -v[82:83]
	v_fma_f64 v[72:73], v[78:79], v[80:81], v[72:73]
	v_add_f64 v[1:2], v[1:2], v[76:77]
	v_add_f64 v[3:4], v[3:4], v[72:73]
	s_andn2_b32 exec_lo, exec_lo, s5
	s_cbranch_execnz .LBB95_200
; %bb.201:
	s_or_b32 exec_lo, exec_lo, s5
.LBB95_202:
	s_or_b32 exec_lo, exec_lo, s8
	v_mov_b32_e32 v71, 0
	ds_read_b128 v[71:74], v71 offset:96
	s_waitcnt lgkmcnt(0)
	v_mul_f64 v[76:77], v[3:4], v[73:74]
	v_mul_f64 v[73:74], v[1:2], v[73:74]
	v_fma_f64 v[1:2], v[1:2], v[71:72], -v[76:77]
	v_fma_f64 v[3:4], v[3:4], v[71:72], v[73:74]
	buffer_store_dword v2, off, s[0:3], 0 offset:100
	buffer_store_dword v1, off, s[0:3], 0 offset:96
	;; [unrolled: 1-line block ×4, first 2 shown]
.LBB95_203:
	s_or_b32 exec_lo, exec_lo, s6
	v_mov_b32_e32 v4, s35
	v_cmp_lt_u32_e64 s5, 5, v0
	s_clause 0x3
	buffer_load_dword v1, v4, s[0:3], 0 offen
	buffer_load_dword v2, v4, s[0:3], 0 offen offset:4
	buffer_load_dword v3, v4, s[0:3], 0 offen offset:8
	;; [unrolled: 1-line block ×3, first 2 shown]
	s_waitcnt vmcnt(0)
	ds_write_b128 v70, v[1:4]
	s_waitcnt lgkmcnt(0)
	s_waitcnt_vscnt null, 0x0
	s_barrier
	buffer_gl0_inv
	s_and_saveexec_b32 s6, s5
	s_cbranch_execz .LBB95_211
; %bb.204:
	ds_read_b128 v[1:4], v70
	s_andn2_b32 vcc_lo, exec_lo, s40
	s_cbranch_vccnz .LBB95_206
; %bb.205:
	s_clause 0x3
	buffer_load_dword v71, v69, s[0:3], 0 offen offset:8
	buffer_load_dword v72, v69, s[0:3], 0 offen offset:12
	buffer_load_dword v73, v69, s[0:3], 0 offen
	buffer_load_dword v74, v69, s[0:3], 0 offen offset:4
	s_waitcnt vmcnt(2) lgkmcnt(0)
	v_mul_f64 v[76:77], v[3:4], v[71:72]
	v_mul_f64 v[71:72], v[1:2], v[71:72]
	s_waitcnt vmcnt(0)
	v_fma_f64 v[1:2], v[1:2], v[73:74], -v[76:77]
	v_fma_f64 v[3:4], v[3:4], v[73:74], v[71:72]
.LBB95_206:
	s_and_saveexec_b32 s8, s4
	s_cbranch_execz .LBB95_210
; %bb.207:
	v_add_nc_u32_e32 v71, -6, v0
	s_movk_i32 s41, 0x260
	s_mov_b32 s4, 0
	s_mov_b32 s42, s34
	.p2align	6
.LBB95_208:                             ; =>This Inner Loop Header: Depth=1
	v_mov_b32_e32 v74, s42
	v_add_nc_u32_e32 v71, -1, v71
	s_add_i32 s42, s42, 16
	s_clause 0x3
	buffer_load_dword v72, v74, s[0:3], 0 offen offset:8
	buffer_load_dword v73, v74, s[0:3], 0 offen offset:12
	buffer_load_dword v80, v74, s[0:3], 0 offen
	buffer_load_dword v81, v74, s[0:3], 0 offen offset:4
	v_mov_b32_e32 v74, s41
	v_cmp_eq_u32_e32 vcc_lo, 0, v71
	s_add_i32 s41, s41, 16
	ds_read_b128 v[76:79], v74
	s_or_b32 s4, vcc_lo, s4
	s_waitcnt vmcnt(2) lgkmcnt(0)
	v_mul_f64 v[82:83], v[78:79], v[72:73]
	v_mul_f64 v[72:73], v[76:77], v[72:73]
	s_waitcnt vmcnt(0)
	v_fma_f64 v[76:77], v[76:77], v[80:81], -v[82:83]
	v_fma_f64 v[72:73], v[78:79], v[80:81], v[72:73]
	v_add_f64 v[1:2], v[1:2], v[76:77]
	v_add_f64 v[3:4], v[3:4], v[72:73]
	s_andn2_b32 exec_lo, exec_lo, s4
	s_cbranch_execnz .LBB95_208
; %bb.209:
	s_or_b32 exec_lo, exec_lo, s4
.LBB95_210:
	s_or_b32 exec_lo, exec_lo, s8
	v_mov_b32_e32 v71, 0
	ds_read_b128 v[71:74], v71 offset:80
	s_waitcnt lgkmcnt(0)
	v_mul_f64 v[76:77], v[3:4], v[73:74]
	v_mul_f64 v[73:74], v[1:2], v[73:74]
	v_fma_f64 v[1:2], v[1:2], v[71:72], -v[76:77]
	v_fma_f64 v[3:4], v[3:4], v[71:72], v[73:74]
	buffer_store_dword v2, off, s[0:3], 0 offset:84
	buffer_store_dword v1, off, s[0:3], 0 offset:80
	;; [unrolled: 1-line block ×4, first 2 shown]
.LBB95_211:
	s_or_b32 exec_lo, exec_lo, s6
	v_mov_b32_e32 v4, s36
	v_cmp_lt_u32_e64 s4, 4, v0
	s_clause 0x3
	buffer_load_dword v1, v4, s[0:3], 0 offen
	buffer_load_dword v2, v4, s[0:3], 0 offen offset:4
	buffer_load_dword v3, v4, s[0:3], 0 offen offset:8
	;; [unrolled: 1-line block ×3, first 2 shown]
	s_waitcnt vmcnt(0)
	ds_write_b128 v70, v[1:4]
	s_waitcnt lgkmcnt(0)
	s_waitcnt_vscnt null, 0x0
	s_barrier
	buffer_gl0_inv
	s_and_saveexec_b32 s6, s4
	s_cbranch_execz .LBB95_219
; %bb.212:
	ds_read_b128 v[1:4], v70
	s_andn2_b32 vcc_lo, exec_lo, s40
	s_cbranch_vccnz .LBB95_214
; %bb.213:
	s_clause 0x3
	buffer_load_dword v71, v69, s[0:3], 0 offen offset:8
	buffer_load_dword v72, v69, s[0:3], 0 offen offset:12
	buffer_load_dword v73, v69, s[0:3], 0 offen
	buffer_load_dword v74, v69, s[0:3], 0 offen offset:4
	s_waitcnt vmcnt(2) lgkmcnt(0)
	v_mul_f64 v[76:77], v[3:4], v[71:72]
	v_mul_f64 v[71:72], v[1:2], v[71:72]
	s_waitcnt vmcnt(0)
	v_fma_f64 v[1:2], v[1:2], v[73:74], -v[76:77]
	v_fma_f64 v[3:4], v[3:4], v[73:74], v[71:72]
.LBB95_214:
	s_and_saveexec_b32 s8, s5
	s_cbranch_execz .LBB95_218
; %bb.215:
	v_add_nc_u32_e32 v71, -5, v0
	s_movk_i32 s41, 0x250
	s_mov_b32 s5, 0
	s_mov_b32 s42, s35
	.p2align	6
.LBB95_216:                             ; =>This Inner Loop Header: Depth=1
	v_mov_b32_e32 v74, s42
	v_add_nc_u32_e32 v71, -1, v71
	s_add_i32 s42, s42, 16
	s_clause 0x3
	buffer_load_dword v72, v74, s[0:3], 0 offen offset:8
	buffer_load_dword v73, v74, s[0:3], 0 offen offset:12
	buffer_load_dword v80, v74, s[0:3], 0 offen
	buffer_load_dword v81, v74, s[0:3], 0 offen offset:4
	v_mov_b32_e32 v74, s41
	v_cmp_eq_u32_e32 vcc_lo, 0, v71
	s_add_i32 s41, s41, 16
	ds_read_b128 v[76:79], v74
	s_or_b32 s5, vcc_lo, s5
	s_waitcnt vmcnt(2) lgkmcnt(0)
	v_mul_f64 v[82:83], v[78:79], v[72:73]
	v_mul_f64 v[72:73], v[76:77], v[72:73]
	s_waitcnt vmcnt(0)
	v_fma_f64 v[76:77], v[76:77], v[80:81], -v[82:83]
	v_fma_f64 v[72:73], v[78:79], v[80:81], v[72:73]
	v_add_f64 v[1:2], v[1:2], v[76:77]
	v_add_f64 v[3:4], v[3:4], v[72:73]
	s_andn2_b32 exec_lo, exec_lo, s5
	s_cbranch_execnz .LBB95_216
; %bb.217:
	s_or_b32 exec_lo, exec_lo, s5
.LBB95_218:
	s_or_b32 exec_lo, exec_lo, s8
	v_mov_b32_e32 v71, 0
	ds_read_b128 v[71:74], v71 offset:64
	s_waitcnt lgkmcnt(0)
	v_mul_f64 v[76:77], v[3:4], v[73:74]
	v_mul_f64 v[73:74], v[1:2], v[73:74]
	v_fma_f64 v[1:2], v[1:2], v[71:72], -v[76:77]
	v_fma_f64 v[3:4], v[3:4], v[71:72], v[73:74]
	buffer_store_dword v2, off, s[0:3], 0 offset:68
	buffer_store_dword v1, off, s[0:3], 0 offset:64
	;; [unrolled: 1-line block ×4, first 2 shown]
.LBB95_219:
	s_or_b32 exec_lo, exec_lo, s6
	v_mov_b32_e32 v4, s37
	v_cmp_lt_u32_e64 s5, 3, v0
	s_clause 0x3
	buffer_load_dword v1, v4, s[0:3], 0 offen
	buffer_load_dword v2, v4, s[0:3], 0 offen offset:4
	buffer_load_dword v3, v4, s[0:3], 0 offen offset:8
	;; [unrolled: 1-line block ×3, first 2 shown]
	s_waitcnt vmcnt(0)
	ds_write_b128 v70, v[1:4]
	s_waitcnt lgkmcnt(0)
	s_waitcnt_vscnt null, 0x0
	s_barrier
	buffer_gl0_inv
	s_and_saveexec_b32 s6, s5
	s_cbranch_execz .LBB95_227
; %bb.220:
	ds_read_b128 v[1:4], v70
	s_andn2_b32 vcc_lo, exec_lo, s40
	s_cbranch_vccnz .LBB95_222
; %bb.221:
	s_clause 0x3
	buffer_load_dword v71, v69, s[0:3], 0 offen offset:8
	buffer_load_dword v72, v69, s[0:3], 0 offen offset:12
	buffer_load_dword v73, v69, s[0:3], 0 offen
	buffer_load_dword v74, v69, s[0:3], 0 offen offset:4
	s_waitcnt vmcnt(2) lgkmcnt(0)
	v_mul_f64 v[76:77], v[3:4], v[71:72]
	v_mul_f64 v[71:72], v[1:2], v[71:72]
	s_waitcnt vmcnt(0)
	v_fma_f64 v[1:2], v[1:2], v[73:74], -v[76:77]
	v_fma_f64 v[3:4], v[3:4], v[73:74], v[71:72]
.LBB95_222:
	s_and_saveexec_b32 s8, s4
	s_cbranch_execz .LBB95_226
; %bb.223:
	v_add_nc_u32_e32 v71, -4, v0
	s_movk_i32 s41, 0x240
	s_mov_b32 s4, 0
	s_mov_b32 s42, s36
	.p2align	6
.LBB95_224:                             ; =>This Inner Loop Header: Depth=1
	v_mov_b32_e32 v74, s42
	v_add_nc_u32_e32 v71, -1, v71
	s_add_i32 s42, s42, 16
	s_clause 0x3
	buffer_load_dword v72, v74, s[0:3], 0 offen offset:8
	buffer_load_dword v73, v74, s[0:3], 0 offen offset:12
	buffer_load_dword v80, v74, s[0:3], 0 offen
	buffer_load_dword v81, v74, s[0:3], 0 offen offset:4
	v_mov_b32_e32 v74, s41
	v_cmp_eq_u32_e32 vcc_lo, 0, v71
	s_add_i32 s41, s41, 16
	ds_read_b128 v[76:79], v74
	s_or_b32 s4, vcc_lo, s4
	s_waitcnt vmcnt(2) lgkmcnt(0)
	v_mul_f64 v[82:83], v[78:79], v[72:73]
	v_mul_f64 v[72:73], v[76:77], v[72:73]
	s_waitcnt vmcnt(0)
	v_fma_f64 v[76:77], v[76:77], v[80:81], -v[82:83]
	v_fma_f64 v[72:73], v[78:79], v[80:81], v[72:73]
	v_add_f64 v[1:2], v[1:2], v[76:77]
	v_add_f64 v[3:4], v[3:4], v[72:73]
	s_andn2_b32 exec_lo, exec_lo, s4
	s_cbranch_execnz .LBB95_224
; %bb.225:
	s_or_b32 exec_lo, exec_lo, s4
.LBB95_226:
	s_or_b32 exec_lo, exec_lo, s8
	v_mov_b32_e32 v71, 0
	ds_read_b128 v[71:74], v71 offset:48
	s_waitcnt lgkmcnt(0)
	v_mul_f64 v[76:77], v[3:4], v[73:74]
	v_mul_f64 v[73:74], v[1:2], v[73:74]
	v_fma_f64 v[1:2], v[1:2], v[71:72], -v[76:77]
	v_fma_f64 v[3:4], v[3:4], v[71:72], v[73:74]
	buffer_store_dword v2, off, s[0:3], 0 offset:52
	buffer_store_dword v1, off, s[0:3], 0 offset:48
	buffer_store_dword v4, off, s[0:3], 0 offset:60
	buffer_store_dword v3, off, s[0:3], 0 offset:56
.LBB95_227:
	s_or_b32 exec_lo, exec_lo, s6
	v_mov_b32_e32 v4, s38
	v_cmp_lt_u32_e64 s6, 2, v0
	s_clause 0x3
	buffer_load_dword v1, v4, s[0:3], 0 offen
	buffer_load_dword v2, v4, s[0:3], 0 offen offset:4
	buffer_load_dword v3, v4, s[0:3], 0 offen offset:8
	;; [unrolled: 1-line block ×3, first 2 shown]
	s_waitcnt vmcnt(0)
	ds_write_b128 v70, v[1:4]
	s_waitcnt lgkmcnt(0)
	s_waitcnt_vscnt null, 0x0
	s_barrier
	buffer_gl0_inv
	s_and_saveexec_b32 s4, s6
	s_cbranch_execz .LBB95_235
; %bb.228:
	ds_read_b128 v[1:4], v70
	s_andn2_b32 vcc_lo, exec_lo, s40
	s_cbranch_vccnz .LBB95_230
; %bb.229:
	s_clause 0x3
	buffer_load_dword v71, v69, s[0:3], 0 offen offset:8
	buffer_load_dword v72, v69, s[0:3], 0 offen offset:12
	buffer_load_dword v73, v69, s[0:3], 0 offen
	buffer_load_dword v74, v69, s[0:3], 0 offen offset:4
	s_waitcnt vmcnt(2) lgkmcnt(0)
	v_mul_f64 v[76:77], v[3:4], v[71:72]
	v_mul_f64 v[71:72], v[1:2], v[71:72]
	s_waitcnt vmcnt(0)
	v_fma_f64 v[1:2], v[1:2], v[73:74], -v[76:77]
	v_fma_f64 v[3:4], v[3:4], v[73:74], v[71:72]
.LBB95_230:
	s_and_saveexec_b32 s8, s5
	s_cbranch_execz .LBB95_234
; %bb.231:
	v_add_nc_u32_e32 v71, -3, v0
	s_movk_i32 s41, 0x230
	s_mov_b32 s5, 0
	s_mov_b32 s42, s37
	.p2align	6
.LBB95_232:                             ; =>This Inner Loop Header: Depth=1
	v_mov_b32_e32 v74, s42
	v_add_nc_u32_e32 v71, -1, v71
	s_add_i32 s42, s42, 16
	s_clause 0x3
	buffer_load_dword v72, v74, s[0:3], 0 offen offset:8
	buffer_load_dword v73, v74, s[0:3], 0 offen offset:12
	buffer_load_dword v80, v74, s[0:3], 0 offen
	buffer_load_dword v81, v74, s[0:3], 0 offen offset:4
	v_mov_b32_e32 v74, s41
	v_cmp_eq_u32_e32 vcc_lo, 0, v71
	s_add_i32 s41, s41, 16
	ds_read_b128 v[76:79], v74
	s_or_b32 s5, vcc_lo, s5
	s_waitcnt vmcnt(2) lgkmcnt(0)
	v_mul_f64 v[82:83], v[78:79], v[72:73]
	v_mul_f64 v[72:73], v[76:77], v[72:73]
	s_waitcnt vmcnt(0)
	v_fma_f64 v[76:77], v[76:77], v[80:81], -v[82:83]
	v_fma_f64 v[72:73], v[78:79], v[80:81], v[72:73]
	v_add_f64 v[1:2], v[1:2], v[76:77]
	v_add_f64 v[3:4], v[3:4], v[72:73]
	s_andn2_b32 exec_lo, exec_lo, s5
	s_cbranch_execnz .LBB95_232
; %bb.233:
	s_or_b32 exec_lo, exec_lo, s5
.LBB95_234:
	s_or_b32 exec_lo, exec_lo, s8
	v_mov_b32_e32 v71, 0
	ds_read_b128 v[71:74], v71 offset:32
	s_waitcnt lgkmcnt(0)
	v_mul_f64 v[76:77], v[3:4], v[73:74]
	v_mul_f64 v[73:74], v[1:2], v[73:74]
	v_fma_f64 v[1:2], v[1:2], v[71:72], -v[76:77]
	v_fma_f64 v[3:4], v[3:4], v[71:72], v[73:74]
	buffer_store_dword v2, off, s[0:3], 0 offset:36
	buffer_store_dword v1, off, s[0:3], 0 offset:32
	;; [unrolled: 1-line block ×4, first 2 shown]
.LBB95_235:
	s_or_b32 exec_lo, exec_lo, s4
	v_mov_b32_e32 v4, s39
	v_cmp_lt_u32_e64 s4, 1, v0
	s_clause 0x3
	buffer_load_dword v1, v4, s[0:3], 0 offen
	buffer_load_dword v2, v4, s[0:3], 0 offen offset:4
	buffer_load_dword v3, v4, s[0:3], 0 offen offset:8
	;; [unrolled: 1-line block ×3, first 2 shown]
	s_waitcnt vmcnt(0)
	ds_write_b128 v70, v[1:4]
	s_waitcnt lgkmcnt(0)
	s_waitcnt_vscnt null, 0x0
	s_barrier
	buffer_gl0_inv
	s_and_saveexec_b32 s5, s4
	s_cbranch_execz .LBB95_243
; %bb.236:
	ds_read_b128 v[1:4], v70
	s_andn2_b32 vcc_lo, exec_lo, s40
	s_cbranch_vccnz .LBB95_238
; %bb.237:
	s_clause 0x3
	buffer_load_dword v71, v69, s[0:3], 0 offen offset:8
	buffer_load_dword v72, v69, s[0:3], 0 offen offset:12
	buffer_load_dword v73, v69, s[0:3], 0 offen
	buffer_load_dword v74, v69, s[0:3], 0 offen offset:4
	s_waitcnt vmcnt(2) lgkmcnt(0)
	v_mul_f64 v[76:77], v[3:4], v[71:72]
	v_mul_f64 v[71:72], v[1:2], v[71:72]
	s_waitcnt vmcnt(0)
	v_fma_f64 v[1:2], v[1:2], v[73:74], -v[76:77]
	v_fma_f64 v[3:4], v[3:4], v[73:74], v[71:72]
.LBB95_238:
	s_and_saveexec_b32 s8, s6
	s_cbranch_execz .LBB95_242
; %bb.239:
	v_add_nc_u32_e32 v71, -2, v0
	s_movk_i32 s41, 0x220
	s_mov_b32 s6, 0
	s_mov_b32 s42, s38
	.p2align	6
.LBB95_240:                             ; =>This Inner Loop Header: Depth=1
	v_mov_b32_e32 v74, s42
	v_add_nc_u32_e32 v71, -1, v71
	s_add_i32 s42, s42, 16
	s_clause 0x3
	buffer_load_dword v72, v74, s[0:3], 0 offen offset:8
	buffer_load_dword v73, v74, s[0:3], 0 offen offset:12
	buffer_load_dword v80, v74, s[0:3], 0 offen
	buffer_load_dword v81, v74, s[0:3], 0 offen offset:4
	v_mov_b32_e32 v74, s41
	v_cmp_eq_u32_e32 vcc_lo, 0, v71
	s_add_i32 s41, s41, 16
	ds_read_b128 v[76:79], v74
	s_or_b32 s6, vcc_lo, s6
	s_waitcnt vmcnt(2) lgkmcnt(0)
	v_mul_f64 v[82:83], v[78:79], v[72:73]
	v_mul_f64 v[72:73], v[76:77], v[72:73]
	s_waitcnt vmcnt(0)
	v_fma_f64 v[76:77], v[76:77], v[80:81], -v[82:83]
	v_fma_f64 v[72:73], v[78:79], v[80:81], v[72:73]
	v_add_f64 v[1:2], v[1:2], v[76:77]
	v_add_f64 v[3:4], v[3:4], v[72:73]
	s_andn2_b32 exec_lo, exec_lo, s6
	s_cbranch_execnz .LBB95_240
; %bb.241:
	s_or_b32 exec_lo, exec_lo, s6
.LBB95_242:
	s_or_b32 exec_lo, exec_lo, s8
	v_mov_b32_e32 v71, 0
	ds_read_b128 v[71:74], v71 offset:16
	s_waitcnt lgkmcnt(0)
	v_mul_f64 v[76:77], v[3:4], v[73:74]
	v_mul_f64 v[73:74], v[1:2], v[73:74]
	v_fma_f64 v[1:2], v[1:2], v[71:72], -v[76:77]
	v_fma_f64 v[3:4], v[3:4], v[71:72], v[73:74]
	buffer_store_dword v2, off, s[0:3], 0 offset:20
	buffer_store_dword v1, off, s[0:3], 0 offset:16
	;; [unrolled: 1-line block ×4, first 2 shown]
.LBB95_243:
	s_or_b32 exec_lo, exec_lo, s5
	s_clause 0x3
	buffer_load_dword v1, off, s[0:3], 0
	buffer_load_dword v2, off, s[0:3], 0 offset:4
	buffer_load_dword v3, off, s[0:3], 0 offset:8
	;; [unrolled: 1-line block ×3, first 2 shown]
	s_mov_b32 s6, 0
	s_mov_b32 s5, 0
	s_mov_b32 s8, exec_lo
                                        ; implicit-def: $sgpr41
	s_waitcnt vmcnt(0)
	ds_write_b128 v70, v[1:4]
	s_waitcnt lgkmcnt(0)
	s_waitcnt_vscnt null, 0x0
	s_barrier
	buffer_gl0_inv
                                        ; implicit-def: $vgpr1_vgpr2
	v_cmpx_ne_u32_e32 0, v0
	s_cbranch_execz .LBB95_251
; %bb.244:
	ds_read_b128 v[1:4], v70
	s_andn2_b32 vcc_lo, exec_lo, s40
	s_cbranch_vccnz .LBB95_246
; %bb.245:
	s_clause 0x3
	buffer_load_dword v71, v69, s[0:3], 0 offen offset:8
	buffer_load_dword v72, v69, s[0:3], 0 offen offset:12
	buffer_load_dword v73, v69, s[0:3], 0 offen
	buffer_load_dword v74, v69, s[0:3], 0 offen offset:4
	s_waitcnt vmcnt(2) lgkmcnt(0)
	v_mul_f64 v[76:77], v[3:4], v[71:72]
	v_mul_f64 v[71:72], v[1:2], v[71:72]
	s_waitcnt vmcnt(0)
	v_fma_f64 v[1:2], v[1:2], v[73:74], -v[76:77]
	v_fma_f64 v[3:4], v[3:4], v[73:74], v[71:72]
.LBB95_246:
	s_and_saveexec_b32 s5, s4
	s_cbranch_execz .LBB95_250
; %bb.247:
	v_add_nc_u32_e32 v71, -1, v0
	s_movk_i32 s41, 0x210
	s_mov_b32 s4, 0
	s_mov_b32 s42, s39
	.p2align	6
.LBB95_248:                             ; =>This Inner Loop Header: Depth=1
	v_mov_b32_e32 v74, s42
	v_add_nc_u32_e32 v71, -1, v71
	s_add_i32 s42, s42, 16
	s_clause 0x3
	buffer_load_dword v72, v74, s[0:3], 0 offen offset:8
	buffer_load_dword v73, v74, s[0:3], 0 offen offset:12
	buffer_load_dword v80, v74, s[0:3], 0 offen
	buffer_load_dword v81, v74, s[0:3], 0 offen offset:4
	v_mov_b32_e32 v74, s41
	v_cmp_eq_u32_e32 vcc_lo, 0, v71
	s_add_i32 s41, s41, 16
	ds_read_b128 v[76:79], v74
	s_or_b32 s4, vcc_lo, s4
	s_waitcnt vmcnt(2) lgkmcnt(0)
	v_mul_f64 v[82:83], v[78:79], v[72:73]
	v_mul_f64 v[72:73], v[76:77], v[72:73]
	s_waitcnt vmcnt(0)
	v_fma_f64 v[76:77], v[76:77], v[80:81], -v[82:83]
	v_fma_f64 v[72:73], v[78:79], v[80:81], v[72:73]
	v_add_f64 v[1:2], v[1:2], v[76:77]
	v_add_f64 v[3:4], v[3:4], v[72:73]
	s_andn2_b32 exec_lo, exec_lo, s4
	s_cbranch_execnz .LBB95_248
; %bb.249:
	s_or_b32 exec_lo, exec_lo, s4
.LBB95_250:
	s_or_b32 exec_lo, exec_lo, s5
	v_mov_b32_e32 v71, 0
	s_mov_b32 s5, exec_lo
	s_or_b32 s41, 0, 8
	ds_read_b128 v[71:74], v71
	s_waitcnt lgkmcnt(0)
	v_mul_f64 v[76:77], v[3:4], v[73:74]
	v_mul_f64 v[73:74], v[1:2], v[73:74]
	v_fma_f64 v[76:77], v[1:2], v[71:72], -v[76:77]
	v_fma_f64 v[1:2], v[3:4], v[71:72], v[73:74]
	buffer_store_dword v77, off, s[0:3], 0 offset:4
	buffer_store_dword v76, off, s[0:3], 0
.LBB95_251:
	s_or_b32 exec_lo, exec_lo, s8
	s_and_b32 vcc_lo, exec_lo, s6
	s_cbranch_vccnz .LBB95_253
	s_branch .LBB95_496
.LBB95_252:
	s_mov_b32 s5, 0
                                        ; implicit-def: $vgpr1_vgpr2
                                        ; implicit-def: $sgpr41
	s_cbranch_execz .LBB95_496
.LBB95_253:
	v_mov_b32_e32 v4, s39
	v_cmp_eq_u32_e64 s4, 0, v0
	v_cndmask_b32_e64 v71, 0, 1, s40
	s_clause 0x3
	buffer_load_dword v1, v4, s[0:3], 0 offen
	buffer_load_dword v2, v4, s[0:3], 0 offen offset:4
	buffer_load_dword v3, v4, s[0:3], 0 offen offset:8
	;; [unrolled: 1-line block ×3, first 2 shown]
	s_waitcnt vmcnt(0)
	ds_write_b128 v70, v[1:4]
	s_waitcnt lgkmcnt(0)
	s_waitcnt_vscnt null, 0x0
	s_barrier
	buffer_gl0_inv
	s_and_saveexec_b32 s6, s4
	s_cbranch_execz .LBB95_257
; %bb.254:
	ds_read_b128 v[1:4], v70
	s_andn2_b32 vcc_lo, exec_lo, s40
	s_cbranch_vccnz .LBB95_256
; %bb.255:
	s_clause 0x3
	buffer_load_dword v72, v69, s[0:3], 0 offen offset:8
	buffer_load_dword v73, v69, s[0:3], 0 offen offset:12
	buffer_load_dword v76, v69, s[0:3], 0 offen
	buffer_load_dword v77, v69, s[0:3], 0 offen offset:4
	s_waitcnt vmcnt(2) lgkmcnt(0)
	v_mul_f64 v[78:79], v[3:4], v[72:73]
	v_mul_f64 v[72:73], v[1:2], v[72:73]
	s_waitcnt vmcnt(0)
	v_fma_f64 v[1:2], v[1:2], v[76:77], -v[78:79]
	v_fma_f64 v[3:4], v[3:4], v[76:77], v[72:73]
.LBB95_256:
	v_mov_b32_e32 v72, 0
	ds_read_b128 v[76:79], v72 offset:16
	s_waitcnt lgkmcnt(0)
	v_mul_f64 v[72:73], v[3:4], v[78:79]
	v_mul_f64 v[78:79], v[1:2], v[78:79]
	v_fma_f64 v[1:2], v[1:2], v[76:77], -v[72:73]
	v_fma_f64 v[3:4], v[3:4], v[76:77], v[78:79]
	buffer_store_dword v2, off, s[0:3], 0 offset:20
	buffer_store_dword v1, off, s[0:3], 0 offset:16
	;; [unrolled: 1-line block ×4, first 2 shown]
.LBB95_257:
	s_or_b32 exec_lo, exec_lo, s6
	v_mov_b32_e32 v4, s38
	s_mov_b32 s6, exec_lo
	s_clause 0x3
	buffer_load_dword v1, v4, s[0:3], 0 offen
	buffer_load_dword v2, v4, s[0:3], 0 offen offset:4
	buffer_load_dword v3, v4, s[0:3], 0 offen offset:8
	buffer_load_dword v4, v4, s[0:3], 0 offen offset:12
	s_waitcnt vmcnt(0)
	ds_write_b128 v70, v[1:4]
	s_waitcnt lgkmcnt(0)
	s_waitcnt_vscnt null, 0x0
	s_barrier
	buffer_gl0_inv
	v_cmpx_gt_u32_e32 2, v0
	s_cbranch_execz .LBB95_263
; %bb.258:
	ds_read_b128 v[1:4], v70
	v_cmp_ne_u32_e32 vcc_lo, 1, v71
	s_cbranch_vccnz .LBB95_260
; %bb.259:
	s_clause 0x3
	buffer_load_dword v72, v69, s[0:3], 0 offen offset:8
	buffer_load_dword v73, v69, s[0:3], 0 offen offset:12
	buffer_load_dword v76, v69, s[0:3], 0 offen
	buffer_load_dword v77, v69, s[0:3], 0 offen offset:4
	s_waitcnt vmcnt(2) lgkmcnt(0)
	v_mul_f64 v[78:79], v[3:4], v[72:73]
	v_mul_f64 v[72:73], v[1:2], v[72:73]
	s_waitcnt vmcnt(0)
	v_fma_f64 v[1:2], v[1:2], v[76:77], -v[78:79]
	v_fma_f64 v[3:4], v[3:4], v[76:77], v[72:73]
.LBB95_260:
	s_and_saveexec_b32 s8, s4
	s_cbranch_execz .LBB95_262
; %bb.261:
	s_clause 0x3
	buffer_load_dword v72, off, s[0:3], 0 offset:24
	buffer_load_dword v73, off, s[0:3], 0 offset:28
	;; [unrolled: 1-line block ×4, first 2 shown]
	v_mov_b32_e32 v74, 0
	ds_read_b128 v[76:79], v74 offset:528
	s_waitcnt vmcnt(2) lgkmcnt(0)
	v_mul_f64 v[82:83], v[78:79], v[72:73]
	v_mul_f64 v[72:73], v[76:77], v[72:73]
	s_waitcnt vmcnt(0)
	v_fma_f64 v[76:77], v[76:77], v[80:81], -v[82:83]
	v_fma_f64 v[72:73], v[78:79], v[80:81], v[72:73]
	v_add_f64 v[1:2], v[1:2], v[76:77]
	v_add_f64 v[3:4], v[3:4], v[72:73]
.LBB95_262:
	s_or_b32 exec_lo, exec_lo, s8
	v_mov_b32_e32 v72, 0
	ds_read_b128 v[76:79], v72 offset:32
	s_waitcnt lgkmcnt(0)
	v_mul_f64 v[72:73], v[3:4], v[78:79]
	v_mul_f64 v[78:79], v[1:2], v[78:79]
	v_fma_f64 v[1:2], v[1:2], v[76:77], -v[72:73]
	v_fma_f64 v[3:4], v[3:4], v[76:77], v[78:79]
	buffer_store_dword v2, off, s[0:3], 0 offset:36
	buffer_store_dword v1, off, s[0:3], 0 offset:32
	buffer_store_dword v4, off, s[0:3], 0 offset:44
	buffer_store_dword v3, off, s[0:3], 0 offset:40
.LBB95_263:
	s_or_b32 exec_lo, exec_lo, s6
	v_mov_b32_e32 v4, s37
	s_mov_b32 s6, exec_lo
	s_clause 0x3
	buffer_load_dword v1, v4, s[0:3], 0 offen
	buffer_load_dword v2, v4, s[0:3], 0 offen offset:4
	buffer_load_dword v3, v4, s[0:3], 0 offen offset:8
	;; [unrolled: 1-line block ×3, first 2 shown]
	s_waitcnt vmcnt(0)
	ds_write_b128 v70, v[1:4]
	s_waitcnt lgkmcnt(0)
	s_waitcnt_vscnt null, 0x0
	s_barrier
	buffer_gl0_inv
	v_cmpx_gt_u32_e32 3, v0
	s_cbranch_execz .LBB95_271
; %bb.264:
	ds_read_b128 v[1:4], v70
	v_cmp_ne_u32_e32 vcc_lo, 1, v71
	s_cbranch_vccnz .LBB95_266
; %bb.265:
	s_clause 0x3
	buffer_load_dword v72, v69, s[0:3], 0 offen offset:8
	buffer_load_dword v73, v69, s[0:3], 0 offen offset:12
	buffer_load_dword v76, v69, s[0:3], 0 offen
	buffer_load_dword v77, v69, s[0:3], 0 offen offset:4
	s_waitcnt vmcnt(2) lgkmcnt(0)
	v_mul_f64 v[78:79], v[3:4], v[72:73]
	v_mul_f64 v[72:73], v[1:2], v[72:73]
	s_waitcnt vmcnt(0)
	v_fma_f64 v[1:2], v[1:2], v[76:77], -v[78:79]
	v_fma_f64 v[3:4], v[3:4], v[76:77], v[72:73]
.LBB95_266:
	s_mov_b32 s8, exec_lo
	v_cmpx_ne_u32_e32 2, v0
	s_cbranch_execz .LBB95_270
; %bb.267:
	s_clause 0x3
	buffer_load_dword v72, v69, s[0:3], 0 offen offset:24
	buffer_load_dword v73, v69, s[0:3], 0 offen offset:28
	;; [unrolled: 1-line block ×4, first 2 shown]
	ds_read_b128 v[76:79], v70 offset:16
	s_waitcnt vmcnt(2) lgkmcnt(0)
	v_mul_f64 v[82:83], v[78:79], v[72:73]
	v_mul_f64 v[72:73], v[76:77], v[72:73]
	s_waitcnt vmcnt(0)
	v_fma_f64 v[76:77], v[76:77], v[80:81], -v[82:83]
	v_fma_f64 v[72:73], v[78:79], v[80:81], v[72:73]
	v_add_f64 v[1:2], v[1:2], v[76:77]
	v_add_f64 v[3:4], v[3:4], v[72:73]
	s_and_saveexec_b32 s40, s4
	s_cbranch_execz .LBB95_269
; %bb.268:
	s_clause 0x3
	buffer_load_dword v72, off, s[0:3], 0 offset:40
	buffer_load_dword v73, off, s[0:3], 0 offset:44
	;; [unrolled: 1-line block ×4, first 2 shown]
	v_mov_b32_e32 v74, 0
	ds_read_b128 v[76:79], v74 offset:544
	s_waitcnt vmcnt(2) lgkmcnt(0)
	v_mul_f64 v[82:83], v[76:77], v[72:73]
	v_mul_f64 v[72:73], v[78:79], v[72:73]
	s_waitcnt vmcnt(0)
	v_fma_f64 v[78:79], v[78:79], v[80:81], v[82:83]
	v_fma_f64 v[72:73], v[76:77], v[80:81], -v[72:73]
	v_add_f64 v[3:4], v[3:4], v[78:79]
	v_add_f64 v[1:2], v[1:2], v[72:73]
.LBB95_269:
	s_or_b32 exec_lo, exec_lo, s40
.LBB95_270:
	s_or_b32 exec_lo, exec_lo, s8
	v_mov_b32_e32 v72, 0
	ds_read_b128 v[76:79], v72 offset:48
	s_waitcnt lgkmcnt(0)
	v_mul_f64 v[72:73], v[3:4], v[78:79]
	v_mul_f64 v[78:79], v[1:2], v[78:79]
	v_fma_f64 v[1:2], v[1:2], v[76:77], -v[72:73]
	v_fma_f64 v[3:4], v[3:4], v[76:77], v[78:79]
	buffer_store_dword v2, off, s[0:3], 0 offset:52
	buffer_store_dword v1, off, s[0:3], 0 offset:48
	;; [unrolled: 1-line block ×4, first 2 shown]
.LBB95_271:
	s_or_b32 exec_lo, exec_lo, s6
	v_mov_b32_e32 v4, s36
	s_mov_b32 s4, exec_lo
	s_clause 0x3
	buffer_load_dword v1, v4, s[0:3], 0 offen
	buffer_load_dword v2, v4, s[0:3], 0 offen offset:4
	buffer_load_dword v3, v4, s[0:3], 0 offen offset:8
	;; [unrolled: 1-line block ×3, first 2 shown]
	s_waitcnt vmcnt(0)
	ds_write_b128 v70, v[1:4]
	s_waitcnt lgkmcnt(0)
	s_waitcnt_vscnt null, 0x0
	s_barrier
	buffer_gl0_inv
	v_cmpx_gt_u32_e32 4, v0
	s_cbranch_execz .LBB95_279
; %bb.272:
	ds_read_b128 v[1:4], v70
	v_cmp_ne_u32_e32 vcc_lo, 1, v71
	s_cbranch_vccnz .LBB95_274
; %bb.273:
	s_clause 0x3
	buffer_load_dword v72, v69, s[0:3], 0 offen offset:8
	buffer_load_dword v73, v69, s[0:3], 0 offen offset:12
	buffer_load_dword v76, v69, s[0:3], 0 offen
	buffer_load_dword v77, v69, s[0:3], 0 offen offset:4
	s_waitcnt vmcnt(2) lgkmcnt(0)
	v_mul_f64 v[78:79], v[3:4], v[72:73]
	v_mul_f64 v[72:73], v[1:2], v[72:73]
	s_waitcnt vmcnt(0)
	v_fma_f64 v[1:2], v[1:2], v[76:77], -v[78:79]
	v_fma_f64 v[3:4], v[3:4], v[76:77], v[72:73]
.LBB95_274:
	s_mov_b32 s6, exec_lo
	v_cmpx_ne_u32_e32 3, v0
	s_cbranch_execz .LBB95_278
; %bb.275:
	v_add_nc_u32_e32 v72, 0x210, v75
	v_add3_u32 v73, 0, v75, 16
	v_mov_b32_e32 v74, v0
	s_mov_b32 s8, 0
	.p2align	6
.LBB95_276:                             ; =>This Inner Loop Header: Depth=1
	s_clause 0x3
	buffer_load_dword v80, v73, s[0:3], 0 offen offset:8
	buffer_load_dword v81, v73, s[0:3], 0 offen offset:12
	buffer_load_dword v82, v73, s[0:3], 0 offen
	buffer_load_dword v83, v73, s[0:3], 0 offen offset:4
	ds_read_b128 v[76:79], v72
	v_add_nc_u32_e32 v74, 1, v74
	v_add_nc_u32_e32 v72, 16, v72
	;; [unrolled: 1-line block ×3, first 2 shown]
	v_cmp_lt_u32_e32 vcc_lo, 2, v74
	s_or_b32 s8, vcc_lo, s8
	s_waitcnt vmcnt(2) lgkmcnt(0)
	v_mul_f64 v[84:85], v[78:79], v[80:81]
	v_mul_f64 v[80:81], v[76:77], v[80:81]
	s_waitcnt vmcnt(0)
	v_fma_f64 v[76:77], v[76:77], v[82:83], -v[84:85]
	v_fma_f64 v[78:79], v[78:79], v[82:83], v[80:81]
	v_add_f64 v[1:2], v[1:2], v[76:77]
	v_add_f64 v[3:4], v[3:4], v[78:79]
	s_andn2_b32 exec_lo, exec_lo, s8
	s_cbranch_execnz .LBB95_276
; %bb.277:
	s_or_b32 exec_lo, exec_lo, s8
.LBB95_278:
	s_or_b32 exec_lo, exec_lo, s6
	v_mov_b32_e32 v72, 0
	ds_read_b128 v[76:79], v72 offset:64
	s_waitcnt lgkmcnt(0)
	v_mul_f64 v[72:73], v[3:4], v[78:79]
	v_mul_f64 v[78:79], v[1:2], v[78:79]
	v_fma_f64 v[1:2], v[1:2], v[76:77], -v[72:73]
	v_fma_f64 v[3:4], v[3:4], v[76:77], v[78:79]
	buffer_store_dword v2, off, s[0:3], 0 offset:68
	buffer_store_dword v1, off, s[0:3], 0 offset:64
	;; [unrolled: 1-line block ×4, first 2 shown]
.LBB95_279:
	s_or_b32 exec_lo, exec_lo, s4
	v_mov_b32_e32 v4, s35
	s_mov_b32 s4, exec_lo
	s_clause 0x3
	buffer_load_dword v1, v4, s[0:3], 0 offen
	buffer_load_dword v2, v4, s[0:3], 0 offen offset:4
	buffer_load_dword v3, v4, s[0:3], 0 offen offset:8
	;; [unrolled: 1-line block ×3, first 2 shown]
	s_waitcnt vmcnt(0)
	ds_write_b128 v70, v[1:4]
	s_waitcnt lgkmcnt(0)
	s_waitcnt_vscnt null, 0x0
	s_barrier
	buffer_gl0_inv
	v_cmpx_gt_u32_e32 5, v0
	s_cbranch_execz .LBB95_287
; %bb.280:
	ds_read_b128 v[1:4], v70
	v_cmp_ne_u32_e32 vcc_lo, 1, v71
	s_cbranch_vccnz .LBB95_282
; %bb.281:
	s_clause 0x3
	buffer_load_dword v72, v69, s[0:3], 0 offen offset:8
	buffer_load_dword v73, v69, s[0:3], 0 offen offset:12
	buffer_load_dword v76, v69, s[0:3], 0 offen
	buffer_load_dword v77, v69, s[0:3], 0 offen offset:4
	s_waitcnt vmcnt(2) lgkmcnt(0)
	v_mul_f64 v[78:79], v[3:4], v[72:73]
	v_mul_f64 v[72:73], v[1:2], v[72:73]
	s_waitcnt vmcnt(0)
	v_fma_f64 v[1:2], v[1:2], v[76:77], -v[78:79]
	v_fma_f64 v[3:4], v[3:4], v[76:77], v[72:73]
.LBB95_282:
	s_mov_b32 s6, exec_lo
	v_cmpx_ne_u32_e32 4, v0
	s_cbranch_execz .LBB95_286
; %bb.283:
	v_add_nc_u32_e32 v72, 0x210, v75
	v_add3_u32 v73, 0, v75, 16
	v_mov_b32_e32 v74, v0
	s_mov_b32 s8, 0
	.p2align	6
.LBB95_284:                             ; =>This Inner Loop Header: Depth=1
	s_clause 0x3
	buffer_load_dword v80, v73, s[0:3], 0 offen offset:8
	buffer_load_dword v81, v73, s[0:3], 0 offen offset:12
	buffer_load_dword v82, v73, s[0:3], 0 offen
	buffer_load_dword v83, v73, s[0:3], 0 offen offset:4
	ds_read_b128 v[76:79], v72
	v_add_nc_u32_e32 v74, 1, v74
	v_add_nc_u32_e32 v72, 16, v72
	;; [unrolled: 1-line block ×3, first 2 shown]
	v_cmp_lt_u32_e32 vcc_lo, 3, v74
	s_or_b32 s8, vcc_lo, s8
	s_waitcnt vmcnt(2) lgkmcnt(0)
	v_mul_f64 v[84:85], v[78:79], v[80:81]
	v_mul_f64 v[80:81], v[76:77], v[80:81]
	s_waitcnt vmcnt(0)
	v_fma_f64 v[76:77], v[76:77], v[82:83], -v[84:85]
	v_fma_f64 v[78:79], v[78:79], v[82:83], v[80:81]
	v_add_f64 v[1:2], v[1:2], v[76:77]
	v_add_f64 v[3:4], v[3:4], v[78:79]
	s_andn2_b32 exec_lo, exec_lo, s8
	s_cbranch_execnz .LBB95_284
; %bb.285:
	s_or_b32 exec_lo, exec_lo, s8
.LBB95_286:
	s_or_b32 exec_lo, exec_lo, s6
	v_mov_b32_e32 v72, 0
	ds_read_b128 v[76:79], v72 offset:80
	s_waitcnt lgkmcnt(0)
	v_mul_f64 v[72:73], v[3:4], v[78:79]
	v_mul_f64 v[78:79], v[1:2], v[78:79]
	v_fma_f64 v[1:2], v[1:2], v[76:77], -v[72:73]
	v_fma_f64 v[3:4], v[3:4], v[76:77], v[78:79]
	buffer_store_dword v2, off, s[0:3], 0 offset:84
	buffer_store_dword v1, off, s[0:3], 0 offset:80
	;; [unrolled: 1-line block ×4, first 2 shown]
.LBB95_287:
	s_or_b32 exec_lo, exec_lo, s4
	v_mov_b32_e32 v4, s34
	s_mov_b32 s4, exec_lo
	s_clause 0x3
	buffer_load_dword v1, v4, s[0:3], 0 offen
	buffer_load_dword v2, v4, s[0:3], 0 offen offset:4
	buffer_load_dword v3, v4, s[0:3], 0 offen offset:8
	;; [unrolled: 1-line block ×3, first 2 shown]
	s_waitcnt vmcnt(0)
	ds_write_b128 v70, v[1:4]
	s_waitcnt lgkmcnt(0)
	s_waitcnt_vscnt null, 0x0
	s_barrier
	buffer_gl0_inv
	v_cmpx_gt_u32_e32 6, v0
	s_cbranch_execz .LBB95_295
; %bb.288:
	ds_read_b128 v[1:4], v70
	v_cmp_ne_u32_e32 vcc_lo, 1, v71
	s_cbranch_vccnz .LBB95_290
; %bb.289:
	s_clause 0x3
	buffer_load_dword v72, v69, s[0:3], 0 offen offset:8
	buffer_load_dword v73, v69, s[0:3], 0 offen offset:12
	buffer_load_dword v76, v69, s[0:3], 0 offen
	buffer_load_dword v77, v69, s[0:3], 0 offen offset:4
	s_waitcnt vmcnt(2) lgkmcnt(0)
	v_mul_f64 v[78:79], v[3:4], v[72:73]
	v_mul_f64 v[72:73], v[1:2], v[72:73]
	s_waitcnt vmcnt(0)
	v_fma_f64 v[1:2], v[1:2], v[76:77], -v[78:79]
	v_fma_f64 v[3:4], v[3:4], v[76:77], v[72:73]
.LBB95_290:
	s_mov_b32 s6, exec_lo
	v_cmpx_ne_u32_e32 5, v0
	s_cbranch_execz .LBB95_294
; %bb.291:
	v_add_nc_u32_e32 v72, 0x210, v75
	v_add3_u32 v73, 0, v75, 16
	v_mov_b32_e32 v74, v0
	s_mov_b32 s8, 0
	.p2align	6
.LBB95_292:                             ; =>This Inner Loop Header: Depth=1
	s_clause 0x3
	buffer_load_dword v80, v73, s[0:3], 0 offen offset:8
	buffer_load_dword v81, v73, s[0:3], 0 offen offset:12
	buffer_load_dword v82, v73, s[0:3], 0 offen
	buffer_load_dword v83, v73, s[0:3], 0 offen offset:4
	ds_read_b128 v[76:79], v72
	v_add_nc_u32_e32 v74, 1, v74
	v_add_nc_u32_e32 v72, 16, v72
	;; [unrolled: 1-line block ×3, first 2 shown]
	v_cmp_lt_u32_e32 vcc_lo, 4, v74
	s_or_b32 s8, vcc_lo, s8
	s_waitcnt vmcnt(2) lgkmcnt(0)
	v_mul_f64 v[84:85], v[78:79], v[80:81]
	v_mul_f64 v[80:81], v[76:77], v[80:81]
	s_waitcnt vmcnt(0)
	v_fma_f64 v[76:77], v[76:77], v[82:83], -v[84:85]
	v_fma_f64 v[78:79], v[78:79], v[82:83], v[80:81]
	v_add_f64 v[1:2], v[1:2], v[76:77]
	v_add_f64 v[3:4], v[3:4], v[78:79]
	s_andn2_b32 exec_lo, exec_lo, s8
	s_cbranch_execnz .LBB95_292
; %bb.293:
	s_or_b32 exec_lo, exec_lo, s8
.LBB95_294:
	s_or_b32 exec_lo, exec_lo, s6
	v_mov_b32_e32 v72, 0
	ds_read_b128 v[76:79], v72 offset:96
	s_waitcnt lgkmcnt(0)
	v_mul_f64 v[72:73], v[3:4], v[78:79]
	v_mul_f64 v[78:79], v[1:2], v[78:79]
	v_fma_f64 v[1:2], v[1:2], v[76:77], -v[72:73]
	v_fma_f64 v[3:4], v[3:4], v[76:77], v[78:79]
	buffer_store_dword v2, off, s[0:3], 0 offset:100
	buffer_store_dword v1, off, s[0:3], 0 offset:96
	;; [unrolled: 1-line block ×4, first 2 shown]
.LBB95_295:
	s_or_b32 exec_lo, exec_lo, s4
	v_mov_b32_e32 v4, s33
	s_mov_b32 s4, exec_lo
	s_clause 0x3
	buffer_load_dword v1, v4, s[0:3], 0 offen
	buffer_load_dword v2, v4, s[0:3], 0 offen offset:4
	buffer_load_dword v3, v4, s[0:3], 0 offen offset:8
	;; [unrolled: 1-line block ×3, first 2 shown]
	s_waitcnt vmcnt(0)
	ds_write_b128 v70, v[1:4]
	s_waitcnt lgkmcnt(0)
	s_waitcnt_vscnt null, 0x0
	s_barrier
	buffer_gl0_inv
	v_cmpx_gt_u32_e32 7, v0
	s_cbranch_execz .LBB95_303
; %bb.296:
	ds_read_b128 v[1:4], v70
	v_cmp_ne_u32_e32 vcc_lo, 1, v71
	s_cbranch_vccnz .LBB95_298
; %bb.297:
	s_clause 0x3
	buffer_load_dword v72, v69, s[0:3], 0 offen offset:8
	buffer_load_dword v73, v69, s[0:3], 0 offen offset:12
	buffer_load_dword v76, v69, s[0:3], 0 offen
	buffer_load_dword v77, v69, s[0:3], 0 offen offset:4
	s_waitcnt vmcnt(2) lgkmcnt(0)
	v_mul_f64 v[78:79], v[3:4], v[72:73]
	v_mul_f64 v[72:73], v[1:2], v[72:73]
	s_waitcnt vmcnt(0)
	v_fma_f64 v[1:2], v[1:2], v[76:77], -v[78:79]
	v_fma_f64 v[3:4], v[3:4], v[76:77], v[72:73]
.LBB95_298:
	s_mov_b32 s6, exec_lo
	v_cmpx_ne_u32_e32 6, v0
	s_cbranch_execz .LBB95_302
; %bb.299:
	v_add_nc_u32_e32 v72, 0x210, v75
	v_add3_u32 v73, 0, v75, 16
	v_mov_b32_e32 v74, v0
	s_mov_b32 s8, 0
	.p2align	6
.LBB95_300:                             ; =>This Inner Loop Header: Depth=1
	s_clause 0x3
	buffer_load_dword v80, v73, s[0:3], 0 offen offset:8
	buffer_load_dword v81, v73, s[0:3], 0 offen offset:12
	buffer_load_dword v82, v73, s[0:3], 0 offen
	buffer_load_dword v83, v73, s[0:3], 0 offen offset:4
	ds_read_b128 v[76:79], v72
	v_add_nc_u32_e32 v74, 1, v74
	v_add_nc_u32_e32 v72, 16, v72
	v_add_nc_u32_e32 v73, 16, v73
	v_cmp_lt_u32_e32 vcc_lo, 5, v74
	s_or_b32 s8, vcc_lo, s8
	s_waitcnt vmcnt(2) lgkmcnt(0)
	v_mul_f64 v[84:85], v[78:79], v[80:81]
	v_mul_f64 v[80:81], v[76:77], v[80:81]
	s_waitcnt vmcnt(0)
	v_fma_f64 v[76:77], v[76:77], v[82:83], -v[84:85]
	v_fma_f64 v[78:79], v[78:79], v[82:83], v[80:81]
	v_add_f64 v[1:2], v[1:2], v[76:77]
	v_add_f64 v[3:4], v[3:4], v[78:79]
	s_andn2_b32 exec_lo, exec_lo, s8
	s_cbranch_execnz .LBB95_300
; %bb.301:
	s_or_b32 exec_lo, exec_lo, s8
.LBB95_302:
	s_or_b32 exec_lo, exec_lo, s6
	v_mov_b32_e32 v72, 0
	ds_read_b128 v[76:79], v72 offset:112
	s_waitcnt lgkmcnt(0)
	v_mul_f64 v[72:73], v[3:4], v[78:79]
	v_mul_f64 v[78:79], v[1:2], v[78:79]
	v_fma_f64 v[1:2], v[1:2], v[76:77], -v[72:73]
	v_fma_f64 v[3:4], v[3:4], v[76:77], v[78:79]
	buffer_store_dword v2, off, s[0:3], 0 offset:116
	buffer_store_dword v1, off, s[0:3], 0 offset:112
	;; [unrolled: 1-line block ×4, first 2 shown]
.LBB95_303:
	s_or_b32 exec_lo, exec_lo, s4
	v_mov_b32_e32 v4, s31
	s_mov_b32 s4, exec_lo
	s_clause 0x3
	buffer_load_dword v1, v4, s[0:3], 0 offen
	buffer_load_dword v2, v4, s[0:3], 0 offen offset:4
	buffer_load_dword v3, v4, s[0:3], 0 offen offset:8
	buffer_load_dword v4, v4, s[0:3], 0 offen offset:12
	s_waitcnt vmcnt(0)
	ds_write_b128 v70, v[1:4]
	s_waitcnt lgkmcnt(0)
	s_waitcnt_vscnt null, 0x0
	s_barrier
	buffer_gl0_inv
	v_cmpx_gt_u32_e32 8, v0
	s_cbranch_execz .LBB95_311
; %bb.304:
	ds_read_b128 v[1:4], v70
	v_cmp_ne_u32_e32 vcc_lo, 1, v71
	s_cbranch_vccnz .LBB95_306
; %bb.305:
	s_clause 0x3
	buffer_load_dword v72, v69, s[0:3], 0 offen offset:8
	buffer_load_dword v73, v69, s[0:3], 0 offen offset:12
	buffer_load_dword v76, v69, s[0:3], 0 offen
	buffer_load_dword v77, v69, s[0:3], 0 offen offset:4
	s_waitcnt vmcnt(2) lgkmcnt(0)
	v_mul_f64 v[78:79], v[3:4], v[72:73]
	v_mul_f64 v[72:73], v[1:2], v[72:73]
	s_waitcnt vmcnt(0)
	v_fma_f64 v[1:2], v[1:2], v[76:77], -v[78:79]
	v_fma_f64 v[3:4], v[3:4], v[76:77], v[72:73]
.LBB95_306:
	s_mov_b32 s6, exec_lo
	v_cmpx_ne_u32_e32 7, v0
	s_cbranch_execz .LBB95_310
; %bb.307:
	v_add_nc_u32_e32 v72, 0x210, v75
	v_add3_u32 v73, 0, v75, 16
	v_mov_b32_e32 v74, v0
	s_mov_b32 s8, 0
	.p2align	6
.LBB95_308:                             ; =>This Inner Loop Header: Depth=1
	s_clause 0x3
	buffer_load_dword v80, v73, s[0:3], 0 offen offset:8
	buffer_load_dword v81, v73, s[0:3], 0 offen offset:12
	buffer_load_dword v82, v73, s[0:3], 0 offen
	buffer_load_dword v83, v73, s[0:3], 0 offen offset:4
	ds_read_b128 v[76:79], v72
	v_add_nc_u32_e32 v74, 1, v74
	v_add_nc_u32_e32 v72, 16, v72
	;; [unrolled: 1-line block ×3, first 2 shown]
	v_cmp_lt_u32_e32 vcc_lo, 6, v74
	s_or_b32 s8, vcc_lo, s8
	s_waitcnt vmcnt(2) lgkmcnt(0)
	v_mul_f64 v[84:85], v[78:79], v[80:81]
	v_mul_f64 v[80:81], v[76:77], v[80:81]
	s_waitcnt vmcnt(0)
	v_fma_f64 v[76:77], v[76:77], v[82:83], -v[84:85]
	v_fma_f64 v[78:79], v[78:79], v[82:83], v[80:81]
	v_add_f64 v[1:2], v[1:2], v[76:77]
	v_add_f64 v[3:4], v[3:4], v[78:79]
	s_andn2_b32 exec_lo, exec_lo, s8
	s_cbranch_execnz .LBB95_308
; %bb.309:
	s_or_b32 exec_lo, exec_lo, s8
.LBB95_310:
	s_or_b32 exec_lo, exec_lo, s6
	v_mov_b32_e32 v72, 0
	ds_read_b128 v[76:79], v72 offset:128
	s_waitcnt lgkmcnt(0)
	v_mul_f64 v[72:73], v[3:4], v[78:79]
	v_mul_f64 v[78:79], v[1:2], v[78:79]
	v_fma_f64 v[1:2], v[1:2], v[76:77], -v[72:73]
	v_fma_f64 v[3:4], v[3:4], v[76:77], v[78:79]
	buffer_store_dword v2, off, s[0:3], 0 offset:132
	buffer_store_dword v1, off, s[0:3], 0 offset:128
	;; [unrolled: 1-line block ×4, first 2 shown]
.LBB95_311:
	s_or_b32 exec_lo, exec_lo, s4
	v_mov_b32_e32 v4, s30
	s_mov_b32 s4, exec_lo
	s_clause 0x3
	buffer_load_dword v1, v4, s[0:3], 0 offen
	buffer_load_dword v2, v4, s[0:3], 0 offen offset:4
	buffer_load_dword v3, v4, s[0:3], 0 offen offset:8
	;; [unrolled: 1-line block ×3, first 2 shown]
	s_waitcnt vmcnt(0)
	ds_write_b128 v70, v[1:4]
	s_waitcnt lgkmcnt(0)
	s_waitcnt_vscnt null, 0x0
	s_barrier
	buffer_gl0_inv
	v_cmpx_gt_u32_e32 9, v0
	s_cbranch_execz .LBB95_319
; %bb.312:
	ds_read_b128 v[1:4], v70
	v_cmp_ne_u32_e32 vcc_lo, 1, v71
	s_cbranch_vccnz .LBB95_314
; %bb.313:
	s_clause 0x3
	buffer_load_dword v72, v69, s[0:3], 0 offen offset:8
	buffer_load_dword v73, v69, s[0:3], 0 offen offset:12
	buffer_load_dword v76, v69, s[0:3], 0 offen
	buffer_load_dword v77, v69, s[0:3], 0 offen offset:4
	s_waitcnt vmcnt(2) lgkmcnt(0)
	v_mul_f64 v[78:79], v[3:4], v[72:73]
	v_mul_f64 v[72:73], v[1:2], v[72:73]
	s_waitcnt vmcnt(0)
	v_fma_f64 v[1:2], v[1:2], v[76:77], -v[78:79]
	v_fma_f64 v[3:4], v[3:4], v[76:77], v[72:73]
.LBB95_314:
	s_mov_b32 s6, exec_lo
	v_cmpx_ne_u32_e32 8, v0
	s_cbranch_execz .LBB95_318
; %bb.315:
	v_add_nc_u32_e32 v72, 0x210, v75
	v_add3_u32 v73, 0, v75, 16
	v_mov_b32_e32 v74, v0
	s_mov_b32 s8, 0
	.p2align	6
.LBB95_316:                             ; =>This Inner Loop Header: Depth=1
	s_clause 0x3
	buffer_load_dword v80, v73, s[0:3], 0 offen offset:8
	buffer_load_dword v81, v73, s[0:3], 0 offen offset:12
	buffer_load_dword v82, v73, s[0:3], 0 offen
	buffer_load_dword v83, v73, s[0:3], 0 offen offset:4
	ds_read_b128 v[76:79], v72
	v_add_nc_u32_e32 v74, 1, v74
	v_add_nc_u32_e32 v72, 16, v72
	;; [unrolled: 1-line block ×3, first 2 shown]
	v_cmp_lt_u32_e32 vcc_lo, 7, v74
	s_or_b32 s8, vcc_lo, s8
	s_waitcnt vmcnt(2) lgkmcnt(0)
	v_mul_f64 v[84:85], v[78:79], v[80:81]
	v_mul_f64 v[80:81], v[76:77], v[80:81]
	s_waitcnt vmcnt(0)
	v_fma_f64 v[76:77], v[76:77], v[82:83], -v[84:85]
	v_fma_f64 v[78:79], v[78:79], v[82:83], v[80:81]
	v_add_f64 v[1:2], v[1:2], v[76:77]
	v_add_f64 v[3:4], v[3:4], v[78:79]
	s_andn2_b32 exec_lo, exec_lo, s8
	s_cbranch_execnz .LBB95_316
; %bb.317:
	s_or_b32 exec_lo, exec_lo, s8
.LBB95_318:
	s_or_b32 exec_lo, exec_lo, s6
	v_mov_b32_e32 v72, 0
	ds_read_b128 v[76:79], v72 offset:144
	s_waitcnt lgkmcnt(0)
	v_mul_f64 v[72:73], v[3:4], v[78:79]
	v_mul_f64 v[78:79], v[1:2], v[78:79]
	v_fma_f64 v[1:2], v[1:2], v[76:77], -v[72:73]
	v_fma_f64 v[3:4], v[3:4], v[76:77], v[78:79]
	buffer_store_dword v2, off, s[0:3], 0 offset:148
	buffer_store_dword v1, off, s[0:3], 0 offset:144
	;; [unrolled: 1-line block ×4, first 2 shown]
.LBB95_319:
	s_or_b32 exec_lo, exec_lo, s4
	v_mov_b32_e32 v4, s29
	s_mov_b32 s4, exec_lo
	s_clause 0x3
	buffer_load_dword v1, v4, s[0:3], 0 offen
	buffer_load_dword v2, v4, s[0:3], 0 offen offset:4
	buffer_load_dword v3, v4, s[0:3], 0 offen offset:8
	;; [unrolled: 1-line block ×3, first 2 shown]
	s_waitcnt vmcnt(0)
	ds_write_b128 v70, v[1:4]
	s_waitcnt lgkmcnt(0)
	s_waitcnt_vscnt null, 0x0
	s_barrier
	buffer_gl0_inv
	v_cmpx_gt_u32_e32 10, v0
	s_cbranch_execz .LBB95_327
; %bb.320:
	ds_read_b128 v[1:4], v70
	v_cmp_ne_u32_e32 vcc_lo, 1, v71
	s_cbranch_vccnz .LBB95_322
; %bb.321:
	s_clause 0x3
	buffer_load_dword v72, v69, s[0:3], 0 offen offset:8
	buffer_load_dword v73, v69, s[0:3], 0 offen offset:12
	buffer_load_dword v76, v69, s[0:3], 0 offen
	buffer_load_dword v77, v69, s[0:3], 0 offen offset:4
	s_waitcnt vmcnt(2) lgkmcnt(0)
	v_mul_f64 v[78:79], v[3:4], v[72:73]
	v_mul_f64 v[72:73], v[1:2], v[72:73]
	s_waitcnt vmcnt(0)
	v_fma_f64 v[1:2], v[1:2], v[76:77], -v[78:79]
	v_fma_f64 v[3:4], v[3:4], v[76:77], v[72:73]
.LBB95_322:
	s_mov_b32 s6, exec_lo
	v_cmpx_ne_u32_e32 9, v0
	s_cbranch_execz .LBB95_326
; %bb.323:
	v_add_nc_u32_e32 v72, 0x210, v75
	v_add3_u32 v73, 0, v75, 16
	v_mov_b32_e32 v74, v0
	s_mov_b32 s8, 0
	.p2align	6
.LBB95_324:                             ; =>This Inner Loop Header: Depth=1
	s_clause 0x3
	buffer_load_dword v80, v73, s[0:3], 0 offen offset:8
	buffer_load_dword v81, v73, s[0:3], 0 offen offset:12
	buffer_load_dword v82, v73, s[0:3], 0 offen
	buffer_load_dword v83, v73, s[0:3], 0 offen offset:4
	ds_read_b128 v[76:79], v72
	v_add_nc_u32_e32 v74, 1, v74
	v_add_nc_u32_e32 v72, 16, v72
	;; [unrolled: 1-line block ×3, first 2 shown]
	v_cmp_lt_u32_e32 vcc_lo, 8, v74
	s_or_b32 s8, vcc_lo, s8
	s_waitcnt vmcnt(2) lgkmcnt(0)
	v_mul_f64 v[84:85], v[78:79], v[80:81]
	v_mul_f64 v[80:81], v[76:77], v[80:81]
	s_waitcnt vmcnt(0)
	v_fma_f64 v[76:77], v[76:77], v[82:83], -v[84:85]
	v_fma_f64 v[78:79], v[78:79], v[82:83], v[80:81]
	v_add_f64 v[1:2], v[1:2], v[76:77]
	v_add_f64 v[3:4], v[3:4], v[78:79]
	s_andn2_b32 exec_lo, exec_lo, s8
	s_cbranch_execnz .LBB95_324
; %bb.325:
	s_or_b32 exec_lo, exec_lo, s8
.LBB95_326:
	s_or_b32 exec_lo, exec_lo, s6
	v_mov_b32_e32 v72, 0
	ds_read_b128 v[76:79], v72 offset:160
	s_waitcnt lgkmcnt(0)
	v_mul_f64 v[72:73], v[3:4], v[78:79]
	v_mul_f64 v[78:79], v[1:2], v[78:79]
	v_fma_f64 v[1:2], v[1:2], v[76:77], -v[72:73]
	v_fma_f64 v[3:4], v[3:4], v[76:77], v[78:79]
	buffer_store_dword v2, off, s[0:3], 0 offset:164
	buffer_store_dword v1, off, s[0:3], 0 offset:160
	buffer_store_dword v4, off, s[0:3], 0 offset:172
	buffer_store_dword v3, off, s[0:3], 0 offset:168
.LBB95_327:
	s_or_b32 exec_lo, exec_lo, s4
	v_mov_b32_e32 v4, s28
	s_mov_b32 s4, exec_lo
	s_clause 0x3
	buffer_load_dword v1, v4, s[0:3], 0 offen
	buffer_load_dword v2, v4, s[0:3], 0 offen offset:4
	buffer_load_dword v3, v4, s[0:3], 0 offen offset:8
	;; [unrolled: 1-line block ×3, first 2 shown]
	s_waitcnt vmcnt(0)
	ds_write_b128 v70, v[1:4]
	s_waitcnt lgkmcnt(0)
	s_waitcnt_vscnt null, 0x0
	s_barrier
	buffer_gl0_inv
	v_cmpx_gt_u32_e32 11, v0
	s_cbranch_execz .LBB95_335
; %bb.328:
	ds_read_b128 v[1:4], v70
	v_cmp_ne_u32_e32 vcc_lo, 1, v71
	s_cbranch_vccnz .LBB95_330
; %bb.329:
	s_clause 0x3
	buffer_load_dword v72, v69, s[0:3], 0 offen offset:8
	buffer_load_dword v73, v69, s[0:3], 0 offen offset:12
	buffer_load_dword v76, v69, s[0:3], 0 offen
	buffer_load_dword v77, v69, s[0:3], 0 offen offset:4
	s_waitcnt vmcnt(2) lgkmcnt(0)
	v_mul_f64 v[78:79], v[3:4], v[72:73]
	v_mul_f64 v[72:73], v[1:2], v[72:73]
	s_waitcnt vmcnt(0)
	v_fma_f64 v[1:2], v[1:2], v[76:77], -v[78:79]
	v_fma_f64 v[3:4], v[3:4], v[76:77], v[72:73]
.LBB95_330:
	s_mov_b32 s6, exec_lo
	v_cmpx_ne_u32_e32 10, v0
	s_cbranch_execz .LBB95_334
; %bb.331:
	v_add_nc_u32_e32 v72, 0x210, v75
	v_add3_u32 v73, 0, v75, 16
	v_mov_b32_e32 v74, v0
	s_mov_b32 s8, 0
	.p2align	6
.LBB95_332:                             ; =>This Inner Loop Header: Depth=1
	s_clause 0x3
	buffer_load_dword v80, v73, s[0:3], 0 offen offset:8
	buffer_load_dword v81, v73, s[0:3], 0 offen offset:12
	buffer_load_dword v82, v73, s[0:3], 0 offen
	buffer_load_dword v83, v73, s[0:3], 0 offen offset:4
	ds_read_b128 v[76:79], v72
	v_add_nc_u32_e32 v74, 1, v74
	v_add_nc_u32_e32 v72, 16, v72
	;; [unrolled: 1-line block ×3, first 2 shown]
	v_cmp_lt_u32_e32 vcc_lo, 9, v74
	s_or_b32 s8, vcc_lo, s8
	s_waitcnt vmcnt(2) lgkmcnt(0)
	v_mul_f64 v[84:85], v[78:79], v[80:81]
	v_mul_f64 v[80:81], v[76:77], v[80:81]
	s_waitcnt vmcnt(0)
	v_fma_f64 v[76:77], v[76:77], v[82:83], -v[84:85]
	v_fma_f64 v[78:79], v[78:79], v[82:83], v[80:81]
	v_add_f64 v[1:2], v[1:2], v[76:77]
	v_add_f64 v[3:4], v[3:4], v[78:79]
	s_andn2_b32 exec_lo, exec_lo, s8
	s_cbranch_execnz .LBB95_332
; %bb.333:
	s_or_b32 exec_lo, exec_lo, s8
.LBB95_334:
	s_or_b32 exec_lo, exec_lo, s6
	v_mov_b32_e32 v72, 0
	ds_read_b128 v[76:79], v72 offset:176
	s_waitcnt lgkmcnt(0)
	v_mul_f64 v[72:73], v[3:4], v[78:79]
	v_mul_f64 v[78:79], v[1:2], v[78:79]
	v_fma_f64 v[1:2], v[1:2], v[76:77], -v[72:73]
	v_fma_f64 v[3:4], v[3:4], v[76:77], v[78:79]
	buffer_store_dword v2, off, s[0:3], 0 offset:180
	buffer_store_dword v1, off, s[0:3], 0 offset:176
	;; [unrolled: 1-line block ×4, first 2 shown]
.LBB95_335:
	s_or_b32 exec_lo, exec_lo, s4
	v_mov_b32_e32 v4, s27
	s_mov_b32 s4, exec_lo
	s_clause 0x3
	buffer_load_dword v1, v4, s[0:3], 0 offen
	buffer_load_dword v2, v4, s[0:3], 0 offen offset:4
	buffer_load_dword v3, v4, s[0:3], 0 offen offset:8
	;; [unrolled: 1-line block ×3, first 2 shown]
	s_waitcnt vmcnt(0)
	ds_write_b128 v70, v[1:4]
	s_waitcnt lgkmcnt(0)
	s_waitcnt_vscnt null, 0x0
	s_barrier
	buffer_gl0_inv
	v_cmpx_gt_u32_e32 12, v0
	s_cbranch_execz .LBB95_343
; %bb.336:
	ds_read_b128 v[1:4], v70
	v_cmp_ne_u32_e32 vcc_lo, 1, v71
	s_cbranch_vccnz .LBB95_338
; %bb.337:
	s_clause 0x3
	buffer_load_dword v72, v69, s[0:3], 0 offen offset:8
	buffer_load_dword v73, v69, s[0:3], 0 offen offset:12
	buffer_load_dword v76, v69, s[0:3], 0 offen
	buffer_load_dword v77, v69, s[0:3], 0 offen offset:4
	s_waitcnt vmcnt(2) lgkmcnt(0)
	v_mul_f64 v[78:79], v[3:4], v[72:73]
	v_mul_f64 v[72:73], v[1:2], v[72:73]
	s_waitcnt vmcnt(0)
	v_fma_f64 v[1:2], v[1:2], v[76:77], -v[78:79]
	v_fma_f64 v[3:4], v[3:4], v[76:77], v[72:73]
.LBB95_338:
	s_mov_b32 s6, exec_lo
	v_cmpx_ne_u32_e32 11, v0
	s_cbranch_execz .LBB95_342
; %bb.339:
	v_add_nc_u32_e32 v72, 0x210, v75
	v_add3_u32 v73, 0, v75, 16
	v_mov_b32_e32 v74, v0
	s_mov_b32 s8, 0
	.p2align	6
.LBB95_340:                             ; =>This Inner Loop Header: Depth=1
	s_clause 0x3
	buffer_load_dword v80, v73, s[0:3], 0 offen offset:8
	buffer_load_dword v81, v73, s[0:3], 0 offen offset:12
	buffer_load_dword v82, v73, s[0:3], 0 offen
	buffer_load_dword v83, v73, s[0:3], 0 offen offset:4
	ds_read_b128 v[76:79], v72
	v_add_nc_u32_e32 v74, 1, v74
	v_add_nc_u32_e32 v72, 16, v72
	;; [unrolled: 1-line block ×3, first 2 shown]
	v_cmp_lt_u32_e32 vcc_lo, 10, v74
	s_or_b32 s8, vcc_lo, s8
	s_waitcnt vmcnt(2) lgkmcnt(0)
	v_mul_f64 v[84:85], v[78:79], v[80:81]
	v_mul_f64 v[80:81], v[76:77], v[80:81]
	s_waitcnt vmcnt(0)
	v_fma_f64 v[76:77], v[76:77], v[82:83], -v[84:85]
	v_fma_f64 v[78:79], v[78:79], v[82:83], v[80:81]
	v_add_f64 v[1:2], v[1:2], v[76:77]
	v_add_f64 v[3:4], v[3:4], v[78:79]
	s_andn2_b32 exec_lo, exec_lo, s8
	s_cbranch_execnz .LBB95_340
; %bb.341:
	s_or_b32 exec_lo, exec_lo, s8
.LBB95_342:
	s_or_b32 exec_lo, exec_lo, s6
	v_mov_b32_e32 v72, 0
	ds_read_b128 v[76:79], v72 offset:192
	s_waitcnt lgkmcnt(0)
	v_mul_f64 v[72:73], v[3:4], v[78:79]
	v_mul_f64 v[78:79], v[1:2], v[78:79]
	v_fma_f64 v[1:2], v[1:2], v[76:77], -v[72:73]
	v_fma_f64 v[3:4], v[3:4], v[76:77], v[78:79]
	buffer_store_dword v2, off, s[0:3], 0 offset:196
	buffer_store_dword v1, off, s[0:3], 0 offset:192
	buffer_store_dword v4, off, s[0:3], 0 offset:204
	buffer_store_dword v3, off, s[0:3], 0 offset:200
.LBB95_343:
	s_or_b32 exec_lo, exec_lo, s4
	v_mov_b32_e32 v4, s26
	s_mov_b32 s4, exec_lo
	s_clause 0x3
	buffer_load_dword v1, v4, s[0:3], 0 offen
	buffer_load_dword v2, v4, s[0:3], 0 offen offset:4
	buffer_load_dword v3, v4, s[0:3], 0 offen offset:8
	;; [unrolled: 1-line block ×3, first 2 shown]
	s_waitcnt vmcnt(0)
	ds_write_b128 v70, v[1:4]
	s_waitcnt lgkmcnt(0)
	s_waitcnt_vscnt null, 0x0
	s_barrier
	buffer_gl0_inv
	v_cmpx_gt_u32_e32 13, v0
	s_cbranch_execz .LBB95_351
; %bb.344:
	ds_read_b128 v[1:4], v70
	v_cmp_ne_u32_e32 vcc_lo, 1, v71
	s_cbranch_vccnz .LBB95_346
; %bb.345:
	s_clause 0x3
	buffer_load_dword v72, v69, s[0:3], 0 offen offset:8
	buffer_load_dword v73, v69, s[0:3], 0 offen offset:12
	buffer_load_dword v76, v69, s[0:3], 0 offen
	buffer_load_dword v77, v69, s[0:3], 0 offen offset:4
	s_waitcnt vmcnt(2) lgkmcnt(0)
	v_mul_f64 v[78:79], v[3:4], v[72:73]
	v_mul_f64 v[72:73], v[1:2], v[72:73]
	s_waitcnt vmcnt(0)
	v_fma_f64 v[1:2], v[1:2], v[76:77], -v[78:79]
	v_fma_f64 v[3:4], v[3:4], v[76:77], v[72:73]
.LBB95_346:
	s_mov_b32 s6, exec_lo
	v_cmpx_ne_u32_e32 12, v0
	s_cbranch_execz .LBB95_350
; %bb.347:
	v_add_nc_u32_e32 v72, 0x210, v75
	v_add3_u32 v73, 0, v75, 16
	v_mov_b32_e32 v74, v0
	s_mov_b32 s8, 0
	.p2align	6
.LBB95_348:                             ; =>This Inner Loop Header: Depth=1
	s_clause 0x3
	buffer_load_dword v80, v73, s[0:3], 0 offen offset:8
	buffer_load_dword v81, v73, s[0:3], 0 offen offset:12
	buffer_load_dword v82, v73, s[0:3], 0 offen
	buffer_load_dword v83, v73, s[0:3], 0 offen offset:4
	ds_read_b128 v[76:79], v72
	v_add_nc_u32_e32 v74, 1, v74
	v_add_nc_u32_e32 v72, 16, v72
	v_add_nc_u32_e32 v73, 16, v73
	v_cmp_lt_u32_e32 vcc_lo, 11, v74
	s_or_b32 s8, vcc_lo, s8
	s_waitcnt vmcnt(2) lgkmcnt(0)
	v_mul_f64 v[84:85], v[78:79], v[80:81]
	v_mul_f64 v[80:81], v[76:77], v[80:81]
	s_waitcnt vmcnt(0)
	v_fma_f64 v[76:77], v[76:77], v[82:83], -v[84:85]
	v_fma_f64 v[78:79], v[78:79], v[82:83], v[80:81]
	v_add_f64 v[1:2], v[1:2], v[76:77]
	v_add_f64 v[3:4], v[3:4], v[78:79]
	s_andn2_b32 exec_lo, exec_lo, s8
	s_cbranch_execnz .LBB95_348
; %bb.349:
	s_or_b32 exec_lo, exec_lo, s8
.LBB95_350:
	s_or_b32 exec_lo, exec_lo, s6
	v_mov_b32_e32 v72, 0
	ds_read_b128 v[76:79], v72 offset:208
	s_waitcnt lgkmcnt(0)
	v_mul_f64 v[72:73], v[3:4], v[78:79]
	v_mul_f64 v[78:79], v[1:2], v[78:79]
	v_fma_f64 v[1:2], v[1:2], v[76:77], -v[72:73]
	v_fma_f64 v[3:4], v[3:4], v[76:77], v[78:79]
	buffer_store_dword v2, off, s[0:3], 0 offset:212
	buffer_store_dword v1, off, s[0:3], 0 offset:208
	;; [unrolled: 1-line block ×4, first 2 shown]
.LBB95_351:
	s_or_b32 exec_lo, exec_lo, s4
	v_mov_b32_e32 v4, s25
	s_mov_b32 s4, exec_lo
	s_clause 0x3
	buffer_load_dword v1, v4, s[0:3], 0 offen
	buffer_load_dword v2, v4, s[0:3], 0 offen offset:4
	buffer_load_dword v3, v4, s[0:3], 0 offen offset:8
	;; [unrolled: 1-line block ×3, first 2 shown]
	s_waitcnt vmcnt(0)
	ds_write_b128 v70, v[1:4]
	s_waitcnt lgkmcnt(0)
	s_waitcnt_vscnt null, 0x0
	s_barrier
	buffer_gl0_inv
	v_cmpx_gt_u32_e32 14, v0
	s_cbranch_execz .LBB95_359
; %bb.352:
	ds_read_b128 v[1:4], v70
	v_cmp_ne_u32_e32 vcc_lo, 1, v71
	s_cbranch_vccnz .LBB95_354
; %bb.353:
	s_clause 0x3
	buffer_load_dword v72, v69, s[0:3], 0 offen offset:8
	buffer_load_dword v73, v69, s[0:3], 0 offen offset:12
	buffer_load_dword v76, v69, s[0:3], 0 offen
	buffer_load_dword v77, v69, s[0:3], 0 offen offset:4
	s_waitcnt vmcnt(2) lgkmcnt(0)
	v_mul_f64 v[78:79], v[3:4], v[72:73]
	v_mul_f64 v[72:73], v[1:2], v[72:73]
	s_waitcnt vmcnt(0)
	v_fma_f64 v[1:2], v[1:2], v[76:77], -v[78:79]
	v_fma_f64 v[3:4], v[3:4], v[76:77], v[72:73]
.LBB95_354:
	s_mov_b32 s6, exec_lo
	v_cmpx_ne_u32_e32 13, v0
	s_cbranch_execz .LBB95_358
; %bb.355:
	v_add_nc_u32_e32 v72, 0x210, v75
	v_add3_u32 v73, 0, v75, 16
	v_mov_b32_e32 v74, v0
	s_mov_b32 s8, 0
	.p2align	6
.LBB95_356:                             ; =>This Inner Loop Header: Depth=1
	s_clause 0x3
	buffer_load_dword v80, v73, s[0:3], 0 offen offset:8
	buffer_load_dword v81, v73, s[0:3], 0 offen offset:12
	buffer_load_dword v82, v73, s[0:3], 0 offen
	buffer_load_dword v83, v73, s[0:3], 0 offen offset:4
	ds_read_b128 v[76:79], v72
	v_add_nc_u32_e32 v74, 1, v74
	v_add_nc_u32_e32 v72, 16, v72
	;; [unrolled: 1-line block ×3, first 2 shown]
	v_cmp_lt_u32_e32 vcc_lo, 12, v74
	s_or_b32 s8, vcc_lo, s8
	s_waitcnt vmcnt(2) lgkmcnt(0)
	v_mul_f64 v[84:85], v[78:79], v[80:81]
	v_mul_f64 v[80:81], v[76:77], v[80:81]
	s_waitcnt vmcnt(0)
	v_fma_f64 v[76:77], v[76:77], v[82:83], -v[84:85]
	v_fma_f64 v[78:79], v[78:79], v[82:83], v[80:81]
	v_add_f64 v[1:2], v[1:2], v[76:77]
	v_add_f64 v[3:4], v[3:4], v[78:79]
	s_andn2_b32 exec_lo, exec_lo, s8
	s_cbranch_execnz .LBB95_356
; %bb.357:
	s_or_b32 exec_lo, exec_lo, s8
.LBB95_358:
	s_or_b32 exec_lo, exec_lo, s6
	v_mov_b32_e32 v72, 0
	ds_read_b128 v[76:79], v72 offset:224
	s_waitcnt lgkmcnt(0)
	v_mul_f64 v[72:73], v[3:4], v[78:79]
	v_mul_f64 v[78:79], v[1:2], v[78:79]
	v_fma_f64 v[1:2], v[1:2], v[76:77], -v[72:73]
	v_fma_f64 v[3:4], v[3:4], v[76:77], v[78:79]
	buffer_store_dword v2, off, s[0:3], 0 offset:228
	buffer_store_dword v1, off, s[0:3], 0 offset:224
	buffer_store_dword v4, off, s[0:3], 0 offset:236
	buffer_store_dword v3, off, s[0:3], 0 offset:232
.LBB95_359:
	s_or_b32 exec_lo, exec_lo, s4
	v_mov_b32_e32 v4, s24
	s_mov_b32 s4, exec_lo
	s_clause 0x3
	buffer_load_dword v1, v4, s[0:3], 0 offen
	buffer_load_dword v2, v4, s[0:3], 0 offen offset:4
	buffer_load_dword v3, v4, s[0:3], 0 offen offset:8
	;; [unrolled: 1-line block ×3, first 2 shown]
	s_waitcnt vmcnt(0)
	ds_write_b128 v70, v[1:4]
	s_waitcnt lgkmcnt(0)
	s_waitcnt_vscnt null, 0x0
	s_barrier
	buffer_gl0_inv
	v_cmpx_gt_u32_e32 15, v0
	s_cbranch_execz .LBB95_367
; %bb.360:
	ds_read_b128 v[1:4], v70
	v_cmp_ne_u32_e32 vcc_lo, 1, v71
	s_cbranch_vccnz .LBB95_362
; %bb.361:
	s_clause 0x3
	buffer_load_dword v72, v69, s[0:3], 0 offen offset:8
	buffer_load_dword v73, v69, s[0:3], 0 offen offset:12
	buffer_load_dword v76, v69, s[0:3], 0 offen
	buffer_load_dword v77, v69, s[0:3], 0 offen offset:4
	s_waitcnt vmcnt(2) lgkmcnt(0)
	v_mul_f64 v[78:79], v[3:4], v[72:73]
	v_mul_f64 v[72:73], v[1:2], v[72:73]
	s_waitcnt vmcnt(0)
	v_fma_f64 v[1:2], v[1:2], v[76:77], -v[78:79]
	v_fma_f64 v[3:4], v[3:4], v[76:77], v[72:73]
.LBB95_362:
	s_mov_b32 s6, exec_lo
	v_cmpx_ne_u32_e32 14, v0
	s_cbranch_execz .LBB95_366
; %bb.363:
	v_add_nc_u32_e32 v72, 0x210, v75
	v_add3_u32 v73, 0, v75, 16
	v_mov_b32_e32 v74, v0
	s_mov_b32 s8, 0
	.p2align	6
.LBB95_364:                             ; =>This Inner Loop Header: Depth=1
	s_clause 0x3
	buffer_load_dword v80, v73, s[0:3], 0 offen offset:8
	buffer_load_dword v81, v73, s[0:3], 0 offen offset:12
	buffer_load_dword v82, v73, s[0:3], 0 offen
	buffer_load_dword v83, v73, s[0:3], 0 offen offset:4
	ds_read_b128 v[76:79], v72
	v_add_nc_u32_e32 v74, 1, v74
	v_add_nc_u32_e32 v72, 16, v72
	;; [unrolled: 1-line block ×3, first 2 shown]
	v_cmp_lt_u32_e32 vcc_lo, 13, v74
	s_or_b32 s8, vcc_lo, s8
	s_waitcnt vmcnt(2) lgkmcnt(0)
	v_mul_f64 v[84:85], v[78:79], v[80:81]
	v_mul_f64 v[80:81], v[76:77], v[80:81]
	s_waitcnt vmcnt(0)
	v_fma_f64 v[76:77], v[76:77], v[82:83], -v[84:85]
	v_fma_f64 v[78:79], v[78:79], v[82:83], v[80:81]
	v_add_f64 v[1:2], v[1:2], v[76:77]
	v_add_f64 v[3:4], v[3:4], v[78:79]
	s_andn2_b32 exec_lo, exec_lo, s8
	s_cbranch_execnz .LBB95_364
; %bb.365:
	s_or_b32 exec_lo, exec_lo, s8
.LBB95_366:
	s_or_b32 exec_lo, exec_lo, s6
	v_mov_b32_e32 v72, 0
	ds_read_b128 v[76:79], v72 offset:240
	s_waitcnt lgkmcnt(0)
	v_mul_f64 v[72:73], v[3:4], v[78:79]
	v_mul_f64 v[78:79], v[1:2], v[78:79]
	v_fma_f64 v[1:2], v[1:2], v[76:77], -v[72:73]
	v_fma_f64 v[3:4], v[3:4], v[76:77], v[78:79]
	buffer_store_dword v2, off, s[0:3], 0 offset:244
	buffer_store_dword v1, off, s[0:3], 0 offset:240
	;; [unrolled: 1-line block ×4, first 2 shown]
.LBB95_367:
	s_or_b32 exec_lo, exec_lo, s4
	v_mov_b32_e32 v4, s23
	s_mov_b32 s4, exec_lo
	s_clause 0x3
	buffer_load_dword v1, v4, s[0:3], 0 offen
	buffer_load_dword v2, v4, s[0:3], 0 offen offset:4
	buffer_load_dword v3, v4, s[0:3], 0 offen offset:8
	;; [unrolled: 1-line block ×3, first 2 shown]
	s_waitcnt vmcnt(0)
	ds_write_b128 v70, v[1:4]
	s_waitcnt lgkmcnt(0)
	s_waitcnt_vscnt null, 0x0
	s_barrier
	buffer_gl0_inv
	v_cmpx_gt_u32_e32 16, v0
	s_cbranch_execz .LBB95_375
; %bb.368:
	ds_read_b128 v[1:4], v70
	v_cmp_ne_u32_e32 vcc_lo, 1, v71
	s_cbranch_vccnz .LBB95_370
; %bb.369:
	s_clause 0x3
	buffer_load_dword v72, v69, s[0:3], 0 offen offset:8
	buffer_load_dword v73, v69, s[0:3], 0 offen offset:12
	buffer_load_dword v76, v69, s[0:3], 0 offen
	buffer_load_dword v77, v69, s[0:3], 0 offen offset:4
	s_waitcnt vmcnt(2) lgkmcnt(0)
	v_mul_f64 v[78:79], v[3:4], v[72:73]
	v_mul_f64 v[72:73], v[1:2], v[72:73]
	s_waitcnt vmcnt(0)
	v_fma_f64 v[1:2], v[1:2], v[76:77], -v[78:79]
	v_fma_f64 v[3:4], v[3:4], v[76:77], v[72:73]
.LBB95_370:
	s_mov_b32 s6, exec_lo
	v_cmpx_ne_u32_e32 15, v0
	s_cbranch_execz .LBB95_374
; %bb.371:
	v_add_nc_u32_e32 v72, 0x210, v75
	v_add3_u32 v73, 0, v75, 16
	v_mov_b32_e32 v74, v0
	s_mov_b32 s8, 0
	.p2align	6
.LBB95_372:                             ; =>This Inner Loop Header: Depth=1
	s_clause 0x3
	buffer_load_dword v80, v73, s[0:3], 0 offen offset:8
	buffer_load_dword v81, v73, s[0:3], 0 offen offset:12
	buffer_load_dword v82, v73, s[0:3], 0 offen
	buffer_load_dword v83, v73, s[0:3], 0 offen offset:4
	ds_read_b128 v[76:79], v72
	v_add_nc_u32_e32 v74, 1, v74
	v_add_nc_u32_e32 v72, 16, v72
	;; [unrolled: 1-line block ×3, first 2 shown]
	v_cmp_lt_u32_e32 vcc_lo, 14, v74
	s_or_b32 s8, vcc_lo, s8
	s_waitcnt vmcnt(2) lgkmcnt(0)
	v_mul_f64 v[84:85], v[78:79], v[80:81]
	v_mul_f64 v[80:81], v[76:77], v[80:81]
	s_waitcnt vmcnt(0)
	v_fma_f64 v[76:77], v[76:77], v[82:83], -v[84:85]
	v_fma_f64 v[78:79], v[78:79], v[82:83], v[80:81]
	v_add_f64 v[1:2], v[1:2], v[76:77]
	v_add_f64 v[3:4], v[3:4], v[78:79]
	s_andn2_b32 exec_lo, exec_lo, s8
	s_cbranch_execnz .LBB95_372
; %bb.373:
	s_or_b32 exec_lo, exec_lo, s8
.LBB95_374:
	s_or_b32 exec_lo, exec_lo, s6
	v_mov_b32_e32 v72, 0
	ds_read_b128 v[76:79], v72 offset:256
	s_waitcnt lgkmcnt(0)
	v_mul_f64 v[72:73], v[3:4], v[78:79]
	v_mul_f64 v[78:79], v[1:2], v[78:79]
	v_fma_f64 v[1:2], v[1:2], v[76:77], -v[72:73]
	v_fma_f64 v[3:4], v[3:4], v[76:77], v[78:79]
	buffer_store_dword v2, off, s[0:3], 0 offset:260
	buffer_store_dword v1, off, s[0:3], 0 offset:256
	;; [unrolled: 1-line block ×4, first 2 shown]
.LBB95_375:
	s_or_b32 exec_lo, exec_lo, s4
	v_mov_b32_e32 v4, s22
	s_mov_b32 s4, exec_lo
	s_clause 0x3
	buffer_load_dword v1, v4, s[0:3], 0 offen
	buffer_load_dword v2, v4, s[0:3], 0 offen offset:4
	buffer_load_dword v3, v4, s[0:3], 0 offen offset:8
	;; [unrolled: 1-line block ×3, first 2 shown]
	s_waitcnt vmcnt(0)
	ds_write_b128 v70, v[1:4]
	s_waitcnt lgkmcnt(0)
	s_waitcnt_vscnt null, 0x0
	s_barrier
	buffer_gl0_inv
	v_cmpx_gt_u32_e32 17, v0
	s_cbranch_execz .LBB95_383
; %bb.376:
	ds_read_b128 v[1:4], v70
	v_cmp_ne_u32_e32 vcc_lo, 1, v71
	s_cbranch_vccnz .LBB95_378
; %bb.377:
	s_clause 0x3
	buffer_load_dword v72, v69, s[0:3], 0 offen offset:8
	buffer_load_dword v73, v69, s[0:3], 0 offen offset:12
	buffer_load_dword v76, v69, s[0:3], 0 offen
	buffer_load_dword v77, v69, s[0:3], 0 offen offset:4
	s_waitcnt vmcnt(2) lgkmcnt(0)
	v_mul_f64 v[78:79], v[3:4], v[72:73]
	v_mul_f64 v[72:73], v[1:2], v[72:73]
	s_waitcnt vmcnt(0)
	v_fma_f64 v[1:2], v[1:2], v[76:77], -v[78:79]
	v_fma_f64 v[3:4], v[3:4], v[76:77], v[72:73]
.LBB95_378:
	s_mov_b32 s6, exec_lo
	v_cmpx_ne_u32_e32 16, v0
	s_cbranch_execz .LBB95_382
; %bb.379:
	v_add_nc_u32_e32 v72, 0x210, v75
	v_add3_u32 v73, 0, v75, 16
	v_mov_b32_e32 v74, v0
	s_mov_b32 s8, 0
	.p2align	6
.LBB95_380:                             ; =>This Inner Loop Header: Depth=1
	s_clause 0x3
	buffer_load_dword v80, v73, s[0:3], 0 offen offset:8
	buffer_load_dword v81, v73, s[0:3], 0 offen offset:12
	buffer_load_dword v82, v73, s[0:3], 0 offen
	buffer_load_dword v83, v73, s[0:3], 0 offen offset:4
	ds_read_b128 v[76:79], v72
	v_add_nc_u32_e32 v74, 1, v74
	v_add_nc_u32_e32 v72, 16, v72
	;; [unrolled: 1-line block ×3, first 2 shown]
	v_cmp_lt_u32_e32 vcc_lo, 15, v74
	s_or_b32 s8, vcc_lo, s8
	s_waitcnt vmcnt(2) lgkmcnt(0)
	v_mul_f64 v[84:85], v[78:79], v[80:81]
	v_mul_f64 v[80:81], v[76:77], v[80:81]
	s_waitcnt vmcnt(0)
	v_fma_f64 v[76:77], v[76:77], v[82:83], -v[84:85]
	v_fma_f64 v[78:79], v[78:79], v[82:83], v[80:81]
	v_add_f64 v[1:2], v[1:2], v[76:77]
	v_add_f64 v[3:4], v[3:4], v[78:79]
	s_andn2_b32 exec_lo, exec_lo, s8
	s_cbranch_execnz .LBB95_380
; %bb.381:
	s_or_b32 exec_lo, exec_lo, s8
.LBB95_382:
	s_or_b32 exec_lo, exec_lo, s6
	v_mov_b32_e32 v72, 0
	ds_read_b128 v[76:79], v72 offset:272
	s_waitcnt lgkmcnt(0)
	v_mul_f64 v[72:73], v[3:4], v[78:79]
	v_mul_f64 v[78:79], v[1:2], v[78:79]
	v_fma_f64 v[1:2], v[1:2], v[76:77], -v[72:73]
	v_fma_f64 v[3:4], v[3:4], v[76:77], v[78:79]
	buffer_store_dword v2, off, s[0:3], 0 offset:276
	buffer_store_dword v1, off, s[0:3], 0 offset:272
	;; [unrolled: 1-line block ×4, first 2 shown]
.LBB95_383:
	s_or_b32 exec_lo, exec_lo, s4
	v_mov_b32_e32 v4, s21
	s_mov_b32 s4, exec_lo
	s_clause 0x3
	buffer_load_dword v1, v4, s[0:3], 0 offen
	buffer_load_dword v2, v4, s[0:3], 0 offen offset:4
	buffer_load_dword v3, v4, s[0:3], 0 offen offset:8
	;; [unrolled: 1-line block ×3, first 2 shown]
	s_waitcnt vmcnt(0)
	ds_write_b128 v70, v[1:4]
	s_waitcnt lgkmcnt(0)
	s_waitcnt_vscnt null, 0x0
	s_barrier
	buffer_gl0_inv
	v_cmpx_gt_u32_e32 18, v0
	s_cbranch_execz .LBB95_391
; %bb.384:
	ds_read_b128 v[1:4], v70
	v_cmp_ne_u32_e32 vcc_lo, 1, v71
	s_cbranch_vccnz .LBB95_386
; %bb.385:
	s_clause 0x3
	buffer_load_dword v72, v69, s[0:3], 0 offen offset:8
	buffer_load_dword v73, v69, s[0:3], 0 offen offset:12
	buffer_load_dword v76, v69, s[0:3], 0 offen
	buffer_load_dword v77, v69, s[0:3], 0 offen offset:4
	s_waitcnt vmcnt(2) lgkmcnt(0)
	v_mul_f64 v[78:79], v[3:4], v[72:73]
	v_mul_f64 v[72:73], v[1:2], v[72:73]
	s_waitcnt vmcnt(0)
	v_fma_f64 v[1:2], v[1:2], v[76:77], -v[78:79]
	v_fma_f64 v[3:4], v[3:4], v[76:77], v[72:73]
.LBB95_386:
	s_mov_b32 s6, exec_lo
	v_cmpx_ne_u32_e32 17, v0
	s_cbranch_execz .LBB95_390
; %bb.387:
	v_add_nc_u32_e32 v72, 0x210, v75
	v_add3_u32 v73, 0, v75, 16
	v_mov_b32_e32 v74, v0
	s_mov_b32 s8, 0
	.p2align	6
.LBB95_388:                             ; =>This Inner Loop Header: Depth=1
	s_clause 0x3
	buffer_load_dword v80, v73, s[0:3], 0 offen offset:8
	buffer_load_dword v81, v73, s[0:3], 0 offen offset:12
	buffer_load_dword v82, v73, s[0:3], 0 offen
	buffer_load_dword v83, v73, s[0:3], 0 offen offset:4
	ds_read_b128 v[76:79], v72
	v_add_nc_u32_e32 v74, 1, v74
	v_add_nc_u32_e32 v72, 16, v72
	v_add_nc_u32_e32 v73, 16, v73
	v_cmp_lt_u32_e32 vcc_lo, 16, v74
	s_or_b32 s8, vcc_lo, s8
	s_waitcnt vmcnt(2) lgkmcnt(0)
	v_mul_f64 v[84:85], v[78:79], v[80:81]
	v_mul_f64 v[80:81], v[76:77], v[80:81]
	s_waitcnt vmcnt(0)
	v_fma_f64 v[76:77], v[76:77], v[82:83], -v[84:85]
	v_fma_f64 v[78:79], v[78:79], v[82:83], v[80:81]
	v_add_f64 v[1:2], v[1:2], v[76:77]
	v_add_f64 v[3:4], v[3:4], v[78:79]
	s_andn2_b32 exec_lo, exec_lo, s8
	s_cbranch_execnz .LBB95_388
; %bb.389:
	s_or_b32 exec_lo, exec_lo, s8
.LBB95_390:
	s_or_b32 exec_lo, exec_lo, s6
	v_mov_b32_e32 v72, 0
	ds_read_b128 v[76:79], v72 offset:288
	s_waitcnt lgkmcnt(0)
	v_mul_f64 v[72:73], v[3:4], v[78:79]
	v_mul_f64 v[78:79], v[1:2], v[78:79]
	v_fma_f64 v[1:2], v[1:2], v[76:77], -v[72:73]
	v_fma_f64 v[3:4], v[3:4], v[76:77], v[78:79]
	buffer_store_dword v2, off, s[0:3], 0 offset:292
	buffer_store_dword v1, off, s[0:3], 0 offset:288
	;; [unrolled: 1-line block ×4, first 2 shown]
.LBB95_391:
	s_or_b32 exec_lo, exec_lo, s4
	v_mov_b32_e32 v4, s20
	s_mov_b32 s4, exec_lo
	s_clause 0x3
	buffer_load_dword v1, v4, s[0:3], 0 offen
	buffer_load_dword v2, v4, s[0:3], 0 offen offset:4
	buffer_load_dword v3, v4, s[0:3], 0 offen offset:8
	;; [unrolled: 1-line block ×3, first 2 shown]
	s_waitcnt vmcnt(0)
	ds_write_b128 v70, v[1:4]
	s_waitcnt lgkmcnt(0)
	s_waitcnt_vscnt null, 0x0
	s_barrier
	buffer_gl0_inv
	v_cmpx_gt_u32_e32 19, v0
	s_cbranch_execz .LBB95_399
; %bb.392:
	ds_read_b128 v[1:4], v70
	v_cmp_ne_u32_e32 vcc_lo, 1, v71
	s_cbranch_vccnz .LBB95_394
; %bb.393:
	s_clause 0x3
	buffer_load_dword v72, v69, s[0:3], 0 offen offset:8
	buffer_load_dword v73, v69, s[0:3], 0 offen offset:12
	buffer_load_dword v76, v69, s[0:3], 0 offen
	buffer_load_dword v77, v69, s[0:3], 0 offen offset:4
	s_waitcnt vmcnt(2) lgkmcnt(0)
	v_mul_f64 v[78:79], v[3:4], v[72:73]
	v_mul_f64 v[72:73], v[1:2], v[72:73]
	s_waitcnt vmcnt(0)
	v_fma_f64 v[1:2], v[1:2], v[76:77], -v[78:79]
	v_fma_f64 v[3:4], v[3:4], v[76:77], v[72:73]
.LBB95_394:
	s_mov_b32 s6, exec_lo
	v_cmpx_ne_u32_e32 18, v0
	s_cbranch_execz .LBB95_398
; %bb.395:
	v_add_nc_u32_e32 v72, 0x210, v75
	v_add3_u32 v73, 0, v75, 16
	v_mov_b32_e32 v74, v0
	s_mov_b32 s8, 0
	.p2align	6
.LBB95_396:                             ; =>This Inner Loop Header: Depth=1
	s_clause 0x3
	buffer_load_dword v80, v73, s[0:3], 0 offen offset:8
	buffer_load_dword v81, v73, s[0:3], 0 offen offset:12
	buffer_load_dword v82, v73, s[0:3], 0 offen
	buffer_load_dword v83, v73, s[0:3], 0 offen offset:4
	ds_read_b128 v[76:79], v72
	v_add_nc_u32_e32 v74, 1, v74
	v_add_nc_u32_e32 v72, 16, v72
	;; [unrolled: 1-line block ×3, first 2 shown]
	v_cmp_lt_u32_e32 vcc_lo, 17, v74
	s_or_b32 s8, vcc_lo, s8
	s_waitcnt vmcnt(2) lgkmcnt(0)
	v_mul_f64 v[84:85], v[78:79], v[80:81]
	v_mul_f64 v[80:81], v[76:77], v[80:81]
	s_waitcnt vmcnt(0)
	v_fma_f64 v[76:77], v[76:77], v[82:83], -v[84:85]
	v_fma_f64 v[78:79], v[78:79], v[82:83], v[80:81]
	v_add_f64 v[1:2], v[1:2], v[76:77]
	v_add_f64 v[3:4], v[3:4], v[78:79]
	s_andn2_b32 exec_lo, exec_lo, s8
	s_cbranch_execnz .LBB95_396
; %bb.397:
	s_or_b32 exec_lo, exec_lo, s8
.LBB95_398:
	s_or_b32 exec_lo, exec_lo, s6
	v_mov_b32_e32 v72, 0
	ds_read_b128 v[76:79], v72 offset:304
	s_waitcnt lgkmcnt(0)
	v_mul_f64 v[72:73], v[3:4], v[78:79]
	v_mul_f64 v[78:79], v[1:2], v[78:79]
	v_fma_f64 v[1:2], v[1:2], v[76:77], -v[72:73]
	v_fma_f64 v[3:4], v[3:4], v[76:77], v[78:79]
	buffer_store_dword v2, off, s[0:3], 0 offset:308
	buffer_store_dword v1, off, s[0:3], 0 offset:304
	buffer_store_dword v4, off, s[0:3], 0 offset:316
	buffer_store_dword v3, off, s[0:3], 0 offset:312
.LBB95_399:
	s_or_b32 exec_lo, exec_lo, s4
	v_mov_b32_e32 v4, s19
	s_mov_b32 s4, exec_lo
	s_clause 0x3
	buffer_load_dword v1, v4, s[0:3], 0 offen
	buffer_load_dword v2, v4, s[0:3], 0 offen offset:4
	buffer_load_dword v3, v4, s[0:3], 0 offen offset:8
	;; [unrolled: 1-line block ×3, first 2 shown]
	s_waitcnt vmcnt(0)
	ds_write_b128 v70, v[1:4]
	s_waitcnt lgkmcnt(0)
	s_waitcnt_vscnt null, 0x0
	s_barrier
	buffer_gl0_inv
	v_cmpx_gt_u32_e32 20, v0
	s_cbranch_execz .LBB95_407
; %bb.400:
	ds_read_b128 v[1:4], v70
	v_cmp_ne_u32_e32 vcc_lo, 1, v71
	s_cbranch_vccnz .LBB95_402
; %bb.401:
	s_clause 0x3
	buffer_load_dword v72, v69, s[0:3], 0 offen offset:8
	buffer_load_dword v73, v69, s[0:3], 0 offen offset:12
	buffer_load_dword v76, v69, s[0:3], 0 offen
	buffer_load_dword v77, v69, s[0:3], 0 offen offset:4
	s_waitcnt vmcnt(2) lgkmcnt(0)
	v_mul_f64 v[78:79], v[3:4], v[72:73]
	v_mul_f64 v[72:73], v[1:2], v[72:73]
	s_waitcnt vmcnt(0)
	v_fma_f64 v[1:2], v[1:2], v[76:77], -v[78:79]
	v_fma_f64 v[3:4], v[3:4], v[76:77], v[72:73]
.LBB95_402:
	s_mov_b32 s6, exec_lo
	v_cmpx_ne_u32_e32 19, v0
	s_cbranch_execz .LBB95_406
; %bb.403:
	v_add_nc_u32_e32 v72, 0x210, v75
	v_add3_u32 v73, 0, v75, 16
	v_mov_b32_e32 v74, v0
	s_mov_b32 s8, 0
	.p2align	6
.LBB95_404:                             ; =>This Inner Loop Header: Depth=1
	s_clause 0x3
	buffer_load_dword v80, v73, s[0:3], 0 offen offset:8
	buffer_load_dword v81, v73, s[0:3], 0 offen offset:12
	buffer_load_dword v82, v73, s[0:3], 0 offen
	buffer_load_dword v83, v73, s[0:3], 0 offen offset:4
	ds_read_b128 v[76:79], v72
	v_add_nc_u32_e32 v74, 1, v74
	v_add_nc_u32_e32 v72, 16, v72
	v_add_nc_u32_e32 v73, 16, v73
	v_cmp_lt_u32_e32 vcc_lo, 18, v74
	s_or_b32 s8, vcc_lo, s8
	s_waitcnt vmcnt(2) lgkmcnt(0)
	v_mul_f64 v[84:85], v[78:79], v[80:81]
	v_mul_f64 v[80:81], v[76:77], v[80:81]
	s_waitcnt vmcnt(0)
	v_fma_f64 v[76:77], v[76:77], v[82:83], -v[84:85]
	v_fma_f64 v[78:79], v[78:79], v[82:83], v[80:81]
	v_add_f64 v[1:2], v[1:2], v[76:77]
	v_add_f64 v[3:4], v[3:4], v[78:79]
	s_andn2_b32 exec_lo, exec_lo, s8
	s_cbranch_execnz .LBB95_404
; %bb.405:
	s_or_b32 exec_lo, exec_lo, s8
.LBB95_406:
	s_or_b32 exec_lo, exec_lo, s6
	v_mov_b32_e32 v72, 0
	ds_read_b128 v[76:79], v72 offset:320
	s_waitcnt lgkmcnt(0)
	v_mul_f64 v[72:73], v[3:4], v[78:79]
	v_mul_f64 v[78:79], v[1:2], v[78:79]
	v_fma_f64 v[1:2], v[1:2], v[76:77], -v[72:73]
	v_fma_f64 v[3:4], v[3:4], v[76:77], v[78:79]
	buffer_store_dword v2, off, s[0:3], 0 offset:324
	buffer_store_dword v1, off, s[0:3], 0 offset:320
	;; [unrolled: 1-line block ×4, first 2 shown]
.LBB95_407:
	s_or_b32 exec_lo, exec_lo, s4
	v_mov_b32_e32 v4, s18
	s_mov_b32 s4, exec_lo
	s_clause 0x3
	buffer_load_dword v1, v4, s[0:3], 0 offen
	buffer_load_dword v2, v4, s[0:3], 0 offen offset:4
	buffer_load_dword v3, v4, s[0:3], 0 offen offset:8
	;; [unrolled: 1-line block ×3, first 2 shown]
	s_waitcnt vmcnt(0)
	ds_write_b128 v70, v[1:4]
	s_waitcnt lgkmcnt(0)
	s_waitcnt_vscnt null, 0x0
	s_barrier
	buffer_gl0_inv
	v_cmpx_gt_u32_e32 21, v0
	s_cbranch_execz .LBB95_415
; %bb.408:
	ds_read_b128 v[1:4], v70
	v_cmp_ne_u32_e32 vcc_lo, 1, v71
	s_cbranch_vccnz .LBB95_410
; %bb.409:
	s_clause 0x3
	buffer_load_dword v72, v69, s[0:3], 0 offen offset:8
	buffer_load_dword v73, v69, s[0:3], 0 offen offset:12
	buffer_load_dword v76, v69, s[0:3], 0 offen
	buffer_load_dword v77, v69, s[0:3], 0 offen offset:4
	s_waitcnt vmcnt(2) lgkmcnt(0)
	v_mul_f64 v[78:79], v[3:4], v[72:73]
	v_mul_f64 v[72:73], v[1:2], v[72:73]
	s_waitcnt vmcnt(0)
	v_fma_f64 v[1:2], v[1:2], v[76:77], -v[78:79]
	v_fma_f64 v[3:4], v[3:4], v[76:77], v[72:73]
.LBB95_410:
	s_mov_b32 s6, exec_lo
	v_cmpx_ne_u32_e32 20, v0
	s_cbranch_execz .LBB95_414
; %bb.411:
	v_add_nc_u32_e32 v72, 0x210, v75
	v_add3_u32 v73, 0, v75, 16
	v_mov_b32_e32 v74, v0
	s_mov_b32 s8, 0
	.p2align	6
.LBB95_412:                             ; =>This Inner Loop Header: Depth=1
	s_clause 0x3
	buffer_load_dword v80, v73, s[0:3], 0 offen offset:8
	buffer_load_dword v81, v73, s[0:3], 0 offen offset:12
	buffer_load_dword v82, v73, s[0:3], 0 offen
	buffer_load_dword v83, v73, s[0:3], 0 offen offset:4
	ds_read_b128 v[76:79], v72
	v_add_nc_u32_e32 v74, 1, v74
	v_add_nc_u32_e32 v72, 16, v72
	;; [unrolled: 1-line block ×3, first 2 shown]
	v_cmp_lt_u32_e32 vcc_lo, 19, v74
	s_or_b32 s8, vcc_lo, s8
	s_waitcnt vmcnt(2) lgkmcnt(0)
	v_mul_f64 v[84:85], v[78:79], v[80:81]
	v_mul_f64 v[80:81], v[76:77], v[80:81]
	s_waitcnt vmcnt(0)
	v_fma_f64 v[76:77], v[76:77], v[82:83], -v[84:85]
	v_fma_f64 v[78:79], v[78:79], v[82:83], v[80:81]
	v_add_f64 v[1:2], v[1:2], v[76:77]
	v_add_f64 v[3:4], v[3:4], v[78:79]
	s_andn2_b32 exec_lo, exec_lo, s8
	s_cbranch_execnz .LBB95_412
; %bb.413:
	s_or_b32 exec_lo, exec_lo, s8
.LBB95_414:
	s_or_b32 exec_lo, exec_lo, s6
	v_mov_b32_e32 v72, 0
	ds_read_b128 v[76:79], v72 offset:336
	s_waitcnt lgkmcnt(0)
	v_mul_f64 v[72:73], v[3:4], v[78:79]
	v_mul_f64 v[78:79], v[1:2], v[78:79]
	v_fma_f64 v[1:2], v[1:2], v[76:77], -v[72:73]
	v_fma_f64 v[3:4], v[3:4], v[76:77], v[78:79]
	buffer_store_dword v2, off, s[0:3], 0 offset:340
	buffer_store_dword v1, off, s[0:3], 0 offset:336
	;; [unrolled: 1-line block ×4, first 2 shown]
.LBB95_415:
	s_or_b32 exec_lo, exec_lo, s4
	v_mov_b32_e32 v4, s17
	s_mov_b32 s4, exec_lo
	s_clause 0x3
	buffer_load_dword v1, v4, s[0:3], 0 offen
	buffer_load_dword v2, v4, s[0:3], 0 offen offset:4
	buffer_load_dword v3, v4, s[0:3], 0 offen offset:8
	;; [unrolled: 1-line block ×3, first 2 shown]
	s_waitcnt vmcnt(0)
	ds_write_b128 v70, v[1:4]
	s_waitcnt lgkmcnt(0)
	s_waitcnt_vscnt null, 0x0
	s_barrier
	buffer_gl0_inv
	v_cmpx_gt_u32_e32 22, v0
	s_cbranch_execz .LBB95_423
; %bb.416:
	ds_read_b128 v[1:4], v70
	v_cmp_ne_u32_e32 vcc_lo, 1, v71
	s_cbranch_vccnz .LBB95_418
; %bb.417:
	s_clause 0x3
	buffer_load_dword v72, v69, s[0:3], 0 offen offset:8
	buffer_load_dword v73, v69, s[0:3], 0 offen offset:12
	buffer_load_dword v76, v69, s[0:3], 0 offen
	buffer_load_dword v77, v69, s[0:3], 0 offen offset:4
	s_waitcnt vmcnt(2) lgkmcnt(0)
	v_mul_f64 v[78:79], v[3:4], v[72:73]
	v_mul_f64 v[72:73], v[1:2], v[72:73]
	s_waitcnt vmcnt(0)
	v_fma_f64 v[1:2], v[1:2], v[76:77], -v[78:79]
	v_fma_f64 v[3:4], v[3:4], v[76:77], v[72:73]
.LBB95_418:
	s_mov_b32 s6, exec_lo
	v_cmpx_ne_u32_e32 21, v0
	s_cbranch_execz .LBB95_422
; %bb.419:
	v_add_nc_u32_e32 v72, 0x210, v75
	v_add3_u32 v73, 0, v75, 16
	v_mov_b32_e32 v74, v0
	s_mov_b32 s8, 0
	.p2align	6
.LBB95_420:                             ; =>This Inner Loop Header: Depth=1
	s_clause 0x3
	buffer_load_dword v80, v73, s[0:3], 0 offen offset:8
	buffer_load_dword v81, v73, s[0:3], 0 offen offset:12
	buffer_load_dword v82, v73, s[0:3], 0 offen
	buffer_load_dword v83, v73, s[0:3], 0 offen offset:4
	ds_read_b128 v[76:79], v72
	v_add_nc_u32_e32 v74, 1, v74
	v_add_nc_u32_e32 v72, 16, v72
	v_add_nc_u32_e32 v73, 16, v73
	v_cmp_lt_u32_e32 vcc_lo, 20, v74
	s_or_b32 s8, vcc_lo, s8
	s_waitcnt vmcnt(2) lgkmcnt(0)
	v_mul_f64 v[84:85], v[78:79], v[80:81]
	v_mul_f64 v[80:81], v[76:77], v[80:81]
	s_waitcnt vmcnt(0)
	v_fma_f64 v[76:77], v[76:77], v[82:83], -v[84:85]
	v_fma_f64 v[78:79], v[78:79], v[82:83], v[80:81]
	v_add_f64 v[1:2], v[1:2], v[76:77]
	v_add_f64 v[3:4], v[3:4], v[78:79]
	s_andn2_b32 exec_lo, exec_lo, s8
	s_cbranch_execnz .LBB95_420
; %bb.421:
	s_or_b32 exec_lo, exec_lo, s8
.LBB95_422:
	s_or_b32 exec_lo, exec_lo, s6
	v_mov_b32_e32 v72, 0
	ds_read_b128 v[76:79], v72 offset:352
	s_waitcnt lgkmcnt(0)
	v_mul_f64 v[72:73], v[3:4], v[78:79]
	v_mul_f64 v[78:79], v[1:2], v[78:79]
	v_fma_f64 v[1:2], v[1:2], v[76:77], -v[72:73]
	v_fma_f64 v[3:4], v[3:4], v[76:77], v[78:79]
	buffer_store_dword v2, off, s[0:3], 0 offset:356
	buffer_store_dword v1, off, s[0:3], 0 offset:352
	;; [unrolled: 1-line block ×4, first 2 shown]
.LBB95_423:
	s_or_b32 exec_lo, exec_lo, s4
	v_mov_b32_e32 v4, s16
	s_mov_b32 s4, exec_lo
	s_clause 0x3
	buffer_load_dword v1, v4, s[0:3], 0 offen
	buffer_load_dword v2, v4, s[0:3], 0 offen offset:4
	buffer_load_dword v3, v4, s[0:3], 0 offen offset:8
	;; [unrolled: 1-line block ×3, first 2 shown]
	s_waitcnt vmcnt(0)
	ds_write_b128 v70, v[1:4]
	s_waitcnt lgkmcnt(0)
	s_waitcnt_vscnt null, 0x0
	s_barrier
	buffer_gl0_inv
	v_cmpx_gt_u32_e32 23, v0
	s_cbranch_execz .LBB95_431
; %bb.424:
	ds_read_b128 v[1:4], v70
	v_cmp_ne_u32_e32 vcc_lo, 1, v71
	s_cbranch_vccnz .LBB95_426
; %bb.425:
	s_clause 0x3
	buffer_load_dword v72, v69, s[0:3], 0 offen offset:8
	buffer_load_dword v73, v69, s[0:3], 0 offen offset:12
	buffer_load_dword v76, v69, s[0:3], 0 offen
	buffer_load_dword v77, v69, s[0:3], 0 offen offset:4
	s_waitcnt vmcnt(2) lgkmcnt(0)
	v_mul_f64 v[78:79], v[3:4], v[72:73]
	v_mul_f64 v[72:73], v[1:2], v[72:73]
	s_waitcnt vmcnt(0)
	v_fma_f64 v[1:2], v[1:2], v[76:77], -v[78:79]
	v_fma_f64 v[3:4], v[3:4], v[76:77], v[72:73]
.LBB95_426:
	s_mov_b32 s6, exec_lo
	v_cmpx_ne_u32_e32 22, v0
	s_cbranch_execz .LBB95_430
; %bb.427:
	v_add_nc_u32_e32 v72, 0x210, v75
	v_add3_u32 v73, 0, v75, 16
	v_mov_b32_e32 v74, v0
	s_mov_b32 s8, 0
	.p2align	6
.LBB95_428:                             ; =>This Inner Loop Header: Depth=1
	s_clause 0x3
	buffer_load_dword v80, v73, s[0:3], 0 offen offset:8
	buffer_load_dword v81, v73, s[0:3], 0 offen offset:12
	buffer_load_dword v82, v73, s[0:3], 0 offen
	buffer_load_dword v83, v73, s[0:3], 0 offen offset:4
	ds_read_b128 v[76:79], v72
	v_add_nc_u32_e32 v74, 1, v74
	v_add_nc_u32_e32 v72, 16, v72
	;; [unrolled: 1-line block ×3, first 2 shown]
	v_cmp_lt_u32_e32 vcc_lo, 21, v74
	s_or_b32 s8, vcc_lo, s8
	s_waitcnt vmcnt(2) lgkmcnt(0)
	v_mul_f64 v[84:85], v[78:79], v[80:81]
	v_mul_f64 v[80:81], v[76:77], v[80:81]
	s_waitcnt vmcnt(0)
	v_fma_f64 v[76:77], v[76:77], v[82:83], -v[84:85]
	v_fma_f64 v[78:79], v[78:79], v[82:83], v[80:81]
	v_add_f64 v[1:2], v[1:2], v[76:77]
	v_add_f64 v[3:4], v[3:4], v[78:79]
	s_andn2_b32 exec_lo, exec_lo, s8
	s_cbranch_execnz .LBB95_428
; %bb.429:
	s_or_b32 exec_lo, exec_lo, s8
.LBB95_430:
	s_or_b32 exec_lo, exec_lo, s6
	v_mov_b32_e32 v72, 0
	ds_read_b128 v[76:79], v72 offset:368
	s_waitcnt lgkmcnt(0)
	v_mul_f64 v[72:73], v[3:4], v[78:79]
	v_mul_f64 v[78:79], v[1:2], v[78:79]
	v_fma_f64 v[1:2], v[1:2], v[76:77], -v[72:73]
	v_fma_f64 v[3:4], v[3:4], v[76:77], v[78:79]
	buffer_store_dword v2, off, s[0:3], 0 offset:372
	buffer_store_dword v1, off, s[0:3], 0 offset:368
	;; [unrolled: 1-line block ×4, first 2 shown]
.LBB95_431:
	s_or_b32 exec_lo, exec_lo, s4
	v_mov_b32_e32 v4, s15
	s_mov_b32 s4, exec_lo
	s_clause 0x3
	buffer_load_dword v1, v4, s[0:3], 0 offen
	buffer_load_dword v2, v4, s[0:3], 0 offen offset:4
	buffer_load_dword v3, v4, s[0:3], 0 offen offset:8
	buffer_load_dword v4, v4, s[0:3], 0 offen offset:12
	s_waitcnt vmcnt(0)
	ds_write_b128 v70, v[1:4]
	s_waitcnt lgkmcnt(0)
	s_waitcnt_vscnt null, 0x0
	s_barrier
	buffer_gl0_inv
	v_cmpx_gt_u32_e32 24, v0
	s_cbranch_execz .LBB95_439
; %bb.432:
	ds_read_b128 v[1:4], v70
	v_cmp_ne_u32_e32 vcc_lo, 1, v71
	s_cbranch_vccnz .LBB95_434
; %bb.433:
	s_clause 0x3
	buffer_load_dword v72, v69, s[0:3], 0 offen offset:8
	buffer_load_dword v73, v69, s[0:3], 0 offen offset:12
	buffer_load_dword v76, v69, s[0:3], 0 offen
	buffer_load_dword v77, v69, s[0:3], 0 offen offset:4
	s_waitcnt vmcnt(2) lgkmcnt(0)
	v_mul_f64 v[78:79], v[3:4], v[72:73]
	v_mul_f64 v[72:73], v[1:2], v[72:73]
	s_waitcnt vmcnt(0)
	v_fma_f64 v[1:2], v[1:2], v[76:77], -v[78:79]
	v_fma_f64 v[3:4], v[3:4], v[76:77], v[72:73]
.LBB95_434:
	s_mov_b32 s6, exec_lo
	v_cmpx_ne_u32_e32 23, v0
	s_cbranch_execz .LBB95_438
; %bb.435:
	v_add_nc_u32_e32 v72, 0x210, v75
	v_add3_u32 v73, 0, v75, 16
	v_mov_b32_e32 v74, v0
	s_mov_b32 s8, 0
	.p2align	6
.LBB95_436:                             ; =>This Inner Loop Header: Depth=1
	s_clause 0x3
	buffer_load_dword v80, v73, s[0:3], 0 offen offset:8
	buffer_load_dword v81, v73, s[0:3], 0 offen offset:12
	buffer_load_dword v82, v73, s[0:3], 0 offen
	buffer_load_dword v83, v73, s[0:3], 0 offen offset:4
	ds_read_b128 v[76:79], v72
	v_add_nc_u32_e32 v74, 1, v74
	v_add_nc_u32_e32 v72, 16, v72
	;; [unrolled: 1-line block ×3, first 2 shown]
	v_cmp_lt_u32_e32 vcc_lo, 22, v74
	s_or_b32 s8, vcc_lo, s8
	s_waitcnt vmcnt(2) lgkmcnt(0)
	v_mul_f64 v[84:85], v[78:79], v[80:81]
	v_mul_f64 v[80:81], v[76:77], v[80:81]
	s_waitcnt vmcnt(0)
	v_fma_f64 v[76:77], v[76:77], v[82:83], -v[84:85]
	v_fma_f64 v[78:79], v[78:79], v[82:83], v[80:81]
	v_add_f64 v[1:2], v[1:2], v[76:77]
	v_add_f64 v[3:4], v[3:4], v[78:79]
	s_andn2_b32 exec_lo, exec_lo, s8
	s_cbranch_execnz .LBB95_436
; %bb.437:
	s_or_b32 exec_lo, exec_lo, s8
.LBB95_438:
	s_or_b32 exec_lo, exec_lo, s6
	v_mov_b32_e32 v72, 0
	ds_read_b128 v[76:79], v72 offset:384
	s_waitcnt lgkmcnt(0)
	v_mul_f64 v[72:73], v[3:4], v[78:79]
	v_mul_f64 v[78:79], v[1:2], v[78:79]
	v_fma_f64 v[1:2], v[1:2], v[76:77], -v[72:73]
	v_fma_f64 v[3:4], v[3:4], v[76:77], v[78:79]
	buffer_store_dword v2, off, s[0:3], 0 offset:388
	buffer_store_dword v1, off, s[0:3], 0 offset:384
	;; [unrolled: 1-line block ×4, first 2 shown]
.LBB95_439:
	s_or_b32 exec_lo, exec_lo, s4
	v_mov_b32_e32 v4, s14
	s_mov_b32 s4, exec_lo
	s_clause 0x3
	buffer_load_dword v1, v4, s[0:3], 0 offen
	buffer_load_dword v2, v4, s[0:3], 0 offen offset:4
	buffer_load_dword v3, v4, s[0:3], 0 offen offset:8
	;; [unrolled: 1-line block ×3, first 2 shown]
	s_waitcnt vmcnt(0)
	ds_write_b128 v70, v[1:4]
	s_waitcnt lgkmcnt(0)
	s_waitcnt_vscnt null, 0x0
	s_barrier
	buffer_gl0_inv
	v_cmpx_gt_u32_e32 25, v0
	s_cbranch_execz .LBB95_447
; %bb.440:
	ds_read_b128 v[1:4], v70
	v_cmp_ne_u32_e32 vcc_lo, 1, v71
	s_cbranch_vccnz .LBB95_442
; %bb.441:
	s_clause 0x3
	buffer_load_dword v72, v69, s[0:3], 0 offen offset:8
	buffer_load_dword v73, v69, s[0:3], 0 offen offset:12
	buffer_load_dword v76, v69, s[0:3], 0 offen
	buffer_load_dword v77, v69, s[0:3], 0 offen offset:4
	s_waitcnt vmcnt(2) lgkmcnt(0)
	v_mul_f64 v[78:79], v[3:4], v[72:73]
	v_mul_f64 v[72:73], v[1:2], v[72:73]
	s_waitcnt vmcnt(0)
	v_fma_f64 v[1:2], v[1:2], v[76:77], -v[78:79]
	v_fma_f64 v[3:4], v[3:4], v[76:77], v[72:73]
.LBB95_442:
	s_mov_b32 s6, exec_lo
	v_cmpx_ne_u32_e32 24, v0
	s_cbranch_execz .LBB95_446
; %bb.443:
	v_add_nc_u32_e32 v72, 0x210, v75
	v_add3_u32 v73, 0, v75, 16
	v_mov_b32_e32 v74, v0
	s_mov_b32 s8, 0
	.p2align	6
.LBB95_444:                             ; =>This Inner Loop Header: Depth=1
	s_clause 0x3
	buffer_load_dword v80, v73, s[0:3], 0 offen offset:8
	buffer_load_dword v81, v73, s[0:3], 0 offen offset:12
	buffer_load_dword v82, v73, s[0:3], 0 offen
	buffer_load_dword v83, v73, s[0:3], 0 offen offset:4
	ds_read_b128 v[76:79], v72
	v_add_nc_u32_e32 v74, 1, v74
	v_add_nc_u32_e32 v72, 16, v72
	v_add_nc_u32_e32 v73, 16, v73
	v_cmp_lt_u32_e32 vcc_lo, 23, v74
	s_or_b32 s8, vcc_lo, s8
	s_waitcnt vmcnt(2) lgkmcnt(0)
	v_mul_f64 v[84:85], v[78:79], v[80:81]
	v_mul_f64 v[80:81], v[76:77], v[80:81]
	s_waitcnt vmcnt(0)
	v_fma_f64 v[76:77], v[76:77], v[82:83], -v[84:85]
	v_fma_f64 v[78:79], v[78:79], v[82:83], v[80:81]
	v_add_f64 v[1:2], v[1:2], v[76:77]
	v_add_f64 v[3:4], v[3:4], v[78:79]
	s_andn2_b32 exec_lo, exec_lo, s8
	s_cbranch_execnz .LBB95_444
; %bb.445:
	s_or_b32 exec_lo, exec_lo, s8
.LBB95_446:
	s_or_b32 exec_lo, exec_lo, s6
	v_mov_b32_e32 v72, 0
	ds_read_b128 v[76:79], v72 offset:400
	s_waitcnt lgkmcnt(0)
	v_mul_f64 v[72:73], v[3:4], v[78:79]
	v_mul_f64 v[78:79], v[1:2], v[78:79]
	v_fma_f64 v[1:2], v[1:2], v[76:77], -v[72:73]
	v_fma_f64 v[3:4], v[3:4], v[76:77], v[78:79]
	buffer_store_dword v2, off, s[0:3], 0 offset:404
	buffer_store_dword v1, off, s[0:3], 0 offset:400
	;; [unrolled: 1-line block ×4, first 2 shown]
.LBB95_447:
	s_or_b32 exec_lo, exec_lo, s4
	v_mov_b32_e32 v4, s13
	s_mov_b32 s4, exec_lo
	s_clause 0x3
	buffer_load_dword v1, v4, s[0:3], 0 offen
	buffer_load_dword v2, v4, s[0:3], 0 offen offset:4
	buffer_load_dword v3, v4, s[0:3], 0 offen offset:8
	;; [unrolled: 1-line block ×3, first 2 shown]
	s_waitcnt vmcnt(0)
	ds_write_b128 v70, v[1:4]
	s_waitcnt lgkmcnt(0)
	s_waitcnt_vscnt null, 0x0
	s_barrier
	buffer_gl0_inv
	v_cmpx_gt_u32_e32 26, v0
	s_cbranch_execz .LBB95_455
; %bb.448:
	ds_read_b128 v[1:4], v70
	v_cmp_ne_u32_e32 vcc_lo, 1, v71
	s_cbranch_vccnz .LBB95_450
; %bb.449:
	s_clause 0x3
	buffer_load_dword v72, v69, s[0:3], 0 offen offset:8
	buffer_load_dword v73, v69, s[0:3], 0 offen offset:12
	buffer_load_dword v76, v69, s[0:3], 0 offen
	buffer_load_dword v77, v69, s[0:3], 0 offen offset:4
	s_waitcnt vmcnt(2) lgkmcnt(0)
	v_mul_f64 v[78:79], v[3:4], v[72:73]
	v_mul_f64 v[72:73], v[1:2], v[72:73]
	s_waitcnt vmcnt(0)
	v_fma_f64 v[1:2], v[1:2], v[76:77], -v[78:79]
	v_fma_f64 v[3:4], v[3:4], v[76:77], v[72:73]
.LBB95_450:
	s_mov_b32 s6, exec_lo
	v_cmpx_ne_u32_e32 25, v0
	s_cbranch_execz .LBB95_454
; %bb.451:
	v_add_nc_u32_e32 v72, 0x210, v75
	v_add3_u32 v73, 0, v75, 16
	v_mov_b32_e32 v74, v0
	s_mov_b32 s8, 0
	.p2align	6
.LBB95_452:                             ; =>This Inner Loop Header: Depth=1
	s_clause 0x3
	buffer_load_dword v80, v73, s[0:3], 0 offen offset:8
	buffer_load_dword v81, v73, s[0:3], 0 offen offset:12
	buffer_load_dword v82, v73, s[0:3], 0 offen
	buffer_load_dword v83, v73, s[0:3], 0 offen offset:4
	ds_read_b128 v[76:79], v72
	v_add_nc_u32_e32 v74, 1, v74
	v_add_nc_u32_e32 v72, 16, v72
	;; [unrolled: 1-line block ×3, first 2 shown]
	v_cmp_lt_u32_e32 vcc_lo, 24, v74
	s_or_b32 s8, vcc_lo, s8
	s_waitcnt vmcnt(2) lgkmcnt(0)
	v_mul_f64 v[84:85], v[78:79], v[80:81]
	v_mul_f64 v[80:81], v[76:77], v[80:81]
	s_waitcnt vmcnt(0)
	v_fma_f64 v[76:77], v[76:77], v[82:83], -v[84:85]
	v_fma_f64 v[78:79], v[78:79], v[82:83], v[80:81]
	v_add_f64 v[1:2], v[1:2], v[76:77]
	v_add_f64 v[3:4], v[3:4], v[78:79]
	s_andn2_b32 exec_lo, exec_lo, s8
	s_cbranch_execnz .LBB95_452
; %bb.453:
	s_or_b32 exec_lo, exec_lo, s8
.LBB95_454:
	s_or_b32 exec_lo, exec_lo, s6
	v_mov_b32_e32 v72, 0
	ds_read_b128 v[76:79], v72 offset:416
	s_waitcnt lgkmcnt(0)
	v_mul_f64 v[72:73], v[3:4], v[78:79]
	v_mul_f64 v[78:79], v[1:2], v[78:79]
	v_fma_f64 v[1:2], v[1:2], v[76:77], -v[72:73]
	v_fma_f64 v[3:4], v[3:4], v[76:77], v[78:79]
	buffer_store_dword v2, off, s[0:3], 0 offset:420
	buffer_store_dword v1, off, s[0:3], 0 offset:416
	;; [unrolled: 1-line block ×4, first 2 shown]
.LBB95_455:
	s_or_b32 exec_lo, exec_lo, s4
	v_mov_b32_e32 v4, s12
	s_mov_b32 s4, exec_lo
	s_clause 0x3
	buffer_load_dword v1, v4, s[0:3], 0 offen
	buffer_load_dword v2, v4, s[0:3], 0 offen offset:4
	buffer_load_dword v3, v4, s[0:3], 0 offen offset:8
	;; [unrolled: 1-line block ×3, first 2 shown]
	s_waitcnt vmcnt(0)
	ds_write_b128 v70, v[1:4]
	s_waitcnt lgkmcnt(0)
	s_waitcnt_vscnt null, 0x0
	s_barrier
	buffer_gl0_inv
	v_cmpx_gt_u32_e32 27, v0
	s_cbranch_execz .LBB95_463
; %bb.456:
	ds_read_b128 v[1:4], v70
	v_cmp_ne_u32_e32 vcc_lo, 1, v71
	s_cbranch_vccnz .LBB95_458
; %bb.457:
	s_clause 0x3
	buffer_load_dword v72, v69, s[0:3], 0 offen offset:8
	buffer_load_dword v73, v69, s[0:3], 0 offen offset:12
	buffer_load_dword v76, v69, s[0:3], 0 offen
	buffer_load_dword v77, v69, s[0:3], 0 offen offset:4
	s_waitcnt vmcnt(2) lgkmcnt(0)
	v_mul_f64 v[78:79], v[3:4], v[72:73]
	v_mul_f64 v[72:73], v[1:2], v[72:73]
	s_waitcnt vmcnt(0)
	v_fma_f64 v[1:2], v[1:2], v[76:77], -v[78:79]
	v_fma_f64 v[3:4], v[3:4], v[76:77], v[72:73]
.LBB95_458:
	s_mov_b32 s6, exec_lo
	v_cmpx_ne_u32_e32 26, v0
	s_cbranch_execz .LBB95_462
; %bb.459:
	v_add_nc_u32_e32 v72, 0x210, v75
	v_add3_u32 v73, 0, v75, 16
	v_mov_b32_e32 v74, v0
	s_mov_b32 s8, 0
	.p2align	6
.LBB95_460:                             ; =>This Inner Loop Header: Depth=1
	s_clause 0x3
	buffer_load_dword v80, v73, s[0:3], 0 offen offset:8
	buffer_load_dword v81, v73, s[0:3], 0 offen offset:12
	buffer_load_dword v82, v73, s[0:3], 0 offen
	buffer_load_dword v83, v73, s[0:3], 0 offen offset:4
	ds_read_b128 v[76:79], v72
	v_add_nc_u32_e32 v74, 1, v74
	v_add_nc_u32_e32 v72, 16, v72
	;; [unrolled: 1-line block ×3, first 2 shown]
	v_cmp_lt_u32_e32 vcc_lo, 25, v74
	s_or_b32 s8, vcc_lo, s8
	s_waitcnt vmcnt(2) lgkmcnt(0)
	v_mul_f64 v[84:85], v[78:79], v[80:81]
	v_mul_f64 v[80:81], v[76:77], v[80:81]
	s_waitcnt vmcnt(0)
	v_fma_f64 v[76:77], v[76:77], v[82:83], -v[84:85]
	v_fma_f64 v[78:79], v[78:79], v[82:83], v[80:81]
	v_add_f64 v[1:2], v[1:2], v[76:77]
	v_add_f64 v[3:4], v[3:4], v[78:79]
	s_andn2_b32 exec_lo, exec_lo, s8
	s_cbranch_execnz .LBB95_460
; %bb.461:
	s_or_b32 exec_lo, exec_lo, s8
.LBB95_462:
	s_or_b32 exec_lo, exec_lo, s6
	v_mov_b32_e32 v72, 0
	ds_read_b128 v[76:79], v72 offset:432
	s_waitcnt lgkmcnt(0)
	v_mul_f64 v[72:73], v[3:4], v[78:79]
	v_mul_f64 v[78:79], v[1:2], v[78:79]
	v_fma_f64 v[1:2], v[1:2], v[76:77], -v[72:73]
	v_fma_f64 v[3:4], v[3:4], v[76:77], v[78:79]
	buffer_store_dword v2, off, s[0:3], 0 offset:436
	buffer_store_dword v1, off, s[0:3], 0 offset:432
	;; [unrolled: 1-line block ×4, first 2 shown]
.LBB95_463:
	s_or_b32 exec_lo, exec_lo, s4
	v_mov_b32_e32 v4, s11
	s_mov_b32 s4, exec_lo
	s_clause 0x3
	buffer_load_dword v1, v4, s[0:3], 0 offen
	buffer_load_dword v2, v4, s[0:3], 0 offen offset:4
	buffer_load_dword v3, v4, s[0:3], 0 offen offset:8
	;; [unrolled: 1-line block ×3, first 2 shown]
	s_waitcnt vmcnt(0)
	ds_write_b128 v70, v[1:4]
	s_waitcnt lgkmcnt(0)
	s_waitcnt_vscnt null, 0x0
	s_barrier
	buffer_gl0_inv
	v_cmpx_gt_u32_e32 28, v0
	s_cbranch_execz .LBB95_471
; %bb.464:
	ds_read_b128 v[1:4], v70
	v_cmp_ne_u32_e32 vcc_lo, 1, v71
	s_cbranch_vccnz .LBB95_466
; %bb.465:
	s_clause 0x3
	buffer_load_dword v72, v69, s[0:3], 0 offen offset:8
	buffer_load_dword v73, v69, s[0:3], 0 offen offset:12
	buffer_load_dword v76, v69, s[0:3], 0 offen
	buffer_load_dword v77, v69, s[0:3], 0 offen offset:4
	s_waitcnt vmcnt(2) lgkmcnt(0)
	v_mul_f64 v[78:79], v[3:4], v[72:73]
	v_mul_f64 v[72:73], v[1:2], v[72:73]
	s_waitcnt vmcnt(0)
	v_fma_f64 v[1:2], v[1:2], v[76:77], -v[78:79]
	v_fma_f64 v[3:4], v[3:4], v[76:77], v[72:73]
.LBB95_466:
	s_mov_b32 s6, exec_lo
	v_cmpx_ne_u32_e32 27, v0
	s_cbranch_execz .LBB95_470
; %bb.467:
	v_add_nc_u32_e32 v72, 0x210, v75
	v_add3_u32 v73, 0, v75, 16
	v_mov_b32_e32 v74, v0
	s_mov_b32 s8, 0
	.p2align	6
.LBB95_468:                             ; =>This Inner Loop Header: Depth=1
	s_clause 0x3
	buffer_load_dword v80, v73, s[0:3], 0 offen offset:8
	buffer_load_dword v81, v73, s[0:3], 0 offen offset:12
	buffer_load_dword v82, v73, s[0:3], 0 offen
	buffer_load_dword v83, v73, s[0:3], 0 offen offset:4
	ds_read_b128 v[76:79], v72
	v_add_nc_u32_e32 v74, 1, v74
	v_add_nc_u32_e32 v72, 16, v72
	;; [unrolled: 1-line block ×3, first 2 shown]
	v_cmp_lt_u32_e32 vcc_lo, 26, v74
	s_or_b32 s8, vcc_lo, s8
	s_waitcnt vmcnt(2) lgkmcnt(0)
	v_mul_f64 v[84:85], v[78:79], v[80:81]
	v_mul_f64 v[80:81], v[76:77], v[80:81]
	s_waitcnt vmcnt(0)
	v_fma_f64 v[76:77], v[76:77], v[82:83], -v[84:85]
	v_fma_f64 v[78:79], v[78:79], v[82:83], v[80:81]
	v_add_f64 v[1:2], v[1:2], v[76:77]
	v_add_f64 v[3:4], v[3:4], v[78:79]
	s_andn2_b32 exec_lo, exec_lo, s8
	s_cbranch_execnz .LBB95_468
; %bb.469:
	s_or_b32 exec_lo, exec_lo, s8
.LBB95_470:
	s_or_b32 exec_lo, exec_lo, s6
	v_mov_b32_e32 v72, 0
	ds_read_b128 v[76:79], v72 offset:448
	s_waitcnt lgkmcnt(0)
	v_mul_f64 v[72:73], v[3:4], v[78:79]
	v_mul_f64 v[78:79], v[1:2], v[78:79]
	v_fma_f64 v[1:2], v[1:2], v[76:77], -v[72:73]
	v_fma_f64 v[3:4], v[3:4], v[76:77], v[78:79]
	buffer_store_dword v2, off, s[0:3], 0 offset:452
	buffer_store_dword v1, off, s[0:3], 0 offset:448
	;; [unrolled: 1-line block ×4, first 2 shown]
.LBB95_471:
	s_or_b32 exec_lo, exec_lo, s4
	v_mov_b32_e32 v4, s10
	s_mov_b32 s4, exec_lo
	s_clause 0x3
	buffer_load_dword v1, v4, s[0:3], 0 offen
	buffer_load_dword v2, v4, s[0:3], 0 offen offset:4
	buffer_load_dword v3, v4, s[0:3], 0 offen offset:8
	;; [unrolled: 1-line block ×3, first 2 shown]
	s_waitcnt vmcnt(0)
	ds_write_b128 v70, v[1:4]
	s_waitcnt lgkmcnt(0)
	s_waitcnt_vscnt null, 0x0
	s_barrier
	buffer_gl0_inv
	v_cmpx_gt_u32_e32 29, v0
	s_cbranch_execz .LBB95_479
; %bb.472:
	ds_read_b128 v[1:4], v70
	v_cmp_ne_u32_e32 vcc_lo, 1, v71
	s_cbranch_vccnz .LBB95_474
; %bb.473:
	s_clause 0x3
	buffer_load_dword v72, v69, s[0:3], 0 offen offset:8
	buffer_load_dword v73, v69, s[0:3], 0 offen offset:12
	buffer_load_dword v76, v69, s[0:3], 0 offen
	buffer_load_dword v77, v69, s[0:3], 0 offen offset:4
	s_waitcnt vmcnt(2) lgkmcnt(0)
	v_mul_f64 v[78:79], v[3:4], v[72:73]
	v_mul_f64 v[72:73], v[1:2], v[72:73]
	s_waitcnt vmcnt(0)
	v_fma_f64 v[1:2], v[1:2], v[76:77], -v[78:79]
	v_fma_f64 v[3:4], v[3:4], v[76:77], v[72:73]
.LBB95_474:
	s_mov_b32 s6, exec_lo
	v_cmpx_ne_u32_e32 28, v0
	s_cbranch_execz .LBB95_478
; %bb.475:
	v_add_nc_u32_e32 v72, 0x210, v75
	v_add3_u32 v73, 0, v75, 16
	v_mov_b32_e32 v74, v0
	s_mov_b32 s8, 0
	.p2align	6
.LBB95_476:                             ; =>This Inner Loop Header: Depth=1
	s_clause 0x3
	buffer_load_dword v80, v73, s[0:3], 0 offen offset:8
	buffer_load_dword v81, v73, s[0:3], 0 offen offset:12
	buffer_load_dword v82, v73, s[0:3], 0 offen
	buffer_load_dword v83, v73, s[0:3], 0 offen offset:4
	ds_read_b128 v[76:79], v72
	v_add_nc_u32_e32 v74, 1, v74
	v_add_nc_u32_e32 v72, 16, v72
	;; [unrolled: 1-line block ×3, first 2 shown]
	v_cmp_lt_u32_e32 vcc_lo, 27, v74
	s_or_b32 s8, vcc_lo, s8
	s_waitcnt vmcnt(2) lgkmcnt(0)
	v_mul_f64 v[84:85], v[78:79], v[80:81]
	v_mul_f64 v[80:81], v[76:77], v[80:81]
	s_waitcnt vmcnt(0)
	v_fma_f64 v[76:77], v[76:77], v[82:83], -v[84:85]
	v_fma_f64 v[78:79], v[78:79], v[82:83], v[80:81]
	v_add_f64 v[1:2], v[1:2], v[76:77]
	v_add_f64 v[3:4], v[3:4], v[78:79]
	s_andn2_b32 exec_lo, exec_lo, s8
	s_cbranch_execnz .LBB95_476
; %bb.477:
	s_or_b32 exec_lo, exec_lo, s8
.LBB95_478:
	s_or_b32 exec_lo, exec_lo, s6
	v_mov_b32_e32 v72, 0
	ds_read_b128 v[76:79], v72 offset:464
	s_waitcnt lgkmcnt(0)
	v_mul_f64 v[72:73], v[3:4], v[78:79]
	v_mul_f64 v[78:79], v[1:2], v[78:79]
	v_fma_f64 v[1:2], v[1:2], v[76:77], -v[72:73]
	v_fma_f64 v[3:4], v[3:4], v[76:77], v[78:79]
	buffer_store_dword v2, off, s[0:3], 0 offset:468
	buffer_store_dword v1, off, s[0:3], 0 offset:464
	;; [unrolled: 1-line block ×4, first 2 shown]
.LBB95_479:
	s_or_b32 exec_lo, exec_lo, s4
	v_mov_b32_e32 v4, s9
	v_cmp_gt_u32_e64 s4, 30, v0
	s_clause 0x3
	buffer_load_dword v1, v4, s[0:3], 0 offen
	buffer_load_dword v2, v4, s[0:3], 0 offen offset:4
	buffer_load_dword v3, v4, s[0:3], 0 offen offset:8
	;; [unrolled: 1-line block ×3, first 2 shown]
	s_waitcnt vmcnt(0)
	ds_write_b128 v70, v[1:4]
	s_waitcnt lgkmcnt(0)
	s_waitcnt_vscnt null, 0x0
	s_barrier
	buffer_gl0_inv
	s_and_saveexec_b32 s6, s4
	s_cbranch_execz .LBB95_487
; %bb.480:
	ds_read_b128 v[1:4], v70
	v_cmp_ne_u32_e32 vcc_lo, 1, v71
	s_cbranch_vccnz .LBB95_482
; %bb.481:
	s_clause 0x3
	buffer_load_dword v72, v69, s[0:3], 0 offen offset:8
	buffer_load_dword v73, v69, s[0:3], 0 offen offset:12
	buffer_load_dword v76, v69, s[0:3], 0 offen
	buffer_load_dword v77, v69, s[0:3], 0 offen offset:4
	s_waitcnt vmcnt(2) lgkmcnt(0)
	v_mul_f64 v[78:79], v[3:4], v[72:73]
	v_mul_f64 v[72:73], v[1:2], v[72:73]
	s_waitcnt vmcnt(0)
	v_fma_f64 v[1:2], v[1:2], v[76:77], -v[78:79]
	v_fma_f64 v[3:4], v[3:4], v[76:77], v[72:73]
.LBB95_482:
	s_mov_b32 s8, exec_lo
	v_cmpx_ne_u32_e32 29, v0
	s_cbranch_execz .LBB95_486
; %bb.483:
	v_add_nc_u32_e32 v72, 0x210, v75
	v_add3_u32 v73, 0, v75, 16
	v_mov_b32_e32 v74, v0
	s_mov_b32 s40, 0
	.p2align	6
.LBB95_484:                             ; =>This Inner Loop Header: Depth=1
	s_clause 0x3
	buffer_load_dword v80, v73, s[0:3], 0 offen offset:8
	buffer_load_dword v81, v73, s[0:3], 0 offen offset:12
	buffer_load_dword v82, v73, s[0:3], 0 offen
	buffer_load_dword v83, v73, s[0:3], 0 offen offset:4
	ds_read_b128 v[76:79], v72
	v_add_nc_u32_e32 v74, 1, v74
	v_add_nc_u32_e32 v72, 16, v72
	;; [unrolled: 1-line block ×3, first 2 shown]
	v_cmp_lt_u32_e32 vcc_lo, 28, v74
	s_or_b32 s40, vcc_lo, s40
	s_waitcnt vmcnt(2) lgkmcnt(0)
	v_mul_f64 v[84:85], v[78:79], v[80:81]
	v_mul_f64 v[80:81], v[76:77], v[80:81]
	s_waitcnt vmcnt(0)
	v_fma_f64 v[76:77], v[76:77], v[82:83], -v[84:85]
	v_fma_f64 v[78:79], v[78:79], v[82:83], v[80:81]
	v_add_f64 v[1:2], v[1:2], v[76:77]
	v_add_f64 v[3:4], v[3:4], v[78:79]
	s_andn2_b32 exec_lo, exec_lo, s40
	s_cbranch_execnz .LBB95_484
; %bb.485:
	s_or_b32 exec_lo, exec_lo, s40
.LBB95_486:
	s_or_b32 exec_lo, exec_lo, s8
	v_mov_b32_e32 v72, 0
	ds_read_b128 v[76:79], v72 offset:480
	s_waitcnt lgkmcnt(0)
	v_mul_f64 v[72:73], v[3:4], v[78:79]
	v_mul_f64 v[78:79], v[1:2], v[78:79]
	v_fma_f64 v[1:2], v[1:2], v[76:77], -v[72:73]
	v_fma_f64 v[3:4], v[3:4], v[76:77], v[78:79]
	buffer_store_dword v2, off, s[0:3], 0 offset:484
	buffer_store_dword v1, off, s[0:3], 0 offset:480
	;; [unrolled: 1-line block ×4, first 2 shown]
.LBB95_487:
	s_or_b32 exec_lo, exec_lo, s6
	v_mov_b32_e32 v4, s7
	s_mov_b32 s6, exec_lo
                                        ; implicit-def: $sgpr41
	s_clause 0x3
	buffer_load_dword v1, v4, s[0:3], 0 offen
	buffer_load_dword v2, v4, s[0:3], 0 offen offset:4
	buffer_load_dword v3, v4, s[0:3], 0 offen offset:8
	;; [unrolled: 1-line block ×3, first 2 shown]
	s_waitcnt vmcnt(0)
	ds_write_b128 v70, v[1:4]
	s_waitcnt lgkmcnt(0)
	s_waitcnt_vscnt null, 0x0
	s_barrier
	buffer_gl0_inv
                                        ; implicit-def: $vgpr1_vgpr2
	v_cmpx_ne_u32_e32 31, v0
	s_cbranch_execz .LBB95_495
; %bb.488:
	ds_read_b128 v[1:4], v70
	v_cmp_ne_u32_e32 vcc_lo, 1, v71
	s_cbranch_vccnz .LBB95_490
; %bb.489:
	s_clause 0x3
	buffer_load_dword v70, v69, s[0:3], 0 offen offset:8
	buffer_load_dword v71, v69, s[0:3], 0 offen offset:12
	buffer_load_dword v72, v69, s[0:3], 0 offen
	buffer_load_dword v73, v69, s[0:3], 0 offen offset:4
	s_waitcnt vmcnt(2) lgkmcnt(0)
	v_mul_f64 v[76:77], v[3:4], v[70:71]
	v_mul_f64 v[69:70], v[1:2], v[70:71]
	s_waitcnt vmcnt(0)
	v_fma_f64 v[1:2], v[1:2], v[72:73], -v[76:77]
	v_fma_f64 v[3:4], v[3:4], v[72:73], v[69:70]
.LBB95_490:
	s_and_saveexec_b32 s8, s4
	s_cbranch_execz .LBB95_494
; %bb.491:
	v_add_nc_u32_e32 v69, 0x210, v75
	v_add3_u32 v70, 0, v75, 16
	s_mov_b32 s4, 0
	.p2align	6
.LBB95_492:                             ; =>This Inner Loop Header: Depth=1
	s_clause 0x3
	buffer_load_dword v75, v70, s[0:3], 0 offen offset:8
	buffer_load_dword v76, v70, s[0:3], 0 offen offset:12
	buffer_load_dword v77, v70, s[0:3], 0 offen
	buffer_load_dword v78, v70, s[0:3], 0 offen offset:4
	ds_read_b128 v[71:74], v69
	v_add_nc_u32_e32 v0, 1, v0
	v_add_nc_u32_e32 v69, 16, v69
	;; [unrolled: 1-line block ×3, first 2 shown]
	v_cmp_lt_u32_e32 vcc_lo, 29, v0
	s_or_b32 s4, vcc_lo, s4
	s_waitcnt vmcnt(2) lgkmcnt(0)
	v_mul_f64 v[79:80], v[73:74], v[75:76]
	v_mul_f64 v[75:76], v[71:72], v[75:76]
	s_waitcnt vmcnt(0)
	v_fma_f64 v[71:72], v[71:72], v[77:78], -v[79:80]
	v_fma_f64 v[73:74], v[73:74], v[77:78], v[75:76]
	v_add_f64 v[1:2], v[1:2], v[71:72]
	v_add_f64 v[3:4], v[3:4], v[73:74]
	s_andn2_b32 exec_lo, exec_lo, s4
	s_cbranch_execnz .LBB95_492
; %bb.493:
	s_or_b32 exec_lo, exec_lo, s4
.LBB95_494:
	s_or_b32 exec_lo, exec_lo, s8
	v_mov_b32_e32 v0, 0
	s_movk_i32 s41, 0x1f8
	s_or_b32 s5, s5, exec_lo
	ds_read_b128 v[69:72], v0 offset:496
	s_waitcnt lgkmcnt(0)
	v_mul_f64 v[73:74], v[3:4], v[71:72]
	v_mul_f64 v[71:72], v[1:2], v[71:72]
	v_fma_f64 v[73:74], v[1:2], v[69:70], -v[73:74]
	v_fma_f64 v[1:2], v[3:4], v[69:70], v[71:72]
	buffer_store_dword v74, off, s[0:3], 0 offset:500
	buffer_store_dword v73, off, s[0:3], 0 offset:496
.LBB95_495:
	s_or_b32 exec_lo, exec_lo, s6
.LBB95_496:
	s_and_saveexec_b32 s4, s5
	s_cbranch_execz .LBB95_498
; %bb.497:
	v_mov_b32_e32 v0, s41
	buffer_store_dword v2, v0, s[0:3], 0 offen offset:4
	buffer_store_dword v1, v0, s[0:3], 0 offen
.LBB95_498:
	s_or_b32 exec_lo, exec_lo, s4
	s_clause 0x3
	buffer_load_dword v0, off, s[0:3], 0
	buffer_load_dword v1, off, s[0:3], 0 offset:4
	buffer_load_dword v2, off, s[0:3], 0 offset:8
	;; [unrolled: 1-line block ×3, first 2 shown]
	v_mov_b32_e32 v4, s39
	s_waitcnt vmcnt(0)
	flat_store_dwordx4 v[5:6], v[0:3]
	s_clause 0x3
	buffer_load_dword v0, v4, s[0:3], 0 offen
	buffer_load_dword v1, v4, s[0:3], 0 offen offset:4
	buffer_load_dword v2, v4, s[0:3], 0 offen offset:8
	buffer_load_dword v3, v4, s[0:3], 0 offen offset:12
	v_mov_b32_e32 v4, s38
	s_waitcnt vmcnt(0)
	flat_store_dwordx4 v[59:60], v[0:3]
	s_clause 0x3
	buffer_load_dword v0, v4, s[0:3], 0 offen
	buffer_load_dword v1, v4, s[0:3], 0 offen offset:4
	buffer_load_dword v2, v4, s[0:3], 0 offen offset:8
	buffer_load_dword v3, v4, s[0:3], 0 offen offset:12
	;; [unrolled: 8-line block ×31, first 2 shown]
	s_waitcnt vmcnt(0)
	flat_store_dwordx4 v[67:68], v[0:3]
.LBB95_499:
	s_endpgm
	.section	.rodata,"a",@progbits
	.p2align	6, 0x0
	.amdhsa_kernel _ZN9rocsolver6v33100L18trti2_kernel_smallILi32E19rocblas_complex_numIdEPKPS3_EEv13rocblas_fill_17rocblas_diagonal_T1_iil
		.amdhsa_group_segment_fixed_size 1024
		.amdhsa_private_segment_fixed_size 528
		.amdhsa_kernarg_size 32
		.amdhsa_user_sgpr_count 6
		.amdhsa_user_sgpr_private_segment_buffer 1
		.amdhsa_user_sgpr_dispatch_ptr 0
		.amdhsa_user_sgpr_queue_ptr 0
		.amdhsa_user_sgpr_kernarg_segment_ptr 1
		.amdhsa_user_sgpr_dispatch_id 0
		.amdhsa_user_sgpr_flat_scratch_init 0
		.amdhsa_user_sgpr_private_segment_size 0
		.amdhsa_wavefront_size32 1
		.amdhsa_uses_dynamic_stack 0
		.amdhsa_system_sgpr_private_segment_wavefront_offset 1
		.amdhsa_system_sgpr_workgroup_id_x 1
		.amdhsa_system_sgpr_workgroup_id_y 0
		.amdhsa_system_sgpr_workgroup_id_z 0
		.amdhsa_system_sgpr_workgroup_info 0
		.amdhsa_system_vgpr_workitem_id 0
		.amdhsa_next_free_vgpr 86
		.amdhsa_next_free_sgpr 53
		.amdhsa_reserve_vcc 1
		.amdhsa_reserve_flat_scratch 0
		.amdhsa_float_round_mode_32 0
		.amdhsa_float_round_mode_16_64 0
		.amdhsa_float_denorm_mode_32 3
		.amdhsa_float_denorm_mode_16_64 3
		.amdhsa_dx10_clamp 1
		.amdhsa_ieee_mode 1
		.amdhsa_fp16_overflow 0
		.amdhsa_workgroup_processor_mode 1
		.amdhsa_memory_ordered 1
		.amdhsa_forward_progress 1
		.amdhsa_shared_vgpr_count 0
		.amdhsa_exception_fp_ieee_invalid_op 0
		.amdhsa_exception_fp_denorm_src 0
		.amdhsa_exception_fp_ieee_div_zero 0
		.amdhsa_exception_fp_ieee_overflow 0
		.amdhsa_exception_fp_ieee_underflow 0
		.amdhsa_exception_fp_ieee_inexact 0
		.amdhsa_exception_int_div_zero 0
	.end_amdhsa_kernel
	.section	.text._ZN9rocsolver6v33100L18trti2_kernel_smallILi32E19rocblas_complex_numIdEPKPS3_EEv13rocblas_fill_17rocblas_diagonal_T1_iil,"axG",@progbits,_ZN9rocsolver6v33100L18trti2_kernel_smallILi32E19rocblas_complex_numIdEPKPS3_EEv13rocblas_fill_17rocblas_diagonal_T1_iil,comdat
.Lfunc_end95:
	.size	_ZN9rocsolver6v33100L18trti2_kernel_smallILi32E19rocblas_complex_numIdEPKPS3_EEv13rocblas_fill_17rocblas_diagonal_T1_iil, .Lfunc_end95-_ZN9rocsolver6v33100L18trti2_kernel_smallILi32E19rocblas_complex_numIdEPKPS3_EEv13rocblas_fill_17rocblas_diagonal_T1_iil
                                        ; -- End function
	.set _ZN9rocsolver6v33100L18trti2_kernel_smallILi32E19rocblas_complex_numIdEPKPS3_EEv13rocblas_fill_17rocblas_diagonal_T1_iil.num_vgpr, 86
	.set _ZN9rocsolver6v33100L18trti2_kernel_smallILi32E19rocblas_complex_numIdEPKPS3_EEv13rocblas_fill_17rocblas_diagonal_T1_iil.num_agpr, 0
	.set _ZN9rocsolver6v33100L18trti2_kernel_smallILi32E19rocblas_complex_numIdEPKPS3_EEv13rocblas_fill_17rocblas_diagonal_T1_iil.numbered_sgpr, 53
	.set _ZN9rocsolver6v33100L18trti2_kernel_smallILi32E19rocblas_complex_numIdEPKPS3_EEv13rocblas_fill_17rocblas_diagonal_T1_iil.num_named_barrier, 0
	.set _ZN9rocsolver6v33100L18trti2_kernel_smallILi32E19rocblas_complex_numIdEPKPS3_EEv13rocblas_fill_17rocblas_diagonal_T1_iil.private_seg_size, 528
	.set _ZN9rocsolver6v33100L18trti2_kernel_smallILi32E19rocblas_complex_numIdEPKPS3_EEv13rocblas_fill_17rocblas_diagonal_T1_iil.uses_vcc, 1
	.set _ZN9rocsolver6v33100L18trti2_kernel_smallILi32E19rocblas_complex_numIdEPKPS3_EEv13rocblas_fill_17rocblas_diagonal_T1_iil.uses_flat_scratch, 0
	.set _ZN9rocsolver6v33100L18trti2_kernel_smallILi32E19rocblas_complex_numIdEPKPS3_EEv13rocblas_fill_17rocblas_diagonal_T1_iil.has_dyn_sized_stack, 0
	.set _ZN9rocsolver6v33100L18trti2_kernel_smallILi32E19rocblas_complex_numIdEPKPS3_EEv13rocblas_fill_17rocblas_diagonal_T1_iil.has_recursion, 0
	.set _ZN9rocsolver6v33100L18trti2_kernel_smallILi32E19rocblas_complex_numIdEPKPS3_EEv13rocblas_fill_17rocblas_diagonal_T1_iil.has_indirect_call, 0
	.section	.AMDGPU.csdata,"",@progbits
; Kernel info:
; codeLenInByte = 32372
; TotalNumSgprs: 55
; NumVgprs: 86
; ScratchSize: 528
; MemoryBound: 0
; FloatMode: 240
; IeeeMode: 1
; LDSByteSize: 1024 bytes/workgroup (compile time only)
; SGPRBlocks: 0
; VGPRBlocks: 10
; NumSGPRsForWavesPerEU: 55
; NumVGPRsForWavesPerEU: 86
; Occupancy: 10
; WaveLimiterHint : 1
; COMPUTE_PGM_RSRC2:SCRATCH_EN: 1
; COMPUTE_PGM_RSRC2:USER_SGPR: 6
; COMPUTE_PGM_RSRC2:TRAP_HANDLER: 0
; COMPUTE_PGM_RSRC2:TGID_X_EN: 1
; COMPUTE_PGM_RSRC2:TGID_Y_EN: 0
; COMPUTE_PGM_RSRC2:TGID_Z_EN: 0
; COMPUTE_PGM_RSRC2:TIDIG_COMP_CNT: 0
	.section	.text._ZN9rocsolver6v33100L18trti2_kernel_smallILi33E19rocblas_complex_numIdEPKPS3_EEv13rocblas_fill_17rocblas_diagonal_T1_iil,"axG",@progbits,_ZN9rocsolver6v33100L18trti2_kernel_smallILi33E19rocblas_complex_numIdEPKPS3_EEv13rocblas_fill_17rocblas_diagonal_T1_iil,comdat
	.globl	_ZN9rocsolver6v33100L18trti2_kernel_smallILi33E19rocblas_complex_numIdEPKPS3_EEv13rocblas_fill_17rocblas_diagonal_T1_iil ; -- Begin function _ZN9rocsolver6v33100L18trti2_kernel_smallILi33E19rocblas_complex_numIdEPKPS3_EEv13rocblas_fill_17rocblas_diagonal_T1_iil
	.p2align	8
	.type	_ZN9rocsolver6v33100L18trti2_kernel_smallILi33E19rocblas_complex_numIdEPKPS3_EEv13rocblas_fill_17rocblas_diagonal_T1_iil,@function
_ZN9rocsolver6v33100L18trti2_kernel_smallILi33E19rocblas_complex_numIdEPKPS3_EEv13rocblas_fill_17rocblas_diagonal_T1_iil: ; @_ZN9rocsolver6v33100L18trti2_kernel_smallILi33E19rocblas_complex_numIdEPKPS3_EEv13rocblas_fill_17rocblas_diagonal_T1_iil
; %bb.0:
	s_add_u32 s0, s0, s7
	s_addc_u32 s1, s1, 0
	s_mov_b32 s7, exec_lo
	v_cmpx_gt_u32_e32 33, v0
	s_cbranch_execz .LBB96_515
; %bb.1:
	s_clause 0x1
	s_load_dwordx2 s[12:13], s[4:5], 0x10
	s_load_dwordx4 s[8:11], s[4:5], 0x0
	s_ashr_i32 s7, s6, 31
	v_lshlrev_b32_e32 v77, 4, v0
	s_lshl_b64 s[4:5], s[6:7], 3
	s_movk_i32 s14, 0xd0
	s_movk_i32 s15, 0xe0
	;; [unrolled: 1-line block ×15, first 2 shown]
	s_waitcnt lgkmcnt(0)
	s_ashr_i32 s7, s12, 31
	s_add_u32 s4, s10, s4
	s_addc_u32 s5, s11, s5
	s_mov_b32 s6, s12
	s_load_dwordx2 s[4:5], s[4:5], 0x0
	s_lshl_b64 s[6:7], s[6:7], 4
	v_add3_u32 v7, s13, s13, v0
	s_movk_i32 s10, 0x90
	s_movk_i32 s11, 0xa0
	s_movk_i32 s12, 0xb0
	s_movk_i32 s49, 0x1c0
	v_ashrrev_i32_e32 v8, 31, v7
	s_movk_i32 s50, 0x1d0
	s_movk_i32 s51, 0x1e0
	;; [unrolled: 1-line block ×4, first 2 shown]
	v_lshlrev_b64 v[8:9], 4, v[7:8]
	v_add_nc_u32_e32 v7, s13, v7
	s_waitcnt lgkmcnt(0)
	s_add_u32 s6, s4, s6
	s_addc_u32 s7, s5, s7
	v_add_co_u32 v5, s4, s6, v77
	v_add_co_ci_u32_e64 v6, null, s7, 0, s4
	s_mov_b32 s4, s13
	s_ashr_i32 s5, s13, 31
	s_lshl_b64 s[4:5], s[4:5], 4
	flat_load_dwordx4 v[1:4], v[5:6]
	v_add_co_u32 v59, vcc_lo, v5, s4
	v_add_co_ci_u32_e64 v60, null, s5, v6, vcc_lo
	v_add_co_u32 v57, vcc_lo, s6, v8
	v_add_co_ci_u32_e64 v58, null, s7, v9, vcc_lo
	v_ashrrev_i32_e32 v8, 31, v7
	s_cmpk_lg_i32 s9, 0x84
	s_movk_i32 s4, 0x50
	s_movk_i32 s5, 0x60
	s_cselect_b32 s40, -1, 0
	v_lshlrev_b64 v[8:9], 4, v[7:8]
	v_add_nc_u32_e32 v7, s13, v7
	s_cmpk_eq_i32 s9, 0x84
	s_waitcnt vmcnt(0) lgkmcnt(0)
	buffer_store_dword v4, off, s[0:3], 0 offset:12
	buffer_store_dword v3, off, s[0:3], 0 offset:8
	buffer_store_dword v2, off, s[0:3], 0 offset:4
	buffer_store_dword v1, off, s[0:3], 0
	flat_load_dwordx4 v[1:4], v[59:60]
	v_add_co_u32 v55, vcc_lo, s6, v8
	v_add_co_ci_u32_e64 v56, null, s7, v9, vcc_lo
	v_ashrrev_i32_e32 v8, 31, v7
	s_waitcnt vmcnt(0) lgkmcnt(0)
	buffer_store_dword v4, off, s[0:3], 0 offset:28
	buffer_store_dword v3, off, s[0:3], 0 offset:24
	;; [unrolled: 1-line block ×4, first 2 shown]
	flat_load_dwordx4 v[1:4], v[57:58]
	v_lshlrev_b64 v[8:9], 4, v[7:8]
	v_add_nc_u32_e32 v7, s13, v7
	s_waitcnt vmcnt(0) lgkmcnt(0)
	buffer_store_dword v4, off, s[0:3], 0 offset:44
	buffer_store_dword v3, off, s[0:3], 0 offset:40
	;; [unrolled: 1-line block ×4, first 2 shown]
	flat_load_dwordx4 v[1:4], v[55:56]
	v_add_co_u32 v53, vcc_lo, s6, v8
	v_add_co_ci_u32_e64 v54, null, s7, v9, vcc_lo
	v_ashrrev_i32_e32 v8, 31, v7
	s_waitcnt vmcnt(0) lgkmcnt(0)
	buffer_store_dword v4, off, s[0:3], 0 offset:60
	buffer_store_dword v3, off, s[0:3], 0 offset:56
	;; [unrolled: 1-line block ×4, first 2 shown]
	flat_load_dwordx4 v[1:4], v[53:54]
	v_lshlrev_b64 v[8:9], 4, v[7:8]
	v_add_nc_u32_e32 v7, s13, v7
	s_waitcnt vmcnt(0) lgkmcnt(0)
	buffer_store_dword v4, off, s[0:3], 0 offset:76
	buffer_store_dword v3, off, s[0:3], 0 offset:72
	;; [unrolled: 1-line block ×4, first 2 shown]
	v_add_co_u32 v49, vcc_lo, s6, v8
	v_add_co_ci_u32_e64 v50, null, s7, v9, vcc_lo
	v_ashrrev_i32_e32 v8, 31, v7
	flat_load_dwordx4 v[1:4], v[49:50]
	s_waitcnt vmcnt(0) lgkmcnt(0)
	buffer_store_dword v4, off, s[0:3], 0 offset:92
	buffer_store_dword v3, off, s[0:3], 0 offset:88
	buffer_store_dword v2, off, s[0:3], 0 offset:84
	buffer_store_dword v1, off, s[0:3], 0 offset:80
	v_lshlrev_b64 v[8:9], 4, v[7:8]
	v_add_nc_u32_e32 v7, s13, v7
	v_add_co_u32 v47, vcc_lo, s6, v8
	v_add_co_ci_u32_e64 v48, null, s7, v9, vcc_lo
	v_ashrrev_i32_e32 v8, 31, v7
	flat_load_dwordx4 v[1:4], v[47:48]
	s_waitcnt vmcnt(0) lgkmcnt(0)
	buffer_store_dword v4, off, s[0:3], 0 offset:108
	buffer_store_dword v3, off, s[0:3], 0 offset:104
	buffer_store_dword v2, off, s[0:3], 0 offset:100
	buffer_store_dword v1, off, s[0:3], 0 offset:96
	v_lshlrev_b64 v[8:9], 4, v[7:8]
	v_add_nc_u32_e32 v7, s13, v7
	;; [unrolled: 11-line block ×18, first 2 shown]
	v_add_co_u32 v11, vcc_lo, s6, v8
	v_add_co_ci_u32_e64 v12, null, s7, v9, vcc_lo
	v_ashrrev_i32_e32 v8, 31, v7
	v_add_nc_u32_e32 v33, s13, v7
	flat_load_dwordx4 v[1:4], v[11:12]
	s_waitcnt vmcnt(0) lgkmcnt(0)
	buffer_store_dword v4, off, s[0:3], 0 offset:380
	buffer_store_dword v3, off, s[0:3], 0 offset:376
	;; [unrolled: 1-line block ×4, first 2 shown]
	v_lshlrev_b64 v[9:10], 4, v[7:8]
	v_ashrrev_i32_e32 v34, 31, v33
	v_add_nc_u32_e32 v51, s13, v33
	v_add_co_u32 v9, vcc_lo, s6, v9
	v_add_co_ci_u32_e64 v10, null, s7, v10, vcc_lo
	v_lshlrev_b64 v[7:8], 4, v[33:34]
	v_ashrrev_i32_e32 v52, 31, v51
	v_add_nc_u32_e32 v61, s13, v51
	flat_load_dwordx4 v[1:4], v[9:10]
	s_waitcnt vmcnt(0) lgkmcnt(0)
	buffer_store_dword v4, off, s[0:3], 0 offset:396
	buffer_store_dword v3, off, s[0:3], 0 offset:392
	buffer_store_dword v2, off, s[0:3], 0 offset:388
	buffer_store_dword v1, off, s[0:3], 0 offset:384
	v_add_co_u32 v7, vcc_lo, s6, v7
	v_add_co_ci_u32_e64 v8, null, s7, v8, vcc_lo
	v_lshlrev_b64 v[33:34], 4, v[51:52]
	v_ashrrev_i32_e32 v62, 31, v61
	v_add_nc_u32_e32 v63, s13, v61
	flat_load_dwordx4 v[1:4], v[7:8]
	s_waitcnt vmcnt(0) lgkmcnt(0)
	buffer_store_dword v4, off, s[0:3], 0 offset:412
	buffer_store_dword v3, off, s[0:3], 0 offset:408
	buffer_store_dword v2, off, s[0:3], 0 offset:404
	buffer_store_dword v1, off, s[0:3], 0 offset:400
	;; [unrolled: 11-line block ×5, first 2 shown]
	v_add_co_u32 v63, vcc_lo, s6, v63
	v_add_co_ci_u32_e64 v64, null, s7, v64, vcc_lo
	v_lshlrev_b64 v[65:66], 4, v[67:68]
	v_ashrrev_i32_e32 v70, 31, v69
	flat_load_dwordx4 v[1:4], v[63:64]
	s_waitcnt vmcnt(0) lgkmcnt(0)
	buffer_store_dword v4, off, s[0:3], 0 offset:476
	buffer_store_dword v3, off, s[0:3], 0 offset:472
	;; [unrolled: 1-line block ×4, first 2 shown]
	v_add_co_u32 v65, vcc_lo, s6, v65
	v_add_co_ci_u32_e64 v66, null, s7, v66, vcc_lo
	v_lshlrev_b64 v[67:68], 4, v[69:70]
	v_add_nc_u32_e32 v69, s13, v69
	s_movk_i32 s13, 0xc0
	flat_load_dwordx4 v[1:4], v[65:66]
	s_waitcnt vmcnt(0) lgkmcnt(0)
	buffer_store_dword v4, off, s[0:3], 0 offset:492
	buffer_store_dword v3, off, s[0:3], 0 offset:488
	;; [unrolled: 1-line block ×4, first 2 shown]
	v_add_co_u32 v67, vcc_lo, s6, v67
	v_add_co_ci_u32_e64 v68, null, s7, v68, vcc_lo
	v_ashrrev_i32_e32 v70, 31, v69
	flat_load_dwordx4 v[1:4], v[67:68]
	s_waitcnt vmcnt(0) lgkmcnt(0)
	buffer_store_dword v4, off, s[0:3], 0 offset:508
	buffer_store_dword v3, off, s[0:3], 0 offset:504
	;; [unrolled: 1-line block ×4, first 2 shown]
	v_lshlrev_b64 v[69:70], 4, v[69:70]
	v_add_co_u32 v69, vcc_lo, s6, v69
	v_add_co_ci_u32_e64 v70, null, s7, v70, vcc_lo
	s_movk_i32 s6, 0x70
	s_movk_i32 s7, 0x80
	flat_load_dwordx4 v[1:4], v[69:70]
	s_waitcnt vmcnt(0) lgkmcnt(0)
	buffer_store_dword v4, off, s[0:3], 0 offset:524
	buffer_store_dword v3, off, s[0:3], 0 offset:520
	;; [unrolled: 1-line block ×4, first 2 shown]
	s_cbranch_scc1 .LBB96_7
; %bb.2:
	v_lshl_add_u32 v78, v0, 4, 0
                                        ; implicit-def: $vgpr73_vgpr74
                                        ; implicit-def: $vgpr3_vgpr4
	s_clause 0x3
	buffer_load_dword v71, v78, s[0:3], 0 offen
	buffer_load_dword v72, v78, s[0:3], 0 offen offset:4
	buffer_load_dword v75, v78, s[0:3], 0 offen offset:8
	;; [unrolled: 1-line block ×3, first 2 shown]
	s_waitcnt vmcnt(0)
	v_cmp_ngt_f64_e64 s9, |v[71:72]|, |v[75:76]|
	s_and_saveexec_b32 s21, s9
	s_xor_b32 s9, exec_lo, s21
	s_cbranch_execz .LBB96_4
; %bb.3:
	v_div_scale_f64 v[1:2], null, v[75:76], v[75:76], v[71:72]
	v_div_scale_f64 v[79:80], vcc_lo, v[71:72], v[75:76], v[71:72]
	v_rcp_f64_e32 v[3:4], v[1:2]
	v_fma_f64 v[73:74], -v[1:2], v[3:4], 1.0
	v_fma_f64 v[3:4], v[3:4], v[73:74], v[3:4]
	v_fma_f64 v[73:74], -v[1:2], v[3:4], 1.0
	v_fma_f64 v[3:4], v[3:4], v[73:74], v[3:4]
	v_mul_f64 v[73:74], v[79:80], v[3:4]
	v_fma_f64 v[1:2], -v[1:2], v[73:74], v[79:80]
	v_div_fmas_f64 v[1:2], v[1:2], v[3:4], v[73:74]
	v_div_fixup_f64 v[1:2], v[1:2], v[75:76], v[71:72]
	v_fma_f64 v[3:4], v[71:72], v[1:2], v[75:76]
	v_div_scale_f64 v[71:72], null, v[3:4], v[3:4], 1.0
	v_div_scale_f64 v[79:80], vcc_lo, 1.0, v[3:4], 1.0
	v_rcp_f64_e32 v[73:74], v[71:72]
	v_fma_f64 v[75:76], -v[71:72], v[73:74], 1.0
	v_fma_f64 v[73:74], v[73:74], v[75:76], v[73:74]
	v_fma_f64 v[75:76], -v[71:72], v[73:74], 1.0
	v_fma_f64 v[73:74], v[73:74], v[75:76], v[73:74]
	v_mul_f64 v[75:76], v[79:80], v[73:74]
	v_fma_f64 v[71:72], -v[71:72], v[75:76], v[79:80]
	v_div_fmas_f64 v[71:72], v[71:72], v[73:74], v[75:76]
                                        ; implicit-def: $vgpr75_vgpr76
	v_div_fixup_f64 v[3:4], v[71:72], v[3:4], 1.0
                                        ; implicit-def: $vgpr71_vgpr72
	v_mul_f64 v[73:74], v[1:2], v[3:4]
	v_xor_b32_e32 v4, 0x80000000, v4
	v_xor_b32_e32 v2, 0x80000000, v74
	v_mov_b32_e32 v1, v73
.LBB96_4:
	s_andn2_saveexec_b32 s9, s9
	s_cbranch_execz .LBB96_6
; %bb.5:
	v_div_scale_f64 v[1:2], null, v[71:72], v[71:72], v[75:76]
	v_div_scale_f64 v[79:80], vcc_lo, v[75:76], v[71:72], v[75:76]
	v_rcp_f64_e32 v[3:4], v[1:2]
	v_fma_f64 v[73:74], -v[1:2], v[3:4], 1.0
	v_fma_f64 v[3:4], v[3:4], v[73:74], v[3:4]
	v_fma_f64 v[73:74], -v[1:2], v[3:4], 1.0
	v_fma_f64 v[3:4], v[3:4], v[73:74], v[3:4]
	v_mul_f64 v[73:74], v[79:80], v[3:4]
	v_fma_f64 v[1:2], -v[1:2], v[73:74], v[79:80]
	v_div_fmas_f64 v[1:2], v[1:2], v[3:4], v[73:74]
	v_div_fixup_f64 v[1:2], v[1:2], v[71:72], v[75:76]
	v_fma_f64 v[3:4], v[75:76], v[1:2], v[71:72]
	v_div_scale_f64 v[71:72], null, v[3:4], v[3:4], 1.0
	v_rcp_f64_e32 v[73:74], v[71:72]
	v_fma_f64 v[75:76], -v[71:72], v[73:74], 1.0
	v_fma_f64 v[73:74], v[73:74], v[75:76], v[73:74]
	v_fma_f64 v[75:76], -v[71:72], v[73:74], 1.0
	v_fma_f64 v[73:74], v[73:74], v[75:76], v[73:74]
	v_div_scale_f64 v[75:76], vcc_lo, 1.0, v[3:4], 1.0
	v_mul_f64 v[79:80], v[75:76], v[73:74]
	v_fma_f64 v[71:72], -v[71:72], v[79:80], v[75:76]
	v_div_fmas_f64 v[71:72], v[71:72], v[73:74], v[79:80]
	v_div_fixup_f64 v[73:74], v[71:72], v[3:4], 1.0
	v_mul_f64 v[3:4], v[1:2], -v[73:74]
	v_xor_b32_e32 v2, 0x80000000, v74
	v_mov_b32_e32 v1, v73
.LBB96_6:
	s_or_b32 exec_lo, exec_lo, s9
	buffer_store_dword v4, v78, s[0:3], 0 offen offset:12
	v_xor_b32_e32 v4, 0x80000000, v4
	buffer_store_dword v74, v78, s[0:3], 0 offen offset:4
	buffer_store_dword v73, v78, s[0:3], 0 offen
	buffer_store_dword v3, v78, s[0:3], 0 offen offset:8
	s_branch .LBB96_8
.LBB96_7:
	v_mov_b32_e32 v1, 0
	v_mov_b32_e32 v3, 0
	;; [unrolled: 1-line block ×4, first 2 shown]
.LBB96_8:
	v_add_nc_u32_e32 v72, 0x210, v77
	v_mov_b32_e32 v71, v77
	s_mov_b32 s39, 16
	s_mov_b32 s38, 32
	;; [unrolled: 1-line block ×31, first 2 shown]
	s_cmpk_eq_i32 s8, 0x79
	ds_write_b128 v77, v[1:4]
	s_cbranch_scc1 .LBB96_260
; %bb.9:
	v_mov_b32_e32 v4, s7
	v_cmp_eq_u32_e64 s4, 32, v0
	s_clause 0x3
	buffer_load_dword v1, v4, s[0:3], 0 offen
	buffer_load_dword v2, v4, s[0:3], 0 offen offset:4
	buffer_load_dword v3, v4, s[0:3], 0 offen offset:8
	;; [unrolled: 1-line block ×3, first 2 shown]
	s_waitcnt vmcnt(0)
	ds_write_b128 v72, v[1:4]
	s_waitcnt lgkmcnt(0)
	s_waitcnt_vscnt null, 0x0
	s_barrier
	buffer_gl0_inv
	s_and_saveexec_b32 s5, s4
	s_cbranch_execz .LBB96_13
; %bb.10:
	ds_read_b128 v[1:4], v72
	s_andn2_b32 vcc_lo, exec_lo, s40
	s_cbranch_vccnz .LBB96_12
; %bb.11:
	s_clause 0x3
	buffer_load_dword v73, v71, s[0:3], 0 offen offset:8
	buffer_load_dword v74, v71, s[0:3], 0 offen offset:12
	buffer_load_dword v75, v71, s[0:3], 0 offen
	buffer_load_dword v76, v71, s[0:3], 0 offen offset:4
	s_waitcnt vmcnt(2) lgkmcnt(0)
	v_mul_f64 v[78:79], v[3:4], v[73:74]
	v_mul_f64 v[73:74], v[1:2], v[73:74]
	s_waitcnt vmcnt(0)
	v_fma_f64 v[1:2], v[1:2], v[75:76], -v[78:79]
	v_fma_f64 v[3:4], v[3:4], v[75:76], v[73:74]
.LBB96_12:
	v_mov_b32_e32 v73, 0
	ds_read_b128 v[73:76], v73 offset:496
	s_waitcnt lgkmcnt(0)
	v_mul_f64 v[78:79], v[3:4], v[75:76]
	v_mul_f64 v[75:76], v[1:2], v[75:76]
	v_fma_f64 v[1:2], v[1:2], v[73:74], -v[78:79]
	v_fma_f64 v[3:4], v[3:4], v[73:74], v[75:76]
	buffer_store_dword v2, off, s[0:3], 0 offset:500
	buffer_store_dword v1, off, s[0:3], 0 offset:496
	;; [unrolled: 1-line block ×4, first 2 shown]
.LBB96_13:
	s_or_b32 exec_lo, exec_lo, s5
	v_mov_b32_e32 v4, s9
	v_cmp_lt_u32_e64 s5, 30, v0
	s_clause 0x3
	buffer_load_dword v1, v4, s[0:3], 0 offen
	buffer_load_dword v2, v4, s[0:3], 0 offen offset:4
	buffer_load_dword v3, v4, s[0:3], 0 offen offset:8
	;; [unrolled: 1-line block ×3, first 2 shown]
	s_waitcnt vmcnt(0)
	ds_write_b128 v72, v[1:4]
	s_waitcnt lgkmcnt(0)
	s_waitcnt_vscnt null, 0x0
	s_barrier
	buffer_gl0_inv
	s_and_saveexec_b32 s8, s5
	s_cbranch_execz .LBB96_19
; %bb.14:
	ds_read_b128 v[1:4], v72
	s_andn2_b32 vcc_lo, exec_lo, s40
	s_cbranch_vccnz .LBB96_16
; %bb.15:
	s_clause 0x3
	buffer_load_dword v73, v71, s[0:3], 0 offen offset:8
	buffer_load_dword v74, v71, s[0:3], 0 offen offset:12
	buffer_load_dword v75, v71, s[0:3], 0 offen
	buffer_load_dword v76, v71, s[0:3], 0 offen offset:4
	s_waitcnt vmcnt(2) lgkmcnt(0)
	v_mul_f64 v[78:79], v[3:4], v[73:74]
	v_mul_f64 v[73:74], v[1:2], v[73:74]
	s_waitcnt vmcnt(0)
	v_fma_f64 v[1:2], v[1:2], v[75:76], -v[78:79]
	v_fma_f64 v[3:4], v[3:4], v[75:76], v[73:74]
.LBB96_16:
	s_and_saveexec_b32 s41, s4
	s_cbranch_execz .LBB96_18
; %bb.17:
	s_clause 0x3
	buffer_load_dword v78, off, s[0:3], 0 offset:504
	buffer_load_dword v79, off, s[0:3], 0 offset:508
	;; [unrolled: 1-line block ×4, first 2 shown]
	v_mov_b32_e32 v73, 0
	ds_read_b128 v[73:76], v73 offset:1024
	s_waitcnt vmcnt(2) lgkmcnt(0)
	v_mul_f64 v[82:83], v[73:74], v[78:79]
	v_mul_f64 v[78:79], v[75:76], v[78:79]
	s_waitcnt vmcnt(0)
	v_fma_f64 v[75:76], v[75:76], v[80:81], v[82:83]
	v_fma_f64 v[73:74], v[73:74], v[80:81], -v[78:79]
	v_add_f64 v[3:4], v[3:4], v[75:76]
	v_add_f64 v[1:2], v[1:2], v[73:74]
.LBB96_18:
	s_or_b32 exec_lo, exec_lo, s41
	v_mov_b32_e32 v73, 0
	ds_read_b128 v[73:76], v73 offset:480
	s_waitcnt lgkmcnt(0)
	v_mul_f64 v[78:79], v[3:4], v[75:76]
	v_mul_f64 v[75:76], v[1:2], v[75:76]
	v_fma_f64 v[1:2], v[1:2], v[73:74], -v[78:79]
	v_fma_f64 v[3:4], v[3:4], v[73:74], v[75:76]
	buffer_store_dword v2, off, s[0:3], 0 offset:484
	buffer_store_dword v1, off, s[0:3], 0 offset:480
	;; [unrolled: 1-line block ×4, first 2 shown]
.LBB96_19:
	s_or_b32 exec_lo, exec_lo, s8
	v_mov_b32_e32 v4, s10
	v_cmp_lt_u32_e64 s4, 29, v0
	s_clause 0x3
	buffer_load_dword v1, v4, s[0:3], 0 offen
	buffer_load_dword v2, v4, s[0:3], 0 offen offset:4
	buffer_load_dword v3, v4, s[0:3], 0 offen offset:8
	;; [unrolled: 1-line block ×3, first 2 shown]
	s_waitcnt vmcnt(0)
	ds_write_b128 v72, v[1:4]
	s_waitcnt lgkmcnt(0)
	s_waitcnt_vscnt null, 0x0
	s_barrier
	buffer_gl0_inv
	s_and_saveexec_b32 s8, s4
	s_cbranch_execz .LBB96_27
; %bb.20:
	ds_read_b128 v[1:4], v72
	s_andn2_b32 vcc_lo, exec_lo, s40
	s_cbranch_vccnz .LBB96_22
; %bb.21:
	s_clause 0x3
	buffer_load_dword v73, v71, s[0:3], 0 offen offset:8
	buffer_load_dword v74, v71, s[0:3], 0 offen offset:12
	buffer_load_dword v75, v71, s[0:3], 0 offen
	buffer_load_dword v76, v71, s[0:3], 0 offen offset:4
	s_waitcnt vmcnt(2) lgkmcnt(0)
	v_mul_f64 v[78:79], v[3:4], v[73:74]
	v_mul_f64 v[73:74], v[1:2], v[73:74]
	s_waitcnt vmcnt(0)
	v_fma_f64 v[1:2], v[1:2], v[75:76], -v[78:79]
	v_fma_f64 v[3:4], v[3:4], v[75:76], v[73:74]
.LBB96_22:
	s_and_saveexec_b32 s41, s5
	s_cbranch_execz .LBB96_26
; %bb.23:
	v_subrev_nc_u32_e32 v73, 30, v0
	s_movk_i32 s42, 0x3f0
	s_mov_b32 s5, 0
	s_mov_b32 s43, s9
	.p2align	6
.LBB96_24:                              ; =>This Inner Loop Header: Depth=1
	v_mov_b32_e32 v76, s43
	v_add_nc_u32_e32 v73, -1, v73
	s_add_i32 s43, s43, 16
	s_clause 0x3
	buffer_load_dword v74, v76, s[0:3], 0 offen offset:8
	buffer_load_dword v75, v76, s[0:3], 0 offen offset:12
	buffer_load_dword v82, v76, s[0:3], 0 offen
	buffer_load_dword v83, v76, s[0:3], 0 offen offset:4
	v_mov_b32_e32 v76, s42
	v_cmp_eq_u32_e32 vcc_lo, 0, v73
	s_add_i32 s42, s42, 16
	ds_read_b128 v[78:81], v76
	s_or_b32 s5, vcc_lo, s5
	s_waitcnt vmcnt(2) lgkmcnt(0)
	v_mul_f64 v[84:85], v[80:81], v[74:75]
	v_mul_f64 v[74:75], v[78:79], v[74:75]
	s_waitcnt vmcnt(0)
	v_fma_f64 v[78:79], v[78:79], v[82:83], -v[84:85]
	v_fma_f64 v[74:75], v[80:81], v[82:83], v[74:75]
	v_add_f64 v[1:2], v[1:2], v[78:79]
	v_add_f64 v[3:4], v[3:4], v[74:75]
	s_andn2_b32 exec_lo, exec_lo, s5
	s_cbranch_execnz .LBB96_24
; %bb.25:
	s_or_b32 exec_lo, exec_lo, s5
.LBB96_26:
	s_or_b32 exec_lo, exec_lo, s41
	v_mov_b32_e32 v73, 0
	ds_read_b128 v[73:76], v73 offset:464
	s_waitcnt lgkmcnt(0)
	v_mul_f64 v[78:79], v[3:4], v[75:76]
	v_mul_f64 v[75:76], v[1:2], v[75:76]
	v_fma_f64 v[1:2], v[1:2], v[73:74], -v[78:79]
	v_fma_f64 v[3:4], v[3:4], v[73:74], v[75:76]
	buffer_store_dword v2, off, s[0:3], 0 offset:468
	buffer_store_dword v1, off, s[0:3], 0 offset:464
	buffer_store_dword v4, off, s[0:3], 0 offset:476
	buffer_store_dword v3, off, s[0:3], 0 offset:472
.LBB96_27:
	s_or_b32 exec_lo, exec_lo, s8
	v_mov_b32_e32 v4, s11
	v_cmp_lt_u32_e64 s5, 28, v0
	s_clause 0x3
	buffer_load_dword v1, v4, s[0:3], 0 offen
	buffer_load_dword v2, v4, s[0:3], 0 offen offset:4
	buffer_load_dword v3, v4, s[0:3], 0 offen offset:8
	buffer_load_dword v4, v4, s[0:3], 0 offen offset:12
	s_waitcnt vmcnt(0)
	ds_write_b128 v72, v[1:4]
	s_waitcnt lgkmcnt(0)
	s_waitcnt_vscnt null, 0x0
	s_barrier
	buffer_gl0_inv
	s_and_saveexec_b32 s8, s5
	s_cbranch_execz .LBB96_35
; %bb.28:
	ds_read_b128 v[1:4], v72
	s_andn2_b32 vcc_lo, exec_lo, s40
	s_cbranch_vccnz .LBB96_30
; %bb.29:
	s_clause 0x3
	buffer_load_dword v73, v71, s[0:3], 0 offen offset:8
	buffer_load_dword v74, v71, s[0:3], 0 offen offset:12
	buffer_load_dword v75, v71, s[0:3], 0 offen
	buffer_load_dword v76, v71, s[0:3], 0 offen offset:4
	s_waitcnt vmcnt(2) lgkmcnt(0)
	v_mul_f64 v[78:79], v[3:4], v[73:74]
	v_mul_f64 v[73:74], v[1:2], v[73:74]
	s_waitcnt vmcnt(0)
	v_fma_f64 v[1:2], v[1:2], v[75:76], -v[78:79]
	v_fma_f64 v[3:4], v[3:4], v[75:76], v[73:74]
.LBB96_30:
	s_and_saveexec_b32 s41, s4
	s_cbranch_execz .LBB96_34
; %bb.31:
	v_subrev_nc_u32_e32 v73, 29, v0
	s_movk_i32 s42, 0x3e0
	s_mov_b32 s4, 0
	s_mov_b32 s43, s10
	.p2align	6
.LBB96_32:                              ; =>This Inner Loop Header: Depth=1
	v_mov_b32_e32 v76, s43
	v_add_nc_u32_e32 v73, -1, v73
	s_add_i32 s43, s43, 16
	s_clause 0x3
	buffer_load_dword v74, v76, s[0:3], 0 offen offset:8
	buffer_load_dword v75, v76, s[0:3], 0 offen offset:12
	buffer_load_dword v82, v76, s[0:3], 0 offen
	buffer_load_dword v83, v76, s[0:3], 0 offen offset:4
	v_mov_b32_e32 v76, s42
	v_cmp_eq_u32_e32 vcc_lo, 0, v73
	s_add_i32 s42, s42, 16
	ds_read_b128 v[78:81], v76
	s_or_b32 s4, vcc_lo, s4
	s_waitcnt vmcnt(2) lgkmcnt(0)
	v_mul_f64 v[84:85], v[80:81], v[74:75]
	v_mul_f64 v[74:75], v[78:79], v[74:75]
	s_waitcnt vmcnt(0)
	v_fma_f64 v[78:79], v[78:79], v[82:83], -v[84:85]
	v_fma_f64 v[74:75], v[80:81], v[82:83], v[74:75]
	v_add_f64 v[1:2], v[1:2], v[78:79]
	v_add_f64 v[3:4], v[3:4], v[74:75]
	s_andn2_b32 exec_lo, exec_lo, s4
	s_cbranch_execnz .LBB96_32
; %bb.33:
	s_or_b32 exec_lo, exec_lo, s4
.LBB96_34:
	s_or_b32 exec_lo, exec_lo, s41
	v_mov_b32_e32 v73, 0
	ds_read_b128 v[73:76], v73 offset:448
	s_waitcnt lgkmcnt(0)
	v_mul_f64 v[78:79], v[3:4], v[75:76]
	v_mul_f64 v[75:76], v[1:2], v[75:76]
	v_fma_f64 v[1:2], v[1:2], v[73:74], -v[78:79]
	v_fma_f64 v[3:4], v[3:4], v[73:74], v[75:76]
	buffer_store_dword v2, off, s[0:3], 0 offset:452
	buffer_store_dword v1, off, s[0:3], 0 offset:448
	;; [unrolled: 1-line block ×4, first 2 shown]
.LBB96_35:
	s_or_b32 exec_lo, exec_lo, s8
	v_mov_b32_e32 v4, s12
	v_cmp_lt_u32_e64 s4, 27, v0
	s_clause 0x3
	buffer_load_dword v1, v4, s[0:3], 0 offen
	buffer_load_dword v2, v4, s[0:3], 0 offen offset:4
	buffer_load_dword v3, v4, s[0:3], 0 offen offset:8
	;; [unrolled: 1-line block ×3, first 2 shown]
	s_waitcnt vmcnt(0)
	ds_write_b128 v72, v[1:4]
	s_waitcnt lgkmcnt(0)
	s_waitcnt_vscnt null, 0x0
	s_barrier
	buffer_gl0_inv
	s_and_saveexec_b32 s8, s4
	s_cbranch_execz .LBB96_43
; %bb.36:
	ds_read_b128 v[1:4], v72
	s_andn2_b32 vcc_lo, exec_lo, s40
	s_cbranch_vccnz .LBB96_38
; %bb.37:
	s_clause 0x3
	buffer_load_dword v73, v71, s[0:3], 0 offen offset:8
	buffer_load_dword v74, v71, s[0:3], 0 offen offset:12
	buffer_load_dword v75, v71, s[0:3], 0 offen
	buffer_load_dword v76, v71, s[0:3], 0 offen offset:4
	s_waitcnt vmcnt(2) lgkmcnt(0)
	v_mul_f64 v[78:79], v[3:4], v[73:74]
	v_mul_f64 v[73:74], v[1:2], v[73:74]
	s_waitcnt vmcnt(0)
	v_fma_f64 v[1:2], v[1:2], v[75:76], -v[78:79]
	v_fma_f64 v[3:4], v[3:4], v[75:76], v[73:74]
.LBB96_38:
	s_and_saveexec_b32 s41, s5
	s_cbranch_execz .LBB96_42
; %bb.39:
	v_subrev_nc_u32_e32 v73, 28, v0
	s_movk_i32 s42, 0x3d0
	s_mov_b32 s5, 0
	s_mov_b32 s43, s11
	.p2align	6
.LBB96_40:                              ; =>This Inner Loop Header: Depth=1
	v_mov_b32_e32 v76, s43
	v_add_nc_u32_e32 v73, -1, v73
	s_add_i32 s43, s43, 16
	s_clause 0x3
	buffer_load_dword v74, v76, s[0:3], 0 offen offset:8
	buffer_load_dword v75, v76, s[0:3], 0 offen offset:12
	buffer_load_dword v82, v76, s[0:3], 0 offen
	buffer_load_dword v83, v76, s[0:3], 0 offen offset:4
	v_mov_b32_e32 v76, s42
	v_cmp_eq_u32_e32 vcc_lo, 0, v73
	s_add_i32 s42, s42, 16
	ds_read_b128 v[78:81], v76
	s_or_b32 s5, vcc_lo, s5
	s_waitcnt vmcnt(2) lgkmcnt(0)
	v_mul_f64 v[84:85], v[80:81], v[74:75]
	v_mul_f64 v[74:75], v[78:79], v[74:75]
	s_waitcnt vmcnt(0)
	v_fma_f64 v[78:79], v[78:79], v[82:83], -v[84:85]
	v_fma_f64 v[74:75], v[80:81], v[82:83], v[74:75]
	v_add_f64 v[1:2], v[1:2], v[78:79]
	v_add_f64 v[3:4], v[3:4], v[74:75]
	s_andn2_b32 exec_lo, exec_lo, s5
	s_cbranch_execnz .LBB96_40
; %bb.41:
	s_or_b32 exec_lo, exec_lo, s5
.LBB96_42:
	s_or_b32 exec_lo, exec_lo, s41
	v_mov_b32_e32 v73, 0
	ds_read_b128 v[73:76], v73 offset:432
	s_waitcnt lgkmcnt(0)
	v_mul_f64 v[78:79], v[3:4], v[75:76]
	v_mul_f64 v[75:76], v[1:2], v[75:76]
	v_fma_f64 v[1:2], v[1:2], v[73:74], -v[78:79]
	v_fma_f64 v[3:4], v[3:4], v[73:74], v[75:76]
	buffer_store_dword v2, off, s[0:3], 0 offset:436
	buffer_store_dword v1, off, s[0:3], 0 offset:432
	;; [unrolled: 1-line block ×4, first 2 shown]
.LBB96_43:
	s_or_b32 exec_lo, exec_lo, s8
	v_mov_b32_e32 v4, s13
	v_cmp_lt_u32_e64 s5, 26, v0
	s_clause 0x3
	buffer_load_dword v1, v4, s[0:3], 0 offen
	buffer_load_dword v2, v4, s[0:3], 0 offen offset:4
	buffer_load_dword v3, v4, s[0:3], 0 offen offset:8
	;; [unrolled: 1-line block ×3, first 2 shown]
	s_waitcnt vmcnt(0)
	ds_write_b128 v72, v[1:4]
	s_waitcnt lgkmcnt(0)
	s_waitcnt_vscnt null, 0x0
	s_barrier
	buffer_gl0_inv
	s_and_saveexec_b32 s8, s5
	s_cbranch_execz .LBB96_51
; %bb.44:
	ds_read_b128 v[1:4], v72
	s_andn2_b32 vcc_lo, exec_lo, s40
	s_cbranch_vccnz .LBB96_46
; %bb.45:
	s_clause 0x3
	buffer_load_dword v73, v71, s[0:3], 0 offen offset:8
	buffer_load_dword v74, v71, s[0:3], 0 offen offset:12
	buffer_load_dword v75, v71, s[0:3], 0 offen
	buffer_load_dword v76, v71, s[0:3], 0 offen offset:4
	s_waitcnt vmcnt(2) lgkmcnt(0)
	v_mul_f64 v[78:79], v[3:4], v[73:74]
	v_mul_f64 v[73:74], v[1:2], v[73:74]
	s_waitcnt vmcnt(0)
	v_fma_f64 v[1:2], v[1:2], v[75:76], -v[78:79]
	v_fma_f64 v[3:4], v[3:4], v[75:76], v[73:74]
.LBB96_46:
	s_and_saveexec_b32 s41, s4
	s_cbranch_execz .LBB96_50
; %bb.47:
	v_subrev_nc_u32_e32 v73, 27, v0
	s_movk_i32 s42, 0x3c0
	s_mov_b32 s4, 0
	s_mov_b32 s43, s12
	.p2align	6
.LBB96_48:                              ; =>This Inner Loop Header: Depth=1
	v_mov_b32_e32 v76, s43
	v_add_nc_u32_e32 v73, -1, v73
	s_add_i32 s43, s43, 16
	s_clause 0x3
	buffer_load_dword v74, v76, s[0:3], 0 offen offset:8
	buffer_load_dword v75, v76, s[0:3], 0 offen offset:12
	buffer_load_dword v82, v76, s[0:3], 0 offen
	buffer_load_dword v83, v76, s[0:3], 0 offen offset:4
	v_mov_b32_e32 v76, s42
	v_cmp_eq_u32_e32 vcc_lo, 0, v73
	s_add_i32 s42, s42, 16
	ds_read_b128 v[78:81], v76
	s_or_b32 s4, vcc_lo, s4
	s_waitcnt vmcnt(2) lgkmcnt(0)
	v_mul_f64 v[84:85], v[80:81], v[74:75]
	v_mul_f64 v[74:75], v[78:79], v[74:75]
	s_waitcnt vmcnt(0)
	v_fma_f64 v[78:79], v[78:79], v[82:83], -v[84:85]
	v_fma_f64 v[74:75], v[80:81], v[82:83], v[74:75]
	v_add_f64 v[1:2], v[1:2], v[78:79]
	v_add_f64 v[3:4], v[3:4], v[74:75]
	s_andn2_b32 exec_lo, exec_lo, s4
	s_cbranch_execnz .LBB96_48
; %bb.49:
	s_or_b32 exec_lo, exec_lo, s4
.LBB96_50:
	s_or_b32 exec_lo, exec_lo, s41
	v_mov_b32_e32 v73, 0
	ds_read_b128 v[73:76], v73 offset:416
	s_waitcnt lgkmcnt(0)
	v_mul_f64 v[78:79], v[3:4], v[75:76]
	v_mul_f64 v[75:76], v[1:2], v[75:76]
	v_fma_f64 v[1:2], v[1:2], v[73:74], -v[78:79]
	v_fma_f64 v[3:4], v[3:4], v[73:74], v[75:76]
	buffer_store_dword v2, off, s[0:3], 0 offset:420
	buffer_store_dword v1, off, s[0:3], 0 offset:416
	;; [unrolled: 1-line block ×4, first 2 shown]
.LBB96_51:
	s_or_b32 exec_lo, exec_lo, s8
	v_mov_b32_e32 v4, s14
	v_cmp_lt_u32_e64 s4, 25, v0
	s_clause 0x3
	buffer_load_dword v1, v4, s[0:3], 0 offen
	buffer_load_dword v2, v4, s[0:3], 0 offen offset:4
	buffer_load_dword v3, v4, s[0:3], 0 offen offset:8
	;; [unrolled: 1-line block ×3, first 2 shown]
	s_waitcnt vmcnt(0)
	ds_write_b128 v72, v[1:4]
	s_waitcnt lgkmcnt(0)
	s_waitcnt_vscnt null, 0x0
	s_barrier
	buffer_gl0_inv
	s_and_saveexec_b32 s8, s4
	s_cbranch_execz .LBB96_59
; %bb.52:
	ds_read_b128 v[1:4], v72
	s_andn2_b32 vcc_lo, exec_lo, s40
	s_cbranch_vccnz .LBB96_54
; %bb.53:
	s_clause 0x3
	buffer_load_dword v73, v71, s[0:3], 0 offen offset:8
	buffer_load_dword v74, v71, s[0:3], 0 offen offset:12
	buffer_load_dword v75, v71, s[0:3], 0 offen
	buffer_load_dword v76, v71, s[0:3], 0 offen offset:4
	s_waitcnt vmcnt(2) lgkmcnt(0)
	v_mul_f64 v[78:79], v[3:4], v[73:74]
	v_mul_f64 v[73:74], v[1:2], v[73:74]
	s_waitcnt vmcnt(0)
	v_fma_f64 v[1:2], v[1:2], v[75:76], -v[78:79]
	v_fma_f64 v[3:4], v[3:4], v[75:76], v[73:74]
.LBB96_54:
	s_and_saveexec_b32 s41, s5
	s_cbranch_execz .LBB96_58
; %bb.55:
	v_subrev_nc_u32_e32 v73, 26, v0
	s_movk_i32 s42, 0x3b0
	s_mov_b32 s5, 0
	s_mov_b32 s43, s13
	.p2align	6
.LBB96_56:                              ; =>This Inner Loop Header: Depth=1
	v_mov_b32_e32 v76, s43
	v_add_nc_u32_e32 v73, -1, v73
	s_add_i32 s43, s43, 16
	s_clause 0x3
	buffer_load_dword v74, v76, s[0:3], 0 offen offset:8
	buffer_load_dword v75, v76, s[0:3], 0 offen offset:12
	buffer_load_dword v82, v76, s[0:3], 0 offen
	buffer_load_dword v83, v76, s[0:3], 0 offen offset:4
	v_mov_b32_e32 v76, s42
	v_cmp_eq_u32_e32 vcc_lo, 0, v73
	s_add_i32 s42, s42, 16
	ds_read_b128 v[78:81], v76
	s_or_b32 s5, vcc_lo, s5
	s_waitcnt vmcnt(2) lgkmcnt(0)
	v_mul_f64 v[84:85], v[80:81], v[74:75]
	v_mul_f64 v[74:75], v[78:79], v[74:75]
	s_waitcnt vmcnt(0)
	v_fma_f64 v[78:79], v[78:79], v[82:83], -v[84:85]
	v_fma_f64 v[74:75], v[80:81], v[82:83], v[74:75]
	v_add_f64 v[1:2], v[1:2], v[78:79]
	v_add_f64 v[3:4], v[3:4], v[74:75]
	s_andn2_b32 exec_lo, exec_lo, s5
	s_cbranch_execnz .LBB96_56
; %bb.57:
	s_or_b32 exec_lo, exec_lo, s5
.LBB96_58:
	s_or_b32 exec_lo, exec_lo, s41
	v_mov_b32_e32 v73, 0
	ds_read_b128 v[73:76], v73 offset:400
	s_waitcnt lgkmcnt(0)
	v_mul_f64 v[78:79], v[3:4], v[75:76]
	v_mul_f64 v[75:76], v[1:2], v[75:76]
	v_fma_f64 v[1:2], v[1:2], v[73:74], -v[78:79]
	v_fma_f64 v[3:4], v[3:4], v[73:74], v[75:76]
	buffer_store_dword v2, off, s[0:3], 0 offset:404
	buffer_store_dword v1, off, s[0:3], 0 offset:400
	;; [unrolled: 1-line block ×4, first 2 shown]
.LBB96_59:
	s_or_b32 exec_lo, exec_lo, s8
	v_mov_b32_e32 v4, s15
	v_cmp_lt_u32_e64 s5, 24, v0
	s_clause 0x3
	buffer_load_dword v1, v4, s[0:3], 0 offen
	buffer_load_dword v2, v4, s[0:3], 0 offen offset:4
	buffer_load_dword v3, v4, s[0:3], 0 offen offset:8
	;; [unrolled: 1-line block ×3, first 2 shown]
	s_waitcnt vmcnt(0)
	ds_write_b128 v72, v[1:4]
	s_waitcnt lgkmcnt(0)
	s_waitcnt_vscnt null, 0x0
	s_barrier
	buffer_gl0_inv
	s_and_saveexec_b32 s8, s5
	s_cbranch_execz .LBB96_67
; %bb.60:
	ds_read_b128 v[1:4], v72
	s_andn2_b32 vcc_lo, exec_lo, s40
	s_cbranch_vccnz .LBB96_62
; %bb.61:
	s_clause 0x3
	buffer_load_dword v73, v71, s[0:3], 0 offen offset:8
	buffer_load_dword v74, v71, s[0:3], 0 offen offset:12
	buffer_load_dword v75, v71, s[0:3], 0 offen
	buffer_load_dword v76, v71, s[0:3], 0 offen offset:4
	s_waitcnt vmcnt(2) lgkmcnt(0)
	v_mul_f64 v[78:79], v[3:4], v[73:74]
	v_mul_f64 v[73:74], v[1:2], v[73:74]
	s_waitcnt vmcnt(0)
	v_fma_f64 v[1:2], v[1:2], v[75:76], -v[78:79]
	v_fma_f64 v[3:4], v[3:4], v[75:76], v[73:74]
.LBB96_62:
	s_and_saveexec_b32 s41, s4
	s_cbranch_execz .LBB96_66
; %bb.63:
	v_subrev_nc_u32_e32 v73, 25, v0
	s_movk_i32 s42, 0x3a0
	s_mov_b32 s4, 0
	s_mov_b32 s43, s14
	.p2align	6
.LBB96_64:                              ; =>This Inner Loop Header: Depth=1
	v_mov_b32_e32 v76, s43
	v_add_nc_u32_e32 v73, -1, v73
	s_add_i32 s43, s43, 16
	s_clause 0x3
	buffer_load_dword v74, v76, s[0:3], 0 offen offset:8
	buffer_load_dword v75, v76, s[0:3], 0 offen offset:12
	buffer_load_dword v82, v76, s[0:3], 0 offen
	buffer_load_dword v83, v76, s[0:3], 0 offen offset:4
	v_mov_b32_e32 v76, s42
	v_cmp_eq_u32_e32 vcc_lo, 0, v73
	s_add_i32 s42, s42, 16
	ds_read_b128 v[78:81], v76
	s_or_b32 s4, vcc_lo, s4
	s_waitcnt vmcnt(2) lgkmcnt(0)
	v_mul_f64 v[84:85], v[80:81], v[74:75]
	v_mul_f64 v[74:75], v[78:79], v[74:75]
	s_waitcnt vmcnt(0)
	v_fma_f64 v[78:79], v[78:79], v[82:83], -v[84:85]
	v_fma_f64 v[74:75], v[80:81], v[82:83], v[74:75]
	v_add_f64 v[1:2], v[1:2], v[78:79]
	v_add_f64 v[3:4], v[3:4], v[74:75]
	s_andn2_b32 exec_lo, exec_lo, s4
	s_cbranch_execnz .LBB96_64
; %bb.65:
	s_or_b32 exec_lo, exec_lo, s4
.LBB96_66:
	s_or_b32 exec_lo, exec_lo, s41
	v_mov_b32_e32 v73, 0
	ds_read_b128 v[73:76], v73 offset:384
	s_waitcnt lgkmcnt(0)
	v_mul_f64 v[78:79], v[3:4], v[75:76]
	v_mul_f64 v[75:76], v[1:2], v[75:76]
	v_fma_f64 v[1:2], v[1:2], v[73:74], -v[78:79]
	v_fma_f64 v[3:4], v[3:4], v[73:74], v[75:76]
	buffer_store_dword v2, off, s[0:3], 0 offset:388
	buffer_store_dword v1, off, s[0:3], 0 offset:384
	;; [unrolled: 1-line block ×4, first 2 shown]
.LBB96_67:
	s_or_b32 exec_lo, exec_lo, s8
	v_mov_b32_e32 v4, s16
	v_cmp_lt_u32_e64 s4, 23, v0
	s_clause 0x3
	buffer_load_dword v1, v4, s[0:3], 0 offen
	buffer_load_dword v2, v4, s[0:3], 0 offen offset:4
	buffer_load_dword v3, v4, s[0:3], 0 offen offset:8
	buffer_load_dword v4, v4, s[0:3], 0 offen offset:12
	s_waitcnt vmcnt(0)
	ds_write_b128 v72, v[1:4]
	s_waitcnt lgkmcnt(0)
	s_waitcnt_vscnt null, 0x0
	s_barrier
	buffer_gl0_inv
	s_and_saveexec_b32 s8, s4
	s_cbranch_execz .LBB96_75
; %bb.68:
	ds_read_b128 v[1:4], v72
	s_andn2_b32 vcc_lo, exec_lo, s40
	s_cbranch_vccnz .LBB96_70
; %bb.69:
	s_clause 0x3
	buffer_load_dword v73, v71, s[0:3], 0 offen offset:8
	buffer_load_dword v74, v71, s[0:3], 0 offen offset:12
	buffer_load_dword v75, v71, s[0:3], 0 offen
	buffer_load_dword v76, v71, s[0:3], 0 offen offset:4
	s_waitcnt vmcnt(2) lgkmcnt(0)
	v_mul_f64 v[78:79], v[3:4], v[73:74]
	v_mul_f64 v[73:74], v[1:2], v[73:74]
	s_waitcnt vmcnt(0)
	v_fma_f64 v[1:2], v[1:2], v[75:76], -v[78:79]
	v_fma_f64 v[3:4], v[3:4], v[75:76], v[73:74]
.LBB96_70:
	s_and_saveexec_b32 s41, s5
	s_cbranch_execz .LBB96_74
; %bb.71:
	v_subrev_nc_u32_e32 v73, 24, v0
	s_movk_i32 s42, 0x390
	s_mov_b32 s5, 0
	s_mov_b32 s43, s15
	.p2align	6
.LBB96_72:                              ; =>This Inner Loop Header: Depth=1
	v_mov_b32_e32 v76, s43
	v_add_nc_u32_e32 v73, -1, v73
	s_add_i32 s43, s43, 16
	s_clause 0x3
	buffer_load_dword v74, v76, s[0:3], 0 offen offset:8
	buffer_load_dword v75, v76, s[0:3], 0 offen offset:12
	buffer_load_dword v82, v76, s[0:3], 0 offen
	buffer_load_dword v83, v76, s[0:3], 0 offen offset:4
	v_mov_b32_e32 v76, s42
	v_cmp_eq_u32_e32 vcc_lo, 0, v73
	s_add_i32 s42, s42, 16
	ds_read_b128 v[78:81], v76
	s_or_b32 s5, vcc_lo, s5
	s_waitcnt vmcnt(2) lgkmcnt(0)
	v_mul_f64 v[84:85], v[80:81], v[74:75]
	v_mul_f64 v[74:75], v[78:79], v[74:75]
	s_waitcnt vmcnt(0)
	v_fma_f64 v[78:79], v[78:79], v[82:83], -v[84:85]
	v_fma_f64 v[74:75], v[80:81], v[82:83], v[74:75]
	v_add_f64 v[1:2], v[1:2], v[78:79]
	v_add_f64 v[3:4], v[3:4], v[74:75]
	s_andn2_b32 exec_lo, exec_lo, s5
	s_cbranch_execnz .LBB96_72
; %bb.73:
	s_or_b32 exec_lo, exec_lo, s5
.LBB96_74:
	s_or_b32 exec_lo, exec_lo, s41
	v_mov_b32_e32 v73, 0
	ds_read_b128 v[73:76], v73 offset:368
	s_waitcnt lgkmcnt(0)
	v_mul_f64 v[78:79], v[3:4], v[75:76]
	v_mul_f64 v[75:76], v[1:2], v[75:76]
	v_fma_f64 v[1:2], v[1:2], v[73:74], -v[78:79]
	v_fma_f64 v[3:4], v[3:4], v[73:74], v[75:76]
	buffer_store_dword v2, off, s[0:3], 0 offset:372
	buffer_store_dword v1, off, s[0:3], 0 offset:368
	;; [unrolled: 1-line block ×4, first 2 shown]
.LBB96_75:
	s_or_b32 exec_lo, exec_lo, s8
	v_mov_b32_e32 v4, s17
	v_cmp_lt_u32_e64 s5, 22, v0
	s_clause 0x3
	buffer_load_dword v1, v4, s[0:3], 0 offen
	buffer_load_dword v2, v4, s[0:3], 0 offen offset:4
	buffer_load_dword v3, v4, s[0:3], 0 offen offset:8
	;; [unrolled: 1-line block ×3, first 2 shown]
	s_waitcnt vmcnt(0)
	ds_write_b128 v72, v[1:4]
	s_waitcnt lgkmcnt(0)
	s_waitcnt_vscnt null, 0x0
	s_barrier
	buffer_gl0_inv
	s_and_saveexec_b32 s8, s5
	s_cbranch_execz .LBB96_83
; %bb.76:
	ds_read_b128 v[1:4], v72
	s_andn2_b32 vcc_lo, exec_lo, s40
	s_cbranch_vccnz .LBB96_78
; %bb.77:
	s_clause 0x3
	buffer_load_dword v73, v71, s[0:3], 0 offen offset:8
	buffer_load_dword v74, v71, s[0:3], 0 offen offset:12
	buffer_load_dword v75, v71, s[0:3], 0 offen
	buffer_load_dword v76, v71, s[0:3], 0 offen offset:4
	s_waitcnt vmcnt(2) lgkmcnt(0)
	v_mul_f64 v[78:79], v[3:4], v[73:74]
	v_mul_f64 v[73:74], v[1:2], v[73:74]
	s_waitcnt vmcnt(0)
	v_fma_f64 v[1:2], v[1:2], v[75:76], -v[78:79]
	v_fma_f64 v[3:4], v[3:4], v[75:76], v[73:74]
.LBB96_78:
	s_and_saveexec_b32 s41, s4
	s_cbranch_execz .LBB96_82
; %bb.79:
	v_subrev_nc_u32_e32 v73, 23, v0
	s_movk_i32 s42, 0x380
	s_mov_b32 s4, 0
	s_mov_b32 s43, s16
	.p2align	6
.LBB96_80:                              ; =>This Inner Loop Header: Depth=1
	v_mov_b32_e32 v76, s43
	v_add_nc_u32_e32 v73, -1, v73
	s_add_i32 s43, s43, 16
	s_clause 0x3
	buffer_load_dword v74, v76, s[0:3], 0 offen offset:8
	buffer_load_dword v75, v76, s[0:3], 0 offen offset:12
	buffer_load_dword v82, v76, s[0:3], 0 offen
	buffer_load_dword v83, v76, s[0:3], 0 offen offset:4
	v_mov_b32_e32 v76, s42
	v_cmp_eq_u32_e32 vcc_lo, 0, v73
	s_add_i32 s42, s42, 16
	ds_read_b128 v[78:81], v76
	s_or_b32 s4, vcc_lo, s4
	s_waitcnt vmcnt(2) lgkmcnt(0)
	v_mul_f64 v[84:85], v[80:81], v[74:75]
	v_mul_f64 v[74:75], v[78:79], v[74:75]
	s_waitcnt vmcnt(0)
	v_fma_f64 v[78:79], v[78:79], v[82:83], -v[84:85]
	v_fma_f64 v[74:75], v[80:81], v[82:83], v[74:75]
	v_add_f64 v[1:2], v[1:2], v[78:79]
	v_add_f64 v[3:4], v[3:4], v[74:75]
	s_andn2_b32 exec_lo, exec_lo, s4
	s_cbranch_execnz .LBB96_80
; %bb.81:
	s_or_b32 exec_lo, exec_lo, s4
.LBB96_82:
	s_or_b32 exec_lo, exec_lo, s41
	v_mov_b32_e32 v73, 0
	ds_read_b128 v[73:76], v73 offset:352
	s_waitcnt lgkmcnt(0)
	v_mul_f64 v[78:79], v[3:4], v[75:76]
	v_mul_f64 v[75:76], v[1:2], v[75:76]
	v_fma_f64 v[1:2], v[1:2], v[73:74], -v[78:79]
	v_fma_f64 v[3:4], v[3:4], v[73:74], v[75:76]
	buffer_store_dword v2, off, s[0:3], 0 offset:356
	buffer_store_dword v1, off, s[0:3], 0 offset:352
	;; [unrolled: 1-line block ×4, first 2 shown]
.LBB96_83:
	s_or_b32 exec_lo, exec_lo, s8
	v_mov_b32_e32 v4, s18
	v_cmp_lt_u32_e64 s4, 21, v0
	s_clause 0x3
	buffer_load_dword v1, v4, s[0:3], 0 offen
	buffer_load_dword v2, v4, s[0:3], 0 offen offset:4
	buffer_load_dword v3, v4, s[0:3], 0 offen offset:8
	;; [unrolled: 1-line block ×3, first 2 shown]
	s_waitcnt vmcnt(0)
	ds_write_b128 v72, v[1:4]
	s_waitcnt lgkmcnt(0)
	s_waitcnt_vscnt null, 0x0
	s_barrier
	buffer_gl0_inv
	s_and_saveexec_b32 s8, s4
	s_cbranch_execz .LBB96_91
; %bb.84:
	ds_read_b128 v[1:4], v72
	s_andn2_b32 vcc_lo, exec_lo, s40
	s_cbranch_vccnz .LBB96_86
; %bb.85:
	s_clause 0x3
	buffer_load_dword v73, v71, s[0:3], 0 offen offset:8
	buffer_load_dword v74, v71, s[0:3], 0 offen offset:12
	buffer_load_dword v75, v71, s[0:3], 0 offen
	buffer_load_dword v76, v71, s[0:3], 0 offen offset:4
	s_waitcnt vmcnt(2) lgkmcnt(0)
	v_mul_f64 v[78:79], v[3:4], v[73:74]
	v_mul_f64 v[73:74], v[1:2], v[73:74]
	s_waitcnt vmcnt(0)
	v_fma_f64 v[1:2], v[1:2], v[75:76], -v[78:79]
	v_fma_f64 v[3:4], v[3:4], v[75:76], v[73:74]
.LBB96_86:
	s_and_saveexec_b32 s41, s5
	s_cbranch_execz .LBB96_90
; %bb.87:
	v_subrev_nc_u32_e32 v73, 22, v0
	s_movk_i32 s42, 0x370
	s_mov_b32 s5, 0
	s_mov_b32 s43, s17
	.p2align	6
.LBB96_88:                              ; =>This Inner Loop Header: Depth=1
	v_mov_b32_e32 v76, s43
	v_add_nc_u32_e32 v73, -1, v73
	s_add_i32 s43, s43, 16
	s_clause 0x3
	buffer_load_dword v74, v76, s[0:3], 0 offen offset:8
	buffer_load_dword v75, v76, s[0:3], 0 offen offset:12
	buffer_load_dword v82, v76, s[0:3], 0 offen
	buffer_load_dword v83, v76, s[0:3], 0 offen offset:4
	v_mov_b32_e32 v76, s42
	v_cmp_eq_u32_e32 vcc_lo, 0, v73
	s_add_i32 s42, s42, 16
	ds_read_b128 v[78:81], v76
	s_or_b32 s5, vcc_lo, s5
	s_waitcnt vmcnt(2) lgkmcnt(0)
	v_mul_f64 v[84:85], v[80:81], v[74:75]
	v_mul_f64 v[74:75], v[78:79], v[74:75]
	s_waitcnt vmcnt(0)
	v_fma_f64 v[78:79], v[78:79], v[82:83], -v[84:85]
	v_fma_f64 v[74:75], v[80:81], v[82:83], v[74:75]
	v_add_f64 v[1:2], v[1:2], v[78:79]
	v_add_f64 v[3:4], v[3:4], v[74:75]
	s_andn2_b32 exec_lo, exec_lo, s5
	s_cbranch_execnz .LBB96_88
; %bb.89:
	s_or_b32 exec_lo, exec_lo, s5
.LBB96_90:
	s_or_b32 exec_lo, exec_lo, s41
	v_mov_b32_e32 v73, 0
	ds_read_b128 v[73:76], v73 offset:336
	s_waitcnt lgkmcnt(0)
	v_mul_f64 v[78:79], v[3:4], v[75:76]
	v_mul_f64 v[75:76], v[1:2], v[75:76]
	v_fma_f64 v[1:2], v[1:2], v[73:74], -v[78:79]
	v_fma_f64 v[3:4], v[3:4], v[73:74], v[75:76]
	buffer_store_dword v2, off, s[0:3], 0 offset:340
	buffer_store_dword v1, off, s[0:3], 0 offset:336
	;; [unrolled: 1-line block ×4, first 2 shown]
.LBB96_91:
	s_or_b32 exec_lo, exec_lo, s8
	v_mov_b32_e32 v4, s19
	v_cmp_lt_u32_e64 s5, 20, v0
	s_clause 0x3
	buffer_load_dword v1, v4, s[0:3], 0 offen
	buffer_load_dword v2, v4, s[0:3], 0 offen offset:4
	buffer_load_dword v3, v4, s[0:3], 0 offen offset:8
	;; [unrolled: 1-line block ×3, first 2 shown]
	s_waitcnt vmcnt(0)
	ds_write_b128 v72, v[1:4]
	s_waitcnt lgkmcnt(0)
	s_waitcnt_vscnt null, 0x0
	s_barrier
	buffer_gl0_inv
	s_and_saveexec_b32 s8, s5
	s_cbranch_execz .LBB96_99
; %bb.92:
	ds_read_b128 v[1:4], v72
	s_andn2_b32 vcc_lo, exec_lo, s40
	s_cbranch_vccnz .LBB96_94
; %bb.93:
	s_clause 0x3
	buffer_load_dword v73, v71, s[0:3], 0 offen offset:8
	buffer_load_dword v74, v71, s[0:3], 0 offen offset:12
	buffer_load_dword v75, v71, s[0:3], 0 offen
	buffer_load_dword v76, v71, s[0:3], 0 offen offset:4
	s_waitcnt vmcnt(2) lgkmcnt(0)
	v_mul_f64 v[78:79], v[3:4], v[73:74]
	v_mul_f64 v[73:74], v[1:2], v[73:74]
	s_waitcnt vmcnt(0)
	v_fma_f64 v[1:2], v[1:2], v[75:76], -v[78:79]
	v_fma_f64 v[3:4], v[3:4], v[75:76], v[73:74]
.LBB96_94:
	s_and_saveexec_b32 s41, s4
	s_cbranch_execz .LBB96_98
; %bb.95:
	v_subrev_nc_u32_e32 v73, 21, v0
	s_movk_i32 s42, 0x360
	s_mov_b32 s4, 0
	s_mov_b32 s43, s18
	.p2align	6
.LBB96_96:                              ; =>This Inner Loop Header: Depth=1
	v_mov_b32_e32 v76, s43
	v_add_nc_u32_e32 v73, -1, v73
	s_add_i32 s43, s43, 16
	s_clause 0x3
	buffer_load_dword v74, v76, s[0:3], 0 offen offset:8
	buffer_load_dword v75, v76, s[0:3], 0 offen offset:12
	buffer_load_dword v82, v76, s[0:3], 0 offen
	buffer_load_dword v83, v76, s[0:3], 0 offen offset:4
	v_mov_b32_e32 v76, s42
	v_cmp_eq_u32_e32 vcc_lo, 0, v73
	s_add_i32 s42, s42, 16
	ds_read_b128 v[78:81], v76
	s_or_b32 s4, vcc_lo, s4
	s_waitcnt vmcnt(2) lgkmcnt(0)
	v_mul_f64 v[84:85], v[80:81], v[74:75]
	v_mul_f64 v[74:75], v[78:79], v[74:75]
	s_waitcnt vmcnt(0)
	v_fma_f64 v[78:79], v[78:79], v[82:83], -v[84:85]
	v_fma_f64 v[74:75], v[80:81], v[82:83], v[74:75]
	v_add_f64 v[1:2], v[1:2], v[78:79]
	v_add_f64 v[3:4], v[3:4], v[74:75]
	s_andn2_b32 exec_lo, exec_lo, s4
	s_cbranch_execnz .LBB96_96
; %bb.97:
	s_or_b32 exec_lo, exec_lo, s4
.LBB96_98:
	s_or_b32 exec_lo, exec_lo, s41
	v_mov_b32_e32 v73, 0
	ds_read_b128 v[73:76], v73 offset:320
	s_waitcnt lgkmcnt(0)
	v_mul_f64 v[78:79], v[3:4], v[75:76]
	v_mul_f64 v[75:76], v[1:2], v[75:76]
	v_fma_f64 v[1:2], v[1:2], v[73:74], -v[78:79]
	v_fma_f64 v[3:4], v[3:4], v[73:74], v[75:76]
	buffer_store_dword v2, off, s[0:3], 0 offset:324
	buffer_store_dword v1, off, s[0:3], 0 offset:320
	;; [unrolled: 1-line block ×4, first 2 shown]
.LBB96_99:
	s_or_b32 exec_lo, exec_lo, s8
	v_mov_b32_e32 v4, s20
	v_cmp_lt_u32_e64 s4, 19, v0
	s_clause 0x3
	buffer_load_dword v1, v4, s[0:3], 0 offen
	buffer_load_dword v2, v4, s[0:3], 0 offen offset:4
	buffer_load_dword v3, v4, s[0:3], 0 offen offset:8
	;; [unrolled: 1-line block ×3, first 2 shown]
	s_waitcnt vmcnt(0)
	ds_write_b128 v72, v[1:4]
	s_waitcnt lgkmcnt(0)
	s_waitcnt_vscnt null, 0x0
	s_barrier
	buffer_gl0_inv
	s_and_saveexec_b32 s8, s4
	s_cbranch_execz .LBB96_107
; %bb.100:
	ds_read_b128 v[1:4], v72
	s_andn2_b32 vcc_lo, exec_lo, s40
	s_cbranch_vccnz .LBB96_102
; %bb.101:
	s_clause 0x3
	buffer_load_dword v73, v71, s[0:3], 0 offen offset:8
	buffer_load_dword v74, v71, s[0:3], 0 offen offset:12
	buffer_load_dword v75, v71, s[0:3], 0 offen
	buffer_load_dword v76, v71, s[0:3], 0 offen offset:4
	s_waitcnt vmcnt(2) lgkmcnt(0)
	v_mul_f64 v[78:79], v[3:4], v[73:74]
	v_mul_f64 v[73:74], v[1:2], v[73:74]
	s_waitcnt vmcnt(0)
	v_fma_f64 v[1:2], v[1:2], v[75:76], -v[78:79]
	v_fma_f64 v[3:4], v[3:4], v[75:76], v[73:74]
.LBB96_102:
	s_and_saveexec_b32 s41, s5
	s_cbranch_execz .LBB96_106
; %bb.103:
	v_subrev_nc_u32_e32 v73, 20, v0
	s_movk_i32 s42, 0x350
	s_mov_b32 s5, 0
	s_mov_b32 s43, s19
	.p2align	6
.LBB96_104:                             ; =>This Inner Loop Header: Depth=1
	v_mov_b32_e32 v76, s43
	v_add_nc_u32_e32 v73, -1, v73
	s_add_i32 s43, s43, 16
	s_clause 0x3
	buffer_load_dword v74, v76, s[0:3], 0 offen offset:8
	buffer_load_dword v75, v76, s[0:3], 0 offen offset:12
	buffer_load_dword v82, v76, s[0:3], 0 offen
	buffer_load_dword v83, v76, s[0:3], 0 offen offset:4
	v_mov_b32_e32 v76, s42
	v_cmp_eq_u32_e32 vcc_lo, 0, v73
	s_add_i32 s42, s42, 16
	ds_read_b128 v[78:81], v76
	s_or_b32 s5, vcc_lo, s5
	s_waitcnt vmcnt(2) lgkmcnt(0)
	v_mul_f64 v[84:85], v[80:81], v[74:75]
	v_mul_f64 v[74:75], v[78:79], v[74:75]
	s_waitcnt vmcnt(0)
	v_fma_f64 v[78:79], v[78:79], v[82:83], -v[84:85]
	v_fma_f64 v[74:75], v[80:81], v[82:83], v[74:75]
	v_add_f64 v[1:2], v[1:2], v[78:79]
	v_add_f64 v[3:4], v[3:4], v[74:75]
	s_andn2_b32 exec_lo, exec_lo, s5
	s_cbranch_execnz .LBB96_104
; %bb.105:
	s_or_b32 exec_lo, exec_lo, s5
.LBB96_106:
	s_or_b32 exec_lo, exec_lo, s41
	v_mov_b32_e32 v73, 0
	ds_read_b128 v[73:76], v73 offset:304
	s_waitcnt lgkmcnt(0)
	v_mul_f64 v[78:79], v[3:4], v[75:76]
	v_mul_f64 v[75:76], v[1:2], v[75:76]
	v_fma_f64 v[1:2], v[1:2], v[73:74], -v[78:79]
	v_fma_f64 v[3:4], v[3:4], v[73:74], v[75:76]
	buffer_store_dword v2, off, s[0:3], 0 offset:308
	buffer_store_dword v1, off, s[0:3], 0 offset:304
	;; [unrolled: 1-line block ×4, first 2 shown]
.LBB96_107:
	s_or_b32 exec_lo, exec_lo, s8
	v_mov_b32_e32 v4, s21
	v_cmp_lt_u32_e64 s5, 18, v0
	s_clause 0x3
	buffer_load_dword v1, v4, s[0:3], 0 offen
	buffer_load_dword v2, v4, s[0:3], 0 offen offset:4
	buffer_load_dword v3, v4, s[0:3], 0 offen offset:8
	;; [unrolled: 1-line block ×3, first 2 shown]
	s_waitcnt vmcnt(0)
	ds_write_b128 v72, v[1:4]
	s_waitcnt lgkmcnt(0)
	s_waitcnt_vscnt null, 0x0
	s_barrier
	buffer_gl0_inv
	s_and_saveexec_b32 s8, s5
	s_cbranch_execz .LBB96_115
; %bb.108:
	ds_read_b128 v[1:4], v72
	s_andn2_b32 vcc_lo, exec_lo, s40
	s_cbranch_vccnz .LBB96_110
; %bb.109:
	s_clause 0x3
	buffer_load_dword v73, v71, s[0:3], 0 offen offset:8
	buffer_load_dword v74, v71, s[0:3], 0 offen offset:12
	buffer_load_dword v75, v71, s[0:3], 0 offen
	buffer_load_dword v76, v71, s[0:3], 0 offen offset:4
	s_waitcnt vmcnt(2) lgkmcnt(0)
	v_mul_f64 v[78:79], v[3:4], v[73:74]
	v_mul_f64 v[73:74], v[1:2], v[73:74]
	s_waitcnt vmcnt(0)
	v_fma_f64 v[1:2], v[1:2], v[75:76], -v[78:79]
	v_fma_f64 v[3:4], v[3:4], v[75:76], v[73:74]
.LBB96_110:
	s_and_saveexec_b32 s41, s4
	s_cbranch_execz .LBB96_114
; %bb.111:
	v_subrev_nc_u32_e32 v73, 19, v0
	s_movk_i32 s42, 0x340
	s_mov_b32 s4, 0
	s_mov_b32 s43, s20
	.p2align	6
.LBB96_112:                             ; =>This Inner Loop Header: Depth=1
	v_mov_b32_e32 v76, s43
	v_add_nc_u32_e32 v73, -1, v73
	s_add_i32 s43, s43, 16
	s_clause 0x3
	buffer_load_dword v74, v76, s[0:3], 0 offen offset:8
	buffer_load_dword v75, v76, s[0:3], 0 offen offset:12
	buffer_load_dword v82, v76, s[0:3], 0 offen
	buffer_load_dword v83, v76, s[0:3], 0 offen offset:4
	v_mov_b32_e32 v76, s42
	v_cmp_eq_u32_e32 vcc_lo, 0, v73
	s_add_i32 s42, s42, 16
	ds_read_b128 v[78:81], v76
	s_or_b32 s4, vcc_lo, s4
	s_waitcnt vmcnt(2) lgkmcnt(0)
	v_mul_f64 v[84:85], v[80:81], v[74:75]
	v_mul_f64 v[74:75], v[78:79], v[74:75]
	s_waitcnt vmcnt(0)
	v_fma_f64 v[78:79], v[78:79], v[82:83], -v[84:85]
	v_fma_f64 v[74:75], v[80:81], v[82:83], v[74:75]
	v_add_f64 v[1:2], v[1:2], v[78:79]
	v_add_f64 v[3:4], v[3:4], v[74:75]
	s_andn2_b32 exec_lo, exec_lo, s4
	s_cbranch_execnz .LBB96_112
; %bb.113:
	s_or_b32 exec_lo, exec_lo, s4
.LBB96_114:
	s_or_b32 exec_lo, exec_lo, s41
	v_mov_b32_e32 v73, 0
	ds_read_b128 v[73:76], v73 offset:288
	s_waitcnt lgkmcnt(0)
	v_mul_f64 v[78:79], v[3:4], v[75:76]
	v_mul_f64 v[75:76], v[1:2], v[75:76]
	v_fma_f64 v[1:2], v[1:2], v[73:74], -v[78:79]
	v_fma_f64 v[3:4], v[3:4], v[73:74], v[75:76]
	buffer_store_dword v2, off, s[0:3], 0 offset:292
	buffer_store_dword v1, off, s[0:3], 0 offset:288
	;; [unrolled: 1-line block ×4, first 2 shown]
.LBB96_115:
	s_or_b32 exec_lo, exec_lo, s8
	v_mov_b32_e32 v4, s22
	v_cmp_lt_u32_e64 s4, 17, v0
	s_clause 0x3
	buffer_load_dword v1, v4, s[0:3], 0 offen
	buffer_load_dword v2, v4, s[0:3], 0 offen offset:4
	buffer_load_dword v3, v4, s[0:3], 0 offen offset:8
	;; [unrolled: 1-line block ×3, first 2 shown]
	s_waitcnt vmcnt(0)
	ds_write_b128 v72, v[1:4]
	s_waitcnt lgkmcnt(0)
	s_waitcnt_vscnt null, 0x0
	s_barrier
	buffer_gl0_inv
	s_and_saveexec_b32 s8, s4
	s_cbranch_execz .LBB96_123
; %bb.116:
	ds_read_b128 v[1:4], v72
	s_andn2_b32 vcc_lo, exec_lo, s40
	s_cbranch_vccnz .LBB96_118
; %bb.117:
	s_clause 0x3
	buffer_load_dword v73, v71, s[0:3], 0 offen offset:8
	buffer_load_dword v74, v71, s[0:3], 0 offen offset:12
	buffer_load_dword v75, v71, s[0:3], 0 offen
	buffer_load_dword v76, v71, s[0:3], 0 offen offset:4
	s_waitcnt vmcnt(2) lgkmcnt(0)
	v_mul_f64 v[78:79], v[3:4], v[73:74]
	v_mul_f64 v[73:74], v[1:2], v[73:74]
	s_waitcnt vmcnt(0)
	v_fma_f64 v[1:2], v[1:2], v[75:76], -v[78:79]
	v_fma_f64 v[3:4], v[3:4], v[75:76], v[73:74]
.LBB96_118:
	s_and_saveexec_b32 s41, s5
	s_cbranch_execz .LBB96_122
; %bb.119:
	v_subrev_nc_u32_e32 v73, 18, v0
	s_movk_i32 s42, 0x330
	s_mov_b32 s5, 0
	s_mov_b32 s43, s21
	.p2align	6
.LBB96_120:                             ; =>This Inner Loop Header: Depth=1
	v_mov_b32_e32 v76, s43
	v_add_nc_u32_e32 v73, -1, v73
	s_add_i32 s43, s43, 16
	s_clause 0x3
	buffer_load_dword v74, v76, s[0:3], 0 offen offset:8
	buffer_load_dword v75, v76, s[0:3], 0 offen offset:12
	buffer_load_dword v82, v76, s[0:3], 0 offen
	buffer_load_dword v83, v76, s[0:3], 0 offen offset:4
	v_mov_b32_e32 v76, s42
	v_cmp_eq_u32_e32 vcc_lo, 0, v73
	s_add_i32 s42, s42, 16
	ds_read_b128 v[78:81], v76
	s_or_b32 s5, vcc_lo, s5
	s_waitcnt vmcnt(2) lgkmcnt(0)
	v_mul_f64 v[84:85], v[80:81], v[74:75]
	v_mul_f64 v[74:75], v[78:79], v[74:75]
	s_waitcnt vmcnt(0)
	v_fma_f64 v[78:79], v[78:79], v[82:83], -v[84:85]
	v_fma_f64 v[74:75], v[80:81], v[82:83], v[74:75]
	v_add_f64 v[1:2], v[1:2], v[78:79]
	v_add_f64 v[3:4], v[3:4], v[74:75]
	s_andn2_b32 exec_lo, exec_lo, s5
	s_cbranch_execnz .LBB96_120
; %bb.121:
	s_or_b32 exec_lo, exec_lo, s5
.LBB96_122:
	s_or_b32 exec_lo, exec_lo, s41
	v_mov_b32_e32 v73, 0
	ds_read_b128 v[73:76], v73 offset:272
	s_waitcnt lgkmcnt(0)
	v_mul_f64 v[78:79], v[3:4], v[75:76]
	v_mul_f64 v[75:76], v[1:2], v[75:76]
	v_fma_f64 v[1:2], v[1:2], v[73:74], -v[78:79]
	v_fma_f64 v[3:4], v[3:4], v[73:74], v[75:76]
	buffer_store_dword v2, off, s[0:3], 0 offset:276
	buffer_store_dword v1, off, s[0:3], 0 offset:272
	buffer_store_dword v4, off, s[0:3], 0 offset:284
	buffer_store_dword v3, off, s[0:3], 0 offset:280
.LBB96_123:
	s_or_b32 exec_lo, exec_lo, s8
	v_mov_b32_e32 v4, s23
	v_cmp_lt_u32_e64 s5, 16, v0
	s_clause 0x3
	buffer_load_dword v1, v4, s[0:3], 0 offen
	buffer_load_dword v2, v4, s[0:3], 0 offen offset:4
	buffer_load_dword v3, v4, s[0:3], 0 offen offset:8
	;; [unrolled: 1-line block ×3, first 2 shown]
	s_waitcnt vmcnt(0)
	ds_write_b128 v72, v[1:4]
	s_waitcnt lgkmcnt(0)
	s_waitcnt_vscnt null, 0x0
	s_barrier
	buffer_gl0_inv
	s_and_saveexec_b32 s8, s5
	s_cbranch_execz .LBB96_131
; %bb.124:
	ds_read_b128 v[1:4], v72
	s_andn2_b32 vcc_lo, exec_lo, s40
	s_cbranch_vccnz .LBB96_126
; %bb.125:
	s_clause 0x3
	buffer_load_dword v73, v71, s[0:3], 0 offen offset:8
	buffer_load_dword v74, v71, s[0:3], 0 offen offset:12
	buffer_load_dword v75, v71, s[0:3], 0 offen
	buffer_load_dword v76, v71, s[0:3], 0 offen offset:4
	s_waitcnt vmcnt(2) lgkmcnt(0)
	v_mul_f64 v[78:79], v[3:4], v[73:74]
	v_mul_f64 v[73:74], v[1:2], v[73:74]
	s_waitcnt vmcnt(0)
	v_fma_f64 v[1:2], v[1:2], v[75:76], -v[78:79]
	v_fma_f64 v[3:4], v[3:4], v[75:76], v[73:74]
.LBB96_126:
	s_and_saveexec_b32 s41, s4
	s_cbranch_execz .LBB96_130
; %bb.127:
	v_subrev_nc_u32_e32 v73, 17, v0
	s_movk_i32 s42, 0x320
	s_mov_b32 s4, 0
	s_mov_b32 s43, s22
	.p2align	6
.LBB96_128:                             ; =>This Inner Loop Header: Depth=1
	v_mov_b32_e32 v76, s43
	v_add_nc_u32_e32 v73, -1, v73
	s_add_i32 s43, s43, 16
	s_clause 0x3
	buffer_load_dword v74, v76, s[0:3], 0 offen offset:8
	buffer_load_dword v75, v76, s[0:3], 0 offen offset:12
	buffer_load_dword v82, v76, s[0:3], 0 offen
	buffer_load_dword v83, v76, s[0:3], 0 offen offset:4
	v_mov_b32_e32 v76, s42
	v_cmp_eq_u32_e32 vcc_lo, 0, v73
	s_add_i32 s42, s42, 16
	ds_read_b128 v[78:81], v76
	s_or_b32 s4, vcc_lo, s4
	s_waitcnt vmcnt(2) lgkmcnt(0)
	v_mul_f64 v[84:85], v[80:81], v[74:75]
	v_mul_f64 v[74:75], v[78:79], v[74:75]
	s_waitcnt vmcnt(0)
	v_fma_f64 v[78:79], v[78:79], v[82:83], -v[84:85]
	v_fma_f64 v[74:75], v[80:81], v[82:83], v[74:75]
	v_add_f64 v[1:2], v[1:2], v[78:79]
	v_add_f64 v[3:4], v[3:4], v[74:75]
	s_andn2_b32 exec_lo, exec_lo, s4
	s_cbranch_execnz .LBB96_128
; %bb.129:
	s_or_b32 exec_lo, exec_lo, s4
.LBB96_130:
	s_or_b32 exec_lo, exec_lo, s41
	v_mov_b32_e32 v73, 0
	ds_read_b128 v[73:76], v73 offset:256
	s_waitcnt lgkmcnt(0)
	v_mul_f64 v[78:79], v[3:4], v[75:76]
	v_mul_f64 v[75:76], v[1:2], v[75:76]
	v_fma_f64 v[1:2], v[1:2], v[73:74], -v[78:79]
	v_fma_f64 v[3:4], v[3:4], v[73:74], v[75:76]
	buffer_store_dword v2, off, s[0:3], 0 offset:260
	buffer_store_dword v1, off, s[0:3], 0 offset:256
	buffer_store_dword v4, off, s[0:3], 0 offset:268
	buffer_store_dword v3, off, s[0:3], 0 offset:264
.LBB96_131:
	s_or_b32 exec_lo, exec_lo, s8
	v_mov_b32_e32 v4, s24
	v_cmp_lt_u32_e64 s4, 15, v0
	s_clause 0x3
	buffer_load_dword v1, v4, s[0:3], 0 offen
	buffer_load_dword v2, v4, s[0:3], 0 offen offset:4
	buffer_load_dword v3, v4, s[0:3], 0 offen offset:8
	;; [unrolled: 1-line block ×3, first 2 shown]
	s_waitcnt vmcnt(0)
	ds_write_b128 v72, v[1:4]
	s_waitcnt lgkmcnt(0)
	s_waitcnt_vscnt null, 0x0
	s_barrier
	buffer_gl0_inv
	s_and_saveexec_b32 s8, s4
	s_cbranch_execz .LBB96_139
; %bb.132:
	ds_read_b128 v[1:4], v72
	s_andn2_b32 vcc_lo, exec_lo, s40
	s_cbranch_vccnz .LBB96_134
; %bb.133:
	s_clause 0x3
	buffer_load_dword v73, v71, s[0:3], 0 offen offset:8
	buffer_load_dword v74, v71, s[0:3], 0 offen offset:12
	buffer_load_dword v75, v71, s[0:3], 0 offen
	buffer_load_dword v76, v71, s[0:3], 0 offen offset:4
	s_waitcnt vmcnt(2) lgkmcnt(0)
	v_mul_f64 v[78:79], v[3:4], v[73:74]
	v_mul_f64 v[73:74], v[1:2], v[73:74]
	s_waitcnt vmcnt(0)
	v_fma_f64 v[1:2], v[1:2], v[75:76], -v[78:79]
	v_fma_f64 v[3:4], v[3:4], v[75:76], v[73:74]
.LBB96_134:
	s_and_saveexec_b32 s41, s5
	s_cbranch_execz .LBB96_138
; %bb.135:
	v_add_nc_u32_e32 v73, -16, v0
	s_movk_i32 s42, 0x310
	s_mov_b32 s5, 0
	s_mov_b32 s43, s23
	.p2align	6
.LBB96_136:                             ; =>This Inner Loop Header: Depth=1
	v_mov_b32_e32 v76, s43
	v_add_nc_u32_e32 v73, -1, v73
	s_add_i32 s43, s43, 16
	s_clause 0x3
	buffer_load_dword v74, v76, s[0:3], 0 offen offset:8
	buffer_load_dword v75, v76, s[0:3], 0 offen offset:12
	buffer_load_dword v82, v76, s[0:3], 0 offen
	buffer_load_dword v83, v76, s[0:3], 0 offen offset:4
	v_mov_b32_e32 v76, s42
	v_cmp_eq_u32_e32 vcc_lo, 0, v73
	s_add_i32 s42, s42, 16
	ds_read_b128 v[78:81], v76
	s_or_b32 s5, vcc_lo, s5
	s_waitcnt vmcnt(2) lgkmcnt(0)
	v_mul_f64 v[84:85], v[80:81], v[74:75]
	v_mul_f64 v[74:75], v[78:79], v[74:75]
	s_waitcnt vmcnt(0)
	v_fma_f64 v[78:79], v[78:79], v[82:83], -v[84:85]
	v_fma_f64 v[74:75], v[80:81], v[82:83], v[74:75]
	v_add_f64 v[1:2], v[1:2], v[78:79]
	v_add_f64 v[3:4], v[3:4], v[74:75]
	s_andn2_b32 exec_lo, exec_lo, s5
	s_cbranch_execnz .LBB96_136
; %bb.137:
	s_or_b32 exec_lo, exec_lo, s5
.LBB96_138:
	s_or_b32 exec_lo, exec_lo, s41
	v_mov_b32_e32 v73, 0
	ds_read_b128 v[73:76], v73 offset:240
	s_waitcnt lgkmcnt(0)
	v_mul_f64 v[78:79], v[3:4], v[75:76]
	v_mul_f64 v[75:76], v[1:2], v[75:76]
	v_fma_f64 v[1:2], v[1:2], v[73:74], -v[78:79]
	v_fma_f64 v[3:4], v[3:4], v[73:74], v[75:76]
	buffer_store_dword v2, off, s[0:3], 0 offset:244
	buffer_store_dword v1, off, s[0:3], 0 offset:240
	;; [unrolled: 1-line block ×4, first 2 shown]
.LBB96_139:
	s_or_b32 exec_lo, exec_lo, s8
	v_mov_b32_e32 v4, s25
	v_cmp_lt_u32_e64 s5, 14, v0
	s_clause 0x3
	buffer_load_dword v1, v4, s[0:3], 0 offen
	buffer_load_dword v2, v4, s[0:3], 0 offen offset:4
	buffer_load_dword v3, v4, s[0:3], 0 offen offset:8
	;; [unrolled: 1-line block ×3, first 2 shown]
	s_waitcnt vmcnt(0)
	ds_write_b128 v72, v[1:4]
	s_waitcnt lgkmcnt(0)
	s_waitcnt_vscnt null, 0x0
	s_barrier
	buffer_gl0_inv
	s_and_saveexec_b32 s8, s5
	s_cbranch_execz .LBB96_147
; %bb.140:
	ds_read_b128 v[1:4], v72
	s_andn2_b32 vcc_lo, exec_lo, s40
	s_cbranch_vccnz .LBB96_142
; %bb.141:
	s_clause 0x3
	buffer_load_dword v73, v71, s[0:3], 0 offen offset:8
	buffer_load_dword v74, v71, s[0:3], 0 offen offset:12
	buffer_load_dword v75, v71, s[0:3], 0 offen
	buffer_load_dword v76, v71, s[0:3], 0 offen offset:4
	s_waitcnt vmcnt(2) lgkmcnt(0)
	v_mul_f64 v[78:79], v[3:4], v[73:74]
	v_mul_f64 v[73:74], v[1:2], v[73:74]
	s_waitcnt vmcnt(0)
	v_fma_f64 v[1:2], v[1:2], v[75:76], -v[78:79]
	v_fma_f64 v[3:4], v[3:4], v[75:76], v[73:74]
.LBB96_142:
	s_and_saveexec_b32 s41, s4
	s_cbranch_execz .LBB96_146
; %bb.143:
	v_add_nc_u32_e32 v73, -15, v0
	s_movk_i32 s42, 0x300
	s_mov_b32 s4, 0
	s_mov_b32 s43, s24
	.p2align	6
.LBB96_144:                             ; =>This Inner Loop Header: Depth=1
	v_mov_b32_e32 v76, s43
	v_add_nc_u32_e32 v73, -1, v73
	s_add_i32 s43, s43, 16
	s_clause 0x3
	buffer_load_dword v74, v76, s[0:3], 0 offen offset:8
	buffer_load_dword v75, v76, s[0:3], 0 offen offset:12
	buffer_load_dword v82, v76, s[0:3], 0 offen
	buffer_load_dword v83, v76, s[0:3], 0 offen offset:4
	v_mov_b32_e32 v76, s42
	v_cmp_eq_u32_e32 vcc_lo, 0, v73
	s_add_i32 s42, s42, 16
	ds_read_b128 v[78:81], v76
	s_or_b32 s4, vcc_lo, s4
	s_waitcnt vmcnt(2) lgkmcnt(0)
	v_mul_f64 v[84:85], v[80:81], v[74:75]
	v_mul_f64 v[74:75], v[78:79], v[74:75]
	s_waitcnt vmcnt(0)
	v_fma_f64 v[78:79], v[78:79], v[82:83], -v[84:85]
	v_fma_f64 v[74:75], v[80:81], v[82:83], v[74:75]
	v_add_f64 v[1:2], v[1:2], v[78:79]
	v_add_f64 v[3:4], v[3:4], v[74:75]
	s_andn2_b32 exec_lo, exec_lo, s4
	s_cbranch_execnz .LBB96_144
; %bb.145:
	s_or_b32 exec_lo, exec_lo, s4
.LBB96_146:
	s_or_b32 exec_lo, exec_lo, s41
	v_mov_b32_e32 v73, 0
	ds_read_b128 v[73:76], v73 offset:224
	s_waitcnt lgkmcnt(0)
	v_mul_f64 v[78:79], v[3:4], v[75:76]
	v_mul_f64 v[75:76], v[1:2], v[75:76]
	v_fma_f64 v[1:2], v[1:2], v[73:74], -v[78:79]
	v_fma_f64 v[3:4], v[3:4], v[73:74], v[75:76]
	buffer_store_dword v2, off, s[0:3], 0 offset:228
	buffer_store_dword v1, off, s[0:3], 0 offset:224
	;; [unrolled: 1-line block ×4, first 2 shown]
.LBB96_147:
	s_or_b32 exec_lo, exec_lo, s8
	v_mov_b32_e32 v4, s26
	v_cmp_lt_u32_e64 s4, 13, v0
	s_clause 0x3
	buffer_load_dword v1, v4, s[0:3], 0 offen
	buffer_load_dword v2, v4, s[0:3], 0 offen offset:4
	buffer_load_dword v3, v4, s[0:3], 0 offen offset:8
	;; [unrolled: 1-line block ×3, first 2 shown]
	s_waitcnt vmcnt(0)
	ds_write_b128 v72, v[1:4]
	s_waitcnt lgkmcnt(0)
	s_waitcnt_vscnt null, 0x0
	s_barrier
	buffer_gl0_inv
	s_and_saveexec_b32 s8, s4
	s_cbranch_execz .LBB96_155
; %bb.148:
	ds_read_b128 v[1:4], v72
	s_andn2_b32 vcc_lo, exec_lo, s40
	s_cbranch_vccnz .LBB96_150
; %bb.149:
	s_clause 0x3
	buffer_load_dword v73, v71, s[0:3], 0 offen offset:8
	buffer_load_dword v74, v71, s[0:3], 0 offen offset:12
	buffer_load_dword v75, v71, s[0:3], 0 offen
	buffer_load_dword v76, v71, s[0:3], 0 offen offset:4
	s_waitcnt vmcnt(2) lgkmcnt(0)
	v_mul_f64 v[78:79], v[3:4], v[73:74]
	v_mul_f64 v[73:74], v[1:2], v[73:74]
	s_waitcnt vmcnt(0)
	v_fma_f64 v[1:2], v[1:2], v[75:76], -v[78:79]
	v_fma_f64 v[3:4], v[3:4], v[75:76], v[73:74]
.LBB96_150:
	s_and_saveexec_b32 s41, s5
	s_cbranch_execz .LBB96_154
; %bb.151:
	v_add_nc_u32_e32 v73, -14, v0
	s_movk_i32 s42, 0x2f0
	s_mov_b32 s5, 0
	s_mov_b32 s43, s25
	.p2align	6
.LBB96_152:                             ; =>This Inner Loop Header: Depth=1
	v_mov_b32_e32 v76, s43
	v_add_nc_u32_e32 v73, -1, v73
	s_add_i32 s43, s43, 16
	s_clause 0x3
	buffer_load_dword v74, v76, s[0:3], 0 offen offset:8
	buffer_load_dword v75, v76, s[0:3], 0 offen offset:12
	buffer_load_dword v82, v76, s[0:3], 0 offen
	buffer_load_dword v83, v76, s[0:3], 0 offen offset:4
	v_mov_b32_e32 v76, s42
	v_cmp_eq_u32_e32 vcc_lo, 0, v73
	s_add_i32 s42, s42, 16
	ds_read_b128 v[78:81], v76
	s_or_b32 s5, vcc_lo, s5
	s_waitcnt vmcnt(2) lgkmcnt(0)
	v_mul_f64 v[84:85], v[80:81], v[74:75]
	v_mul_f64 v[74:75], v[78:79], v[74:75]
	s_waitcnt vmcnt(0)
	v_fma_f64 v[78:79], v[78:79], v[82:83], -v[84:85]
	v_fma_f64 v[74:75], v[80:81], v[82:83], v[74:75]
	v_add_f64 v[1:2], v[1:2], v[78:79]
	v_add_f64 v[3:4], v[3:4], v[74:75]
	s_andn2_b32 exec_lo, exec_lo, s5
	s_cbranch_execnz .LBB96_152
; %bb.153:
	s_or_b32 exec_lo, exec_lo, s5
.LBB96_154:
	s_or_b32 exec_lo, exec_lo, s41
	v_mov_b32_e32 v73, 0
	ds_read_b128 v[73:76], v73 offset:208
	s_waitcnt lgkmcnt(0)
	v_mul_f64 v[78:79], v[3:4], v[75:76]
	v_mul_f64 v[75:76], v[1:2], v[75:76]
	v_fma_f64 v[1:2], v[1:2], v[73:74], -v[78:79]
	v_fma_f64 v[3:4], v[3:4], v[73:74], v[75:76]
	buffer_store_dword v2, off, s[0:3], 0 offset:212
	buffer_store_dword v1, off, s[0:3], 0 offset:208
	;; [unrolled: 1-line block ×4, first 2 shown]
.LBB96_155:
	s_or_b32 exec_lo, exec_lo, s8
	v_mov_b32_e32 v4, s27
	v_cmp_lt_u32_e64 s5, 12, v0
	s_clause 0x3
	buffer_load_dword v1, v4, s[0:3], 0 offen
	buffer_load_dword v2, v4, s[0:3], 0 offen offset:4
	buffer_load_dword v3, v4, s[0:3], 0 offen offset:8
	;; [unrolled: 1-line block ×3, first 2 shown]
	s_waitcnt vmcnt(0)
	ds_write_b128 v72, v[1:4]
	s_waitcnt lgkmcnt(0)
	s_waitcnt_vscnt null, 0x0
	s_barrier
	buffer_gl0_inv
	s_and_saveexec_b32 s8, s5
	s_cbranch_execz .LBB96_163
; %bb.156:
	ds_read_b128 v[1:4], v72
	s_andn2_b32 vcc_lo, exec_lo, s40
	s_cbranch_vccnz .LBB96_158
; %bb.157:
	s_clause 0x3
	buffer_load_dword v73, v71, s[0:3], 0 offen offset:8
	buffer_load_dword v74, v71, s[0:3], 0 offen offset:12
	buffer_load_dword v75, v71, s[0:3], 0 offen
	buffer_load_dword v76, v71, s[0:3], 0 offen offset:4
	s_waitcnt vmcnt(2) lgkmcnt(0)
	v_mul_f64 v[78:79], v[3:4], v[73:74]
	v_mul_f64 v[73:74], v[1:2], v[73:74]
	s_waitcnt vmcnt(0)
	v_fma_f64 v[1:2], v[1:2], v[75:76], -v[78:79]
	v_fma_f64 v[3:4], v[3:4], v[75:76], v[73:74]
.LBB96_158:
	s_and_saveexec_b32 s41, s4
	s_cbranch_execz .LBB96_162
; %bb.159:
	v_add_nc_u32_e32 v73, -13, v0
	s_movk_i32 s42, 0x2e0
	s_mov_b32 s4, 0
	s_mov_b32 s43, s26
	.p2align	6
.LBB96_160:                             ; =>This Inner Loop Header: Depth=1
	v_mov_b32_e32 v76, s43
	v_add_nc_u32_e32 v73, -1, v73
	s_add_i32 s43, s43, 16
	s_clause 0x3
	buffer_load_dword v74, v76, s[0:3], 0 offen offset:8
	buffer_load_dword v75, v76, s[0:3], 0 offen offset:12
	buffer_load_dword v82, v76, s[0:3], 0 offen
	buffer_load_dword v83, v76, s[0:3], 0 offen offset:4
	v_mov_b32_e32 v76, s42
	v_cmp_eq_u32_e32 vcc_lo, 0, v73
	s_add_i32 s42, s42, 16
	ds_read_b128 v[78:81], v76
	s_or_b32 s4, vcc_lo, s4
	s_waitcnt vmcnt(2) lgkmcnt(0)
	v_mul_f64 v[84:85], v[80:81], v[74:75]
	v_mul_f64 v[74:75], v[78:79], v[74:75]
	s_waitcnt vmcnt(0)
	v_fma_f64 v[78:79], v[78:79], v[82:83], -v[84:85]
	v_fma_f64 v[74:75], v[80:81], v[82:83], v[74:75]
	v_add_f64 v[1:2], v[1:2], v[78:79]
	v_add_f64 v[3:4], v[3:4], v[74:75]
	s_andn2_b32 exec_lo, exec_lo, s4
	s_cbranch_execnz .LBB96_160
; %bb.161:
	s_or_b32 exec_lo, exec_lo, s4
.LBB96_162:
	s_or_b32 exec_lo, exec_lo, s41
	v_mov_b32_e32 v73, 0
	ds_read_b128 v[73:76], v73 offset:192
	s_waitcnt lgkmcnt(0)
	v_mul_f64 v[78:79], v[3:4], v[75:76]
	v_mul_f64 v[75:76], v[1:2], v[75:76]
	v_fma_f64 v[1:2], v[1:2], v[73:74], -v[78:79]
	v_fma_f64 v[3:4], v[3:4], v[73:74], v[75:76]
	buffer_store_dword v2, off, s[0:3], 0 offset:196
	buffer_store_dword v1, off, s[0:3], 0 offset:192
	;; [unrolled: 1-line block ×4, first 2 shown]
.LBB96_163:
	s_or_b32 exec_lo, exec_lo, s8
	v_mov_b32_e32 v4, s28
	v_cmp_lt_u32_e64 s4, 11, v0
	s_clause 0x3
	buffer_load_dword v1, v4, s[0:3], 0 offen
	buffer_load_dword v2, v4, s[0:3], 0 offen offset:4
	buffer_load_dword v3, v4, s[0:3], 0 offen offset:8
	;; [unrolled: 1-line block ×3, first 2 shown]
	s_waitcnt vmcnt(0)
	ds_write_b128 v72, v[1:4]
	s_waitcnt lgkmcnt(0)
	s_waitcnt_vscnt null, 0x0
	s_barrier
	buffer_gl0_inv
	s_and_saveexec_b32 s8, s4
	s_cbranch_execz .LBB96_171
; %bb.164:
	ds_read_b128 v[1:4], v72
	s_andn2_b32 vcc_lo, exec_lo, s40
	s_cbranch_vccnz .LBB96_166
; %bb.165:
	s_clause 0x3
	buffer_load_dword v73, v71, s[0:3], 0 offen offset:8
	buffer_load_dword v74, v71, s[0:3], 0 offen offset:12
	buffer_load_dword v75, v71, s[0:3], 0 offen
	buffer_load_dword v76, v71, s[0:3], 0 offen offset:4
	s_waitcnt vmcnt(2) lgkmcnt(0)
	v_mul_f64 v[78:79], v[3:4], v[73:74]
	v_mul_f64 v[73:74], v[1:2], v[73:74]
	s_waitcnt vmcnt(0)
	v_fma_f64 v[1:2], v[1:2], v[75:76], -v[78:79]
	v_fma_f64 v[3:4], v[3:4], v[75:76], v[73:74]
.LBB96_166:
	s_and_saveexec_b32 s41, s5
	s_cbranch_execz .LBB96_170
; %bb.167:
	v_add_nc_u32_e32 v73, -12, v0
	s_movk_i32 s42, 0x2d0
	s_mov_b32 s5, 0
	s_mov_b32 s43, s27
	.p2align	6
.LBB96_168:                             ; =>This Inner Loop Header: Depth=1
	v_mov_b32_e32 v76, s43
	v_add_nc_u32_e32 v73, -1, v73
	s_add_i32 s43, s43, 16
	s_clause 0x3
	buffer_load_dword v74, v76, s[0:3], 0 offen offset:8
	buffer_load_dword v75, v76, s[0:3], 0 offen offset:12
	buffer_load_dword v82, v76, s[0:3], 0 offen
	buffer_load_dword v83, v76, s[0:3], 0 offen offset:4
	v_mov_b32_e32 v76, s42
	v_cmp_eq_u32_e32 vcc_lo, 0, v73
	s_add_i32 s42, s42, 16
	ds_read_b128 v[78:81], v76
	s_or_b32 s5, vcc_lo, s5
	s_waitcnt vmcnt(2) lgkmcnt(0)
	v_mul_f64 v[84:85], v[80:81], v[74:75]
	v_mul_f64 v[74:75], v[78:79], v[74:75]
	s_waitcnt vmcnt(0)
	v_fma_f64 v[78:79], v[78:79], v[82:83], -v[84:85]
	v_fma_f64 v[74:75], v[80:81], v[82:83], v[74:75]
	v_add_f64 v[1:2], v[1:2], v[78:79]
	v_add_f64 v[3:4], v[3:4], v[74:75]
	s_andn2_b32 exec_lo, exec_lo, s5
	s_cbranch_execnz .LBB96_168
; %bb.169:
	s_or_b32 exec_lo, exec_lo, s5
.LBB96_170:
	s_or_b32 exec_lo, exec_lo, s41
	v_mov_b32_e32 v73, 0
	ds_read_b128 v[73:76], v73 offset:176
	s_waitcnt lgkmcnt(0)
	v_mul_f64 v[78:79], v[3:4], v[75:76]
	v_mul_f64 v[75:76], v[1:2], v[75:76]
	v_fma_f64 v[1:2], v[1:2], v[73:74], -v[78:79]
	v_fma_f64 v[3:4], v[3:4], v[73:74], v[75:76]
	buffer_store_dword v2, off, s[0:3], 0 offset:180
	buffer_store_dword v1, off, s[0:3], 0 offset:176
	;; [unrolled: 1-line block ×4, first 2 shown]
.LBB96_171:
	s_or_b32 exec_lo, exec_lo, s8
	v_mov_b32_e32 v4, s29
	v_cmp_lt_u32_e64 s5, 10, v0
	s_clause 0x3
	buffer_load_dword v1, v4, s[0:3], 0 offen
	buffer_load_dword v2, v4, s[0:3], 0 offen offset:4
	buffer_load_dword v3, v4, s[0:3], 0 offen offset:8
	;; [unrolled: 1-line block ×3, first 2 shown]
	s_waitcnt vmcnt(0)
	ds_write_b128 v72, v[1:4]
	s_waitcnt lgkmcnt(0)
	s_waitcnt_vscnt null, 0x0
	s_barrier
	buffer_gl0_inv
	s_and_saveexec_b32 s8, s5
	s_cbranch_execz .LBB96_179
; %bb.172:
	ds_read_b128 v[1:4], v72
	s_andn2_b32 vcc_lo, exec_lo, s40
	s_cbranch_vccnz .LBB96_174
; %bb.173:
	s_clause 0x3
	buffer_load_dword v73, v71, s[0:3], 0 offen offset:8
	buffer_load_dword v74, v71, s[0:3], 0 offen offset:12
	buffer_load_dword v75, v71, s[0:3], 0 offen
	buffer_load_dword v76, v71, s[0:3], 0 offen offset:4
	s_waitcnt vmcnt(2) lgkmcnt(0)
	v_mul_f64 v[78:79], v[3:4], v[73:74]
	v_mul_f64 v[73:74], v[1:2], v[73:74]
	s_waitcnt vmcnt(0)
	v_fma_f64 v[1:2], v[1:2], v[75:76], -v[78:79]
	v_fma_f64 v[3:4], v[3:4], v[75:76], v[73:74]
.LBB96_174:
	s_and_saveexec_b32 s41, s4
	s_cbranch_execz .LBB96_178
; %bb.175:
	v_add_nc_u32_e32 v73, -11, v0
	s_movk_i32 s42, 0x2c0
	s_mov_b32 s4, 0
	s_mov_b32 s43, s28
	.p2align	6
.LBB96_176:                             ; =>This Inner Loop Header: Depth=1
	v_mov_b32_e32 v76, s43
	v_add_nc_u32_e32 v73, -1, v73
	s_add_i32 s43, s43, 16
	s_clause 0x3
	buffer_load_dword v74, v76, s[0:3], 0 offen offset:8
	buffer_load_dword v75, v76, s[0:3], 0 offen offset:12
	buffer_load_dword v82, v76, s[0:3], 0 offen
	buffer_load_dword v83, v76, s[0:3], 0 offen offset:4
	v_mov_b32_e32 v76, s42
	v_cmp_eq_u32_e32 vcc_lo, 0, v73
	s_add_i32 s42, s42, 16
	ds_read_b128 v[78:81], v76
	s_or_b32 s4, vcc_lo, s4
	s_waitcnt vmcnt(2) lgkmcnt(0)
	v_mul_f64 v[84:85], v[80:81], v[74:75]
	v_mul_f64 v[74:75], v[78:79], v[74:75]
	s_waitcnt vmcnt(0)
	v_fma_f64 v[78:79], v[78:79], v[82:83], -v[84:85]
	v_fma_f64 v[74:75], v[80:81], v[82:83], v[74:75]
	v_add_f64 v[1:2], v[1:2], v[78:79]
	v_add_f64 v[3:4], v[3:4], v[74:75]
	s_andn2_b32 exec_lo, exec_lo, s4
	s_cbranch_execnz .LBB96_176
; %bb.177:
	s_or_b32 exec_lo, exec_lo, s4
.LBB96_178:
	s_or_b32 exec_lo, exec_lo, s41
	v_mov_b32_e32 v73, 0
	ds_read_b128 v[73:76], v73 offset:160
	s_waitcnt lgkmcnt(0)
	v_mul_f64 v[78:79], v[3:4], v[75:76]
	v_mul_f64 v[75:76], v[1:2], v[75:76]
	v_fma_f64 v[1:2], v[1:2], v[73:74], -v[78:79]
	v_fma_f64 v[3:4], v[3:4], v[73:74], v[75:76]
	buffer_store_dword v2, off, s[0:3], 0 offset:164
	buffer_store_dword v1, off, s[0:3], 0 offset:160
	;; [unrolled: 1-line block ×4, first 2 shown]
.LBB96_179:
	s_or_b32 exec_lo, exec_lo, s8
	v_mov_b32_e32 v4, s30
	v_cmp_lt_u32_e64 s4, 9, v0
	s_clause 0x3
	buffer_load_dword v1, v4, s[0:3], 0 offen
	buffer_load_dword v2, v4, s[0:3], 0 offen offset:4
	buffer_load_dword v3, v4, s[0:3], 0 offen offset:8
	buffer_load_dword v4, v4, s[0:3], 0 offen offset:12
	s_waitcnt vmcnt(0)
	ds_write_b128 v72, v[1:4]
	s_waitcnt lgkmcnt(0)
	s_waitcnt_vscnt null, 0x0
	s_barrier
	buffer_gl0_inv
	s_and_saveexec_b32 s8, s4
	s_cbranch_execz .LBB96_187
; %bb.180:
	ds_read_b128 v[1:4], v72
	s_andn2_b32 vcc_lo, exec_lo, s40
	s_cbranch_vccnz .LBB96_182
; %bb.181:
	s_clause 0x3
	buffer_load_dword v73, v71, s[0:3], 0 offen offset:8
	buffer_load_dword v74, v71, s[0:3], 0 offen offset:12
	buffer_load_dword v75, v71, s[0:3], 0 offen
	buffer_load_dword v76, v71, s[0:3], 0 offen offset:4
	s_waitcnt vmcnt(2) lgkmcnt(0)
	v_mul_f64 v[78:79], v[3:4], v[73:74]
	v_mul_f64 v[73:74], v[1:2], v[73:74]
	s_waitcnt vmcnt(0)
	v_fma_f64 v[1:2], v[1:2], v[75:76], -v[78:79]
	v_fma_f64 v[3:4], v[3:4], v[75:76], v[73:74]
.LBB96_182:
	s_and_saveexec_b32 s41, s5
	s_cbranch_execz .LBB96_186
; %bb.183:
	v_add_nc_u32_e32 v73, -10, v0
	s_movk_i32 s42, 0x2b0
	s_mov_b32 s5, 0
	s_mov_b32 s43, s29
	.p2align	6
.LBB96_184:                             ; =>This Inner Loop Header: Depth=1
	v_mov_b32_e32 v76, s43
	v_add_nc_u32_e32 v73, -1, v73
	s_add_i32 s43, s43, 16
	s_clause 0x3
	buffer_load_dword v74, v76, s[0:3], 0 offen offset:8
	buffer_load_dword v75, v76, s[0:3], 0 offen offset:12
	buffer_load_dword v82, v76, s[0:3], 0 offen
	buffer_load_dword v83, v76, s[0:3], 0 offen offset:4
	v_mov_b32_e32 v76, s42
	v_cmp_eq_u32_e32 vcc_lo, 0, v73
	s_add_i32 s42, s42, 16
	ds_read_b128 v[78:81], v76
	s_or_b32 s5, vcc_lo, s5
	s_waitcnt vmcnt(2) lgkmcnt(0)
	v_mul_f64 v[84:85], v[80:81], v[74:75]
	v_mul_f64 v[74:75], v[78:79], v[74:75]
	s_waitcnt vmcnt(0)
	v_fma_f64 v[78:79], v[78:79], v[82:83], -v[84:85]
	v_fma_f64 v[74:75], v[80:81], v[82:83], v[74:75]
	v_add_f64 v[1:2], v[1:2], v[78:79]
	v_add_f64 v[3:4], v[3:4], v[74:75]
	s_andn2_b32 exec_lo, exec_lo, s5
	s_cbranch_execnz .LBB96_184
; %bb.185:
	s_or_b32 exec_lo, exec_lo, s5
.LBB96_186:
	s_or_b32 exec_lo, exec_lo, s41
	v_mov_b32_e32 v73, 0
	ds_read_b128 v[73:76], v73 offset:144
	s_waitcnt lgkmcnt(0)
	v_mul_f64 v[78:79], v[3:4], v[75:76]
	v_mul_f64 v[75:76], v[1:2], v[75:76]
	v_fma_f64 v[1:2], v[1:2], v[73:74], -v[78:79]
	v_fma_f64 v[3:4], v[3:4], v[73:74], v[75:76]
	buffer_store_dword v2, off, s[0:3], 0 offset:148
	buffer_store_dword v1, off, s[0:3], 0 offset:144
	buffer_store_dword v4, off, s[0:3], 0 offset:156
	buffer_store_dword v3, off, s[0:3], 0 offset:152
.LBB96_187:
	s_or_b32 exec_lo, exec_lo, s8
	v_mov_b32_e32 v4, s31
	v_cmp_lt_u32_e64 s5, 8, v0
	s_clause 0x3
	buffer_load_dword v1, v4, s[0:3], 0 offen
	buffer_load_dword v2, v4, s[0:3], 0 offen offset:4
	buffer_load_dword v3, v4, s[0:3], 0 offen offset:8
	;; [unrolled: 1-line block ×3, first 2 shown]
	s_waitcnt vmcnt(0)
	ds_write_b128 v72, v[1:4]
	s_waitcnt lgkmcnt(0)
	s_waitcnt_vscnt null, 0x0
	s_barrier
	buffer_gl0_inv
	s_and_saveexec_b32 s8, s5
	s_cbranch_execz .LBB96_195
; %bb.188:
	ds_read_b128 v[1:4], v72
	s_andn2_b32 vcc_lo, exec_lo, s40
	s_cbranch_vccnz .LBB96_190
; %bb.189:
	s_clause 0x3
	buffer_load_dword v73, v71, s[0:3], 0 offen offset:8
	buffer_load_dword v74, v71, s[0:3], 0 offen offset:12
	buffer_load_dword v75, v71, s[0:3], 0 offen
	buffer_load_dword v76, v71, s[0:3], 0 offen offset:4
	s_waitcnt vmcnt(2) lgkmcnt(0)
	v_mul_f64 v[78:79], v[3:4], v[73:74]
	v_mul_f64 v[73:74], v[1:2], v[73:74]
	s_waitcnt vmcnt(0)
	v_fma_f64 v[1:2], v[1:2], v[75:76], -v[78:79]
	v_fma_f64 v[3:4], v[3:4], v[75:76], v[73:74]
.LBB96_190:
	s_and_saveexec_b32 s41, s4
	s_cbranch_execz .LBB96_194
; %bb.191:
	v_add_nc_u32_e32 v73, -9, v0
	s_movk_i32 s42, 0x2a0
	s_mov_b32 s4, 0
	s_mov_b32 s43, s30
	.p2align	6
.LBB96_192:                             ; =>This Inner Loop Header: Depth=1
	v_mov_b32_e32 v76, s43
	v_add_nc_u32_e32 v73, -1, v73
	s_add_i32 s43, s43, 16
	s_clause 0x3
	buffer_load_dword v74, v76, s[0:3], 0 offen offset:8
	buffer_load_dword v75, v76, s[0:3], 0 offen offset:12
	buffer_load_dword v82, v76, s[0:3], 0 offen
	buffer_load_dword v83, v76, s[0:3], 0 offen offset:4
	v_mov_b32_e32 v76, s42
	v_cmp_eq_u32_e32 vcc_lo, 0, v73
	s_add_i32 s42, s42, 16
	ds_read_b128 v[78:81], v76
	s_or_b32 s4, vcc_lo, s4
	s_waitcnt vmcnt(2) lgkmcnt(0)
	v_mul_f64 v[84:85], v[80:81], v[74:75]
	v_mul_f64 v[74:75], v[78:79], v[74:75]
	s_waitcnt vmcnt(0)
	v_fma_f64 v[78:79], v[78:79], v[82:83], -v[84:85]
	v_fma_f64 v[74:75], v[80:81], v[82:83], v[74:75]
	v_add_f64 v[1:2], v[1:2], v[78:79]
	v_add_f64 v[3:4], v[3:4], v[74:75]
	s_andn2_b32 exec_lo, exec_lo, s4
	s_cbranch_execnz .LBB96_192
; %bb.193:
	s_or_b32 exec_lo, exec_lo, s4
.LBB96_194:
	s_or_b32 exec_lo, exec_lo, s41
	v_mov_b32_e32 v73, 0
	ds_read_b128 v[73:76], v73 offset:128
	s_waitcnt lgkmcnt(0)
	v_mul_f64 v[78:79], v[3:4], v[75:76]
	v_mul_f64 v[75:76], v[1:2], v[75:76]
	v_fma_f64 v[1:2], v[1:2], v[73:74], -v[78:79]
	v_fma_f64 v[3:4], v[3:4], v[73:74], v[75:76]
	buffer_store_dword v2, off, s[0:3], 0 offset:132
	buffer_store_dword v1, off, s[0:3], 0 offset:128
	;; [unrolled: 1-line block ×4, first 2 shown]
.LBB96_195:
	s_or_b32 exec_lo, exec_lo, s8
	v_mov_b32_e32 v4, s33
	v_cmp_lt_u32_e64 s4, 7, v0
	s_clause 0x3
	buffer_load_dword v1, v4, s[0:3], 0 offen
	buffer_load_dword v2, v4, s[0:3], 0 offen offset:4
	buffer_load_dword v3, v4, s[0:3], 0 offen offset:8
	;; [unrolled: 1-line block ×3, first 2 shown]
	s_waitcnt vmcnt(0)
	ds_write_b128 v72, v[1:4]
	s_waitcnt lgkmcnt(0)
	s_waitcnt_vscnt null, 0x0
	s_barrier
	buffer_gl0_inv
	s_and_saveexec_b32 s8, s4
	s_cbranch_execz .LBB96_203
; %bb.196:
	ds_read_b128 v[1:4], v72
	s_andn2_b32 vcc_lo, exec_lo, s40
	s_cbranch_vccnz .LBB96_198
; %bb.197:
	s_clause 0x3
	buffer_load_dword v73, v71, s[0:3], 0 offen offset:8
	buffer_load_dword v74, v71, s[0:3], 0 offen offset:12
	buffer_load_dword v75, v71, s[0:3], 0 offen
	buffer_load_dword v76, v71, s[0:3], 0 offen offset:4
	s_waitcnt vmcnt(2) lgkmcnt(0)
	v_mul_f64 v[78:79], v[3:4], v[73:74]
	v_mul_f64 v[73:74], v[1:2], v[73:74]
	s_waitcnt vmcnt(0)
	v_fma_f64 v[1:2], v[1:2], v[75:76], -v[78:79]
	v_fma_f64 v[3:4], v[3:4], v[75:76], v[73:74]
.LBB96_198:
	s_and_saveexec_b32 s41, s5
	s_cbranch_execz .LBB96_202
; %bb.199:
	v_add_nc_u32_e32 v73, -8, v0
	s_movk_i32 s42, 0x290
	s_mov_b32 s5, 0
	s_mov_b32 s43, s31
	.p2align	6
.LBB96_200:                             ; =>This Inner Loop Header: Depth=1
	v_mov_b32_e32 v76, s43
	v_add_nc_u32_e32 v73, -1, v73
	s_add_i32 s43, s43, 16
	s_clause 0x3
	buffer_load_dword v74, v76, s[0:3], 0 offen offset:8
	buffer_load_dword v75, v76, s[0:3], 0 offen offset:12
	buffer_load_dword v82, v76, s[0:3], 0 offen
	buffer_load_dword v83, v76, s[0:3], 0 offen offset:4
	v_mov_b32_e32 v76, s42
	v_cmp_eq_u32_e32 vcc_lo, 0, v73
	s_add_i32 s42, s42, 16
	ds_read_b128 v[78:81], v76
	s_or_b32 s5, vcc_lo, s5
	s_waitcnt vmcnt(2) lgkmcnt(0)
	v_mul_f64 v[84:85], v[80:81], v[74:75]
	v_mul_f64 v[74:75], v[78:79], v[74:75]
	s_waitcnt vmcnt(0)
	v_fma_f64 v[78:79], v[78:79], v[82:83], -v[84:85]
	v_fma_f64 v[74:75], v[80:81], v[82:83], v[74:75]
	v_add_f64 v[1:2], v[1:2], v[78:79]
	v_add_f64 v[3:4], v[3:4], v[74:75]
	s_andn2_b32 exec_lo, exec_lo, s5
	s_cbranch_execnz .LBB96_200
; %bb.201:
	s_or_b32 exec_lo, exec_lo, s5
.LBB96_202:
	s_or_b32 exec_lo, exec_lo, s41
	v_mov_b32_e32 v73, 0
	ds_read_b128 v[73:76], v73 offset:112
	s_waitcnt lgkmcnt(0)
	v_mul_f64 v[78:79], v[3:4], v[75:76]
	v_mul_f64 v[75:76], v[1:2], v[75:76]
	v_fma_f64 v[1:2], v[1:2], v[73:74], -v[78:79]
	v_fma_f64 v[3:4], v[3:4], v[73:74], v[75:76]
	buffer_store_dword v2, off, s[0:3], 0 offset:116
	buffer_store_dword v1, off, s[0:3], 0 offset:112
	;; [unrolled: 1-line block ×4, first 2 shown]
.LBB96_203:
	s_or_b32 exec_lo, exec_lo, s8
	v_mov_b32_e32 v4, s34
	v_cmp_lt_u32_e64 s5, 6, v0
	s_clause 0x3
	buffer_load_dword v1, v4, s[0:3], 0 offen
	buffer_load_dword v2, v4, s[0:3], 0 offen offset:4
	buffer_load_dword v3, v4, s[0:3], 0 offen offset:8
	;; [unrolled: 1-line block ×3, first 2 shown]
	s_waitcnt vmcnt(0)
	ds_write_b128 v72, v[1:4]
	s_waitcnt lgkmcnt(0)
	s_waitcnt_vscnt null, 0x0
	s_barrier
	buffer_gl0_inv
	s_and_saveexec_b32 s8, s5
	s_cbranch_execz .LBB96_211
; %bb.204:
	ds_read_b128 v[1:4], v72
	s_andn2_b32 vcc_lo, exec_lo, s40
	s_cbranch_vccnz .LBB96_206
; %bb.205:
	s_clause 0x3
	buffer_load_dword v73, v71, s[0:3], 0 offen offset:8
	buffer_load_dword v74, v71, s[0:3], 0 offen offset:12
	buffer_load_dword v75, v71, s[0:3], 0 offen
	buffer_load_dword v76, v71, s[0:3], 0 offen offset:4
	s_waitcnt vmcnt(2) lgkmcnt(0)
	v_mul_f64 v[78:79], v[3:4], v[73:74]
	v_mul_f64 v[73:74], v[1:2], v[73:74]
	s_waitcnt vmcnt(0)
	v_fma_f64 v[1:2], v[1:2], v[75:76], -v[78:79]
	v_fma_f64 v[3:4], v[3:4], v[75:76], v[73:74]
.LBB96_206:
	s_and_saveexec_b32 s41, s4
	s_cbranch_execz .LBB96_210
; %bb.207:
	v_add_nc_u32_e32 v73, -7, v0
	s_movk_i32 s42, 0x280
	s_mov_b32 s4, 0
	s_mov_b32 s43, s33
	.p2align	6
.LBB96_208:                             ; =>This Inner Loop Header: Depth=1
	v_mov_b32_e32 v76, s43
	v_add_nc_u32_e32 v73, -1, v73
	s_add_i32 s43, s43, 16
	s_clause 0x3
	buffer_load_dword v74, v76, s[0:3], 0 offen offset:8
	buffer_load_dword v75, v76, s[0:3], 0 offen offset:12
	buffer_load_dword v82, v76, s[0:3], 0 offen
	buffer_load_dword v83, v76, s[0:3], 0 offen offset:4
	v_mov_b32_e32 v76, s42
	v_cmp_eq_u32_e32 vcc_lo, 0, v73
	s_add_i32 s42, s42, 16
	ds_read_b128 v[78:81], v76
	s_or_b32 s4, vcc_lo, s4
	s_waitcnt vmcnt(2) lgkmcnt(0)
	v_mul_f64 v[84:85], v[80:81], v[74:75]
	v_mul_f64 v[74:75], v[78:79], v[74:75]
	s_waitcnt vmcnt(0)
	v_fma_f64 v[78:79], v[78:79], v[82:83], -v[84:85]
	v_fma_f64 v[74:75], v[80:81], v[82:83], v[74:75]
	v_add_f64 v[1:2], v[1:2], v[78:79]
	v_add_f64 v[3:4], v[3:4], v[74:75]
	s_andn2_b32 exec_lo, exec_lo, s4
	s_cbranch_execnz .LBB96_208
; %bb.209:
	s_or_b32 exec_lo, exec_lo, s4
.LBB96_210:
	s_or_b32 exec_lo, exec_lo, s41
	v_mov_b32_e32 v73, 0
	ds_read_b128 v[73:76], v73 offset:96
	s_waitcnt lgkmcnt(0)
	v_mul_f64 v[78:79], v[3:4], v[75:76]
	v_mul_f64 v[75:76], v[1:2], v[75:76]
	v_fma_f64 v[1:2], v[1:2], v[73:74], -v[78:79]
	v_fma_f64 v[3:4], v[3:4], v[73:74], v[75:76]
	buffer_store_dword v2, off, s[0:3], 0 offset:100
	buffer_store_dword v1, off, s[0:3], 0 offset:96
	;; [unrolled: 1-line block ×4, first 2 shown]
.LBB96_211:
	s_or_b32 exec_lo, exec_lo, s8
	v_mov_b32_e32 v4, s35
	v_cmp_lt_u32_e64 s4, 5, v0
	s_clause 0x3
	buffer_load_dword v1, v4, s[0:3], 0 offen
	buffer_load_dword v2, v4, s[0:3], 0 offen offset:4
	buffer_load_dword v3, v4, s[0:3], 0 offen offset:8
	;; [unrolled: 1-line block ×3, first 2 shown]
	s_waitcnt vmcnt(0)
	ds_write_b128 v72, v[1:4]
	s_waitcnt lgkmcnt(0)
	s_waitcnt_vscnt null, 0x0
	s_barrier
	buffer_gl0_inv
	s_and_saveexec_b32 s8, s4
	s_cbranch_execz .LBB96_219
; %bb.212:
	ds_read_b128 v[1:4], v72
	s_andn2_b32 vcc_lo, exec_lo, s40
	s_cbranch_vccnz .LBB96_214
; %bb.213:
	s_clause 0x3
	buffer_load_dword v73, v71, s[0:3], 0 offen offset:8
	buffer_load_dword v74, v71, s[0:3], 0 offen offset:12
	buffer_load_dword v75, v71, s[0:3], 0 offen
	buffer_load_dword v76, v71, s[0:3], 0 offen offset:4
	s_waitcnt vmcnt(2) lgkmcnt(0)
	v_mul_f64 v[78:79], v[3:4], v[73:74]
	v_mul_f64 v[73:74], v[1:2], v[73:74]
	s_waitcnt vmcnt(0)
	v_fma_f64 v[1:2], v[1:2], v[75:76], -v[78:79]
	v_fma_f64 v[3:4], v[3:4], v[75:76], v[73:74]
.LBB96_214:
	s_and_saveexec_b32 s41, s5
	s_cbranch_execz .LBB96_218
; %bb.215:
	v_add_nc_u32_e32 v73, -6, v0
	s_movk_i32 s42, 0x270
	s_mov_b32 s5, 0
	s_mov_b32 s43, s34
	.p2align	6
.LBB96_216:                             ; =>This Inner Loop Header: Depth=1
	v_mov_b32_e32 v76, s43
	v_add_nc_u32_e32 v73, -1, v73
	s_add_i32 s43, s43, 16
	s_clause 0x3
	buffer_load_dword v74, v76, s[0:3], 0 offen offset:8
	buffer_load_dword v75, v76, s[0:3], 0 offen offset:12
	buffer_load_dword v82, v76, s[0:3], 0 offen
	buffer_load_dword v83, v76, s[0:3], 0 offen offset:4
	v_mov_b32_e32 v76, s42
	v_cmp_eq_u32_e32 vcc_lo, 0, v73
	s_add_i32 s42, s42, 16
	ds_read_b128 v[78:81], v76
	s_or_b32 s5, vcc_lo, s5
	s_waitcnt vmcnt(2) lgkmcnt(0)
	v_mul_f64 v[84:85], v[80:81], v[74:75]
	v_mul_f64 v[74:75], v[78:79], v[74:75]
	s_waitcnt vmcnt(0)
	v_fma_f64 v[78:79], v[78:79], v[82:83], -v[84:85]
	v_fma_f64 v[74:75], v[80:81], v[82:83], v[74:75]
	v_add_f64 v[1:2], v[1:2], v[78:79]
	v_add_f64 v[3:4], v[3:4], v[74:75]
	s_andn2_b32 exec_lo, exec_lo, s5
	s_cbranch_execnz .LBB96_216
; %bb.217:
	s_or_b32 exec_lo, exec_lo, s5
.LBB96_218:
	s_or_b32 exec_lo, exec_lo, s41
	v_mov_b32_e32 v73, 0
	ds_read_b128 v[73:76], v73 offset:80
	s_waitcnt lgkmcnt(0)
	v_mul_f64 v[78:79], v[3:4], v[75:76]
	v_mul_f64 v[75:76], v[1:2], v[75:76]
	v_fma_f64 v[1:2], v[1:2], v[73:74], -v[78:79]
	v_fma_f64 v[3:4], v[3:4], v[73:74], v[75:76]
	buffer_store_dword v2, off, s[0:3], 0 offset:84
	buffer_store_dword v1, off, s[0:3], 0 offset:80
	;; [unrolled: 1-line block ×4, first 2 shown]
.LBB96_219:
	s_or_b32 exec_lo, exec_lo, s8
	v_mov_b32_e32 v4, s36
	v_cmp_lt_u32_e64 s5, 4, v0
	s_clause 0x3
	buffer_load_dword v1, v4, s[0:3], 0 offen
	buffer_load_dword v2, v4, s[0:3], 0 offen offset:4
	buffer_load_dword v3, v4, s[0:3], 0 offen offset:8
	;; [unrolled: 1-line block ×3, first 2 shown]
	s_waitcnt vmcnt(0)
	ds_write_b128 v72, v[1:4]
	s_waitcnt lgkmcnt(0)
	s_waitcnt_vscnt null, 0x0
	s_barrier
	buffer_gl0_inv
	s_and_saveexec_b32 s8, s5
	s_cbranch_execz .LBB96_227
; %bb.220:
	ds_read_b128 v[1:4], v72
	s_andn2_b32 vcc_lo, exec_lo, s40
	s_cbranch_vccnz .LBB96_222
; %bb.221:
	s_clause 0x3
	buffer_load_dword v73, v71, s[0:3], 0 offen offset:8
	buffer_load_dword v74, v71, s[0:3], 0 offen offset:12
	buffer_load_dword v75, v71, s[0:3], 0 offen
	buffer_load_dword v76, v71, s[0:3], 0 offen offset:4
	s_waitcnt vmcnt(2) lgkmcnt(0)
	v_mul_f64 v[78:79], v[3:4], v[73:74]
	v_mul_f64 v[73:74], v[1:2], v[73:74]
	s_waitcnt vmcnt(0)
	v_fma_f64 v[1:2], v[1:2], v[75:76], -v[78:79]
	v_fma_f64 v[3:4], v[3:4], v[75:76], v[73:74]
.LBB96_222:
	s_and_saveexec_b32 s41, s4
	s_cbranch_execz .LBB96_226
; %bb.223:
	v_add_nc_u32_e32 v73, -5, v0
	s_movk_i32 s42, 0x260
	s_mov_b32 s4, 0
	s_mov_b32 s43, s35
	.p2align	6
.LBB96_224:                             ; =>This Inner Loop Header: Depth=1
	v_mov_b32_e32 v76, s43
	v_add_nc_u32_e32 v73, -1, v73
	s_add_i32 s43, s43, 16
	s_clause 0x3
	buffer_load_dword v74, v76, s[0:3], 0 offen offset:8
	buffer_load_dword v75, v76, s[0:3], 0 offen offset:12
	buffer_load_dword v82, v76, s[0:3], 0 offen
	buffer_load_dword v83, v76, s[0:3], 0 offen offset:4
	v_mov_b32_e32 v76, s42
	v_cmp_eq_u32_e32 vcc_lo, 0, v73
	s_add_i32 s42, s42, 16
	ds_read_b128 v[78:81], v76
	s_or_b32 s4, vcc_lo, s4
	s_waitcnt vmcnt(2) lgkmcnt(0)
	v_mul_f64 v[84:85], v[80:81], v[74:75]
	v_mul_f64 v[74:75], v[78:79], v[74:75]
	s_waitcnt vmcnt(0)
	v_fma_f64 v[78:79], v[78:79], v[82:83], -v[84:85]
	v_fma_f64 v[74:75], v[80:81], v[82:83], v[74:75]
	v_add_f64 v[1:2], v[1:2], v[78:79]
	v_add_f64 v[3:4], v[3:4], v[74:75]
	s_andn2_b32 exec_lo, exec_lo, s4
	s_cbranch_execnz .LBB96_224
; %bb.225:
	s_or_b32 exec_lo, exec_lo, s4
.LBB96_226:
	s_or_b32 exec_lo, exec_lo, s41
	v_mov_b32_e32 v73, 0
	ds_read_b128 v[73:76], v73 offset:64
	s_waitcnt lgkmcnt(0)
	v_mul_f64 v[78:79], v[3:4], v[75:76]
	v_mul_f64 v[75:76], v[1:2], v[75:76]
	v_fma_f64 v[1:2], v[1:2], v[73:74], -v[78:79]
	v_fma_f64 v[3:4], v[3:4], v[73:74], v[75:76]
	buffer_store_dword v2, off, s[0:3], 0 offset:68
	buffer_store_dword v1, off, s[0:3], 0 offset:64
	;; [unrolled: 1-line block ×4, first 2 shown]
.LBB96_227:
	s_or_b32 exec_lo, exec_lo, s8
	v_mov_b32_e32 v4, s37
	v_cmp_lt_u32_e64 s4, 3, v0
	s_clause 0x3
	buffer_load_dword v1, v4, s[0:3], 0 offen
	buffer_load_dword v2, v4, s[0:3], 0 offen offset:4
	buffer_load_dword v3, v4, s[0:3], 0 offen offset:8
	;; [unrolled: 1-line block ×3, first 2 shown]
	s_waitcnt vmcnt(0)
	ds_write_b128 v72, v[1:4]
	s_waitcnt lgkmcnt(0)
	s_waitcnt_vscnt null, 0x0
	s_barrier
	buffer_gl0_inv
	s_and_saveexec_b32 s8, s4
	s_cbranch_execz .LBB96_235
; %bb.228:
	ds_read_b128 v[1:4], v72
	s_andn2_b32 vcc_lo, exec_lo, s40
	s_cbranch_vccnz .LBB96_230
; %bb.229:
	s_clause 0x3
	buffer_load_dword v73, v71, s[0:3], 0 offen offset:8
	buffer_load_dword v74, v71, s[0:3], 0 offen offset:12
	buffer_load_dword v75, v71, s[0:3], 0 offen
	buffer_load_dword v76, v71, s[0:3], 0 offen offset:4
	s_waitcnt vmcnt(2) lgkmcnt(0)
	v_mul_f64 v[78:79], v[3:4], v[73:74]
	v_mul_f64 v[73:74], v[1:2], v[73:74]
	s_waitcnt vmcnt(0)
	v_fma_f64 v[1:2], v[1:2], v[75:76], -v[78:79]
	v_fma_f64 v[3:4], v[3:4], v[75:76], v[73:74]
.LBB96_230:
	s_and_saveexec_b32 s41, s5
	s_cbranch_execz .LBB96_234
; %bb.231:
	v_add_nc_u32_e32 v73, -4, v0
	s_movk_i32 s42, 0x250
	s_mov_b32 s5, 0
	s_mov_b32 s43, s36
	.p2align	6
.LBB96_232:                             ; =>This Inner Loop Header: Depth=1
	v_mov_b32_e32 v76, s43
	v_add_nc_u32_e32 v73, -1, v73
	s_add_i32 s43, s43, 16
	s_clause 0x3
	buffer_load_dword v74, v76, s[0:3], 0 offen offset:8
	buffer_load_dword v75, v76, s[0:3], 0 offen offset:12
	buffer_load_dword v82, v76, s[0:3], 0 offen
	buffer_load_dword v83, v76, s[0:3], 0 offen offset:4
	v_mov_b32_e32 v76, s42
	v_cmp_eq_u32_e32 vcc_lo, 0, v73
	s_add_i32 s42, s42, 16
	ds_read_b128 v[78:81], v76
	s_or_b32 s5, vcc_lo, s5
	s_waitcnt vmcnt(2) lgkmcnt(0)
	v_mul_f64 v[84:85], v[80:81], v[74:75]
	v_mul_f64 v[74:75], v[78:79], v[74:75]
	s_waitcnt vmcnt(0)
	v_fma_f64 v[78:79], v[78:79], v[82:83], -v[84:85]
	v_fma_f64 v[74:75], v[80:81], v[82:83], v[74:75]
	v_add_f64 v[1:2], v[1:2], v[78:79]
	v_add_f64 v[3:4], v[3:4], v[74:75]
	s_andn2_b32 exec_lo, exec_lo, s5
	s_cbranch_execnz .LBB96_232
; %bb.233:
	s_or_b32 exec_lo, exec_lo, s5
.LBB96_234:
	s_or_b32 exec_lo, exec_lo, s41
	v_mov_b32_e32 v73, 0
	ds_read_b128 v[73:76], v73 offset:48
	s_waitcnt lgkmcnt(0)
	v_mul_f64 v[78:79], v[3:4], v[75:76]
	v_mul_f64 v[75:76], v[1:2], v[75:76]
	v_fma_f64 v[1:2], v[1:2], v[73:74], -v[78:79]
	v_fma_f64 v[3:4], v[3:4], v[73:74], v[75:76]
	buffer_store_dword v2, off, s[0:3], 0 offset:52
	buffer_store_dword v1, off, s[0:3], 0 offset:48
	;; [unrolled: 1-line block ×4, first 2 shown]
.LBB96_235:
	s_or_b32 exec_lo, exec_lo, s8
	v_mov_b32_e32 v4, s38
	v_cmp_lt_u32_e64 s5, 2, v0
	s_clause 0x3
	buffer_load_dword v1, v4, s[0:3], 0 offen
	buffer_load_dword v2, v4, s[0:3], 0 offen offset:4
	buffer_load_dword v3, v4, s[0:3], 0 offen offset:8
	;; [unrolled: 1-line block ×3, first 2 shown]
	s_waitcnt vmcnt(0)
	ds_write_b128 v72, v[1:4]
	s_waitcnt lgkmcnt(0)
	s_waitcnt_vscnt null, 0x0
	s_barrier
	buffer_gl0_inv
	s_and_saveexec_b32 s8, s5
	s_cbranch_execz .LBB96_243
; %bb.236:
	ds_read_b128 v[1:4], v72
	s_andn2_b32 vcc_lo, exec_lo, s40
	s_cbranch_vccnz .LBB96_238
; %bb.237:
	s_clause 0x3
	buffer_load_dword v73, v71, s[0:3], 0 offen offset:8
	buffer_load_dword v74, v71, s[0:3], 0 offen offset:12
	buffer_load_dword v75, v71, s[0:3], 0 offen
	buffer_load_dword v76, v71, s[0:3], 0 offen offset:4
	s_waitcnt vmcnt(2) lgkmcnt(0)
	v_mul_f64 v[78:79], v[3:4], v[73:74]
	v_mul_f64 v[73:74], v[1:2], v[73:74]
	s_waitcnt vmcnt(0)
	v_fma_f64 v[1:2], v[1:2], v[75:76], -v[78:79]
	v_fma_f64 v[3:4], v[3:4], v[75:76], v[73:74]
.LBB96_238:
	s_and_saveexec_b32 s41, s4
	s_cbranch_execz .LBB96_242
; %bb.239:
	v_add_nc_u32_e32 v73, -3, v0
	s_movk_i32 s42, 0x240
	s_mov_b32 s4, 0
	s_mov_b32 s43, s37
	.p2align	6
.LBB96_240:                             ; =>This Inner Loop Header: Depth=1
	v_mov_b32_e32 v76, s43
	v_add_nc_u32_e32 v73, -1, v73
	s_add_i32 s43, s43, 16
	s_clause 0x3
	buffer_load_dword v74, v76, s[0:3], 0 offen offset:8
	buffer_load_dword v75, v76, s[0:3], 0 offen offset:12
	buffer_load_dword v82, v76, s[0:3], 0 offen
	buffer_load_dword v83, v76, s[0:3], 0 offen offset:4
	v_mov_b32_e32 v76, s42
	v_cmp_eq_u32_e32 vcc_lo, 0, v73
	s_add_i32 s42, s42, 16
	ds_read_b128 v[78:81], v76
	s_or_b32 s4, vcc_lo, s4
	s_waitcnt vmcnt(2) lgkmcnt(0)
	v_mul_f64 v[84:85], v[80:81], v[74:75]
	v_mul_f64 v[74:75], v[78:79], v[74:75]
	s_waitcnt vmcnt(0)
	v_fma_f64 v[78:79], v[78:79], v[82:83], -v[84:85]
	v_fma_f64 v[74:75], v[80:81], v[82:83], v[74:75]
	v_add_f64 v[1:2], v[1:2], v[78:79]
	v_add_f64 v[3:4], v[3:4], v[74:75]
	s_andn2_b32 exec_lo, exec_lo, s4
	s_cbranch_execnz .LBB96_240
; %bb.241:
	s_or_b32 exec_lo, exec_lo, s4
.LBB96_242:
	s_or_b32 exec_lo, exec_lo, s41
	v_mov_b32_e32 v73, 0
	ds_read_b128 v[73:76], v73 offset:32
	s_waitcnt lgkmcnt(0)
	v_mul_f64 v[78:79], v[3:4], v[75:76]
	v_mul_f64 v[75:76], v[1:2], v[75:76]
	v_fma_f64 v[1:2], v[1:2], v[73:74], -v[78:79]
	v_fma_f64 v[3:4], v[3:4], v[73:74], v[75:76]
	buffer_store_dword v2, off, s[0:3], 0 offset:36
	buffer_store_dword v1, off, s[0:3], 0 offset:32
	;; [unrolled: 1-line block ×4, first 2 shown]
.LBB96_243:
	s_or_b32 exec_lo, exec_lo, s8
	v_mov_b32_e32 v4, s39
	v_cmp_lt_u32_e64 s4, 1, v0
	s_clause 0x3
	buffer_load_dword v1, v4, s[0:3], 0 offen
	buffer_load_dword v2, v4, s[0:3], 0 offen offset:4
	buffer_load_dword v3, v4, s[0:3], 0 offen offset:8
	;; [unrolled: 1-line block ×3, first 2 shown]
	s_waitcnt vmcnt(0)
	ds_write_b128 v72, v[1:4]
	s_waitcnt lgkmcnt(0)
	s_waitcnt_vscnt null, 0x0
	s_barrier
	buffer_gl0_inv
	s_and_saveexec_b32 s8, s4
	s_cbranch_execz .LBB96_251
; %bb.244:
	ds_read_b128 v[1:4], v72
	s_andn2_b32 vcc_lo, exec_lo, s40
	s_cbranch_vccnz .LBB96_246
; %bb.245:
	s_clause 0x3
	buffer_load_dword v73, v71, s[0:3], 0 offen offset:8
	buffer_load_dword v74, v71, s[0:3], 0 offen offset:12
	buffer_load_dword v75, v71, s[0:3], 0 offen
	buffer_load_dword v76, v71, s[0:3], 0 offen offset:4
	s_waitcnt vmcnt(2) lgkmcnt(0)
	v_mul_f64 v[78:79], v[3:4], v[73:74]
	v_mul_f64 v[73:74], v[1:2], v[73:74]
	s_waitcnt vmcnt(0)
	v_fma_f64 v[1:2], v[1:2], v[75:76], -v[78:79]
	v_fma_f64 v[3:4], v[3:4], v[75:76], v[73:74]
.LBB96_246:
	s_and_saveexec_b32 s41, s5
	s_cbranch_execz .LBB96_250
; %bb.247:
	v_add_nc_u32_e32 v73, -2, v0
	s_movk_i32 s42, 0x230
	s_mov_b32 s5, 0
	s_mov_b32 s43, s38
	.p2align	6
.LBB96_248:                             ; =>This Inner Loop Header: Depth=1
	v_mov_b32_e32 v76, s43
	v_add_nc_u32_e32 v73, -1, v73
	s_add_i32 s43, s43, 16
	s_clause 0x3
	buffer_load_dword v74, v76, s[0:3], 0 offen offset:8
	buffer_load_dword v75, v76, s[0:3], 0 offen offset:12
	buffer_load_dword v82, v76, s[0:3], 0 offen
	buffer_load_dword v83, v76, s[0:3], 0 offen offset:4
	v_mov_b32_e32 v76, s42
	v_cmp_eq_u32_e32 vcc_lo, 0, v73
	s_add_i32 s42, s42, 16
	ds_read_b128 v[78:81], v76
	s_or_b32 s5, vcc_lo, s5
	s_waitcnt vmcnt(2) lgkmcnt(0)
	v_mul_f64 v[84:85], v[80:81], v[74:75]
	v_mul_f64 v[74:75], v[78:79], v[74:75]
	s_waitcnt vmcnt(0)
	v_fma_f64 v[78:79], v[78:79], v[82:83], -v[84:85]
	v_fma_f64 v[74:75], v[80:81], v[82:83], v[74:75]
	v_add_f64 v[1:2], v[1:2], v[78:79]
	v_add_f64 v[3:4], v[3:4], v[74:75]
	s_andn2_b32 exec_lo, exec_lo, s5
	s_cbranch_execnz .LBB96_248
; %bb.249:
	s_or_b32 exec_lo, exec_lo, s5
.LBB96_250:
	s_or_b32 exec_lo, exec_lo, s41
	v_mov_b32_e32 v73, 0
	ds_read_b128 v[73:76], v73 offset:16
	s_waitcnt lgkmcnt(0)
	v_mul_f64 v[78:79], v[3:4], v[75:76]
	v_mul_f64 v[75:76], v[1:2], v[75:76]
	v_fma_f64 v[1:2], v[1:2], v[73:74], -v[78:79]
	v_fma_f64 v[3:4], v[3:4], v[73:74], v[75:76]
	buffer_store_dword v2, off, s[0:3], 0 offset:20
	buffer_store_dword v1, off, s[0:3], 0 offset:16
	buffer_store_dword v4, off, s[0:3], 0 offset:28
	buffer_store_dword v3, off, s[0:3], 0 offset:24
.LBB96_251:
	s_or_b32 exec_lo, exec_lo, s8
	s_clause 0x3
	buffer_load_dword v1, off, s[0:3], 0
	buffer_load_dword v2, off, s[0:3], 0 offset:4
	buffer_load_dword v3, off, s[0:3], 0 offset:8
	;; [unrolled: 1-line block ×3, first 2 shown]
	s_mov_b32 s8, 0
	s_mov_b32 s5, 0
	s_mov_b32 s41, exec_lo
                                        ; implicit-def: $sgpr42
	s_waitcnt vmcnt(0)
	ds_write_b128 v72, v[1:4]
	s_waitcnt lgkmcnt(0)
	s_waitcnt_vscnt null, 0x0
	s_barrier
	buffer_gl0_inv
                                        ; implicit-def: $vgpr1_vgpr2
	v_cmpx_ne_u32_e32 0, v0
	s_cbranch_execz .LBB96_259
; %bb.252:
	ds_read_b128 v[1:4], v72
	s_andn2_b32 vcc_lo, exec_lo, s40
	s_cbranch_vccnz .LBB96_254
; %bb.253:
	s_clause 0x3
	buffer_load_dword v73, v71, s[0:3], 0 offen offset:8
	buffer_load_dword v74, v71, s[0:3], 0 offen offset:12
	buffer_load_dword v75, v71, s[0:3], 0 offen
	buffer_load_dword v76, v71, s[0:3], 0 offen offset:4
	s_waitcnt vmcnt(2) lgkmcnt(0)
	v_mul_f64 v[78:79], v[3:4], v[73:74]
	v_mul_f64 v[73:74], v[1:2], v[73:74]
	s_waitcnt vmcnt(0)
	v_fma_f64 v[1:2], v[1:2], v[75:76], -v[78:79]
	v_fma_f64 v[3:4], v[3:4], v[75:76], v[73:74]
.LBB96_254:
	s_and_saveexec_b32 s5, s4
	s_cbranch_execz .LBB96_258
; %bb.255:
	v_add_nc_u32_e32 v73, -1, v0
	s_movk_i32 s42, 0x220
	s_mov_b32 s4, 0
	s_mov_b32 s43, s39
	.p2align	6
.LBB96_256:                             ; =>This Inner Loop Header: Depth=1
	v_mov_b32_e32 v76, s43
	v_add_nc_u32_e32 v73, -1, v73
	s_add_i32 s43, s43, 16
	s_clause 0x3
	buffer_load_dword v74, v76, s[0:3], 0 offen offset:8
	buffer_load_dword v75, v76, s[0:3], 0 offen offset:12
	buffer_load_dword v82, v76, s[0:3], 0 offen
	buffer_load_dword v83, v76, s[0:3], 0 offen offset:4
	v_mov_b32_e32 v76, s42
	v_cmp_eq_u32_e32 vcc_lo, 0, v73
	s_add_i32 s42, s42, 16
	ds_read_b128 v[78:81], v76
	s_or_b32 s4, vcc_lo, s4
	s_waitcnt vmcnt(2) lgkmcnt(0)
	v_mul_f64 v[84:85], v[80:81], v[74:75]
	v_mul_f64 v[74:75], v[78:79], v[74:75]
	s_waitcnt vmcnt(0)
	v_fma_f64 v[78:79], v[78:79], v[82:83], -v[84:85]
	v_fma_f64 v[74:75], v[80:81], v[82:83], v[74:75]
	v_add_f64 v[1:2], v[1:2], v[78:79]
	v_add_f64 v[3:4], v[3:4], v[74:75]
	s_andn2_b32 exec_lo, exec_lo, s4
	s_cbranch_execnz .LBB96_256
; %bb.257:
	s_or_b32 exec_lo, exec_lo, s4
.LBB96_258:
	s_or_b32 exec_lo, exec_lo, s5
	v_mov_b32_e32 v73, 0
	s_mov_b32 s5, exec_lo
	s_or_b32 s42, 0, 8
	ds_read_b128 v[73:76], v73
	s_waitcnt lgkmcnt(0)
	v_mul_f64 v[78:79], v[3:4], v[75:76]
	v_mul_f64 v[75:76], v[1:2], v[75:76]
	v_fma_f64 v[78:79], v[1:2], v[73:74], -v[78:79]
	v_fma_f64 v[1:2], v[3:4], v[73:74], v[75:76]
	buffer_store_dword v79, off, s[0:3], 0 offset:4
	buffer_store_dword v78, off, s[0:3], 0
.LBB96_259:
	s_or_b32 exec_lo, exec_lo, s41
	s_and_b32 vcc_lo, exec_lo, s8
	s_cbranch_vccnz .LBB96_261
	s_branch .LBB96_512
.LBB96_260:
	s_mov_b32 s5, 0
                                        ; implicit-def: $vgpr1_vgpr2
                                        ; implicit-def: $sgpr42
	s_cbranch_execz .LBB96_512
.LBB96_261:
	v_mov_b32_e32 v4, s39
	v_cmp_eq_u32_e64 s4, 0, v0
	v_cndmask_b32_e64 v73, 0, 1, s40
	s_clause 0x3
	buffer_load_dword v1, v4, s[0:3], 0 offen
	buffer_load_dword v2, v4, s[0:3], 0 offen offset:4
	buffer_load_dword v3, v4, s[0:3], 0 offen offset:8
	;; [unrolled: 1-line block ×3, first 2 shown]
	s_waitcnt vmcnt(0)
	ds_write_b128 v72, v[1:4]
	s_waitcnt lgkmcnt(0)
	s_waitcnt_vscnt null, 0x0
	s_barrier
	buffer_gl0_inv
	s_and_saveexec_b32 s8, s4
	s_cbranch_execz .LBB96_265
; %bb.262:
	ds_read_b128 v[1:4], v72
	s_andn2_b32 vcc_lo, exec_lo, s40
	s_cbranch_vccnz .LBB96_264
; %bb.263:
	s_clause 0x3
	buffer_load_dword v74, v71, s[0:3], 0 offen offset:8
	buffer_load_dword v75, v71, s[0:3], 0 offen offset:12
	buffer_load_dword v78, v71, s[0:3], 0 offen
	buffer_load_dword v79, v71, s[0:3], 0 offen offset:4
	s_waitcnt vmcnt(2) lgkmcnt(0)
	v_mul_f64 v[80:81], v[3:4], v[74:75]
	v_mul_f64 v[74:75], v[1:2], v[74:75]
	s_waitcnt vmcnt(0)
	v_fma_f64 v[1:2], v[1:2], v[78:79], -v[80:81]
	v_fma_f64 v[3:4], v[3:4], v[78:79], v[74:75]
.LBB96_264:
	v_mov_b32_e32 v74, 0
	ds_read_b128 v[78:81], v74 offset:16
	s_waitcnt lgkmcnt(0)
	v_mul_f64 v[74:75], v[3:4], v[80:81]
	v_mul_f64 v[80:81], v[1:2], v[80:81]
	v_fma_f64 v[1:2], v[1:2], v[78:79], -v[74:75]
	v_fma_f64 v[3:4], v[3:4], v[78:79], v[80:81]
	buffer_store_dword v2, off, s[0:3], 0 offset:20
	buffer_store_dword v1, off, s[0:3], 0 offset:16
	;; [unrolled: 1-line block ×4, first 2 shown]
.LBB96_265:
	s_or_b32 exec_lo, exec_lo, s8
	v_mov_b32_e32 v4, s38
	s_mov_b32 s8, exec_lo
	s_clause 0x3
	buffer_load_dword v1, v4, s[0:3], 0 offen
	buffer_load_dword v2, v4, s[0:3], 0 offen offset:4
	buffer_load_dword v3, v4, s[0:3], 0 offen offset:8
	;; [unrolled: 1-line block ×3, first 2 shown]
	s_waitcnt vmcnt(0)
	ds_write_b128 v72, v[1:4]
	s_waitcnt lgkmcnt(0)
	s_waitcnt_vscnt null, 0x0
	s_barrier
	buffer_gl0_inv
	v_cmpx_gt_u32_e32 2, v0
	s_cbranch_execz .LBB96_271
; %bb.266:
	ds_read_b128 v[1:4], v72
	v_cmp_ne_u32_e32 vcc_lo, 1, v73
	s_cbranch_vccnz .LBB96_268
; %bb.267:
	s_clause 0x3
	buffer_load_dword v74, v71, s[0:3], 0 offen offset:8
	buffer_load_dword v75, v71, s[0:3], 0 offen offset:12
	buffer_load_dword v78, v71, s[0:3], 0 offen
	buffer_load_dword v79, v71, s[0:3], 0 offen offset:4
	s_waitcnt vmcnt(2) lgkmcnt(0)
	v_mul_f64 v[80:81], v[3:4], v[74:75]
	v_mul_f64 v[74:75], v[1:2], v[74:75]
	s_waitcnt vmcnt(0)
	v_fma_f64 v[1:2], v[1:2], v[78:79], -v[80:81]
	v_fma_f64 v[3:4], v[3:4], v[78:79], v[74:75]
.LBB96_268:
	s_and_saveexec_b32 s40, s4
	s_cbranch_execz .LBB96_270
; %bb.269:
	s_clause 0x3
	buffer_load_dword v74, off, s[0:3], 0 offset:24
	buffer_load_dword v75, off, s[0:3], 0 offset:28
	;; [unrolled: 1-line block ×4, first 2 shown]
	v_mov_b32_e32 v76, 0
	ds_read_b128 v[78:81], v76 offset:544
	s_waitcnt vmcnt(2) lgkmcnt(0)
	v_mul_f64 v[84:85], v[80:81], v[74:75]
	v_mul_f64 v[74:75], v[78:79], v[74:75]
	s_waitcnt vmcnt(0)
	v_fma_f64 v[78:79], v[78:79], v[82:83], -v[84:85]
	v_fma_f64 v[74:75], v[80:81], v[82:83], v[74:75]
	v_add_f64 v[1:2], v[1:2], v[78:79]
	v_add_f64 v[3:4], v[3:4], v[74:75]
.LBB96_270:
	s_or_b32 exec_lo, exec_lo, s40
	v_mov_b32_e32 v74, 0
	ds_read_b128 v[78:81], v74 offset:32
	s_waitcnt lgkmcnt(0)
	v_mul_f64 v[74:75], v[3:4], v[80:81]
	v_mul_f64 v[80:81], v[1:2], v[80:81]
	v_fma_f64 v[1:2], v[1:2], v[78:79], -v[74:75]
	v_fma_f64 v[3:4], v[3:4], v[78:79], v[80:81]
	buffer_store_dword v2, off, s[0:3], 0 offset:36
	buffer_store_dword v1, off, s[0:3], 0 offset:32
	;; [unrolled: 1-line block ×4, first 2 shown]
.LBB96_271:
	s_or_b32 exec_lo, exec_lo, s8
	v_mov_b32_e32 v4, s37
	s_mov_b32 s8, exec_lo
	s_clause 0x3
	buffer_load_dword v1, v4, s[0:3], 0 offen
	buffer_load_dword v2, v4, s[0:3], 0 offen offset:4
	buffer_load_dword v3, v4, s[0:3], 0 offen offset:8
	;; [unrolled: 1-line block ×3, first 2 shown]
	s_waitcnt vmcnt(0)
	ds_write_b128 v72, v[1:4]
	s_waitcnt lgkmcnt(0)
	s_waitcnt_vscnt null, 0x0
	s_barrier
	buffer_gl0_inv
	v_cmpx_gt_u32_e32 3, v0
	s_cbranch_execz .LBB96_279
; %bb.272:
	ds_read_b128 v[1:4], v72
	v_cmp_ne_u32_e32 vcc_lo, 1, v73
	s_cbranch_vccnz .LBB96_274
; %bb.273:
	s_clause 0x3
	buffer_load_dword v74, v71, s[0:3], 0 offen offset:8
	buffer_load_dword v75, v71, s[0:3], 0 offen offset:12
	buffer_load_dword v78, v71, s[0:3], 0 offen
	buffer_load_dword v79, v71, s[0:3], 0 offen offset:4
	s_waitcnt vmcnt(2) lgkmcnt(0)
	v_mul_f64 v[80:81], v[3:4], v[74:75]
	v_mul_f64 v[74:75], v[1:2], v[74:75]
	s_waitcnt vmcnt(0)
	v_fma_f64 v[1:2], v[1:2], v[78:79], -v[80:81]
	v_fma_f64 v[3:4], v[3:4], v[78:79], v[74:75]
.LBB96_274:
	s_mov_b32 s40, exec_lo
	v_cmpx_ne_u32_e32 2, v0
	s_cbranch_execz .LBB96_278
; %bb.275:
	s_clause 0x3
	buffer_load_dword v74, v71, s[0:3], 0 offen offset:24
	buffer_load_dword v75, v71, s[0:3], 0 offen offset:28
	;; [unrolled: 1-line block ×4, first 2 shown]
	ds_read_b128 v[78:81], v72 offset:16
	s_waitcnt vmcnt(2) lgkmcnt(0)
	v_mul_f64 v[84:85], v[80:81], v[74:75]
	v_mul_f64 v[74:75], v[78:79], v[74:75]
	s_waitcnt vmcnt(0)
	v_fma_f64 v[78:79], v[78:79], v[82:83], -v[84:85]
	v_fma_f64 v[74:75], v[80:81], v[82:83], v[74:75]
	v_add_f64 v[1:2], v[1:2], v[78:79]
	v_add_f64 v[3:4], v[3:4], v[74:75]
	s_and_saveexec_b32 s41, s4
	s_cbranch_execz .LBB96_277
; %bb.276:
	s_clause 0x3
	buffer_load_dword v74, off, s[0:3], 0 offset:40
	buffer_load_dword v75, off, s[0:3], 0 offset:44
	;; [unrolled: 1-line block ×4, first 2 shown]
	v_mov_b32_e32 v76, 0
	ds_read_b128 v[78:81], v76 offset:560
	s_waitcnt vmcnt(2) lgkmcnt(0)
	v_mul_f64 v[84:85], v[78:79], v[74:75]
	v_mul_f64 v[74:75], v[80:81], v[74:75]
	s_waitcnt vmcnt(0)
	v_fma_f64 v[80:81], v[80:81], v[82:83], v[84:85]
	v_fma_f64 v[74:75], v[78:79], v[82:83], -v[74:75]
	v_add_f64 v[3:4], v[3:4], v[80:81]
	v_add_f64 v[1:2], v[1:2], v[74:75]
.LBB96_277:
	s_or_b32 exec_lo, exec_lo, s41
.LBB96_278:
	s_or_b32 exec_lo, exec_lo, s40
	v_mov_b32_e32 v74, 0
	ds_read_b128 v[78:81], v74 offset:48
	s_waitcnt lgkmcnt(0)
	v_mul_f64 v[74:75], v[3:4], v[80:81]
	v_mul_f64 v[80:81], v[1:2], v[80:81]
	v_fma_f64 v[1:2], v[1:2], v[78:79], -v[74:75]
	v_fma_f64 v[3:4], v[3:4], v[78:79], v[80:81]
	buffer_store_dword v2, off, s[0:3], 0 offset:52
	buffer_store_dword v1, off, s[0:3], 0 offset:48
	;; [unrolled: 1-line block ×4, first 2 shown]
.LBB96_279:
	s_or_b32 exec_lo, exec_lo, s8
	v_mov_b32_e32 v4, s36
	s_mov_b32 s4, exec_lo
	s_clause 0x3
	buffer_load_dword v1, v4, s[0:3], 0 offen
	buffer_load_dword v2, v4, s[0:3], 0 offen offset:4
	buffer_load_dword v3, v4, s[0:3], 0 offen offset:8
	;; [unrolled: 1-line block ×3, first 2 shown]
	s_waitcnt vmcnt(0)
	ds_write_b128 v72, v[1:4]
	s_waitcnt lgkmcnt(0)
	s_waitcnt_vscnt null, 0x0
	s_barrier
	buffer_gl0_inv
	v_cmpx_gt_u32_e32 4, v0
	s_cbranch_execz .LBB96_287
; %bb.280:
	ds_read_b128 v[1:4], v72
	v_cmp_ne_u32_e32 vcc_lo, 1, v73
	s_cbranch_vccnz .LBB96_282
; %bb.281:
	s_clause 0x3
	buffer_load_dword v74, v71, s[0:3], 0 offen offset:8
	buffer_load_dword v75, v71, s[0:3], 0 offen offset:12
	buffer_load_dword v78, v71, s[0:3], 0 offen
	buffer_load_dword v79, v71, s[0:3], 0 offen offset:4
	s_waitcnt vmcnt(2) lgkmcnt(0)
	v_mul_f64 v[80:81], v[3:4], v[74:75]
	v_mul_f64 v[74:75], v[1:2], v[74:75]
	s_waitcnt vmcnt(0)
	v_fma_f64 v[1:2], v[1:2], v[78:79], -v[80:81]
	v_fma_f64 v[3:4], v[3:4], v[78:79], v[74:75]
.LBB96_282:
	s_mov_b32 s8, exec_lo
	v_cmpx_ne_u32_e32 3, v0
	s_cbranch_execz .LBB96_286
; %bb.283:
	v_add_nc_u32_e32 v74, 0x220, v77
	v_add3_u32 v75, 0, v77, 16
	v_mov_b32_e32 v76, v0
	s_mov_b32 s40, 0
	.p2align	6
.LBB96_284:                             ; =>This Inner Loop Header: Depth=1
	s_clause 0x3
	buffer_load_dword v82, v75, s[0:3], 0 offen offset:8
	buffer_load_dword v83, v75, s[0:3], 0 offen offset:12
	buffer_load_dword v84, v75, s[0:3], 0 offen
	buffer_load_dword v85, v75, s[0:3], 0 offen offset:4
	ds_read_b128 v[78:81], v74
	v_add_nc_u32_e32 v76, 1, v76
	v_add_nc_u32_e32 v74, 16, v74
	;; [unrolled: 1-line block ×3, first 2 shown]
	v_cmp_lt_u32_e32 vcc_lo, 2, v76
	s_or_b32 s40, vcc_lo, s40
	s_waitcnt vmcnt(2) lgkmcnt(0)
	v_mul_f64 v[86:87], v[80:81], v[82:83]
	v_mul_f64 v[82:83], v[78:79], v[82:83]
	s_waitcnt vmcnt(0)
	v_fma_f64 v[78:79], v[78:79], v[84:85], -v[86:87]
	v_fma_f64 v[80:81], v[80:81], v[84:85], v[82:83]
	v_add_f64 v[1:2], v[1:2], v[78:79]
	v_add_f64 v[3:4], v[3:4], v[80:81]
	s_andn2_b32 exec_lo, exec_lo, s40
	s_cbranch_execnz .LBB96_284
; %bb.285:
	s_or_b32 exec_lo, exec_lo, s40
.LBB96_286:
	s_or_b32 exec_lo, exec_lo, s8
	v_mov_b32_e32 v74, 0
	ds_read_b128 v[78:81], v74 offset:64
	s_waitcnt lgkmcnt(0)
	v_mul_f64 v[74:75], v[3:4], v[80:81]
	v_mul_f64 v[80:81], v[1:2], v[80:81]
	v_fma_f64 v[1:2], v[1:2], v[78:79], -v[74:75]
	v_fma_f64 v[3:4], v[3:4], v[78:79], v[80:81]
	buffer_store_dword v2, off, s[0:3], 0 offset:68
	buffer_store_dword v1, off, s[0:3], 0 offset:64
	;; [unrolled: 1-line block ×4, first 2 shown]
.LBB96_287:
	s_or_b32 exec_lo, exec_lo, s4
	v_mov_b32_e32 v4, s35
	s_mov_b32 s4, exec_lo
	s_clause 0x3
	buffer_load_dword v1, v4, s[0:3], 0 offen
	buffer_load_dword v2, v4, s[0:3], 0 offen offset:4
	buffer_load_dword v3, v4, s[0:3], 0 offen offset:8
	;; [unrolled: 1-line block ×3, first 2 shown]
	s_waitcnt vmcnt(0)
	ds_write_b128 v72, v[1:4]
	s_waitcnt lgkmcnt(0)
	s_waitcnt_vscnt null, 0x0
	s_barrier
	buffer_gl0_inv
	v_cmpx_gt_u32_e32 5, v0
	s_cbranch_execz .LBB96_295
; %bb.288:
	ds_read_b128 v[1:4], v72
	v_cmp_ne_u32_e32 vcc_lo, 1, v73
	s_cbranch_vccnz .LBB96_290
; %bb.289:
	s_clause 0x3
	buffer_load_dword v74, v71, s[0:3], 0 offen offset:8
	buffer_load_dword v75, v71, s[0:3], 0 offen offset:12
	buffer_load_dword v78, v71, s[0:3], 0 offen
	buffer_load_dword v79, v71, s[0:3], 0 offen offset:4
	s_waitcnt vmcnt(2) lgkmcnt(0)
	v_mul_f64 v[80:81], v[3:4], v[74:75]
	v_mul_f64 v[74:75], v[1:2], v[74:75]
	s_waitcnt vmcnt(0)
	v_fma_f64 v[1:2], v[1:2], v[78:79], -v[80:81]
	v_fma_f64 v[3:4], v[3:4], v[78:79], v[74:75]
.LBB96_290:
	s_mov_b32 s8, exec_lo
	v_cmpx_ne_u32_e32 4, v0
	s_cbranch_execz .LBB96_294
; %bb.291:
	v_add_nc_u32_e32 v74, 0x220, v77
	v_add3_u32 v75, 0, v77, 16
	v_mov_b32_e32 v76, v0
	s_mov_b32 s40, 0
	.p2align	6
.LBB96_292:                             ; =>This Inner Loop Header: Depth=1
	s_clause 0x3
	buffer_load_dword v82, v75, s[0:3], 0 offen offset:8
	buffer_load_dword v83, v75, s[0:3], 0 offen offset:12
	buffer_load_dword v84, v75, s[0:3], 0 offen
	buffer_load_dword v85, v75, s[0:3], 0 offen offset:4
	ds_read_b128 v[78:81], v74
	v_add_nc_u32_e32 v76, 1, v76
	v_add_nc_u32_e32 v74, 16, v74
	;; [unrolled: 1-line block ×3, first 2 shown]
	v_cmp_lt_u32_e32 vcc_lo, 3, v76
	s_or_b32 s40, vcc_lo, s40
	s_waitcnt vmcnt(2) lgkmcnt(0)
	v_mul_f64 v[86:87], v[80:81], v[82:83]
	v_mul_f64 v[82:83], v[78:79], v[82:83]
	s_waitcnt vmcnt(0)
	v_fma_f64 v[78:79], v[78:79], v[84:85], -v[86:87]
	v_fma_f64 v[80:81], v[80:81], v[84:85], v[82:83]
	v_add_f64 v[1:2], v[1:2], v[78:79]
	v_add_f64 v[3:4], v[3:4], v[80:81]
	s_andn2_b32 exec_lo, exec_lo, s40
	s_cbranch_execnz .LBB96_292
; %bb.293:
	s_or_b32 exec_lo, exec_lo, s40
.LBB96_294:
	s_or_b32 exec_lo, exec_lo, s8
	v_mov_b32_e32 v74, 0
	ds_read_b128 v[78:81], v74 offset:80
	s_waitcnt lgkmcnt(0)
	v_mul_f64 v[74:75], v[3:4], v[80:81]
	v_mul_f64 v[80:81], v[1:2], v[80:81]
	v_fma_f64 v[1:2], v[1:2], v[78:79], -v[74:75]
	v_fma_f64 v[3:4], v[3:4], v[78:79], v[80:81]
	buffer_store_dword v2, off, s[0:3], 0 offset:84
	buffer_store_dword v1, off, s[0:3], 0 offset:80
	;; [unrolled: 1-line block ×4, first 2 shown]
.LBB96_295:
	s_or_b32 exec_lo, exec_lo, s4
	v_mov_b32_e32 v4, s34
	s_mov_b32 s4, exec_lo
	s_clause 0x3
	buffer_load_dword v1, v4, s[0:3], 0 offen
	buffer_load_dword v2, v4, s[0:3], 0 offen offset:4
	buffer_load_dword v3, v4, s[0:3], 0 offen offset:8
	;; [unrolled: 1-line block ×3, first 2 shown]
	s_waitcnt vmcnt(0)
	ds_write_b128 v72, v[1:4]
	s_waitcnt lgkmcnt(0)
	s_waitcnt_vscnt null, 0x0
	s_barrier
	buffer_gl0_inv
	v_cmpx_gt_u32_e32 6, v0
	s_cbranch_execz .LBB96_303
; %bb.296:
	ds_read_b128 v[1:4], v72
	v_cmp_ne_u32_e32 vcc_lo, 1, v73
	s_cbranch_vccnz .LBB96_298
; %bb.297:
	s_clause 0x3
	buffer_load_dword v74, v71, s[0:3], 0 offen offset:8
	buffer_load_dword v75, v71, s[0:3], 0 offen offset:12
	buffer_load_dword v78, v71, s[0:3], 0 offen
	buffer_load_dword v79, v71, s[0:3], 0 offen offset:4
	s_waitcnt vmcnt(2) lgkmcnt(0)
	v_mul_f64 v[80:81], v[3:4], v[74:75]
	v_mul_f64 v[74:75], v[1:2], v[74:75]
	s_waitcnt vmcnt(0)
	v_fma_f64 v[1:2], v[1:2], v[78:79], -v[80:81]
	v_fma_f64 v[3:4], v[3:4], v[78:79], v[74:75]
.LBB96_298:
	s_mov_b32 s8, exec_lo
	v_cmpx_ne_u32_e32 5, v0
	s_cbranch_execz .LBB96_302
; %bb.299:
	v_add_nc_u32_e32 v74, 0x220, v77
	v_add3_u32 v75, 0, v77, 16
	v_mov_b32_e32 v76, v0
	s_mov_b32 s40, 0
	.p2align	6
.LBB96_300:                             ; =>This Inner Loop Header: Depth=1
	s_clause 0x3
	buffer_load_dword v82, v75, s[0:3], 0 offen offset:8
	buffer_load_dword v83, v75, s[0:3], 0 offen offset:12
	buffer_load_dword v84, v75, s[0:3], 0 offen
	buffer_load_dword v85, v75, s[0:3], 0 offen offset:4
	ds_read_b128 v[78:81], v74
	v_add_nc_u32_e32 v76, 1, v76
	v_add_nc_u32_e32 v74, 16, v74
	;; [unrolled: 1-line block ×3, first 2 shown]
	v_cmp_lt_u32_e32 vcc_lo, 4, v76
	s_or_b32 s40, vcc_lo, s40
	s_waitcnt vmcnt(2) lgkmcnt(0)
	v_mul_f64 v[86:87], v[80:81], v[82:83]
	v_mul_f64 v[82:83], v[78:79], v[82:83]
	s_waitcnt vmcnt(0)
	v_fma_f64 v[78:79], v[78:79], v[84:85], -v[86:87]
	v_fma_f64 v[80:81], v[80:81], v[84:85], v[82:83]
	v_add_f64 v[1:2], v[1:2], v[78:79]
	v_add_f64 v[3:4], v[3:4], v[80:81]
	s_andn2_b32 exec_lo, exec_lo, s40
	s_cbranch_execnz .LBB96_300
; %bb.301:
	s_or_b32 exec_lo, exec_lo, s40
.LBB96_302:
	s_or_b32 exec_lo, exec_lo, s8
	v_mov_b32_e32 v74, 0
	ds_read_b128 v[78:81], v74 offset:96
	s_waitcnt lgkmcnt(0)
	v_mul_f64 v[74:75], v[3:4], v[80:81]
	v_mul_f64 v[80:81], v[1:2], v[80:81]
	v_fma_f64 v[1:2], v[1:2], v[78:79], -v[74:75]
	v_fma_f64 v[3:4], v[3:4], v[78:79], v[80:81]
	buffer_store_dword v2, off, s[0:3], 0 offset:100
	buffer_store_dword v1, off, s[0:3], 0 offset:96
	;; [unrolled: 1-line block ×4, first 2 shown]
.LBB96_303:
	s_or_b32 exec_lo, exec_lo, s4
	v_mov_b32_e32 v4, s33
	s_mov_b32 s4, exec_lo
	s_clause 0x3
	buffer_load_dword v1, v4, s[0:3], 0 offen
	buffer_load_dword v2, v4, s[0:3], 0 offen offset:4
	buffer_load_dword v3, v4, s[0:3], 0 offen offset:8
	;; [unrolled: 1-line block ×3, first 2 shown]
	s_waitcnt vmcnt(0)
	ds_write_b128 v72, v[1:4]
	s_waitcnt lgkmcnt(0)
	s_waitcnt_vscnt null, 0x0
	s_barrier
	buffer_gl0_inv
	v_cmpx_gt_u32_e32 7, v0
	s_cbranch_execz .LBB96_311
; %bb.304:
	ds_read_b128 v[1:4], v72
	v_cmp_ne_u32_e32 vcc_lo, 1, v73
	s_cbranch_vccnz .LBB96_306
; %bb.305:
	s_clause 0x3
	buffer_load_dword v74, v71, s[0:3], 0 offen offset:8
	buffer_load_dword v75, v71, s[0:3], 0 offen offset:12
	buffer_load_dword v78, v71, s[0:3], 0 offen
	buffer_load_dword v79, v71, s[0:3], 0 offen offset:4
	s_waitcnt vmcnt(2) lgkmcnt(0)
	v_mul_f64 v[80:81], v[3:4], v[74:75]
	v_mul_f64 v[74:75], v[1:2], v[74:75]
	s_waitcnt vmcnt(0)
	v_fma_f64 v[1:2], v[1:2], v[78:79], -v[80:81]
	v_fma_f64 v[3:4], v[3:4], v[78:79], v[74:75]
.LBB96_306:
	s_mov_b32 s8, exec_lo
	v_cmpx_ne_u32_e32 6, v0
	s_cbranch_execz .LBB96_310
; %bb.307:
	v_add_nc_u32_e32 v74, 0x220, v77
	v_add3_u32 v75, 0, v77, 16
	v_mov_b32_e32 v76, v0
	s_mov_b32 s40, 0
	.p2align	6
.LBB96_308:                             ; =>This Inner Loop Header: Depth=1
	s_clause 0x3
	buffer_load_dword v82, v75, s[0:3], 0 offen offset:8
	buffer_load_dword v83, v75, s[0:3], 0 offen offset:12
	buffer_load_dword v84, v75, s[0:3], 0 offen
	buffer_load_dword v85, v75, s[0:3], 0 offen offset:4
	ds_read_b128 v[78:81], v74
	v_add_nc_u32_e32 v76, 1, v76
	v_add_nc_u32_e32 v74, 16, v74
	;; [unrolled: 1-line block ×3, first 2 shown]
	v_cmp_lt_u32_e32 vcc_lo, 5, v76
	s_or_b32 s40, vcc_lo, s40
	s_waitcnt vmcnt(2) lgkmcnt(0)
	v_mul_f64 v[86:87], v[80:81], v[82:83]
	v_mul_f64 v[82:83], v[78:79], v[82:83]
	s_waitcnt vmcnt(0)
	v_fma_f64 v[78:79], v[78:79], v[84:85], -v[86:87]
	v_fma_f64 v[80:81], v[80:81], v[84:85], v[82:83]
	v_add_f64 v[1:2], v[1:2], v[78:79]
	v_add_f64 v[3:4], v[3:4], v[80:81]
	s_andn2_b32 exec_lo, exec_lo, s40
	s_cbranch_execnz .LBB96_308
; %bb.309:
	s_or_b32 exec_lo, exec_lo, s40
.LBB96_310:
	s_or_b32 exec_lo, exec_lo, s8
	v_mov_b32_e32 v74, 0
	ds_read_b128 v[78:81], v74 offset:112
	s_waitcnt lgkmcnt(0)
	v_mul_f64 v[74:75], v[3:4], v[80:81]
	v_mul_f64 v[80:81], v[1:2], v[80:81]
	v_fma_f64 v[1:2], v[1:2], v[78:79], -v[74:75]
	v_fma_f64 v[3:4], v[3:4], v[78:79], v[80:81]
	buffer_store_dword v2, off, s[0:3], 0 offset:116
	buffer_store_dword v1, off, s[0:3], 0 offset:112
	;; [unrolled: 1-line block ×4, first 2 shown]
.LBB96_311:
	s_or_b32 exec_lo, exec_lo, s4
	v_mov_b32_e32 v4, s31
	s_mov_b32 s4, exec_lo
	s_clause 0x3
	buffer_load_dword v1, v4, s[0:3], 0 offen
	buffer_load_dword v2, v4, s[0:3], 0 offen offset:4
	buffer_load_dword v3, v4, s[0:3], 0 offen offset:8
	;; [unrolled: 1-line block ×3, first 2 shown]
	s_waitcnt vmcnt(0)
	ds_write_b128 v72, v[1:4]
	s_waitcnt lgkmcnt(0)
	s_waitcnt_vscnt null, 0x0
	s_barrier
	buffer_gl0_inv
	v_cmpx_gt_u32_e32 8, v0
	s_cbranch_execz .LBB96_319
; %bb.312:
	ds_read_b128 v[1:4], v72
	v_cmp_ne_u32_e32 vcc_lo, 1, v73
	s_cbranch_vccnz .LBB96_314
; %bb.313:
	s_clause 0x3
	buffer_load_dword v74, v71, s[0:3], 0 offen offset:8
	buffer_load_dword v75, v71, s[0:3], 0 offen offset:12
	buffer_load_dword v78, v71, s[0:3], 0 offen
	buffer_load_dword v79, v71, s[0:3], 0 offen offset:4
	s_waitcnt vmcnt(2) lgkmcnt(0)
	v_mul_f64 v[80:81], v[3:4], v[74:75]
	v_mul_f64 v[74:75], v[1:2], v[74:75]
	s_waitcnt vmcnt(0)
	v_fma_f64 v[1:2], v[1:2], v[78:79], -v[80:81]
	v_fma_f64 v[3:4], v[3:4], v[78:79], v[74:75]
.LBB96_314:
	s_mov_b32 s8, exec_lo
	v_cmpx_ne_u32_e32 7, v0
	s_cbranch_execz .LBB96_318
; %bb.315:
	v_add_nc_u32_e32 v74, 0x220, v77
	v_add3_u32 v75, 0, v77, 16
	v_mov_b32_e32 v76, v0
	s_mov_b32 s40, 0
	.p2align	6
.LBB96_316:                             ; =>This Inner Loop Header: Depth=1
	s_clause 0x3
	buffer_load_dword v82, v75, s[0:3], 0 offen offset:8
	buffer_load_dword v83, v75, s[0:3], 0 offen offset:12
	buffer_load_dword v84, v75, s[0:3], 0 offen
	buffer_load_dword v85, v75, s[0:3], 0 offen offset:4
	ds_read_b128 v[78:81], v74
	v_add_nc_u32_e32 v76, 1, v76
	v_add_nc_u32_e32 v74, 16, v74
	v_add_nc_u32_e32 v75, 16, v75
	v_cmp_lt_u32_e32 vcc_lo, 6, v76
	s_or_b32 s40, vcc_lo, s40
	s_waitcnt vmcnt(2) lgkmcnt(0)
	v_mul_f64 v[86:87], v[80:81], v[82:83]
	v_mul_f64 v[82:83], v[78:79], v[82:83]
	s_waitcnt vmcnt(0)
	v_fma_f64 v[78:79], v[78:79], v[84:85], -v[86:87]
	v_fma_f64 v[80:81], v[80:81], v[84:85], v[82:83]
	v_add_f64 v[1:2], v[1:2], v[78:79]
	v_add_f64 v[3:4], v[3:4], v[80:81]
	s_andn2_b32 exec_lo, exec_lo, s40
	s_cbranch_execnz .LBB96_316
; %bb.317:
	s_or_b32 exec_lo, exec_lo, s40
.LBB96_318:
	s_or_b32 exec_lo, exec_lo, s8
	v_mov_b32_e32 v74, 0
	ds_read_b128 v[78:81], v74 offset:128
	s_waitcnt lgkmcnt(0)
	v_mul_f64 v[74:75], v[3:4], v[80:81]
	v_mul_f64 v[80:81], v[1:2], v[80:81]
	v_fma_f64 v[1:2], v[1:2], v[78:79], -v[74:75]
	v_fma_f64 v[3:4], v[3:4], v[78:79], v[80:81]
	buffer_store_dword v2, off, s[0:3], 0 offset:132
	buffer_store_dword v1, off, s[0:3], 0 offset:128
	;; [unrolled: 1-line block ×4, first 2 shown]
.LBB96_319:
	s_or_b32 exec_lo, exec_lo, s4
	v_mov_b32_e32 v4, s30
	s_mov_b32 s4, exec_lo
	s_clause 0x3
	buffer_load_dword v1, v4, s[0:3], 0 offen
	buffer_load_dword v2, v4, s[0:3], 0 offen offset:4
	buffer_load_dword v3, v4, s[0:3], 0 offen offset:8
	;; [unrolled: 1-line block ×3, first 2 shown]
	s_waitcnt vmcnt(0)
	ds_write_b128 v72, v[1:4]
	s_waitcnt lgkmcnt(0)
	s_waitcnt_vscnt null, 0x0
	s_barrier
	buffer_gl0_inv
	v_cmpx_gt_u32_e32 9, v0
	s_cbranch_execz .LBB96_327
; %bb.320:
	ds_read_b128 v[1:4], v72
	v_cmp_ne_u32_e32 vcc_lo, 1, v73
	s_cbranch_vccnz .LBB96_322
; %bb.321:
	s_clause 0x3
	buffer_load_dword v74, v71, s[0:3], 0 offen offset:8
	buffer_load_dword v75, v71, s[0:3], 0 offen offset:12
	buffer_load_dword v78, v71, s[0:3], 0 offen
	buffer_load_dword v79, v71, s[0:3], 0 offen offset:4
	s_waitcnt vmcnt(2) lgkmcnt(0)
	v_mul_f64 v[80:81], v[3:4], v[74:75]
	v_mul_f64 v[74:75], v[1:2], v[74:75]
	s_waitcnt vmcnt(0)
	v_fma_f64 v[1:2], v[1:2], v[78:79], -v[80:81]
	v_fma_f64 v[3:4], v[3:4], v[78:79], v[74:75]
.LBB96_322:
	s_mov_b32 s8, exec_lo
	v_cmpx_ne_u32_e32 8, v0
	s_cbranch_execz .LBB96_326
; %bb.323:
	v_add_nc_u32_e32 v74, 0x220, v77
	v_add3_u32 v75, 0, v77, 16
	v_mov_b32_e32 v76, v0
	s_mov_b32 s40, 0
	.p2align	6
.LBB96_324:                             ; =>This Inner Loop Header: Depth=1
	s_clause 0x3
	buffer_load_dword v82, v75, s[0:3], 0 offen offset:8
	buffer_load_dword v83, v75, s[0:3], 0 offen offset:12
	buffer_load_dword v84, v75, s[0:3], 0 offen
	buffer_load_dword v85, v75, s[0:3], 0 offen offset:4
	ds_read_b128 v[78:81], v74
	v_add_nc_u32_e32 v76, 1, v76
	v_add_nc_u32_e32 v74, 16, v74
	;; [unrolled: 1-line block ×3, first 2 shown]
	v_cmp_lt_u32_e32 vcc_lo, 7, v76
	s_or_b32 s40, vcc_lo, s40
	s_waitcnt vmcnt(2) lgkmcnt(0)
	v_mul_f64 v[86:87], v[80:81], v[82:83]
	v_mul_f64 v[82:83], v[78:79], v[82:83]
	s_waitcnt vmcnt(0)
	v_fma_f64 v[78:79], v[78:79], v[84:85], -v[86:87]
	v_fma_f64 v[80:81], v[80:81], v[84:85], v[82:83]
	v_add_f64 v[1:2], v[1:2], v[78:79]
	v_add_f64 v[3:4], v[3:4], v[80:81]
	s_andn2_b32 exec_lo, exec_lo, s40
	s_cbranch_execnz .LBB96_324
; %bb.325:
	s_or_b32 exec_lo, exec_lo, s40
.LBB96_326:
	s_or_b32 exec_lo, exec_lo, s8
	v_mov_b32_e32 v74, 0
	ds_read_b128 v[78:81], v74 offset:144
	s_waitcnt lgkmcnt(0)
	v_mul_f64 v[74:75], v[3:4], v[80:81]
	v_mul_f64 v[80:81], v[1:2], v[80:81]
	v_fma_f64 v[1:2], v[1:2], v[78:79], -v[74:75]
	v_fma_f64 v[3:4], v[3:4], v[78:79], v[80:81]
	buffer_store_dword v2, off, s[0:3], 0 offset:148
	buffer_store_dword v1, off, s[0:3], 0 offset:144
	buffer_store_dword v4, off, s[0:3], 0 offset:156
	buffer_store_dword v3, off, s[0:3], 0 offset:152
.LBB96_327:
	s_or_b32 exec_lo, exec_lo, s4
	v_mov_b32_e32 v4, s29
	s_mov_b32 s4, exec_lo
	s_clause 0x3
	buffer_load_dword v1, v4, s[0:3], 0 offen
	buffer_load_dword v2, v4, s[0:3], 0 offen offset:4
	buffer_load_dword v3, v4, s[0:3], 0 offen offset:8
	;; [unrolled: 1-line block ×3, first 2 shown]
	s_waitcnt vmcnt(0)
	ds_write_b128 v72, v[1:4]
	s_waitcnt lgkmcnt(0)
	s_waitcnt_vscnt null, 0x0
	s_barrier
	buffer_gl0_inv
	v_cmpx_gt_u32_e32 10, v0
	s_cbranch_execz .LBB96_335
; %bb.328:
	ds_read_b128 v[1:4], v72
	v_cmp_ne_u32_e32 vcc_lo, 1, v73
	s_cbranch_vccnz .LBB96_330
; %bb.329:
	s_clause 0x3
	buffer_load_dword v74, v71, s[0:3], 0 offen offset:8
	buffer_load_dword v75, v71, s[0:3], 0 offen offset:12
	buffer_load_dword v78, v71, s[0:3], 0 offen
	buffer_load_dword v79, v71, s[0:3], 0 offen offset:4
	s_waitcnt vmcnt(2) lgkmcnt(0)
	v_mul_f64 v[80:81], v[3:4], v[74:75]
	v_mul_f64 v[74:75], v[1:2], v[74:75]
	s_waitcnt vmcnt(0)
	v_fma_f64 v[1:2], v[1:2], v[78:79], -v[80:81]
	v_fma_f64 v[3:4], v[3:4], v[78:79], v[74:75]
.LBB96_330:
	s_mov_b32 s8, exec_lo
	v_cmpx_ne_u32_e32 9, v0
	s_cbranch_execz .LBB96_334
; %bb.331:
	v_add_nc_u32_e32 v74, 0x220, v77
	v_add3_u32 v75, 0, v77, 16
	v_mov_b32_e32 v76, v0
	s_mov_b32 s40, 0
	.p2align	6
.LBB96_332:                             ; =>This Inner Loop Header: Depth=1
	s_clause 0x3
	buffer_load_dword v82, v75, s[0:3], 0 offen offset:8
	buffer_load_dword v83, v75, s[0:3], 0 offen offset:12
	buffer_load_dword v84, v75, s[0:3], 0 offen
	buffer_load_dword v85, v75, s[0:3], 0 offen offset:4
	ds_read_b128 v[78:81], v74
	v_add_nc_u32_e32 v76, 1, v76
	v_add_nc_u32_e32 v74, 16, v74
	;; [unrolled: 1-line block ×3, first 2 shown]
	v_cmp_lt_u32_e32 vcc_lo, 8, v76
	s_or_b32 s40, vcc_lo, s40
	s_waitcnt vmcnt(2) lgkmcnt(0)
	v_mul_f64 v[86:87], v[80:81], v[82:83]
	v_mul_f64 v[82:83], v[78:79], v[82:83]
	s_waitcnt vmcnt(0)
	v_fma_f64 v[78:79], v[78:79], v[84:85], -v[86:87]
	v_fma_f64 v[80:81], v[80:81], v[84:85], v[82:83]
	v_add_f64 v[1:2], v[1:2], v[78:79]
	v_add_f64 v[3:4], v[3:4], v[80:81]
	s_andn2_b32 exec_lo, exec_lo, s40
	s_cbranch_execnz .LBB96_332
; %bb.333:
	s_or_b32 exec_lo, exec_lo, s40
.LBB96_334:
	s_or_b32 exec_lo, exec_lo, s8
	v_mov_b32_e32 v74, 0
	ds_read_b128 v[78:81], v74 offset:160
	s_waitcnt lgkmcnt(0)
	v_mul_f64 v[74:75], v[3:4], v[80:81]
	v_mul_f64 v[80:81], v[1:2], v[80:81]
	v_fma_f64 v[1:2], v[1:2], v[78:79], -v[74:75]
	v_fma_f64 v[3:4], v[3:4], v[78:79], v[80:81]
	buffer_store_dword v2, off, s[0:3], 0 offset:164
	buffer_store_dword v1, off, s[0:3], 0 offset:160
	;; [unrolled: 1-line block ×4, first 2 shown]
.LBB96_335:
	s_or_b32 exec_lo, exec_lo, s4
	v_mov_b32_e32 v4, s28
	s_mov_b32 s4, exec_lo
	s_clause 0x3
	buffer_load_dword v1, v4, s[0:3], 0 offen
	buffer_load_dword v2, v4, s[0:3], 0 offen offset:4
	buffer_load_dword v3, v4, s[0:3], 0 offen offset:8
	;; [unrolled: 1-line block ×3, first 2 shown]
	s_waitcnt vmcnt(0)
	ds_write_b128 v72, v[1:4]
	s_waitcnt lgkmcnt(0)
	s_waitcnt_vscnt null, 0x0
	s_barrier
	buffer_gl0_inv
	v_cmpx_gt_u32_e32 11, v0
	s_cbranch_execz .LBB96_343
; %bb.336:
	ds_read_b128 v[1:4], v72
	v_cmp_ne_u32_e32 vcc_lo, 1, v73
	s_cbranch_vccnz .LBB96_338
; %bb.337:
	s_clause 0x3
	buffer_load_dword v74, v71, s[0:3], 0 offen offset:8
	buffer_load_dword v75, v71, s[0:3], 0 offen offset:12
	buffer_load_dword v78, v71, s[0:3], 0 offen
	buffer_load_dword v79, v71, s[0:3], 0 offen offset:4
	s_waitcnt vmcnt(2) lgkmcnt(0)
	v_mul_f64 v[80:81], v[3:4], v[74:75]
	v_mul_f64 v[74:75], v[1:2], v[74:75]
	s_waitcnt vmcnt(0)
	v_fma_f64 v[1:2], v[1:2], v[78:79], -v[80:81]
	v_fma_f64 v[3:4], v[3:4], v[78:79], v[74:75]
.LBB96_338:
	s_mov_b32 s8, exec_lo
	v_cmpx_ne_u32_e32 10, v0
	s_cbranch_execz .LBB96_342
; %bb.339:
	v_add_nc_u32_e32 v74, 0x220, v77
	v_add3_u32 v75, 0, v77, 16
	v_mov_b32_e32 v76, v0
	s_mov_b32 s40, 0
	.p2align	6
.LBB96_340:                             ; =>This Inner Loop Header: Depth=1
	s_clause 0x3
	buffer_load_dword v82, v75, s[0:3], 0 offen offset:8
	buffer_load_dword v83, v75, s[0:3], 0 offen offset:12
	buffer_load_dword v84, v75, s[0:3], 0 offen
	buffer_load_dword v85, v75, s[0:3], 0 offen offset:4
	ds_read_b128 v[78:81], v74
	v_add_nc_u32_e32 v76, 1, v76
	v_add_nc_u32_e32 v74, 16, v74
	;; [unrolled: 1-line block ×3, first 2 shown]
	v_cmp_lt_u32_e32 vcc_lo, 9, v76
	s_or_b32 s40, vcc_lo, s40
	s_waitcnt vmcnt(2) lgkmcnt(0)
	v_mul_f64 v[86:87], v[80:81], v[82:83]
	v_mul_f64 v[82:83], v[78:79], v[82:83]
	s_waitcnt vmcnt(0)
	v_fma_f64 v[78:79], v[78:79], v[84:85], -v[86:87]
	v_fma_f64 v[80:81], v[80:81], v[84:85], v[82:83]
	v_add_f64 v[1:2], v[1:2], v[78:79]
	v_add_f64 v[3:4], v[3:4], v[80:81]
	s_andn2_b32 exec_lo, exec_lo, s40
	s_cbranch_execnz .LBB96_340
; %bb.341:
	s_or_b32 exec_lo, exec_lo, s40
.LBB96_342:
	s_or_b32 exec_lo, exec_lo, s8
	v_mov_b32_e32 v74, 0
	ds_read_b128 v[78:81], v74 offset:176
	s_waitcnt lgkmcnt(0)
	v_mul_f64 v[74:75], v[3:4], v[80:81]
	v_mul_f64 v[80:81], v[1:2], v[80:81]
	v_fma_f64 v[1:2], v[1:2], v[78:79], -v[74:75]
	v_fma_f64 v[3:4], v[3:4], v[78:79], v[80:81]
	buffer_store_dword v2, off, s[0:3], 0 offset:180
	buffer_store_dword v1, off, s[0:3], 0 offset:176
	;; [unrolled: 1-line block ×4, first 2 shown]
.LBB96_343:
	s_or_b32 exec_lo, exec_lo, s4
	v_mov_b32_e32 v4, s27
	s_mov_b32 s4, exec_lo
	s_clause 0x3
	buffer_load_dword v1, v4, s[0:3], 0 offen
	buffer_load_dword v2, v4, s[0:3], 0 offen offset:4
	buffer_load_dword v3, v4, s[0:3], 0 offen offset:8
	;; [unrolled: 1-line block ×3, first 2 shown]
	s_waitcnt vmcnt(0)
	ds_write_b128 v72, v[1:4]
	s_waitcnt lgkmcnt(0)
	s_waitcnt_vscnt null, 0x0
	s_barrier
	buffer_gl0_inv
	v_cmpx_gt_u32_e32 12, v0
	s_cbranch_execz .LBB96_351
; %bb.344:
	ds_read_b128 v[1:4], v72
	v_cmp_ne_u32_e32 vcc_lo, 1, v73
	s_cbranch_vccnz .LBB96_346
; %bb.345:
	s_clause 0x3
	buffer_load_dword v74, v71, s[0:3], 0 offen offset:8
	buffer_load_dword v75, v71, s[0:3], 0 offen offset:12
	buffer_load_dword v78, v71, s[0:3], 0 offen
	buffer_load_dword v79, v71, s[0:3], 0 offen offset:4
	s_waitcnt vmcnt(2) lgkmcnt(0)
	v_mul_f64 v[80:81], v[3:4], v[74:75]
	v_mul_f64 v[74:75], v[1:2], v[74:75]
	s_waitcnt vmcnt(0)
	v_fma_f64 v[1:2], v[1:2], v[78:79], -v[80:81]
	v_fma_f64 v[3:4], v[3:4], v[78:79], v[74:75]
.LBB96_346:
	s_mov_b32 s8, exec_lo
	v_cmpx_ne_u32_e32 11, v0
	s_cbranch_execz .LBB96_350
; %bb.347:
	v_add_nc_u32_e32 v74, 0x220, v77
	v_add3_u32 v75, 0, v77, 16
	v_mov_b32_e32 v76, v0
	s_mov_b32 s40, 0
	.p2align	6
.LBB96_348:                             ; =>This Inner Loop Header: Depth=1
	s_clause 0x3
	buffer_load_dword v82, v75, s[0:3], 0 offen offset:8
	buffer_load_dword v83, v75, s[0:3], 0 offen offset:12
	buffer_load_dword v84, v75, s[0:3], 0 offen
	buffer_load_dword v85, v75, s[0:3], 0 offen offset:4
	ds_read_b128 v[78:81], v74
	v_add_nc_u32_e32 v76, 1, v76
	v_add_nc_u32_e32 v74, 16, v74
	;; [unrolled: 1-line block ×3, first 2 shown]
	v_cmp_lt_u32_e32 vcc_lo, 10, v76
	s_or_b32 s40, vcc_lo, s40
	s_waitcnt vmcnt(2) lgkmcnt(0)
	v_mul_f64 v[86:87], v[80:81], v[82:83]
	v_mul_f64 v[82:83], v[78:79], v[82:83]
	s_waitcnt vmcnt(0)
	v_fma_f64 v[78:79], v[78:79], v[84:85], -v[86:87]
	v_fma_f64 v[80:81], v[80:81], v[84:85], v[82:83]
	v_add_f64 v[1:2], v[1:2], v[78:79]
	v_add_f64 v[3:4], v[3:4], v[80:81]
	s_andn2_b32 exec_lo, exec_lo, s40
	s_cbranch_execnz .LBB96_348
; %bb.349:
	s_or_b32 exec_lo, exec_lo, s40
.LBB96_350:
	s_or_b32 exec_lo, exec_lo, s8
	v_mov_b32_e32 v74, 0
	ds_read_b128 v[78:81], v74 offset:192
	s_waitcnt lgkmcnt(0)
	v_mul_f64 v[74:75], v[3:4], v[80:81]
	v_mul_f64 v[80:81], v[1:2], v[80:81]
	v_fma_f64 v[1:2], v[1:2], v[78:79], -v[74:75]
	v_fma_f64 v[3:4], v[3:4], v[78:79], v[80:81]
	buffer_store_dword v2, off, s[0:3], 0 offset:196
	buffer_store_dword v1, off, s[0:3], 0 offset:192
	;; [unrolled: 1-line block ×4, first 2 shown]
.LBB96_351:
	s_or_b32 exec_lo, exec_lo, s4
	v_mov_b32_e32 v4, s26
	s_mov_b32 s4, exec_lo
	s_clause 0x3
	buffer_load_dword v1, v4, s[0:3], 0 offen
	buffer_load_dword v2, v4, s[0:3], 0 offen offset:4
	buffer_load_dword v3, v4, s[0:3], 0 offen offset:8
	;; [unrolled: 1-line block ×3, first 2 shown]
	s_waitcnt vmcnt(0)
	ds_write_b128 v72, v[1:4]
	s_waitcnt lgkmcnt(0)
	s_waitcnt_vscnt null, 0x0
	s_barrier
	buffer_gl0_inv
	v_cmpx_gt_u32_e32 13, v0
	s_cbranch_execz .LBB96_359
; %bb.352:
	ds_read_b128 v[1:4], v72
	v_cmp_ne_u32_e32 vcc_lo, 1, v73
	s_cbranch_vccnz .LBB96_354
; %bb.353:
	s_clause 0x3
	buffer_load_dword v74, v71, s[0:3], 0 offen offset:8
	buffer_load_dword v75, v71, s[0:3], 0 offen offset:12
	buffer_load_dword v78, v71, s[0:3], 0 offen
	buffer_load_dword v79, v71, s[0:3], 0 offen offset:4
	s_waitcnt vmcnt(2) lgkmcnt(0)
	v_mul_f64 v[80:81], v[3:4], v[74:75]
	v_mul_f64 v[74:75], v[1:2], v[74:75]
	s_waitcnt vmcnt(0)
	v_fma_f64 v[1:2], v[1:2], v[78:79], -v[80:81]
	v_fma_f64 v[3:4], v[3:4], v[78:79], v[74:75]
.LBB96_354:
	s_mov_b32 s8, exec_lo
	v_cmpx_ne_u32_e32 12, v0
	s_cbranch_execz .LBB96_358
; %bb.355:
	v_add_nc_u32_e32 v74, 0x220, v77
	v_add3_u32 v75, 0, v77, 16
	v_mov_b32_e32 v76, v0
	s_mov_b32 s40, 0
	.p2align	6
.LBB96_356:                             ; =>This Inner Loop Header: Depth=1
	s_clause 0x3
	buffer_load_dword v82, v75, s[0:3], 0 offen offset:8
	buffer_load_dword v83, v75, s[0:3], 0 offen offset:12
	buffer_load_dword v84, v75, s[0:3], 0 offen
	buffer_load_dword v85, v75, s[0:3], 0 offen offset:4
	ds_read_b128 v[78:81], v74
	v_add_nc_u32_e32 v76, 1, v76
	v_add_nc_u32_e32 v74, 16, v74
	;; [unrolled: 1-line block ×3, first 2 shown]
	v_cmp_lt_u32_e32 vcc_lo, 11, v76
	s_or_b32 s40, vcc_lo, s40
	s_waitcnt vmcnt(2) lgkmcnt(0)
	v_mul_f64 v[86:87], v[80:81], v[82:83]
	v_mul_f64 v[82:83], v[78:79], v[82:83]
	s_waitcnt vmcnt(0)
	v_fma_f64 v[78:79], v[78:79], v[84:85], -v[86:87]
	v_fma_f64 v[80:81], v[80:81], v[84:85], v[82:83]
	v_add_f64 v[1:2], v[1:2], v[78:79]
	v_add_f64 v[3:4], v[3:4], v[80:81]
	s_andn2_b32 exec_lo, exec_lo, s40
	s_cbranch_execnz .LBB96_356
; %bb.357:
	s_or_b32 exec_lo, exec_lo, s40
.LBB96_358:
	s_or_b32 exec_lo, exec_lo, s8
	v_mov_b32_e32 v74, 0
	ds_read_b128 v[78:81], v74 offset:208
	s_waitcnt lgkmcnt(0)
	v_mul_f64 v[74:75], v[3:4], v[80:81]
	v_mul_f64 v[80:81], v[1:2], v[80:81]
	v_fma_f64 v[1:2], v[1:2], v[78:79], -v[74:75]
	v_fma_f64 v[3:4], v[3:4], v[78:79], v[80:81]
	buffer_store_dword v2, off, s[0:3], 0 offset:212
	buffer_store_dword v1, off, s[0:3], 0 offset:208
	;; [unrolled: 1-line block ×4, first 2 shown]
.LBB96_359:
	s_or_b32 exec_lo, exec_lo, s4
	v_mov_b32_e32 v4, s25
	s_mov_b32 s4, exec_lo
	s_clause 0x3
	buffer_load_dword v1, v4, s[0:3], 0 offen
	buffer_load_dword v2, v4, s[0:3], 0 offen offset:4
	buffer_load_dword v3, v4, s[0:3], 0 offen offset:8
	;; [unrolled: 1-line block ×3, first 2 shown]
	s_waitcnt vmcnt(0)
	ds_write_b128 v72, v[1:4]
	s_waitcnt lgkmcnt(0)
	s_waitcnt_vscnt null, 0x0
	s_barrier
	buffer_gl0_inv
	v_cmpx_gt_u32_e32 14, v0
	s_cbranch_execz .LBB96_367
; %bb.360:
	ds_read_b128 v[1:4], v72
	v_cmp_ne_u32_e32 vcc_lo, 1, v73
	s_cbranch_vccnz .LBB96_362
; %bb.361:
	s_clause 0x3
	buffer_load_dword v74, v71, s[0:3], 0 offen offset:8
	buffer_load_dword v75, v71, s[0:3], 0 offen offset:12
	buffer_load_dword v78, v71, s[0:3], 0 offen
	buffer_load_dword v79, v71, s[0:3], 0 offen offset:4
	s_waitcnt vmcnt(2) lgkmcnt(0)
	v_mul_f64 v[80:81], v[3:4], v[74:75]
	v_mul_f64 v[74:75], v[1:2], v[74:75]
	s_waitcnt vmcnt(0)
	v_fma_f64 v[1:2], v[1:2], v[78:79], -v[80:81]
	v_fma_f64 v[3:4], v[3:4], v[78:79], v[74:75]
.LBB96_362:
	s_mov_b32 s8, exec_lo
	v_cmpx_ne_u32_e32 13, v0
	s_cbranch_execz .LBB96_366
; %bb.363:
	v_add_nc_u32_e32 v74, 0x220, v77
	v_add3_u32 v75, 0, v77, 16
	v_mov_b32_e32 v76, v0
	s_mov_b32 s40, 0
	.p2align	6
.LBB96_364:                             ; =>This Inner Loop Header: Depth=1
	s_clause 0x3
	buffer_load_dword v82, v75, s[0:3], 0 offen offset:8
	buffer_load_dword v83, v75, s[0:3], 0 offen offset:12
	buffer_load_dword v84, v75, s[0:3], 0 offen
	buffer_load_dword v85, v75, s[0:3], 0 offen offset:4
	ds_read_b128 v[78:81], v74
	v_add_nc_u32_e32 v76, 1, v76
	v_add_nc_u32_e32 v74, 16, v74
	v_add_nc_u32_e32 v75, 16, v75
	v_cmp_lt_u32_e32 vcc_lo, 12, v76
	s_or_b32 s40, vcc_lo, s40
	s_waitcnt vmcnt(2) lgkmcnt(0)
	v_mul_f64 v[86:87], v[80:81], v[82:83]
	v_mul_f64 v[82:83], v[78:79], v[82:83]
	s_waitcnt vmcnt(0)
	v_fma_f64 v[78:79], v[78:79], v[84:85], -v[86:87]
	v_fma_f64 v[80:81], v[80:81], v[84:85], v[82:83]
	v_add_f64 v[1:2], v[1:2], v[78:79]
	v_add_f64 v[3:4], v[3:4], v[80:81]
	s_andn2_b32 exec_lo, exec_lo, s40
	s_cbranch_execnz .LBB96_364
; %bb.365:
	s_or_b32 exec_lo, exec_lo, s40
.LBB96_366:
	s_or_b32 exec_lo, exec_lo, s8
	v_mov_b32_e32 v74, 0
	ds_read_b128 v[78:81], v74 offset:224
	s_waitcnt lgkmcnt(0)
	v_mul_f64 v[74:75], v[3:4], v[80:81]
	v_mul_f64 v[80:81], v[1:2], v[80:81]
	v_fma_f64 v[1:2], v[1:2], v[78:79], -v[74:75]
	v_fma_f64 v[3:4], v[3:4], v[78:79], v[80:81]
	buffer_store_dword v2, off, s[0:3], 0 offset:228
	buffer_store_dword v1, off, s[0:3], 0 offset:224
	;; [unrolled: 1-line block ×4, first 2 shown]
.LBB96_367:
	s_or_b32 exec_lo, exec_lo, s4
	v_mov_b32_e32 v4, s24
	s_mov_b32 s4, exec_lo
	s_clause 0x3
	buffer_load_dword v1, v4, s[0:3], 0 offen
	buffer_load_dword v2, v4, s[0:3], 0 offen offset:4
	buffer_load_dword v3, v4, s[0:3], 0 offen offset:8
	;; [unrolled: 1-line block ×3, first 2 shown]
	s_waitcnt vmcnt(0)
	ds_write_b128 v72, v[1:4]
	s_waitcnt lgkmcnt(0)
	s_waitcnt_vscnt null, 0x0
	s_barrier
	buffer_gl0_inv
	v_cmpx_gt_u32_e32 15, v0
	s_cbranch_execz .LBB96_375
; %bb.368:
	ds_read_b128 v[1:4], v72
	v_cmp_ne_u32_e32 vcc_lo, 1, v73
	s_cbranch_vccnz .LBB96_370
; %bb.369:
	s_clause 0x3
	buffer_load_dword v74, v71, s[0:3], 0 offen offset:8
	buffer_load_dword v75, v71, s[0:3], 0 offen offset:12
	buffer_load_dword v78, v71, s[0:3], 0 offen
	buffer_load_dword v79, v71, s[0:3], 0 offen offset:4
	s_waitcnt vmcnt(2) lgkmcnt(0)
	v_mul_f64 v[80:81], v[3:4], v[74:75]
	v_mul_f64 v[74:75], v[1:2], v[74:75]
	s_waitcnt vmcnt(0)
	v_fma_f64 v[1:2], v[1:2], v[78:79], -v[80:81]
	v_fma_f64 v[3:4], v[3:4], v[78:79], v[74:75]
.LBB96_370:
	s_mov_b32 s8, exec_lo
	v_cmpx_ne_u32_e32 14, v0
	s_cbranch_execz .LBB96_374
; %bb.371:
	v_add_nc_u32_e32 v74, 0x220, v77
	v_add3_u32 v75, 0, v77, 16
	v_mov_b32_e32 v76, v0
	s_mov_b32 s40, 0
	.p2align	6
.LBB96_372:                             ; =>This Inner Loop Header: Depth=1
	s_clause 0x3
	buffer_load_dword v82, v75, s[0:3], 0 offen offset:8
	buffer_load_dword v83, v75, s[0:3], 0 offen offset:12
	buffer_load_dword v84, v75, s[0:3], 0 offen
	buffer_load_dword v85, v75, s[0:3], 0 offen offset:4
	ds_read_b128 v[78:81], v74
	v_add_nc_u32_e32 v76, 1, v76
	v_add_nc_u32_e32 v74, 16, v74
	;; [unrolled: 1-line block ×3, first 2 shown]
	v_cmp_lt_u32_e32 vcc_lo, 13, v76
	s_or_b32 s40, vcc_lo, s40
	s_waitcnt vmcnt(2) lgkmcnt(0)
	v_mul_f64 v[86:87], v[80:81], v[82:83]
	v_mul_f64 v[82:83], v[78:79], v[82:83]
	s_waitcnt vmcnt(0)
	v_fma_f64 v[78:79], v[78:79], v[84:85], -v[86:87]
	v_fma_f64 v[80:81], v[80:81], v[84:85], v[82:83]
	v_add_f64 v[1:2], v[1:2], v[78:79]
	v_add_f64 v[3:4], v[3:4], v[80:81]
	s_andn2_b32 exec_lo, exec_lo, s40
	s_cbranch_execnz .LBB96_372
; %bb.373:
	s_or_b32 exec_lo, exec_lo, s40
.LBB96_374:
	s_or_b32 exec_lo, exec_lo, s8
	v_mov_b32_e32 v74, 0
	ds_read_b128 v[78:81], v74 offset:240
	s_waitcnt lgkmcnt(0)
	v_mul_f64 v[74:75], v[3:4], v[80:81]
	v_mul_f64 v[80:81], v[1:2], v[80:81]
	v_fma_f64 v[1:2], v[1:2], v[78:79], -v[74:75]
	v_fma_f64 v[3:4], v[3:4], v[78:79], v[80:81]
	buffer_store_dword v2, off, s[0:3], 0 offset:244
	buffer_store_dword v1, off, s[0:3], 0 offset:240
	;; [unrolled: 1-line block ×4, first 2 shown]
.LBB96_375:
	s_or_b32 exec_lo, exec_lo, s4
	v_mov_b32_e32 v4, s23
	s_mov_b32 s4, exec_lo
	s_clause 0x3
	buffer_load_dword v1, v4, s[0:3], 0 offen
	buffer_load_dword v2, v4, s[0:3], 0 offen offset:4
	buffer_load_dword v3, v4, s[0:3], 0 offen offset:8
	;; [unrolled: 1-line block ×3, first 2 shown]
	s_waitcnt vmcnt(0)
	ds_write_b128 v72, v[1:4]
	s_waitcnt lgkmcnt(0)
	s_waitcnt_vscnt null, 0x0
	s_barrier
	buffer_gl0_inv
	v_cmpx_gt_u32_e32 16, v0
	s_cbranch_execz .LBB96_383
; %bb.376:
	ds_read_b128 v[1:4], v72
	v_cmp_ne_u32_e32 vcc_lo, 1, v73
	s_cbranch_vccnz .LBB96_378
; %bb.377:
	s_clause 0x3
	buffer_load_dword v74, v71, s[0:3], 0 offen offset:8
	buffer_load_dword v75, v71, s[0:3], 0 offen offset:12
	buffer_load_dword v78, v71, s[0:3], 0 offen
	buffer_load_dword v79, v71, s[0:3], 0 offen offset:4
	s_waitcnt vmcnt(2) lgkmcnt(0)
	v_mul_f64 v[80:81], v[3:4], v[74:75]
	v_mul_f64 v[74:75], v[1:2], v[74:75]
	s_waitcnt vmcnt(0)
	v_fma_f64 v[1:2], v[1:2], v[78:79], -v[80:81]
	v_fma_f64 v[3:4], v[3:4], v[78:79], v[74:75]
.LBB96_378:
	s_mov_b32 s8, exec_lo
	v_cmpx_ne_u32_e32 15, v0
	s_cbranch_execz .LBB96_382
; %bb.379:
	v_add_nc_u32_e32 v74, 0x220, v77
	v_add3_u32 v75, 0, v77, 16
	v_mov_b32_e32 v76, v0
	s_mov_b32 s40, 0
	.p2align	6
.LBB96_380:                             ; =>This Inner Loop Header: Depth=1
	s_clause 0x3
	buffer_load_dword v82, v75, s[0:3], 0 offen offset:8
	buffer_load_dword v83, v75, s[0:3], 0 offen offset:12
	buffer_load_dword v84, v75, s[0:3], 0 offen
	buffer_load_dword v85, v75, s[0:3], 0 offen offset:4
	ds_read_b128 v[78:81], v74
	v_add_nc_u32_e32 v76, 1, v76
	v_add_nc_u32_e32 v74, 16, v74
	;; [unrolled: 1-line block ×3, first 2 shown]
	v_cmp_lt_u32_e32 vcc_lo, 14, v76
	s_or_b32 s40, vcc_lo, s40
	s_waitcnt vmcnt(2) lgkmcnt(0)
	v_mul_f64 v[86:87], v[80:81], v[82:83]
	v_mul_f64 v[82:83], v[78:79], v[82:83]
	s_waitcnt vmcnt(0)
	v_fma_f64 v[78:79], v[78:79], v[84:85], -v[86:87]
	v_fma_f64 v[80:81], v[80:81], v[84:85], v[82:83]
	v_add_f64 v[1:2], v[1:2], v[78:79]
	v_add_f64 v[3:4], v[3:4], v[80:81]
	s_andn2_b32 exec_lo, exec_lo, s40
	s_cbranch_execnz .LBB96_380
; %bb.381:
	s_or_b32 exec_lo, exec_lo, s40
.LBB96_382:
	s_or_b32 exec_lo, exec_lo, s8
	v_mov_b32_e32 v74, 0
	ds_read_b128 v[78:81], v74 offset:256
	s_waitcnt lgkmcnt(0)
	v_mul_f64 v[74:75], v[3:4], v[80:81]
	v_mul_f64 v[80:81], v[1:2], v[80:81]
	v_fma_f64 v[1:2], v[1:2], v[78:79], -v[74:75]
	v_fma_f64 v[3:4], v[3:4], v[78:79], v[80:81]
	buffer_store_dword v2, off, s[0:3], 0 offset:260
	buffer_store_dword v1, off, s[0:3], 0 offset:256
	;; [unrolled: 1-line block ×4, first 2 shown]
.LBB96_383:
	s_or_b32 exec_lo, exec_lo, s4
	v_mov_b32_e32 v4, s22
	s_mov_b32 s4, exec_lo
	s_clause 0x3
	buffer_load_dword v1, v4, s[0:3], 0 offen
	buffer_load_dword v2, v4, s[0:3], 0 offen offset:4
	buffer_load_dword v3, v4, s[0:3], 0 offen offset:8
	;; [unrolled: 1-line block ×3, first 2 shown]
	s_waitcnt vmcnt(0)
	ds_write_b128 v72, v[1:4]
	s_waitcnt lgkmcnt(0)
	s_waitcnt_vscnt null, 0x0
	s_barrier
	buffer_gl0_inv
	v_cmpx_gt_u32_e32 17, v0
	s_cbranch_execz .LBB96_391
; %bb.384:
	ds_read_b128 v[1:4], v72
	v_cmp_ne_u32_e32 vcc_lo, 1, v73
	s_cbranch_vccnz .LBB96_386
; %bb.385:
	s_clause 0x3
	buffer_load_dword v74, v71, s[0:3], 0 offen offset:8
	buffer_load_dword v75, v71, s[0:3], 0 offen offset:12
	buffer_load_dword v78, v71, s[0:3], 0 offen
	buffer_load_dword v79, v71, s[0:3], 0 offen offset:4
	s_waitcnt vmcnt(2) lgkmcnt(0)
	v_mul_f64 v[80:81], v[3:4], v[74:75]
	v_mul_f64 v[74:75], v[1:2], v[74:75]
	s_waitcnt vmcnt(0)
	v_fma_f64 v[1:2], v[1:2], v[78:79], -v[80:81]
	v_fma_f64 v[3:4], v[3:4], v[78:79], v[74:75]
.LBB96_386:
	s_mov_b32 s8, exec_lo
	v_cmpx_ne_u32_e32 16, v0
	s_cbranch_execz .LBB96_390
; %bb.387:
	v_add_nc_u32_e32 v74, 0x220, v77
	v_add3_u32 v75, 0, v77, 16
	v_mov_b32_e32 v76, v0
	s_mov_b32 s40, 0
	.p2align	6
.LBB96_388:                             ; =>This Inner Loop Header: Depth=1
	s_clause 0x3
	buffer_load_dword v82, v75, s[0:3], 0 offen offset:8
	buffer_load_dword v83, v75, s[0:3], 0 offen offset:12
	buffer_load_dword v84, v75, s[0:3], 0 offen
	buffer_load_dword v85, v75, s[0:3], 0 offen offset:4
	ds_read_b128 v[78:81], v74
	v_add_nc_u32_e32 v76, 1, v76
	v_add_nc_u32_e32 v74, 16, v74
	;; [unrolled: 1-line block ×3, first 2 shown]
	v_cmp_lt_u32_e32 vcc_lo, 15, v76
	s_or_b32 s40, vcc_lo, s40
	s_waitcnt vmcnt(2) lgkmcnt(0)
	v_mul_f64 v[86:87], v[80:81], v[82:83]
	v_mul_f64 v[82:83], v[78:79], v[82:83]
	s_waitcnt vmcnt(0)
	v_fma_f64 v[78:79], v[78:79], v[84:85], -v[86:87]
	v_fma_f64 v[80:81], v[80:81], v[84:85], v[82:83]
	v_add_f64 v[1:2], v[1:2], v[78:79]
	v_add_f64 v[3:4], v[3:4], v[80:81]
	s_andn2_b32 exec_lo, exec_lo, s40
	s_cbranch_execnz .LBB96_388
; %bb.389:
	s_or_b32 exec_lo, exec_lo, s40
.LBB96_390:
	s_or_b32 exec_lo, exec_lo, s8
	v_mov_b32_e32 v74, 0
	ds_read_b128 v[78:81], v74 offset:272
	s_waitcnt lgkmcnt(0)
	v_mul_f64 v[74:75], v[3:4], v[80:81]
	v_mul_f64 v[80:81], v[1:2], v[80:81]
	v_fma_f64 v[1:2], v[1:2], v[78:79], -v[74:75]
	v_fma_f64 v[3:4], v[3:4], v[78:79], v[80:81]
	buffer_store_dword v2, off, s[0:3], 0 offset:276
	buffer_store_dword v1, off, s[0:3], 0 offset:272
	;; [unrolled: 1-line block ×4, first 2 shown]
.LBB96_391:
	s_or_b32 exec_lo, exec_lo, s4
	v_mov_b32_e32 v4, s21
	s_mov_b32 s4, exec_lo
	s_clause 0x3
	buffer_load_dword v1, v4, s[0:3], 0 offen
	buffer_load_dword v2, v4, s[0:3], 0 offen offset:4
	buffer_load_dword v3, v4, s[0:3], 0 offen offset:8
	;; [unrolled: 1-line block ×3, first 2 shown]
	s_waitcnt vmcnt(0)
	ds_write_b128 v72, v[1:4]
	s_waitcnt lgkmcnt(0)
	s_waitcnt_vscnt null, 0x0
	s_barrier
	buffer_gl0_inv
	v_cmpx_gt_u32_e32 18, v0
	s_cbranch_execz .LBB96_399
; %bb.392:
	ds_read_b128 v[1:4], v72
	v_cmp_ne_u32_e32 vcc_lo, 1, v73
	s_cbranch_vccnz .LBB96_394
; %bb.393:
	s_clause 0x3
	buffer_load_dword v74, v71, s[0:3], 0 offen offset:8
	buffer_load_dword v75, v71, s[0:3], 0 offen offset:12
	buffer_load_dword v78, v71, s[0:3], 0 offen
	buffer_load_dword v79, v71, s[0:3], 0 offen offset:4
	s_waitcnt vmcnt(2) lgkmcnt(0)
	v_mul_f64 v[80:81], v[3:4], v[74:75]
	v_mul_f64 v[74:75], v[1:2], v[74:75]
	s_waitcnt vmcnt(0)
	v_fma_f64 v[1:2], v[1:2], v[78:79], -v[80:81]
	v_fma_f64 v[3:4], v[3:4], v[78:79], v[74:75]
.LBB96_394:
	s_mov_b32 s8, exec_lo
	v_cmpx_ne_u32_e32 17, v0
	s_cbranch_execz .LBB96_398
; %bb.395:
	v_add_nc_u32_e32 v74, 0x220, v77
	v_add3_u32 v75, 0, v77, 16
	v_mov_b32_e32 v76, v0
	s_mov_b32 s40, 0
	.p2align	6
.LBB96_396:                             ; =>This Inner Loop Header: Depth=1
	s_clause 0x3
	buffer_load_dword v82, v75, s[0:3], 0 offen offset:8
	buffer_load_dword v83, v75, s[0:3], 0 offen offset:12
	buffer_load_dword v84, v75, s[0:3], 0 offen
	buffer_load_dword v85, v75, s[0:3], 0 offen offset:4
	ds_read_b128 v[78:81], v74
	v_add_nc_u32_e32 v76, 1, v76
	v_add_nc_u32_e32 v74, 16, v74
	;; [unrolled: 1-line block ×3, first 2 shown]
	v_cmp_lt_u32_e32 vcc_lo, 16, v76
	s_or_b32 s40, vcc_lo, s40
	s_waitcnt vmcnt(2) lgkmcnt(0)
	v_mul_f64 v[86:87], v[80:81], v[82:83]
	v_mul_f64 v[82:83], v[78:79], v[82:83]
	s_waitcnt vmcnt(0)
	v_fma_f64 v[78:79], v[78:79], v[84:85], -v[86:87]
	v_fma_f64 v[80:81], v[80:81], v[84:85], v[82:83]
	v_add_f64 v[1:2], v[1:2], v[78:79]
	v_add_f64 v[3:4], v[3:4], v[80:81]
	s_andn2_b32 exec_lo, exec_lo, s40
	s_cbranch_execnz .LBB96_396
; %bb.397:
	s_or_b32 exec_lo, exec_lo, s40
.LBB96_398:
	s_or_b32 exec_lo, exec_lo, s8
	v_mov_b32_e32 v74, 0
	ds_read_b128 v[78:81], v74 offset:288
	s_waitcnt lgkmcnt(0)
	v_mul_f64 v[74:75], v[3:4], v[80:81]
	v_mul_f64 v[80:81], v[1:2], v[80:81]
	v_fma_f64 v[1:2], v[1:2], v[78:79], -v[74:75]
	v_fma_f64 v[3:4], v[3:4], v[78:79], v[80:81]
	buffer_store_dword v2, off, s[0:3], 0 offset:292
	buffer_store_dword v1, off, s[0:3], 0 offset:288
	;; [unrolled: 1-line block ×4, first 2 shown]
.LBB96_399:
	s_or_b32 exec_lo, exec_lo, s4
	v_mov_b32_e32 v4, s20
	s_mov_b32 s4, exec_lo
	s_clause 0x3
	buffer_load_dword v1, v4, s[0:3], 0 offen
	buffer_load_dword v2, v4, s[0:3], 0 offen offset:4
	buffer_load_dword v3, v4, s[0:3], 0 offen offset:8
	;; [unrolled: 1-line block ×3, first 2 shown]
	s_waitcnt vmcnt(0)
	ds_write_b128 v72, v[1:4]
	s_waitcnt lgkmcnt(0)
	s_waitcnt_vscnt null, 0x0
	s_barrier
	buffer_gl0_inv
	v_cmpx_gt_u32_e32 19, v0
	s_cbranch_execz .LBB96_407
; %bb.400:
	ds_read_b128 v[1:4], v72
	v_cmp_ne_u32_e32 vcc_lo, 1, v73
	s_cbranch_vccnz .LBB96_402
; %bb.401:
	s_clause 0x3
	buffer_load_dword v74, v71, s[0:3], 0 offen offset:8
	buffer_load_dword v75, v71, s[0:3], 0 offen offset:12
	buffer_load_dword v78, v71, s[0:3], 0 offen
	buffer_load_dword v79, v71, s[0:3], 0 offen offset:4
	s_waitcnt vmcnt(2) lgkmcnt(0)
	v_mul_f64 v[80:81], v[3:4], v[74:75]
	v_mul_f64 v[74:75], v[1:2], v[74:75]
	s_waitcnt vmcnt(0)
	v_fma_f64 v[1:2], v[1:2], v[78:79], -v[80:81]
	v_fma_f64 v[3:4], v[3:4], v[78:79], v[74:75]
.LBB96_402:
	s_mov_b32 s8, exec_lo
	v_cmpx_ne_u32_e32 18, v0
	s_cbranch_execz .LBB96_406
; %bb.403:
	v_add_nc_u32_e32 v74, 0x220, v77
	v_add3_u32 v75, 0, v77, 16
	v_mov_b32_e32 v76, v0
	s_mov_b32 s40, 0
	.p2align	6
.LBB96_404:                             ; =>This Inner Loop Header: Depth=1
	s_clause 0x3
	buffer_load_dword v82, v75, s[0:3], 0 offen offset:8
	buffer_load_dword v83, v75, s[0:3], 0 offen offset:12
	buffer_load_dword v84, v75, s[0:3], 0 offen
	buffer_load_dword v85, v75, s[0:3], 0 offen offset:4
	ds_read_b128 v[78:81], v74
	v_add_nc_u32_e32 v76, 1, v76
	v_add_nc_u32_e32 v74, 16, v74
	;; [unrolled: 1-line block ×3, first 2 shown]
	v_cmp_lt_u32_e32 vcc_lo, 17, v76
	s_or_b32 s40, vcc_lo, s40
	s_waitcnt vmcnt(2) lgkmcnt(0)
	v_mul_f64 v[86:87], v[80:81], v[82:83]
	v_mul_f64 v[82:83], v[78:79], v[82:83]
	s_waitcnt vmcnt(0)
	v_fma_f64 v[78:79], v[78:79], v[84:85], -v[86:87]
	v_fma_f64 v[80:81], v[80:81], v[84:85], v[82:83]
	v_add_f64 v[1:2], v[1:2], v[78:79]
	v_add_f64 v[3:4], v[3:4], v[80:81]
	s_andn2_b32 exec_lo, exec_lo, s40
	s_cbranch_execnz .LBB96_404
; %bb.405:
	s_or_b32 exec_lo, exec_lo, s40
.LBB96_406:
	s_or_b32 exec_lo, exec_lo, s8
	v_mov_b32_e32 v74, 0
	ds_read_b128 v[78:81], v74 offset:304
	s_waitcnt lgkmcnt(0)
	v_mul_f64 v[74:75], v[3:4], v[80:81]
	v_mul_f64 v[80:81], v[1:2], v[80:81]
	v_fma_f64 v[1:2], v[1:2], v[78:79], -v[74:75]
	v_fma_f64 v[3:4], v[3:4], v[78:79], v[80:81]
	buffer_store_dword v2, off, s[0:3], 0 offset:308
	buffer_store_dword v1, off, s[0:3], 0 offset:304
	;; [unrolled: 1-line block ×4, first 2 shown]
.LBB96_407:
	s_or_b32 exec_lo, exec_lo, s4
	v_mov_b32_e32 v4, s19
	s_mov_b32 s4, exec_lo
	s_clause 0x3
	buffer_load_dword v1, v4, s[0:3], 0 offen
	buffer_load_dword v2, v4, s[0:3], 0 offen offset:4
	buffer_load_dword v3, v4, s[0:3], 0 offen offset:8
	;; [unrolled: 1-line block ×3, first 2 shown]
	s_waitcnt vmcnt(0)
	ds_write_b128 v72, v[1:4]
	s_waitcnt lgkmcnt(0)
	s_waitcnt_vscnt null, 0x0
	s_barrier
	buffer_gl0_inv
	v_cmpx_gt_u32_e32 20, v0
	s_cbranch_execz .LBB96_415
; %bb.408:
	ds_read_b128 v[1:4], v72
	v_cmp_ne_u32_e32 vcc_lo, 1, v73
	s_cbranch_vccnz .LBB96_410
; %bb.409:
	s_clause 0x3
	buffer_load_dword v74, v71, s[0:3], 0 offen offset:8
	buffer_load_dword v75, v71, s[0:3], 0 offen offset:12
	buffer_load_dword v78, v71, s[0:3], 0 offen
	buffer_load_dword v79, v71, s[0:3], 0 offen offset:4
	s_waitcnt vmcnt(2) lgkmcnt(0)
	v_mul_f64 v[80:81], v[3:4], v[74:75]
	v_mul_f64 v[74:75], v[1:2], v[74:75]
	s_waitcnt vmcnt(0)
	v_fma_f64 v[1:2], v[1:2], v[78:79], -v[80:81]
	v_fma_f64 v[3:4], v[3:4], v[78:79], v[74:75]
.LBB96_410:
	s_mov_b32 s8, exec_lo
	v_cmpx_ne_u32_e32 19, v0
	s_cbranch_execz .LBB96_414
; %bb.411:
	v_add_nc_u32_e32 v74, 0x220, v77
	v_add3_u32 v75, 0, v77, 16
	v_mov_b32_e32 v76, v0
	s_mov_b32 s40, 0
	.p2align	6
.LBB96_412:                             ; =>This Inner Loop Header: Depth=1
	s_clause 0x3
	buffer_load_dword v82, v75, s[0:3], 0 offen offset:8
	buffer_load_dword v83, v75, s[0:3], 0 offen offset:12
	buffer_load_dword v84, v75, s[0:3], 0 offen
	buffer_load_dword v85, v75, s[0:3], 0 offen offset:4
	ds_read_b128 v[78:81], v74
	v_add_nc_u32_e32 v76, 1, v76
	v_add_nc_u32_e32 v74, 16, v74
	;; [unrolled: 1-line block ×3, first 2 shown]
	v_cmp_lt_u32_e32 vcc_lo, 18, v76
	s_or_b32 s40, vcc_lo, s40
	s_waitcnt vmcnt(2) lgkmcnt(0)
	v_mul_f64 v[86:87], v[80:81], v[82:83]
	v_mul_f64 v[82:83], v[78:79], v[82:83]
	s_waitcnt vmcnt(0)
	v_fma_f64 v[78:79], v[78:79], v[84:85], -v[86:87]
	v_fma_f64 v[80:81], v[80:81], v[84:85], v[82:83]
	v_add_f64 v[1:2], v[1:2], v[78:79]
	v_add_f64 v[3:4], v[3:4], v[80:81]
	s_andn2_b32 exec_lo, exec_lo, s40
	s_cbranch_execnz .LBB96_412
; %bb.413:
	s_or_b32 exec_lo, exec_lo, s40
.LBB96_414:
	s_or_b32 exec_lo, exec_lo, s8
	v_mov_b32_e32 v74, 0
	ds_read_b128 v[78:81], v74 offset:320
	s_waitcnt lgkmcnt(0)
	v_mul_f64 v[74:75], v[3:4], v[80:81]
	v_mul_f64 v[80:81], v[1:2], v[80:81]
	v_fma_f64 v[1:2], v[1:2], v[78:79], -v[74:75]
	v_fma_f64 v[3:4], v[3:4], v[78:79], v[80:81]
	buffer_store_dword v2, off, s[0:3], 0 offset:324
	buffer_store_dword v1, off, s[0:3], 0 offset:320
	;; [unrolled: 1-line block ×4, first 2 shown]
.LBB96_415:
	s_or_b32 exec_lo, exec_lo, s4
	v_mov_b32_e32 v4, s18
	s_mov_b32 s4, exec_lo
	s_clause 0x3
	buffer_load_dword v1, v4, s[0:3], 0 offen
	buffer_load_dword v2, v4, s[0:3], 0 offen offset:4
	buffer_load_dword v3, v4, s[0:3], 0 offen offset:8
	;; [unrolled: 1-line block ×3, first 2 shown]
	s_waitcnt vmcnt(0)
	ds_write_b128 v72, v[1:4]
	s_waitcnt lgkmcnt(0)
	s_waitcnt_vscnt null, 0x0
	s_barrier
	buffer_gl0_inv
	v_cmpx_gt_u32_e32 21, v0
	s_cbranch_execz .LBB96_423
; %bb.416:
	ds_read_b128 v[1:4], v72
	v_cmp_ne_u32_e32 vcc_lo, 1, v73
	s_cbranch_vccnz .LBB96_418
; %bb.417:
	s_clause 0x3
	buffer_load_dword v74, v71, s[0:3], 0 offen offset:8
	buffer_load_dword v75, v71, s[0:3], 0 offen offset:12
	buffer_load_dword v78, v71, s[0:3], 0 offen
	buffer_load_dword v79, v71, s[0:3], 0 offen offset:4
	s_waitcnt vmcnt(2) lgkmcnt(0)
	v_mul_f64 v[80:81], v[3:4], v[74:75]
	v_mul_f64 v[74:75], v[1:2], v[74:75]
	s_waitcnt vmcnt(0)
	v_fma_f64 v[1:2], v[1:2], v[78:79], -v[80:81]
	v_fma_f64 v[3:4], v[3:4], v[78:79], v[74:75]
.LBB96_418:
	s_mov_b32 s8, exec_lo
	v_cmpx_ne_u32_e32 20, v0
	s_cbranch_execz .LBB96_422
; %bb.419:
	v_add_nc_u32_e32 v74, 0x220, v77
	v_add3_u32 v75, 0, v77, 16
	v_mov_b32_e32 v76, v0
	s_mov_b32 s40, 0
	.p2align	6
.LBB96_420:                             ; =>This Inner Loop Header: Depth=1
	s_clause 0x3
	buffer_load_dword v82, v75, s[0:3], 0 offen offset:8
	buffer_load_dword v83, v75, s[0:3], 0 offen offset:12
	buffer_load_dword v84, v75, s[0:3], 0 offen
	buffer_load_dword v85, v75, s[0:3], 0 offen offset:4
	ds_read_b128 v[78:81], v74
	v_add_nc_u32_e32 v76, 1, v76
	v_add_nc_u32_e32 v74, 16, v74
	v_add_nc_u32_e32 v75, 16, v75
	v_cmp_lt_u32_e32 vcc_lo, 19, v76
	s_or_b32 s40, vcc_lo, s40
	s_waitcnt vmcnt(2) lgkmcnt(0)
	v_mul_f64 v[86:87], v[80:81], v[82:83]
	v_mul_f64 v[82:83], v[78:79], v[82:83]
	s_waitcnt vmcnt(0)
	v_fma_f64 v[78:79], v[78:79], v[84:85], -v[86:87]
	v_fma_f64 v[80:81], v[80:81], v[84:85], v[82:83]
	v_add_f64 v[1:2], v[1:2], v[78:79]
	v_add_f64 v[3:4], v[3:4], v[80:81]
	s_andn2_b32 exec_lo, exec_lo, s40
	s_cbranch_execnz .LBB96_420
; %bb.421:
	s_or_b32 exec_lo, exec_lo, s40
.LBB96_422:
	s_or_b32 exec_lo, exec_lo, s8
	v_mov_b32_e32 v74, 0
	ds_read_b128 v[78:81], v74 offset:336
	s_waitcnt lgkmcnt(0)
	v_mul_f64 v[74:75], v[3:4], v[80:81]
	v_mul_f64 v[80:81], v[1:2], v[80:81]
	v_fma_f64 v[1:2], v[1:2], v[78:79], -v[74:75]
	v_fma_f64 v[3:4], v[3:4], v[78:79], v[80:81]
	buffer_store_dword v2, off, s[0:3], 0 offset:340
	buffer_store_dword v1, off, s[0:3], 0 offset:336
	;; [unrolled: 1-line block ×4, first 2 shown]
.LBB96_423:
	s_or_b32 exec_lo, exec_lo, s4
	v_mov_b32_e32 v4, s17
	s_mov_b32 s4, exec_lo
	s_clause 0x3
	buffer_load_dword v1, v4, s[0:3], 0 offen
	buffer_load_dword v2, v4, s[0:3], 0 offen offset:4
	buffer_load_dword v3, v4, s[0:3], 0 offen offset:8
	;; [unrolled: 1-line block ×3, first 2 shown]
	s_waitcnt vmcnt(0)
	ds_write_b128 v72, v[1:4]
	s_waitcnt lgkmcnt(0)
	s_waitcnt_vscnt null, 0x0
	s_barrier
	buffer_gl0_inv
	v_cmpx_gt_u32_e32 22, v0
	s_cbranch_execz .LBB96_431
; %bb.424:
	ds_read_b128 v[1:4], v72
	v_cmp_ne_u32_e32 vcc_lo, 1, v73
	s_cbranch_vccnz .LBB96_426
; %bb.425:
	s_clause 0x3
	buffer_load_dword v74, v71, s[0:3], 0 offen offset:8
	buffer_load_dword v75, v71, s[0:3], 0 offen offset:12
	buffer_load_dword v78, v71, s[0:3], 0 offen
	buffer_load_dword v79, v71, s[0:3], 0 offen offset:4
	s_waitcnt vmcnt(2) lgkmcnt(0)
	v_mul_f64 v[80:81], v[3:4], v[74:75]
	v_mul_f64 v[74:75], v[1:2], v[74:75]
	s_waitcnt vmcnt(0)
	v_fma_f64 v[1:2], v[1:2], v[78:79], -v[80:81]
	v_fma_f64 v[3:4], v[3:4], v[78:79], v[74:75]
.LBB96_426:
	s_mov_b32 s8, exec_lo
	v_cmpx_ne_u32_e32 21, v0
	s_cbranch_execz .LBB96_430
; %bb.427:
	v_add_nc_u32_e32 v74, 0x220, v77
	v_add3_u32 v75, 0, v77, 16
	v_mov_b32_e32 v76, v0
	s_mov_b32 s40, 0
	.p2align	6
.LBB96_428:                             ; =>This Inner Loop Header: Depth=1
	s_clause 0x3
	buffer_load_dword v82, v75, s[0:3], 0 offen offset:8
	buffer_load_dword v83, v75, s[0:3], 0 offen offset:12
	buffer_load_dword v84, v75, s[0:3], 0 offen
	buffer_load_dword v85, v75, s[0:3], 0 offen offset:4
	ds_read_b128 v[78:81], v74
	v_add_nc_u32_e32 v76, 1, v76
	v_add_nc_u32_e32 v74, 16, v74
	;; [unrolled: 1-line block ×3, first 2 shown]
	v_cmp_lt_u32_e32 vcc_lo, 20, v76
	s_or_b32 s40, vcc_lo, s40
	s_waitcnt vmcnt(2) lgkmcnt(0)
	v_mul_f64 v[86:87], v[80:81], v[82:83]
	v_mul_f64 v[82:83], v[78:79], v[82:83]
	s_waitcnt vmcnt(0)
	v_fma_f64 v[78:79], v[78:79], v[84:85], -v[86:87]
	v_fma_f64 v[80:81], v[80:81], v[84:85], v[82:83]
	v_add_f64 v[1:2], v[1:2], v[78:79]
	v_add_f64 v[3:4], v[3:4], v[80:81]
	s_andn2_b32 exec_lo, exec_lo, s40
	s_cbranch_execnz .LBB96_428
; %bb.429:
	s_or_b32 exec_lo, exec_lo, s40
.LBB96_430:
	s_or_b32 exec_lo, exec_lo, s8
	v_mov_b32_e32 v74, 0
	ds_read_b128 v[78:81], v74 offset:352
	s_waitcnt lgkmcnt(0)
	v_mul_f64 v[74:75], v[3:4], v[80:81]
	v_mul_f64 v[80:81], v[1:2], v[80:81]
	v_fma_f64 v[1:2], v[1:2], v[78:79], -v[74:75]
	v_fma_f64 v[3:4], v[3:4], v[78:79], v[80:81]
	buffer_store_dword v2, off, s[0:3], 0 offset:356
	buffer_store_dword v1, off, s[0:3], 0 offset:352
	;; [unrolled: 1-line block ×4, first 2 shown]
.LBB96_431:
	s_or_b32 exec_lo, exec_lo, s4
	v_mov_b32_e32 v4, s16
	s_mov_b32 s4, exec_lo
	s_clause 0x3
	buffer_load_dword v1, v4, s[0:3], 0 offen
	buffer_load_dword v2, v4, s[0:3], 0 offen offset:4
	buffer_load_dword v3, v4, s[0:3], 0 offen offset:8
	buffer_load_dword v4, v4, s[0:3], 0 offen offset:12
	s_waitcnt vmcnt(0)
	ds_write_b128 v72, v[1:4]
	s_waitcnt lgkmcnt(0)
	s_waitcnt_vscnt null, 0x0
	s_barrier
	buffer_gl0_inv
	v_cmpx_gt_u32_e32 23, v0
	s_cbranch_execz .LBB96_439
; %bb.432:
	ds_read_b128 v[1:4], v72
	v_cmp_ne_u32_e32 vcc_lo, 1, v73
	s_cbranch_vccnz .LBB96_434
; %bb.433:
	s_clause 0x3
	buffer_load_dword v74, v71, s[0:3], 0 offen offset:8
	buffer_load_dword v75, v71, s[0:3], 0 offen offset:12
	buffer_load_dword v78, v71, s[0:3], 0 offen
	buffer_load_dword v79, v71, s[0:3], 0 offen offset:4
	s_waitcnt vmcnt(2) lgkmcnt(0)
	v_mul_f64 v[80:81], v[3:4], v[74:75]
	v_mul_f64 v[74:75], v[1:2], v[74:75]
	s_waitcnt vmcnt(0)
	v_fma_f64 v[1:2], v[1:2], v[78:79], -v[80:81]
	v_fma_f64 v[3:4], v[3:4], v[78:79], v[74:75]
.LBB96_434:
	s_mov_b32 s8, exec_lo
	v_cmpx_ne_u32_e32 22, v0
	s_cbranch_execz .LBB96_438
; %bb.435:
	v_add_nc_u32_e32 v74, 0x220, v77
	v_add3_u32 v75, 0, v77, 16
	v_mov_b32_e32 v76, v0
	s_mov_b32 s40, 0
	.p2align	6
.LBB96_436:                             ; =>This Inner Loop Header: Depth=1
	s_clause 0x3
	buffer_load_dword v82, v75, s[0:3], 0 offen offset:8
	buffer_load_dword v83, v75, s[0:3], 0 offen offset:12
	buffer_load_dword v84, v75, s[0:3], 0 offen
	buffer_load_dword v85, v75, s[0:3], 0 offen offset:4
	ds_read_b128 v[78:81], v74
	v_add_nc_u32_e32 v76, 1, v76
	v_add_nc_u32_e32 v74, 16, v74
	;; [unrolled: 1-line block ×3, first 2 shown]
	v_cmp_lt_u32_e32 vcc_lo, 21, v76
	s_or_b32 s40, vcc_lo, s40
	s_waitcnt vmcnt(2) lgkmcnt(0)
	v_mul_f64 v[86:87], v[80:81], v[82:83]
	v_mul_f64 v[82:83], v[78:79], v[82:83]
	s_waitcnt vmcnt(0)
	v_fma_f64 v[78:79], v[78:79], v[84:85], -v[86:87]
	v_fma_f64 v[80:81], v[80:81], v[84:85], v[82:83]
	v_add_f64 v[1:2], v[1:2], v[78:79]
	v_add_f64 v[3:4], v[3:4], v[80:81]
	s_andn2_b32 exec_lo, exec_lo, s40
	s_cbranch_execnz .LBB96_436
; %bb.437:
	s_or_b32 exec_lo, exec_lo, s40
.LBB96_438:
	s_or_b32 exec_lo, exec_lo, s8
	v_mov_b32_e32 v74, 0
	ds_read_b128 v[78:81], v74 offset:368
	s_waitcnt lgkmcnt(0)
	v_mul_f64 v[74:75], v[3:4], v[80:81]
	v_mul_f64 v[80:81], v[1:2], v[80:81]
	v_fma_f64 v[1:2], v[1:2], v[78:79], -v[74:75]
	v_fma_f64 v[3:4], v[3:4], v[78:79], v[80:81]
	buffer_store_dword v2, off, s[0:3], 0 offset:372
	buffer_store_dword v1, off, s[0:3], 0 offset:368
	;; [unrolled: 1-line block ×4, first 2 shown]
.LBB96_439:
	s_or_b32 exec_lo, exec_lo, s4
	v_mov_b32_e32 v4, s15
	s_mov_b32 s4, exec_lo
	s_clause 0x3
	buffer_load_dword v1, v4, s[0:3], 0 offen
	buffer_load_dword v2, v4, s[0:3], 0 offen offset:4
	buffer_load_dword v3, v4, s[0:3], 0 offen offset:8
	;; [unrolled: 1-line block ×3, first 2 shown]
	s_waitcnt vmcnt(0)
	ds_write_b128 v72, v[1:4]
	s_waitcnt lgkmcnt(0)
	s_waitcnt_vscnt null, 0x0
	s_barrier
	buffer_gl0_inv
	v_cmpx_gt_u32_e32 24, v0
	s_cbranch_execz .LBB96_447
; %bb.440:
	ds_read_b128 v[1:4], v72
	v_cmp_ne_u32_e32 vcc_lo, 1, v73
	s_cbranch_vccnz .LBB96_442
; %bb.441:
	s_clause 0x3
	buffer_load_dword v74, v71, s[0:3], 0 offen offset:8
	buffer_load_dword v75, v71, s[0:3], 0 offen offset:12
	buffer_load_dword v78, v71, s[0:3], 0 offen
	buffer_load_dword v79, v71, s[0:3], 0 offen offset:4
	s_waitcnt vmcnt(2) lgkmcnt(0)
	v_mul_f64 v[80:81], v[3:4], v[74:75]
	v_mul_f64 v[74:75], v[1:2], v[74:75]
	s_waitcnt vmcnt(0)
	v_fma_f64 v[1:2], v[1:2], v[78:79], -v[80:81]
	v_fma_f64 v[3:4], v[3:4], v[78:79], v[74:75]
.LBB96_442:
	s_mov_b32 s8, exec_lo
	v_cmpx_ne_u32_e32 23, v0
	s_cbranch_execz .LBB96_446
; %bb.443:
	v_add_nc_u32_e32 v74, 0x220, v77
	v_add3_u32 v75, 0, v77, 16
	v_mov_b32_e32 v76, v0
	s_mov_b32 s40, 0
	.p2align	6
.LBB96_444:                             ; =>This Inner Loop Header: Depth=1
	s_clause 0x3
	buffer_load_dword v82, v75, s[0:3], 0 offen offset:8
	buffer_load_dword v83, v75, s[0:3], 0 offen offset:12
	buffer_load_dword v84, v75, s[0:3], 0 offen
	buffer_load_dword v85, v75, s[0:3], 0 offen offset:4
	ds_read_b128 v[78:81], v74
	v_add_nc_u32_e32 v76, 1, v76
	v_add_nc_u32_e32 v74, 16, v74
	;; [unrolled: 1-line block ×3, first 2 shown]
	v_cmp_lt_u32_e32 vcc_lo, 22, v76
	s_or_b32 s40, vcc_lo, s40
	s_waitcnt vmcnt(2) lgkmcnt(0)
	v_mul_f64 v[86:87], v[80:81], v[82:83]
	v_mul_f64 v[82:83], v[78:79], v[82:83]
	s_waitcnt vmcnt(0)
	v_fma_f64 v[78:79], v[78:79], v[84:85], -v[86:87]
	v_fma_f64 v[80:81], v[80:81], v[84:85], v[82:83]
	v_add_f64 v[1:2], v[1:2], v[78:79]
	v_add_f64 v[3:4], v[3:4], v[80:81]
	s_andn2_b32 exec_lo, exec_lo, s40
	s_cbranch_execnz .LBB96_444
; %bb.445:
	s_or_b32 exec_lo, exec_lo, s40
.LBB96_446:
	s_or_b32 exec_lo, exec_lo, s8
	v_mov_b32_e32 v74, 0
	ds_read_b128 v[78:81], v74 offset:384
	s_waitcnt lgkmcnt(0)
	v_mul_f64 v[74:75], v[3:4], v[80:81]
	v_mul_f64 v[80:81], v[1:2], v[80:81]
	v_fma_f64 v[1:2], v[1:2], v[78:79], -v[74:75]
	v_fma_f64 v[3:4], v[3:4], v[78:79], v[80:81]
	buffer_store_dword v2, off, s[0:3], 0 offset:388
	buffer_store_dword v1, off, s[0:3], 0 offset:384
	;; [unrolled: 1-line block ×4, first 2 shown]
.LBB96_447:
	s_or_b32 exec_lo, exec_lo, s4
	v_mov_b32_e32 v4, s14
	s_mov_b32 s4, exec_lo
	s_clause 0x3
	buffer_load_dword v1, v4, s[0:3], 0 offen
	buffer_load_dword v2, v4, s[0:3], 0 offen offset:4
	buffer_load_dword v3, v4, s[0:3], 0 offen offset:8
	buffer_load_dword v4, v4, s[0:3], 0 offen offset:12
	s_waitcnt vmcnt(0)
	ds_write_b128 v72, v[1:4]
	s_waitcnt lgkmcnt(0)
	s_waitcnt_vscnt null, 0x0
	s_barrier
	buffer_gl0_inv
	v_cmpx_gt_u32_e32 25, v0
	s_cbranch_execz .LBB96_455
; %bb.448:
	ds_read_b128 v[1:4], v72
	v_cmp_ne_u32_e32 vcc_lo, 1, v73
	s_cbranch_vccnz .LBB96_450
; %bb.449:
	s_clause 0x3
	buffer_load_dword v74, v71, s[0:3], 0 offen offset:8
	buffer_load_dword v75, v71, s[0:3], 0 offen offset:12
	buffer_load_dword v78, v71, s[0:3], 0 offen
	buffer_load_dword v79, v71, s[0:3], 0 offen offset:4
	s_waitcnt vmcnt(2) lgkmcnt(0)
	v_mul_f64 v[80:81], v[3:4], v[74:75]
	v_mul_f64 v[74:75], v[1:2], v[74:75]
	s_waitcnt vmcnt(0)
	v_fma_f64 v[1:2], v[1:2], v[78:79], -v[80:81]
	v_fma_f64 v[3:4], v[3:4], v[78:79], v[74:75]
.LBB96_450:
	s_mov_b32 s8, exec_lo
	v_cmpx_ne_u32_e32 24, v0
	s_cbranch_execz .LBB96_454
; %bb.451:
	v_add_nc_u32_e32 v74, 0x220, v77
	v_add3_u32 v75, 0, v77, 16
	v_mov_b32_e32 v76, v0
	s_mov_b32 s40, 0
	.p2align	6
.LBB96_452:                             ; =>This Inner Loop Header: Depth=1
	s_clause 0x3
	buffer_load_dword v82, v75, s[0:3], 0 offen offset:8
	buffer_load_dword v83, v75, s[0:3], 0 offen offset:12
	buffer_load_dword v84, v75, s[0:3], 0 offen
	buffer_load_dword v85, v75, s[0:3], 0 offen offset:4
	ds_read_b128 v[78:81], v74
	v_add_nc_u32_e32 v76, 1, v76
	v_add_nc_u32_e32 v74, 16, v74
	;; [unrolled: 1-line block ×3, first 2 shown]
	v_cmp_lt_u32_e32 vcc_lo, 23, v76
	s_or_b32 s40, vcc_lo, s40
	s_waitcnt vmcnt(2) lgkmcnt(0)
	v_mul_f64 v[86:87], v[80:81], v[82:83]
	v_mul_f64 v[82:83], v[78:79], v[82:83]
	s_waitcnt vmcnt(0)
	v_fma_f64 v[78:79], v[78:79], v[84:85], -v[86:87]
	v_fma_f64 v[80:81], v[80:81], v[84:85], v[82:83]
	v_add_f64 v[1:2], v[1:2], v[78:79]
	v_add_f64 v[3:4], v[3:4], v[80:81]
	s_andn2_b32 exec_lo, exec_lo, s40
	s_cbranch_execnz .LBB96_452
; %bb.453:
	s_or_b32 exec_lo, exec_lo, s40
.LBB96_454:
	s_or_b32 exec_lo, exec_lo, s8
	v_mov_b32_e32 v74, 0
	ds_read_b128 v[78:81], v74 offset:400
	s_waitcnt lgkmcnt(0)
	v_mul_f64 v[74:75], v[3:4], v[80:81]
	v_mul_f64 v[80:81], v[1:2], v[80:81]
	v_fma_f64 v[1:2], v[1:2], v[78:79], -v[74:75]
	v_fma_f64 v[3:4], v[3:4], v[78:79], v[80:81]
	buffer_store_dword v2, off, s[0:3], 0 offset:404
	buffer_store_dword v1, off, s[0:3], 0 offset:400
	;; [unrolled: 1-line block ×4, first 2 shown]
.LBB96_455:
	s_or_b32 exec_lo, exec_lo, s4
	v_mov_b32_e32 v4, s13
	s_mov_b32 s4, exec_lo
	s_clause 0x3
	buffer_load_dword v1, v4, s[0:3], 0 offen
	buffer_load_dword v2, v4, s[0:3], 0 offen offset:4
	buffer_load_dword v3, v4, s[0:3], 0 offen offset:8
	;; [unrolled: 1-line block ×3, first 2 shown]
	s_waitcnt vmcnt(0)
	ds_write_b128 v72, v[1:4]
	s_waitcnt lgkmcnt(0)
	s_waitcnt_vscnt null, 0x0
	s_barrier
	buffer_gl0_inv
	v_cmpx_gt_u32_e32 26, v0
	s_cbranch_execz .LBB96_463
; %bb.456:
	ds_read_b128 v[1:4], v72
	v_cmp_ne_u32_e32 vcc_lo, 1, v73
	s_cbranch_vccnz .LBB96_458
; %bb.457:
	s_clause 0x3
	buffer_load_dword v74, v71, s[0:3], 0 offen offset:8
	buffer_load_dword v75, v71, s[0:3], 0 offen offset:12
	buffer_load_dword v78, v71, s[0:3], 0 offen
	buffer_load_dword v79, v71, s[0:3], 0 offen offset:4
	s_waitcnt vmcnt(2) lgkmcnt(0)
	v_mul_f64 v[80:81], v[3:4], v[74:75]
	v_mul_f64 v[74:75], v[1:2], v[74:75]
	s_waitcnt vmcnt(0)
	v_fma_f64 v[1:2], v[1:2], v[78:79], -v[80:81]
	v_fma_f64 v[3:4], v[3:4], v[78:79], v[74:75]
.LBB96_458:
	s_mov_b32 s8, exec_lo
	v_cmpx_ne_u32_e32 25, v0
	s_cbranch_execz .LBB96_462
; %bb.459:
	v_add_nc_u32_e32 v74, 0x220, v77
	v_add3_u32 v75, 0, v77, 16
	v_mov_b32_e32 v76, v0
	s_mov_b32 s40, 0
	.p2align	6
.LBB96_460:                             ; =>This Inner Loop Header: Depth=1
	s_clause 0x3
	buffer_load_dword v82, v75, s[0:3], 0 offen offset:8
	buffer_load_dword v83, v75, s[0:3], 0 offen offset:12
	buffer_load_dword v84, v75, s[0:3], 0 offen
	buffer_load_dword v85, v75, s[0:3], 0 offen offset:4
	ds_read_b128 v[78:81], v74
	v_add_nc_u32_e32 v76, 1, v76
	v_add_nc_u32_e32 v74, 16, v74
	;; [unrolled: 1-line block ×3, first 2 shown]
	v_cmp_lt_u32_e32 vcc_lo, 24, v76
	s_or_b32 s40, vcc_lo, s40
	s_waitcnt vmcnt(2) lgkmcnt(0)
	v_mul_f64 v[86:87], v[80:81], v[82:83]
	v_mul_f64 v[82:83], v[78:79], v[82:83]
	s_waitcnt vmcnt(0)
	v_fma_f64 v[78:79], v[78:79], v[84:85], -v[86:87]
	v_fma_f64 v[80:81], v[80:81], v[84:85], v[82:83]
	v_add_f64 v[1:2], v[1:2], v[78:79]
	v_add_f64 v[3:4], v[3:4], v[80:81]
	s_andn2_b32 exec_lo, exec_lo, s40
	s_cbranch_execnz .LBB96_460
; %bb.461:
	s_or_b32 exec_lo, exec_lo, s40
.LBB96_462:
	s_or_b32 exec_lo, exec_lo, s8
	v_mov_b32_e32 v74, 0
	ds_read_b128 v[78:81], v74 offset:416
	s_waitcnt lgkmcnt(0)
	v_mul_f64 v[74:75], v[3:4], v[80:81]
	v_mul_f64 v[80:81], v[1:2], v[80:81]
	v_fma_f64 v[1:2], v[1:2], v[78:79], -v[74:75]
	v_fma_f64 v[3:4], v[3:4], v[78:79], v[80:81]
	buffer_store_dword v2, off, s[0:3], 0 offset:420
	buffer_store_dword v1, off, s[0:3], 0 offset:416
	;; [unrolled: 1-line block ×4, first 2 shown]
.LBB96_463:
	s_or_b32 exec_lo, exec_lo, s4
	v_mov_b32_e32 v4, s12
	s_mov_b32 s4, exec_lo
	s_clause 0x3
	buffer_load_dword v1, v4, s[0:3], 0 offen
	buffer_load_dword v2, v4, s[0:3], 0 offen offset:4
	buffer_load_dword v3, v4, s[0:3], 0 offen offset:8
	;; [unrolled: 1-line block ×3, first 2 shown]
	s_waitcnt vmcnt(0)
	ds_write_b128 v72, v[1:4]
	s_waitcnt lgkmcnt(0)
	s_waitcnt_vscnt null, 0x0
	s_barrier
	buffer_gl0_inv
	v_cmpx_gt_u32_e32 27, v0
	s_cbranch_execz .LBB96_471
; %bb.464:
	ds_read_b128 v[1:4], v72
	v_cmp_ne_u32_e32 vcc_lo, 1, v73
	s_cbranch_vccnz .LBB96_466
; %bb.465:
	s_clause 0x3
	buffer_load_dword v74, v71, s[0:3], 0 offen offset:8
	buffer_load_dword v75, v71, s[0:3], 0 offen offset:12
	buffer_load_dword v78, v71, s[0:3], 0 offen
	buffer_load_dword v79, v71, s[0:3], 0 offen offset:4
	s_waitcnt vmcnt(2) lgkmcnt(0)
	v_mul_f64 v[80:81], v[3:4], v[74:75]
	v_mul_f64 v[74:75], v[1:2], v[74:75]
	s_waitcnt vmcnt(0)
	v_fma_f64 v[1:2], v[1:2], v[78:79], -v[80:81]
	v_fma_f64 v[3:4], v[3:4], v[78:79], v[74:75]
.LBB96_466:
	s_mov_b32 s8, exec_lo
	v_cmpx_ne_u32_e32 26, v0
	s_cbranch_execz .LBB96_470
; %bb.467:
	v_add_nc_u32_e32 v74, 0x220, v77
	v_add3_u32 v75, 0, v77, 16
	v_mov_b32_e32 v76, v0
	s_mov_b32 s40, 0
	.p2align	6
.LBB96_468:                             ; =>This Inner Loop Header: Depth=1
	s_clause 0x3
	buffer_load_dword v82, v75, s[0:3], 0 offen offset:8
	buffer_load_dword v83, v75, s[0:3], 0 offen offset:12
	buffer_load_dword v84, v75, s[0:3], 0 offen
	buffer_load_dword v85, v75, s[0:3], 0 offen offset:4
	ds_read_b128 v[78:81], v74
	v_add_nc_u32_e32 v76, 1, v76
	v_add_nc_u32_e32 v74, 16, v74
	;; [unrolled: 1-line block ×3, first 2 shown]
	v_cmp_lt_u32_e32 vcc_lo, 25, v76
	s_or_b32 s40, vcc_lo, s40
	s_waitcnt vmcnt(2) lgkmcnt(0)
	v_mul_f64 v[86:87], v[80:81], v[82:83]
	v_mul_f64 v[82:83], v[78:79], v[82:83]
	s_waitcnt vmcnt(0)
	v_fma_f64 v[78:79], v[78:79], v[84:85], -v[86:87]
	v_fma_f64 v[80:81], v[80:81], v[84:85], v[82:83]
	v_add_f64 v[1:2], v[1:2], v[78:79]
	v_add_f64 v[3:4], v[3:4], v[80:81]
	s_andn2_b32 exec_lo, exec_lo, s40
	s_cbranch_execnz .LBB96_468
; %bb.469:
	s_or_b32 exec_lo, exec_lo, s40
.LBB96_470:
	s_or_b32 exec_lo, exec_lo, s8
	v_mov_b32_e32 v74, 0
	ds_read_b128 v[78:81], v74 offset:432
	s_waitcnt lgkmcnt(0)
	v_mul_f64 v[74:75], v[3:4], v[80:81]
	v_mul_f64 v[80:81], v[1:2], v[80:81]
	v_fma_f64 v[1:2], v[1:2], v[78:79], -v[74:75]
	v_fma_f64 v[3:4], v[3:4], v[78:79], v[80:81]
	buffer_store_dword v2, off, s[0:3], 0 offset:436
	buffer_store_dword v1, off, s[0:3], 0 offset:432
	;; [unrolled: 1-line block ×4, first 2 shown]
.LBB96_471:
	s_or_b32 exec_lo, exec_lo, s4
	v_mov_b32_e32 v4, s11
	s_mov_b32 s4, exec_lo
	s_clause 0x3
	buffer_load_dword v1, v4, s[0:3], 0 offen
	buffer_load_dword v2, v4, s[0:3], 0 offen offset:4
	buffer_load_dword v3, v4, s[0:3], 0 offen offset:8
	;; [unrolled: 1-line block ×3, first 2 shown]
	s_waitcnt vmcnt(0)
	ds_write_b128 v72, v[1:4]
	s_waitcnt lgkmcnt(0)
	s_waitcnt_vscnt null, 0x0
	s_barrier
	buffer_gl0_inv
	v_cmpx_gt_u32_e32 28, v0
	s_cbranch_execz .LBB96_479
; %bb.472:
	ds_read_b128 v[1:4], v72
	v_cmp_ne_u32_e32 vcc_lo, 1, v73
	s_cbranch_vccnz .LBB96_474
; %bb.473:
	s_clause 0x3
	buffer_load_dword v74, v71, s[0:3], 0 offen offset:8
	buffer_load_dword v75, v71, s[0:3], 0 offen offset:12
	buffer_load_dword v78, v71, s[0:3], 0 offen
	buffer_load_dword v79, v71, s[0:3], 0 offen offset:4
	s_waitcnt vmcnt(2) lgkmcnt(0)
	v_mul_f64 v[80:81], v[3:4], v[74:75]
	v_mul_f64 v[74:75], v[1:2], v[74:75]
	s_waitcnt vmcnt(0)
	v_fma_f64 v[1:2], v[1:2], v[78:79], -v[80:81]
	v_fma_f64 v[3:4], v[3:4], v[78:79], v[74:75]
.LBB96_474:
	s_mov_b32 s8, exec_lo
	v_cmpx_ne_u32_e32 27, v0
	s_cbranch_execz .LBB96_478
; %bb.475:
	v_add_nc_u32_e32 v74, 0x220, v77
	v_add3_u32 v75, 0, v77, 16
	v_mov_b32_e32 v76, v0
	s_mov_b32 s40, 0
	.p2align	6
.LBB96_476:                             ; =>This Inner Loop Header: Depth=1
	s_clause 0x3
	buffer_load_dword v82, v75, s[0:3], 0 offen offset:8
	buffer_load_dword v83, v75, s[0:3], 0 offen offset:12
	buffer_load_dword v84, v75, s[0:3], 0 offen
	buffer_load_dword v85, v75, s[0:3], 0 offen offset:4
	ds_read_b128 v[78:81], v74
	v_add_nc_u32_e32 v76, 1, v76
	v_add_nc_u32_e32 v74, 16, v74
	;; [unrolled: 1-line block ×3, first 2 shown]
	v_cmp_lt_u32_e32 vcc_lo, 26, v76
	s_or_b32 s40, vcc_lo, s40
	s_waitcnt vmcnt(2) lgkmcnt(0)
	v_mul_f64 v[86:87], v[80:81], v[82:83]
	v_mul_f64 v[82:83], v[78:79], v[82:83]
	s_waitcnt vmcnt(0)
	v_fma_f64 v[78:79], v[78:79], v[84:85], -v[86:87]
	v_fma_f64 v[80:81], v[80:81], v[84:85], v[82:83]
	v_add_f64 v[1:2], v[1:2], v[78:79]
	v_add_f64 v[3:4], v[3:4], v[80:81]
	s_andn2_b32 exec_lo, exec_lo, s40
	s_cbranch_execnz .LBB96_476
; %bb.477:
	s_or_b32 exec_lo, exec_lo, s40
.LBB96_478:
	s_or_b32 exec_lo, exec_lo, s8
	v_mov_b32_e32 v74, 0
	ds_read_b128 v[78:81], v74 offset:448
	s_waitcnt lgkmcnt(0)
	v_mul_f64 v[74:75], v[3:4], v[80:81]
	v_mul_f64 v[80:81], v[1:2], v[80:81]
	v_fma_f64 v[1:2], v[1:2], v[78:79], -v[74:75]
	v_fma_f64 v[3:4], v[3:4], v[78:79], v[80:81]
	buffer_store_dword v2, off, s[0:3], 0 offset:452
	buffer_store_dword v1, off, s[0:3], 0 offset:448
	;; [unrolled: 1-line block ×4, first 2 shown]
.LBB96_479:
	s_or_b32 exec_lo, exec_lo, s4
	v_mov_b32_e32 v4, s10
	s_mov_b32 s4, exec_lo
	s_clause 0x3
	buffer_load_dword v1, v4, s[0:3], 0 offen
	buffer_load_dword v2, v4, s[0:3], 0 offen offset:4
	buffer_load_dword v3, v4, s[0:3], 0 offen offset:8
	;; [unrolled: 1-line block ×3, first 2 shown]
	s_waitcnt vmcnt(0)
	ds_write_b128 v72, v[1:4]
	s_waitcnt lgkmcnt(0)
	s_waitcnt_vscnt null, 0x0
	s_barrier
	buffer_gl0_inv
	v_cmpx_gt_u32_e32 29, v0
	s_cbranch_execz .LBB96_487
; %bb.480:
	ds_read_b128 v[1:4], v72
	v_cmp_ne_u32_e32 vcc_lo, 1, v73
	s_cbranch_vccnz .LBB96_482
; %bb.481:
	s_clause 0x3
	buffer_load_dword v74, v71, s[0:3], 0 offen offset:8
	buffer_load_dword v75, v71, s[0:3], 0 offen offset:12
	buffer_load_dword v78, v71, s[0:3], 0 offen
	buffer_load_dword v79, v71, s[0:3], 0 offen offset:4
	s_waitcnt vmcnt(2) lgkmcnt(0)
	v_mul_f64 v[80:81], v[3:4], v[74:75]
	v_mul_f64 v[74:75], v[1:2], v[74:75]
	s_waitcnt vmcnt(0)
	v_fma_f64 v[1:2], v[1:2], v[78:79], -v[80:81]
	v_fma_f64 v[3:4], v[3:4], v[78:79], v[74:75]
.LBB96_482:
	s_mov_b32 s8, exec_lo
	v_cmpx_ne_u32_e32 28, v0
	s_cbranch_execz .LBB96_486
; %bb.483:
	v_add_nc_u32_e32 v74, 0x220, v77
	v_add3_u32 v75, 0, v77, 16
	v_mov_b32_e32 v76, v0
	s_mov_b32 s40, 0
	.p2align	6
.LBB96_484:                             ; =>This Inner Loop Header: Depth=1
	s_clause 0x3
	buffer_load_dword v82, v75, s[0:3], 0 offen offset:8
	buffer_load_dword v83, v75, s[0:3], 0 offen offset:12
	buffer_load_dword v84, v75, s[0:3], 0 offen
	buffer_load_dword v85, v75, s[0:3], 0 offen offset:4
	ds_read_b128 v[78:81], v74
	v_add_nc_u32_e32 v76, 1, v76
	v_add_nc_u32_e32 v74, 16, v74
	;; [unrolled: 1-line block ×3, first 2 shown]
	v_cmp_lt_u32_e32 vcc_lo, 27, v76
	s_or_b32 s40, vcc_lo, s40
	s_waitcnt vmcnt(2) lgkmcnt(0)
	v_mul_f64 v[86:87], v[80:81], v[82:83]
	v_mul_f64 v[82:83], v[78:79], v[82:83]
	s_waitcnt vmcnt(0)
	v_fma_f64 v[78:79], v[78:79], v[84:85], -v[86:87]
	v_fma_f64 v[80:81], v[80:81], v[84:85], v[82:83]
	v_add_f64 v[1:2], v[1:2], v[78:79]
	v_add_f64 v[3:4], v[3:4], v[80:81]
	s_andn2_b32 exec_lo, exec_lo, s40
	s_cbranch_execnz .LBB96_484
; %bb.485:
	s_or_b32 exec_lo, exec_lo, s40
.LBB96_486:
	s_or_b32 exec_lo, exec_lo, s8
	v_mov_b32_e32 v74, 0
	ds_read_b128 v[78:81], v74 offset:464
	s_waitcnt lgkmcnt(0)
	v_mul_f64 v[74:75], v[3:4], v[80:81]
	v_mul_f64 v[80:81], v[1:2], v[80:81]
	v_fma_f64 v[1:2], v[1:2], v[78:79], -v[74:75]
	v_fma_f64 v[3:4], v[3:4], v[78:79], v[80:81]
	buffer_store_dword v2, off, s[0:3], 0 offset:468
	buffer_store_dword v1, off, s[0:3], 0 offset:464
	;; [unrolled: 1-line block ×4, first 2 shown]
.LBB96_487:
	s_or_b32 exec_lo, exec_lo, s4
	v_mov_b32_e32 v4, s9
	s_mov_b32 s4, exec_lo
	s_clause 0x3
	buffer_load_dword v1, v4, s[0:3], 0 offen
	buffer_load_dword v2, v4, s[0:3], 0 offen offset:4
	buffer_load_dword v3, v4, s[0:3], 0 offen offset:8
	;; [unrolled: 1-line block ×3, first 2 shown]
	s_waitcnt vmcnt(0)
	ds_write_b128 v72, v[1:4]
	s_waitcnt lgkmcnt(0)
	s_waitcnt_vscnt null, 0x0
	s_barrier
	buffer_gl0_inv
	v_cmpx_gt_u32_e32 30, v0
	s_cbranch_execz .LBB96_495
; %bb.488:
	ds_read_b128 v[1:4], v72
	v_cmp_ne_u32_e32 vcc_lo, 1, v73
	s_cbranch_vccnz .LBB96_490
; %bb.489:
	s_clause 0x3
	buffer_load_dword v74, v71, s[0:3], 0 offen offset:8
	buffer_load_dword v75, v71, s[0:3], 0 offen offset:12
	buffer_load_dword v78, v71, s[0:3], 0 offen
	buffer_load_dword v79, v71, s[0:3], 0 offen offset:4
	s_waitcnt vmcnt(2) lgkmcnt(0)
	v_mul_f64 v[80:81], v[3:4], v[74:75]
	v_mul_f64 v[74:75], v[1:2], v[74:75]
	s_waitcnt vmcnt(0)
	v_fma_f64 v[1:2], v[1:2], v[78:79], -v[80:81]
	v_fma_f64 v[3:4], v[3:4], v[78:79], v[74:75]
.LBB96_490:
	s_mov_b32 s8, exec_lo
	v_cmpx_ne_u32_e32 29, v0
	s_cbranch_execz .LBB96_494
; %bb.491:
	v_add_nc_u32_e32 v74, 0x220, v77
	v_add3_u32 v75, 0, v77, 16
	v_mov_b32_e32 v76, v0
	s_mov_b32 s40, 0
	.p2align	6
.LBB96_492:                             ; =>This Inner Loop Header: Depth=1
	s_clause 0x3
	buffer_load_dword v82, v75, s[0:3], 0 offen offset:8
	buffer_load_dword v83, v75, s[0:3], 0 offen offset:12
	buffer_load_dword v84, v75, s[0:3], 0 offen
	buffer_load_dword v85, v75, s[0:3], 0 offen offset:4
	ds_read_b128 v[78:81], v74
	v_add_nc_u32_e32 v76, 1, v76
	v_add_nc_u32_e32 v74, 16, v74
	;; [unrolled: 1-line block ×3, first 2 shown]
	v_cmp_lt_u32_e32 vcc_lo, 28, v76
	s_or_b32 s40, vcc_lo, s40
	s_waitcnt vmcnt(2) lgkmcnt(0)
	v_mul_f64 v[86:87], v[80:81], v[82:83]
	v_mul_f64 v[82:83], v[78:79], v[82:83]
	s_waitcnt vmcnt(0)
	v_fma_f64 v[78:79], v[78:79], v[84:85], -v[86:87]
	v_fma_f64 v[80:81], v[80:81], v[84:85], v[82:83]
	v_add_f64 v[1:2], v[1:2], v[78:79]
	v_add_f64 v[3:4], v[3:4], v[80:81]
	s_andn2_b32 exec_lo, exec_lo, s40
	s_cbranch_execnz .LBB96_492
; %bb.493:
	s_or_b32 exec_lo, exec_lo, s40
.LBB96_494:
	s_or_b32 exec_lo, exec_lo, s8
	v_mov_b32_e32 v74, 0
	ds_read_b128 v[78:81], v74 offset:480
	s_waitcnt lgkmcnt(0)
	v_mul_f64 v[74:75], v[3:4], v[80:81]
	v_mul_f64 v[80:81], v[1:2], v[80:81]
	v_fma_f64 v[1:2], v[1:2], v[78:79], -v[74:75]
	v_fma_f64 v[3:4], v[3:4], v[78:79], v[80:81]
	buffer_store_dword v2, off, s[0:3], 0 offset:484
	buffer_store_dword v1, off, s[0:3], 0 offset:480
	;; [unrolled: 1-line block ×4, first 2 shown]
.LBB96_495:
	s_or_b32 exec_lo, exec_lo, s4
	v_mov_b32_e32 v4, s7
	v_cmp_gt_u32_e64 s4, 31, v0
	s_clause 0x3
	buffer_load_dword v1, v4, s[0:3], 0 offen
	buffer_load_dword v2, v4, s[0:3], 0 offen offset:4
	buffer_load_dword v3, v4, s[0:3], 0 offen offset:8
	;; [unrolled: 1-line block ×3, first 2 shown]
	s_waitcnt vmcnt(0)
	ds_write_b128 v72, v[1:4]
	s_waitcnt lgkmcnt(0)
	s_waitcnt_vscnt null, 0x0
	s_barrier
	buffer_gl0_inv
	s_and_saveexec_b32 s8, s4
	s_cbranch_execz .LBB96_503
; %bb.496:
	ds_read_b128 v[1:4], v72
	v_cmp_ne_u32_e32 vcc_lo, 1, v73
	s_cbranch_vccnz .LBB96_498
; %bb.497:
	s_clause 0x3
	buffer_load_dword v74, v71, s[0:3], 0 offen offset:8
	buffer_load_dword v75, v71, s[0:3], 0 offen offset:12
	buffer_load_dword v78, v71, s[0:3], 0 offen
	buffer_load_dword v79, v71, s[0:3], 0 offen offset:4
	s_waitcnt vmcnt(2) lgkmcnt(0)
	v_mul_f64 v[80:81], v[3:4], v[74:75]
	v_mul_f64 v[74:75], v[1:2], v[74:75]
	s_waitcnt vmcnt(0)
	v_fma_f64 v[1:2], v[1:2], v[78:79], -v[80:81]
	v_fma_f64 v[3:4], v[3:4], v[78:79], v[74:75]
.LBB96_498:
	s_mov_b32 s40, exec_lo
	v_cmpx_ne_u32_e32 30, v0
	s_cbranch_execz .LBB96_502
; %bb.499:
	v_add_nc_u32_e32 v74, 0x220, v77
	v_add3_u32 v75, 0, v77, 16
	v_mov_b32_e32 v76, v0
	s_mov_b32 s41, 0
	.p2align	6
.LBB96_500:                             ; =>This Inner Loop Header: Depth=1
	s_clause 0x3
	buffer_load_dword v82, v75, s[0:3], 0 offen offset:8
	buffer_load_dword v83, v75, s[0:3], 0 offen offset:12
	buffer_load_dword v84, v75, s[0:3], 0 offen
	buffer_load_dword v85, v75, s[0:3], 0 offen offset:4
	ds_read_b128 v[78:81], v74
	v_add_nc_u32_e32 v76, 1, v76
	v_add_nc_u32_e32 v74, 16, v74
	;; [unrolled: 1-line block ×3, first 2 shown]
	v_cmp_lt_u32_e32 vcc_lo, 29, v76
	s_or_b32 s41, vcc_lo, s41
	s_waitcnt vmcnt(2) lgkmcnt(0)
	v_mul_f64 v[86:87], v[80:81], v[82:83]
	v_mul_f64 v[82:83], v[78:79], v[82:83]
	s_waitcnt vmcnt(0)
	v_fma_f64 v[78:79], v[78:79], v[84:85], -v[86:87]
	v_fma_f64 v[80:81], v[80:81], v[84:85], v[82:83]
	v_add_f64 v[1:2], v[1:2], v[78:79]
	v_add_f64 v[3:4], v[3:4], v[80:81]
	s_andn2_b32 exec_lo, exec_lo, s41
	s_cbranch_execnz .LBB96_500
; %bb.501:
	s_or_b32 exec_lo, exec_lo, s41
.LBB96_502:
	s_or_b32 exec_lo, exec_lo, s40
	v_mov_b32_e32 v74, 0
	ds_read_b128 v[78:81], v74 offset:496
	s_waitcnt lgkmcnt(0)
	v_mul_f64 v[74:75], v[3:4], v[80:81]
	v_mul_f64 v[80:81], v[1:2], v[80:81]
	v_fma_f64 v[1:2], v[1:2], v[78:79], -v[74:75]
	v_fma_f64 v[3:4], v[3:4], v[78:79], v[80:81]
	buffer_store_dword v2, off, s[0:3], 0 offset:500
	buffer_store_dword v1, off, s[0:3], 0 offset:496
	;; [unrolled: 1-line block ×4, first 2 shown]
.LBB96_503:
	s_or_b32 exec_lo, exec_lo, s8
	v_mov_b32_e32 v4, s6
	s_mov_b32 s8, exec_lo
                                        ; implicit-def: $sgpr42
	s_clause 0x3
	buffer_load_dword v1, v4, s[0:3], 0 offen
	buffer_load_dword v2, v4, s[0:3], 0 offen offset:4
	buffer_load_dword v3, v4, s[0:3], 0 offen offset:8
	;; [unrolled: 1-line block ×3, first 2 shown]
	s_waitcnt vmcnt(0)
	ds_write_b128 v72, v[1:4]
	s_waitcnt lgkmcnt(0)
	s_waitcnt_vscnt null, 0x0
	s_barrier
	buffer_gl0_inv
                                        ; implicit-def: $vgpr1_vgpr2
	v_cmpx_ne_u32_e32 32, v0
	s_cbranch_execz .LBB96_511
; %bb.504:
	ds_read_b128 v[1:4], v72
	v_cmp_ne_u32_e32 vcc_lo, 1, v73
	s_cbranch_vccnz .LBB96_506
; %bb.505:
	s_clause 0x3
	buffer_load_dword v72, v71, s[0:3], 0 offen offset:8
	buffer_load_dword v73, v71, s[0:3], 0 offen offset:12
	buffer_load_dword v74, v71, s[0:3], 0 offen
	buffer_load_dword v75, v71, s[0:3], 0 offen offset:4
	s_waitcnt vmcnt(2) lgkmcnt(0)
	v_mul_f64 v[78:79], v[3:4], v[72:73]
	v_mul_f64 v[71:72], v[1:2], v[72:73]
	s_waitcnt vmcnt(0)
	v_fma_f64 v[1:2], v[1:2], v[74:75], -v[78:79]
	v_fma_f64 v[3:4], v[3:4], v[74:75], v[71:72]
.LBB96_506:
	s_and_saveexec_b32 s40, s4
	s_cbranch_execz .LBB96_510
; %bb.507:
	v_add_nc_u32_e32 v71, 0x220, v77
	v_add3_u32 v72, 0, v77, 16
	s_mov_b32 s4, 0
	.p2align	6
.LBB96_508:                             ; =>This Inner Loop Header: Depth=1
	s_clause 0x3
	buffer_load_dword v77, v72, s[0:3], 0 offen offset:8
	buffer_load_dword v78, v72, s[0:3], 0 offen offset:12
	buffer_load_dword v79, v72, s[0:3], 0 offen
	buffer_load_dword v80, v72, s[0:3], 0 offen offset:4
	ds_read_b128 v[73:76], v71
	v_add_nc_u32_e32 v0, 1, v0
	v_add_nc_u32_e32 v71, 16, v71
	;; [unrolled: 1-line block ×3, first 2 shown]
	v_cmp_lt_u32_e32 vcc_lo, 30, v0
	s_or_b32 s4, vcc_lo, s4
	s_waitcnt vmcnt(2) lgkmcnt(0)
	v_mul_f64 v[81:82], v[75:76], v[77:78]
	v_mul_f64 v[77:78], v[73:74], v[77:78]
	s_waitcnt vmcnt(0)
	v_fma_f64 v[73:74], v[73:74], v[79:80], -v[81:82]
	v_fma_f64 v[75:76], v[75:76], v[79:80], v[77:78]
	v_add_f64 v[1:2], v[1:2], v[73:74]
	v_add_f64 v[3:4], v[3:4], v[75:76]
	s_andn2_b32 exec_lo, exec_lo, s4
	s_cbranch_execnz .LBB96_508
; %bb.509:
	s_or_b32 exec_lo, exec_lo, s4
.LBB96_510:
	s_or_b32 exec_lo, exec_lo, s40
	v_mov_b32_e32 v0, 0
	s_movk_i32 s42, 0x208
	s_or_b32 s5, s5, exec_lo
	ds_read_b128 v[71:74], v0 offset:512
	s_waitcnt lgkmcnt(0)
	v_mul_f64 v[75:76], v[3:4], v[73:74]
	v_mul_f64 v[73:74], v[1:2], v[73:74]
	v_fma_f64 v[75:76], v[1:2], v[71:72], -v[75:76]
	v_fma_f64 v[1:2], v[3:4], v[71:72], v[73:74]
	buffer_store_dword v76, off, s[0:3], 0 offset:516
	buffer_store_dword v75, off, s[0:3], 0 offset:512
.LBB96_511:
	s_or_b32 exec_lo, exec_lo, s8
.LBB96_512:
	s_and_saveexec_b32 s4, s5
	s_cbranch_execz .LBB96_514
; %bb.513:
	v_mov_b32_e32 v0, s42
	buffer_store_dword v2, v0, s[0:3], 0 offen offset:4
	buffer_store_dword v1, v0, s[0:3], 0 offen
.LBB96_514:
	s_or_b32 exec_lo, exec_lo, s4
	s_clause 0x3
	buffer_load_dword v0, off, s[0:3], 0
	buffer_load_dword v1, off, s[0:3], 0 offset:4
	buffer_load_dword v2, off, s[0:3], 0 offset:8
	;; [unrolled: 1-line block ×3, first 2 shown]
	v_mov_b32_e32 v4, s39
	s_waitcnt vmcnt(0)
	flat_store_dwordx4 v[5:6], v[0:3]
	s_clause 0x3
	buffer_load_dword v0, v4, s[0:3], 0 offen
	buffer_load_dword v1, v4, s[0:3], 0 offen offset:4
	buffer_load_dword v2, v4, s[0:3], 0 offen offset:8
	buffer_load_dword v3, v4, s[0:3], 0 offen offset:12
	v_mov_b32_e32 v4, s38
	s_waitcnt vmcnt(0)
	flat_store_dwordx4 v[59:60], v[0:3]
	s_clause 0x3
	buffer_load_dword v0, v4, s[0:3], 0 offen
	buffer_load_dword v1, v4, s[0:3], 0 offen offset:4
	buffer_load_dword v2, v4, s[0:3], 0 offen offset:8
	buffer_load_dword v3, v4, s[0:3], 0 offen offset:12
	;; [unrolled: 8-line block ×32, first 2 shown]
	s_waitcnt vmcnt(0)
	flat_store_dwordx4 v[69:70], v[0:3]
.LBB96_515:
	s_endpgm
	.section	.rodata,"a",@progbits
	.p2align	6, 0x0
	.amdhsa_kernel _ZN9rocsolver6v33100L18trti2_kernel_smallILi33E19rocblas_complex_numIdEPKPS3_EEv13rocblas_fill_17rocblas_diagonal_T1_iil
		.amdhsa_group_segment_fixed_size 1056
		.amdhsa_private_segment_fixed_size 544
		.amdhsa_kernarg_size 32
		.amdhsa_user_sgpr_count 6
		.amdhsa_user_sgpr_private_segment_buffer 1
		.amdhsa_user_sgpr_dispatch_ptr 0
		.amdhsa_user_sgpr_queue_ptr 0
		.amdhsa_user_sgpr_kernarg_segment_ptr 1
		.amdhsa_user_sgpr_dispatch_id 0
		.amdhsa_user_sgpr_flat_scratch_init 0
		.amdhsa_user_sgpr_private_segment_size 0
		.amdhsa_wavefront_size32 1
		.amdhsa_uses_dynamic_stack 0
		.amdhsa_system_sgpr_private_segment_wavefront_offset 1
		.amdhsa_system_sgpr_workgroup_id_x 1
		.amdhsa_system_sgpr_workgroup_id_y 0
		.amdhsa_system_sgpr_workgroup_id_z 0
		.amdhsa_system_sgpr_workgroup_info 0
		.amdhsa_system_vgpr_workitem_id 0
		.amdhsa_next_free_vgpr 88
		.amdhsa_next_free_sgpr 54
		.amdhsa_reserve_vcc 1
		.amdhsa_reserve_flat_scratch 0
		.amdhsa_float_round_mode_32 0
		.amdhsa_float_round_mode_16_64 0
		.amdhsa_float_denorm_mode_32 3
		.amdhsa_float_denorm_mode_16_64 3
		.amdhsa_dx10_clamp 1
		.amdhsa_ieee_mode 1
		.amdhsa_fp16_overflow 0
		.amdhsa_workgroup_processor_mode 1
		.amdhsa_memory_ordered 1
		.amdhsa_forward_progress 1
		.amdhsa_shared_vgpr_count 0
		.amdhsa_exception_fp_ieee_invalid_op 0
		.amdhsa_exception_fp_denorm_src 0
		.amdhsa_exception_fp_ieee_div_zero 0
		.amdhsa_exception_fp_ieee_overflow 0
		.amdhsa_exception_fp_ieee_underflow 0
		.amdhsa_exception_fp_ieee_inexact 0
		.amdhsa_exception_int_div_zero 0
	.end_amdhsa_kernel
	.section	.text._ZN9rocsolver6v33100L18trti2_kernel_smallILi33E19rocblas_complex_numIdEPKPS3_EEv13rocblas_fill_17rocblas_diagonal_T1_iil,"axG",@progbits,_ZN9rocsolver6v33100L18trti2_kernel_smallILi33E19rocblas_complex_numIdEPKPS3_EEv13rocblas_fill_17rocblas_diagonal_T1_iil,comdat
.Lfunc_end96:
	.size	_ZN9rocsolver6v33100L18trti2_kernel_smallILi33E19rocblas_complex_numIdEPKPS3_EEv13rocblas_fill_17rocblas_diagonal_T1_iil, .Lfunc_end96-_ZN9rocsolver6v33100L18trti2_kernel_smallILi33E19rocblas_complex_numIdEPKPS3_EEv13rocblas_fill_17rocblas_diagonal_T1_iil
                                        ; -- End function
	.set _ZN9rocsolver6v33100L18trti2_kernel_smallILi33E19rocblas_complex_numIdEPKPS3_EEv13rocblas_fill_17rocblas_diagonal_T1_iil.num_vgpr, 88
	.set _ZN9rocsolver6v33100L18trti2_kernel_smallILi33E19rocblas_complex_numIdEPKPS3_EEv13rocblas_fill_17rocblas_diagonal_T1_iil.num_agpr, 0
	.set _ZN9rocsolver6v33100L18trti2_kernel_smallILi33E19rocblas_complex_numIdEPKPS3_EEv13rocblas_fill_17rocblas_diagonal_T1_iil.numbered_sgpr, 54
	.set _ZN9rocsolver6v33100L18trti2_kernel_smallILi33E19rocblas_complex_numIdEPKPS3_EEv13rocblas_fill_17rocblas_diagonal_T1_iil.num_named_barrier, 0
	.set _ZN9rocsolver6v33100L18trti2_kernel_smallILi33E19rocblas_complex_numIdEPKPS3_EEv13rocblas_fill_17rocblas_diagonal_T1_iil.private_seg_size, 544
	.set _ZN9rocsolver6v33100L18trti2_kernel_smallILi33E19rocblas_complex_numIdEPKPS3_EEv13rocblas_fill_17rocblas_diagonal_T1_iil.uses_vcc, 1
	.set _ZN9rocsolver6v33100L18trti2_kernel_smallILi33E19rocblas_complex_numIdEPKPS3_EEv13rocblas_fill_17rocblas_diagonal_T1_iil.uses_flat_scratch, 0
	.set _ZN9rocsolver6v33100L18trti2_kernel_smallILi33E19rocblas_complex_numIdEPKPS3_EEv13rocblas_fill_17rocblas_diagonal_T1_iil.has_dyn_sized_stack, 0
	.set _ZN9rocsolver6v33100L18trti2_kernel_smallILi33E19rocblas_complex_numIdEPKPS3_EEv13rocblas_fill_17rocblas_diagonal_T1_iil.has_recursion, 0
	.set _ZN9rocsolver6v33100L18trti2_kernel_smallILi33E19rocblas_complex_numIdEPKPS3_EEv13rocblas_fill_17rocblas_diagonal_T1_iil.has_indirect_call, 0
	.section	.AMDGPU.csdata,"",@progbits
; Kernel info:
; codeLenInByte = 33384
; TotalNumSgprs: 56
; NumVgprs: 88
; ScratchSize: 544
; MemoryBound: 0
; FloatMode: 240
; IeeeMode: 1
; LDSByteSize: 1056 bytes/workgroup (compile time only)
; SGPRBlocks: 0
; VGPRBlocks: 10
; NumSGPRsForWavesPerEU: 56
; NumVGPRsForWavesPerEU: 88
; Occupancy: 10
; WaveLimiterHint : 1
; COMPUTE_PGM_RSRC2:SCRATCH_EN: 1
; COMPUTE_PGM_RSRC2:USER_SGPR: 6
; COMPUTE_PGM_RSRC2:TRAP_HANDLER: 0
; COMPUTE_PGM_RSRC2:TGID_X_EN: 1
; COMPUTE_PGM_RSRC2:TGID_Y_EN: 0
; COMPUTE_PGM_RSRC2:TGID_Z_EN: 0
; COMPUTE_PGM_RSRC2:TIDIG_COMP_CNT: 0
	.section	.text._ZN9rocsolver6v33100L18trti2_kernel_smallILi34E19rocblas_complex_numIdEPKPS3_EEv13rocblas_fill_17rocblas_diagonal_T1_iil,"axG",@progbits,_ZN9rocsolver6v33100L18trti2_kernel_smallILi34E19rocblas_complex_numIdEPKPS3_EEv13rocblas_fill_17rocblas_diagonal_T1_iil,comdat
	.globl	_ZN9rocsolver6v33100L18trti2_kernel_smallILi34E19rocblas_complex_numIdEPKPS3_EEv13rocblas_fill_17rocblas_diagonal_T1_iil ; -- Begin function _ZN9rocsolver6v33100L18trti2_kernel_smallILi34E19rocblas_complex_numIdEPKPS3_EEv13rocblas_fill_17rocblas_diagonal_T1_iil
	.p2align	8
	.type	_ZN9rocsolver6v33100L18trti2_kernel_smallILi34E19rocblas_complex_numIdEPKPS3_EEv13rocblas_fill_17rocblas_diagonal_T1_iil,@function
_ZN9rocsolver6v33100L18trti2_kernel_smallILi34E19rocblas_complex_numIdEPKPS3_EEv13rocblas_fill_17rocblas_diagonal_T1_iil: ; @_ZN9rocsolver6v33100L18trti2_kernel_smallILi34E19rocblas_complex_numIdEPKPS3_EEv13rocblas_fill_17rocblas_diagonal_T1_iil
; %bb.0:
	s_add_u32 s0, s0, s7
	s_addc_u32 s1, s1, 0
	s_mov_b32 s7, exec_lo
	v_cmpx_gt_u32_e32 34, v0
	s_cbranch_execz .LBB97_531
; %bb.1:
	s_clause 0x1
	s_load_dwordx2 s[12:13], s[4:5], 0x10
	s_load_dwordx4 s[8:11], s[4:5], 0x0
	s_ashr_i32 s7, s6, 31
	v_lshlrev_b32_e32 v79, 4, v0
	s_lshl_b64 s[4:5], s[6:7], 3
	s_movk_i32 s14, 0xd0
	s_movk_i32 s15, 0xe0
	;; [unrolled: 1-line block ×15, first 2 shown]
	s_waitcnt lgkmcnt(0)
	s_ashr_i32 s7, s12, 31
	s_add_u32 s4, s10, s4
	s_addc_u32 s5, s11, s5
	s_mov_b32 s6, s12
	s_load_dwordx2 s[4:5], s[4:5], 0x0
	s_lshl_b64 s[6:7], s[6:7], 4
	v_add3_u32 v7, s13, s13, v0
	s_movk_i32 s10, 0x90
	s_movk_i32 s11, 0xa0
	;; [unrolled: 1-line block ×4, first 2 shown]
	v_ashrrev_i32_e32 v8, 31, v7
	s_movk_i32 s51, 0x1d0
	s_movk_i32 s52, 0x1e0
	s_movk_i32 s53, 0x1f0
	s_movk_i32 s54, 0x200
	v_lshlrev_b64 v[8:9], 4, v[7:8]
	v_add_nc_u32_e32 v7, s13, v7
	s_movk_i32 s55, 0x210
	s_waitcnt lgkmcnt(0)
	s_add_u32 s6, s4, s6
	s_addc_u32 s7, s5, s7
	v_add_co_u32 v5, s4, s6, v79
	v_add_co_ci_u32_e64 v6, null, s7, 0, s4
	s_mov_b32 s4, s13
	s_ashr_i32 s5, s13, 31
	s_lshl_b64 s[4:5], s[4:5], 4
	flat_load_dwordx4 v[1:4], v[5:6]
	v_add_co_u32 v59, vcc_lo, v5, s4
	v_add_co_ci_u32_e64 v60, null, s5, v6, vcc_lo
	v_add_co_u32 v57, vcc_lo, s6, v8
	v_add_co_ci_u32_e64 v58, null, s7, v9, vcc_lo
	v_ashrrev_i32_e32 v8, 31, v7
	s_cmpk_lg_i32 s9, 0x84
	s_movk_i32 s4, 0x50
	s_movk_i32 s5, 0x60
	s_cselect_b32 s42, -1, 0
	v_lshlrev_b64 v[8:9], 4, v[7:8]
	v_add_nc_u32_e32 v7, s13, v7
	s_cmpk_eq_i32 s9, 0x84
	s_waitcnt vmcnt(0) lgkmcnt(0)
	buffer_store_dword v4, off, s[0:3], 0 offset:12
	buffer_store_dword v3, off, s[0:3], 0 offset:8
	buffer_store_dword v2, off, s[0:3], 0 offset:4
	buffer_store_dword v1, off, s[0:3], 0
	flat_load_dwordx4 v[1:4], v[59:60]
	v_add_co_u32 v55, vcc_lo, s6, v8
	v_add_co_ci_u32_e64 v56, null, s7, v9, vcc_lo
	v_ashrrev_i32_e32 v8, 31, v7
	s_waitcnt vmcnt(0) lgkmcnt(0)
	buffer_store_dword v4, off, s[0:3], 0 offset:28
	buffer_store_dword v3, off, s[0:3], 0 offset:24
	;; [unrolled: 1-line block ×4, first 2 shown]
	flat_load_dwordx4 v[1:4], v[57:58]
	v_lshlrev_b64 v[8:9], 4, v[7:8]
	v_add_nc_u32_e32 v7, s13, v7
	s_waitcnt vmcnt(0) lgkmcnt(0)
	buffer_store_dword v4, off, s[0:3], 0 offset:44
	buffer_store_dword v3, off, s[0:3], 0 offset:40
	;; [unrolled: 1-line block ×4, first 2 shown]
	flat_load_dwordx4 v[1:4], v[55:56]
	v_add_co_u32 v53, vcc_lo, s6, v8
	v_add_co_ci_u32_e64 v54, null, s7, v9, vcc_lo
	v_ashrrev_i32_e32 v8, 31, v7
	s_waitcnt vmcnt(0) lgkmcnt(0)
	buffer_store_dword v4, off, s[0:3], 0 offset:60
	buffer_store_dword v3, off, s[0:3], 0 offset:56
	;; [unrolled: 1-line block ×4, first 2 shown]
	flat_load_dwordx4 v[1:4], v[53:54]
	v_lshlrev_b64 v[8:9], 4, v[7:8]
	v_add_nc_u32_e32 v7, s13, v7
	s_waitcnt vmcnt(0) lgkmcnt(0)
	buffer_store_dword v4, off, s[0:3], 0 offset:76
	buffer_store_dword v3, off, s[0:3], 0 offset:72
	;; [unrolled: 1-line block ×4, first 2 shown]
	v_add_co_u32 v49, vcc_lo, s6, v8
	v_add_co_ci_u32_e64 v50, null, s7, v9, vcc_lo
	v_ashrrev_i32_e32 v8, 31, v7
	flat_load_dwordx4 v[1:4], v[49:50]
	s_waitcnt vmcnt(0) lgkmcnt(0)
	buffer_store_dword v4, off, s[0:3], 0 offset:92
	buffer_store_dword v3, off, s[0:3], 0 offset:88
	buffer_store_dword v2, off, s[0:3], 0 offset:84
	buffer_store_dword v1, off, s[0:3], 0 offset:80
	v_lshlrev_b64 v[8:9], 4, v[7:8]
	v_add_nc_u32_e32 v7, s13, v7
	v_add_co_u32 v47, vcc_lo, s6, v8
	v_add_co_ci_u32_e64 v48, null, s7, v9, vcc_lo
	v_ashrrev_i32_e32 v8, 31, v7
	flat_load_dwordx4 v[1:4], v[47:48]
	s_waitcnt vmcnt(0) lgkmcnt(0)
	buffer_store_dword v4, off, s[0:3], 0 offset:108
	buffer_store_dword v3, off, s[0:3], 0 offset:104
	buffer_store_dword v2, off, s[0:3], 0 offset:100
	buffer_store_dword v1, off, s[0:3], 0 offset:96
	v_lshlrev_b64 v[8:9], 4, v[7:8]
	v_add_nc_u32_e32 v7, s13, v7
	v_add_co_u32 v45, vcc_lo, s6, v8
	v_add_co_ci_u32_e64 v46, null, s7, v9, vcc_lo
	v_ashrrev_i32_e32 v8, 31, v7
	flat_load_dwordx4 v[1:4], v[45:46]
	s_waitcnt vmcnt(0) lgkmcnt(0)
	buffer_store_dword v4, off, s[0:3], 0 offset:124
	buffer_store_dword v3, off, s[0:3], 0 offset:120
	buffer_store_dword v2, off, s[0:3], 0 offset:116
	buffer_store_dword v1, off, s[0:3], 0 offset:112
	v_lshlrev_b64 v[8:9], 4, v[7:8]
	v_add_nc_u32_e32 v7, s13, v7
	v_add_co_u32 v43, vcc_lo, s6, v8
	v_add_co_ci_u32_e64 v44, null, s7, v9, vcc_lo
	v_ashrrev_i32_e32 v8, 31, v7
	flat_load_dwordx4 v[1:4], v[43:44]
	s_waitcnt vmcnt(0) lgkmcnt(0)
	buffer_store_dword v4, off, s[0:3], 0 offset:140
	buffer_store_dword v3, off, s[0:3], 0 offset:136
	buffer_store_dword v2, off, s[0:3], 0 offset:132
	buffer_store_dword v1, off, s[0:3], 0 offset:128
	v_lshlrev_b64 v[8:9], 4, v[7:8]
	v_add_nc_u32_e32 v7, s13, v7
	v_add_co_u32 v41, vcc_lo, s6, v8
	v_add_co_ci_u32_e64 v42, null, s7, v9, vcc_lo
	v_ashrrev_i32_e32 v8, 31, v7
	flat_load_dwordx4 v[1:4], v[41:42]
	s_waitcnt vmcnt(0) lgkmcnt(0)
	buffer_store_dword v4, off, s[0:3], 0 offset:156
	buffer_store_dword v3, off, s[0:3], 0 offset:152
	buffer_store_dword v2, off, s[0:3], 0 offset:148
	buffer_store_dword v1, off, s[0:3], 0 offset:144
	v_lshlrev_b64 v[8:9], 4, v[7:8]
	v_add_nc_u32_e32 v7, s13, v7
	v_add_co_u32 v39, vcc_lo, s6, v8
	v_add_co_ci_u32_e64 v40, null, s7, v9, vcc_lo
	v_ashrrev_i32_e32 v8, 31, v7
	flat_load_dwordx4 v[1:4], v[39:40]
	s_waitcnt vmcnt(0) lgkmcnt(0)
	buffer_store_dword v4, off, s[0:3], 0 offset:172
	buffer_store_dword v3, off, s[0:3], 0 offset:168
	buffer_store_dword v2, off, s[0:3], 0 offset:164
	buffer_store_dword v1, off, s[0:3], 0 offset:160
	v_lshlrev_b64 v[8:9], 4, v[7:8]
	v_add_nc_u32_e32 v7, s13, v7
	v_add_co_u32 v37, vcc_lo, s6, v8
	v_add_co_ci_u32_e64 v38, null, s7, v9, vcc_lo
	v_ashrrev_i32_e32 v8, 31, v7
	flat_load_dwordx4 v[1:4], v[37:38]
	s_waitcnt vmcnt(0) lgkmcnt(0)
	buffer_store_dword v4, off, s[0:3], 0 offset:188
	buffer_store_dword v3, off, s[0:3], 0 offset:184
	buffer_store_dword v2, off, s[0:3], 0 offset:180
	buffer_store_dword v1, off, s[0:3], 0 offset:176
	v_lshlrev_b64 v[8:9], 4, v[7:8]
	v_add_nc_u32_e32 v7, s13, v7
	v_add_co_u32 v35, vcc_lo, s6, v8
	v_add_co_ci_u32_e64 v36, null, s7, v9, vcc_lo
	v_ashrrev_i32_e32 v8, 31, v7
	flat_load_dwordx4 v[1:4], v[35:36]
	s_waitcnt vmcnt(0) lgkmcnt(0)
	buffer_store_dword v4, off, s[0:3], 0 offset:204
	buffer_store_dword v3, off, s[0:3], 0 offset:200
	buffer_store_dword v2, off, s[0:3], 0 offset:196
	buffer_store_dword v1, off, s[0:3], 0 offset:192
	v_lshlrev_b64 v[8:9], 4, v[7:8]
	v_add_nc_u32_e32 v7, s13, v7
	v_add_co_u32 v31, vcc_lo, s6, v8
	v_add_co_ci_u32_e64 v32, null, s7, v9, vcc_lo
	v_ashrrev_i32_e32 v8, 31, v7
	flat_load_dwordx4 v[1:4], v[31:32]
	s_waitcnt vmcnt(0) lgkmcnt(0)
	buffer_store_dword v4, off, s[0:3], 0 offset:220
	buffer_store_dword v3, off, s[0:3], 0 offset:216
	buffer_store_dword v2, off, s[0:3], 0 offset:212
	buffer_store_dword v1, off, s[0:3], 0 offset:208
	v_lshlrev_b64 v[8:9], 4, v[7:8]
	v_add_nc_u32_e32 v7, s13, v7
	v_add_co_u32 v29, vcc_lo, s6, v8
	v_add_co_ci_u32_e64 v30, null, s7, v9, vcc_lo
	v_ashrrev_i32_e32 v8, 31, v7
	flat_load_dwordx4 v[1:4], v[29:30]
	s_waitcnt vmcnt(0) lgkmcnt(0)
	buffer_store_dword v4, off, s[0:3], 0 offset:236
	buffer_store_dword v3, off, s[0:3], 0 offset:232
	buffer_store_dword v2, off, s[0:3], 0 offset:228
	buffer_store_dword v1, off, s[0:3], 0 offset:224
	v_lshlrev_b64 v[8:9], 4, v[7:8]
	v_add_nc_u32_e32 v7, s13, v7
	v_add_co_u32 v27, vcc_lo, s6, v8
	v_add_co_ci_u32_e64 v28, null, s7, v9, vcc_lo
	v_ashrrev_i32_e32 v8, 31, v7
	flat_load_dwordx4 v[1:4], v[27:28]
	s_waitcnt vmcnt(0) lgkmcnt(0)
	buffer_store_dword v4, off, s[0:3], 0 offset:252
	buffer_store_dword v3, off, s[0:3], 0 offset:248
	buffer_store_dword v2, off, s[0:3], 0 offset:244
	buffer_store_dword v1, off, s[0:3], 0 offset:240
	v_lshlrev_b64 v[8:9], 4, v[7:8]
	v_add_nc_u32_e32 v7, s13, v7
	v_add_co_u32 v25, vcc_lo, s6, v8
	v_add_co_ci_u32_e64 v26, null, s7, v9, vcc_lo
	v_ashrrev_i32_e32 v8, 31, v7
	flat_load_dwordx4 v[1:4], v[25:26]
	s_waitcnt vmcnt(0) lgkmcnt(0)
	buffer_store_dword v4, off, s[0:3], 0 offset:268
	buffer_store_dword v3, off, s[0:3], 0 offset:264
	buffer_store_dword v2, off, s[0:3], 0 offset:260
	buffer_store_dword v1, off, s[0:3], 0 offset:256
	v_lshlrev_b64 v[8:9], 4, v[7:8]
	v_add_nc_u32_e32 v7, s13, v7
	v_add_co_u32 v23, vcc_lo, s6, v8
	v_add_co_ci_u32_e64 v24, null, s7, v9, vcc_lo
	v_ashrrev_i32_e32 v8, 31, v7
	flat_load_dwordx4 v[1:4], v[23:24]
	s_waitcnt vmcnt(0) lgkmcnt(0)
	buffer_store_dword v4, off, s[0:3], 0 offset:284
	buffer_store_dword v3, off, s[0:3], 0 offset:280
	buffer_store_dword v2, off, s[0:3], 0 offset:276
	buffer_store_dword v1, off, s[0:3], 0 offset:272
	v_lshlrev_b64 v[8:9], 4, v[7:8]
	v_add_nc_u32_e32 v7, s13, v7
	v_add_co_u32 v21, vcc_lo, s6, v8
	v_add_co_ci_u32_e64 v22, null, s7, v9, vcc_lo
	v_ashrrev_i32_e32 v8, 31, v7
	flat_load_dwordx4 v[1:4], v[21:22]
	s_waitcnt vmcnt(0) lgkmcnt(0)
	buffer_store_dword v4, off, s[0:3], 0 offset:300
	buffer_store_dword v3, off, s[0:3], 0 offset:296
	buffer_store_dword v2, off, s[0:3], 0 offset:292
	buffer_store_dword v1, off, s[0:3], 0 offset:288
	v_lshlrev_b64 v[8:9], 4, v[7:8]
	v_add_nc_u32_e32 v7, s13, v7
	v_add_co_u32 v19, vcc_lo, s6, v8
	v_add_co_ci_u32_e64 v20, null, s7, v9, vcc_lo
	v_ashrrev_i32_e32 v8, 31, v7
	flat_load_dwordx4 v[1:4], v[19:20]
	s_waitcnt vmcnt(0) lgkmcnt(0)
	buffer_store_dword v4, off, s[0:3], 0 offset:316
	buffer_store_dword v3, off, s[0:3], 0 offset:312
	buffer_store_dword v2, off, s[0:3], 0 offset:308
	buffer_store_dword v1, off, s[0:3], 0 offset:304
	v_lshlrev_b64 v[8:9], 4, v[7:8]
	v_add_nc_u32_e32 v7, s13, v7
	v_add_co_u32 v17, vcc_lo, s6, v8
	v_add_co_ci_u32_e64 v18, null, s7, v9, vcc_lo
	v_ashrrev_i32_e32 v8, 31, v7
	flat_load_dwordx4 v[1:4], v[17:18]
	s_waitcnt vmcnt(0) lgkmcnt(0)
	buffer_store_dword v4, off, s[0:3], 0 offset:332
	buffer_store_dword v3, off, s[0:3], 0 offset:328
	buffer_store_dword v2, off, s[0:3], 0 offset:324
	buffer_store_dword v1, off, s[0:3], 0 offset:320
	v_lshlrev_b64 v[8:9], 4, v[7:8]
	v_add_nc_u32_e32 v7, s13, v7
	v_add_co_u32 v15, vcc_lo, s6, v8
	v_add_co_ci_u32_e64 v16, null, s7, v9, vcc_lo
	v_ashrrev_i32_e32 v8, 31, v7
	flat_load_dwordx4 v[1:4], v[15:16]
	s_waitcnt vmcnt(0) lgkmcnt(0)
	buffer_store_dword v4, off, s[0:3], 0 offset:348
	buffer_store_dword v3, off, s[0:3], 0 offset:344
	buffer_store_dword v2, off, s[0:3], 0 offset:340
	buffer_store_dword v1, off, s[0:3], 0 offset:336
	v_lshlrev_b64 v[8:9], 4, v[7:8]
	v_add_nc_u32_e32 v7, s13, v7
	v_add_co_u32 v13, vcc_lo, s6, v8
	v_add_co_ci_u32_e64 v14, null, s7, v9, vcc_lo
	v_ashrrev_i32_e32 v8, 31, v7
	flat_load_dwordx4 v[1:4], v[13:14]
	s_waitcnt vmcnt(0) lgkmcnt(0)
	buffer_store_dword v4, off, s[0:3], 0 offset:364
	buffer_store_dword v3, off, s[0:3], 0 offset:360
	buffer_store_dword v2, off, s[0:3], 0 offset:356
	buffer_store_dword v1, off, s[0:3], 0 offset:352
	v_lshlrev_b64 v[8:9], 4, v[7:8]
	v_add_nc_u32_e32 v7, s13, v7
	v_add_co_u32 v11, vcc_lo, s6, v8
	v_add_co_ci_u32_e64 v12, null, s7, v9, vcc_lo
	v_ashrrev_i32_e32 v8, 31, v7
	v_add_nc_u32_e32 v33, s13, v7
	flat_load_dwordx4 v[1:4], v[11:12]
	s_waitcnt vmcnt(0) lgkmcnt(0)
	buffer_store_dword v4, off, s[0:3], 0 offset:380
	buffer_store_dword v3, off, s[0:3], 0 offset:376
	buffer_store_dword v2, off, s[0:3], 0 offset:372
	buffer_store_dword v1, off, s[0:3], 0 offset:368
	v_lshlrev_b64 v[9:10], 4, v[7:8]
	v_ashrrev_i32_e32 v34, 31, v33
	v_add_nc_u32_e32 v51, s13, v33
	v_add_co_u32 v9, vcc_lo, s6, v9
	v_add_co_ci_u32_e64 v10, null, s7, v10, vcc_lo
	v_lshlrev_b64 v[7:8], 4, v[33:34]
	v_ashrrev_i32_e32 v52, 31, v51
	v_add_nc_u32_e32 v61, s13, v51
	flat_load_dwordx4 v[1:4], v[9:10]
	s_waitcnt vmcnt(0) lgkmcnt(0)
	buffer_store_dword v4, off, s[0:3], 0 offset:396
	buffer_store_dword v3, off, s[0:3], 0 offset:392
	buffer_store_dword v2, off, s[0:3], 0 offset:388
	buffer_store_dword v1, off, s[0:3], 0 offset:384
	v_add_co_u32 v7, vcc_lo, s6, v7
	v_add_co_ci_u32_e64 v8, null, s7, v8, vcc_lo
	v_lshlrev_b64 v[33:34], 4, v[51:52]
	v_ashrrev_i32_e32 v62, 31, v61
	v_add_nc_u32_e32 v63, s13, v61
	flat_load_dwordx4 v[1:4], v[7:8]
	s_waitcnt vmcnt(0) lgkmcnt(0)
	buffer_store_dword v4, off, s[0:3], 0 offset:412
	buffer_store_dword v3, off, s[0:3], 0 offset:408
	buffer_store_dword v2, off, s[0:3], 0 offset:404
	buffer_store_dword v1, off, s[0:3], 0 offset:400
	v_add_co_u32 v33, vcc_lo, s6, v33
	v_add_co_ci_u32_e64 v34, null, s7, v34, vcc_lo
	v_lshlrev_b64 v[51:52], 4, v[61:62]
	v_ashrrev_i32_e32 v64, 31, v63
	v_add_nc_u32_e32 v65, s13, v63
	flat_load_dwordx4 v[1:4], v[33:34]
	s_waitcnt vmcnt(0) lgkmcnt(0)
	buffer_store_dword v4, off, s[0:3], 0 offset:428
	buffer_store_dword v3, off, s[0:3], 0 offset:424
	buffer_store_dword v2, off, s[0:3], 0 offset:420
	buffer_store_dword v1, off, s[0:3], 0 offset:416
	v_add_co_u32 v51, vcc_lo, s6, v51
	v_add_co_ci_u32_e64 v52, null, s7, v52, vcc_lo
	v_lshlrev_b64 v[61:62], 4, v[63:64]
	v_ashrrev_i32_e32 v66, 31, v65
	v_add_nc_u32_e32 v67, s13, v65
	flat_load_dwordx4 v[1:4], v[51:52]
	s_waitcnt vmcnt(0) lgkmcnt(0)
	buffer_store_dword v4, off, s[0:3], 0 offset:444
	buffer_store_dword v3, off, s[0:3], 0 offset:440
	buffer_store_dword v2, off, s[0:3], 0 offset:436
	buffer_store_dword v1, off, s[0:3], 0 offset:432
	v_add_co_u32 v61, vcc_lo, s6, v61
	v_add_co_ci_u32_e64 v62, null, s7, v62, vcc_lo
	v_lshlrev_b64 v[63:64], 4, v[65:66]
	v_ashrrev_i32_e32 v68, 31, v67
	v_add_nc_u32_e32 v69, s13, v67
	flat_load_dwordx4 v[1:4], v[61:62]
	s_waitcnt vmcnt(0) lgkmcnt(0)
	buffer_store_dword v4, off, s[0:3], 0 offset:460
	buffer_store_dword v3, off, s[0:3], 0 offset:456
	buffer_store_dword v2, off, s[0:3], 0 offset:452
	buffer_store_dword v1, off, s[0:3], 0 offset:448
	v_add_co_u32 v63, vcc_lo, s6, v63
	v_add_co_ci_u32_e64 v64, null, s7, v64, vcc_lo
	v_lshlrev_b64 v[65:66], 4, v[67:68]
	v_ashrrev_i32_e32 v70, 31, v69
	v_add_nc_u32_e32 v71, s13, v69
	flat_load_dwordx4 v[1:4], v[63:64]
	s_waitcnt vmcnt(0) lgkmcnt(0)
	buffer_store_dword v4, off, s[0:3], 0 offset:476
	buffer_store_dword v3, off, s[0:3], 0 offset:472
	buffer_store_dword v2, off, s[0:3], 0 offset:468
	buffer_store_dword v1, off, s[0:3], 0 offset:464
	v_add_co_u32 v65, vcc_lo, s6, v65
	v_add_co_ci_u32_e64 v66, null, s7, v66, vcc_lo
	v_lshlrev_b64 v[67:68], 4, v[69:70]
	v_ashrrev_i32_e32 v72, 31, v71
	flat_load_dwordx4 v[1:4], v[65:66]
	s_waitcnt vmcnt(0) lgkmcnt(0)
	buffer_store_dword v4, off, s[0:3], 0 offset:492
	buffer_store_dword v3, off, s[0:3], 0 offset:488
	;; [unrolled: 1-line block ×4, first 2 shown]
	v_add_co_u32 v67, vcc_lo, s6, v67
	v_add_co_ci_u32_e64 v68, null, s7, v68, vcc_lo
	v_lshlrev_b64 v[69:70], 4, v[71:72]
	v_add_nc_u32_e32 v71, s13, v71
	s_movk_i32 s13, 0xc0
	flat_load_dwordx4 v[1:4], v[67:68]
	s_waitcnt vmcnt(0) lgkmcnt(0)
	buffer_store_dword v4, off, s[0:3], 0 offset:508
	buffer_store_dword v3, off, s[0:3], 0 offset:504
	;; [unrolled: 1-line block ×4, first 2 shown]
	v_add_co_u32 v69, vcc_lo, s6, v69
	v_add_co_ci_u32_e64 v70, null, s7, v70, vcc_lo
	v_ashrrev_i32_e32 v72, 31, v71
	flat_load_dwordx4 v[1:4], v[69:70]
	s_waitcnt vmcnt(0) lgkmcnt(0)
	buffer_store_dword v4, off, s[0:3], 0 offset:524
	buffer_store_dword v3, off, s[0:3], 0 offset:520
	;; [unrolled: 1-line block ×4, first 2 shown]
	v_lshlrev_b64 v[71:72], 4, v[71:72]
	v_add_co_u32 v71, vcc_lo, s6, v71
	v_add_co_ci_u32_e64 v72, null, s7, v72, vcc_lo
	s_movk_i32 s6, 0x70
	s_movk_i32 s7, 0x80
	flat_load_dwordx4 v[1:4], v[71:72]
	s_waitcnt vmcnt(0) lgkmcnt(0)
	buffer_store_dword v4, off, s[0:3], 0 offset:540
	buffer_store_dword v3, off, s[0:3], 0 offset:536
	;; [unrolled: 1-line block ×4, first 2 shown]
	s_cbranch_scc1 .LBB97_7
; %bb.2:
	v_lshl_add_u32 v80, v0, 4, 0
                                        ; implicit-def: $vgpr75_vgpr76
                                        ; implicit-def: $vgpr3_vgpr4
	s_clause 0x3
	buffer_load_dword v73, v80, s[0:3], 0 offen
	buffer_load_dword v74, v80, s[0:3], 0 offen offset:4
	buffer_load_dword v77, v80, s[0:3], 0 offen offset:8
	;; [unrolled: 1-line block ×3, first 2 shown]
	s_waitcnt vmcnt(0)
	v_cmp_ngt_f64_e64 s9, |v[73:74]|, |v[77:78]|
	s_and_saveexec_b32 s22, s9
	s_xor_b32 s9, exec_lo, s22
	s_cbranch_execz .LBB97_4
; %bb.3:
	v_div_scale_f64 v[1:2], null, v[77:78], v[77:78], v[73:74]
	v_div_scale_f64 v[81:82], vcc_lo, v[73:74], v[77:78], v[73:74]
	v_rcp_f64_e32 v[3:4], v[1:2]
	v_fma_f64 v[75:76], -v[1:2], v[3:4], 1.0
	v_fma_f64 v[3:4], v[3:4], v[75:76], v[3:4]
	v_fma_f64 v[75:76], -v[1:2], v[3:4], 1.0
	v_fma_f64 v[3:4], v[3:4], v[75:76], v[3:4]
	v_mul_f64 v[75:76], v[81:82], v[3:4]
	v_fma_f64 v[1:2], -v[1:2], v[75:76], v[81:82]
	v_div_fmas_f64 v[1:2], v[1:2], v[3:4], v[75:76]
	v_div_fixup_f64 v[1:2], v[1:2], v[77:78], v[73:74]
	v_fma_f64 v[3:4], v[73:74], v[1:2], v[77:78]
	v_div_scale_f64 v[73:74], null, v[3:4], v[3:4], 1.0
	v_div_scale_f64 v[81:82], vcc_lo, 1.0, v[3:4], 1.0
	v_rcp_f64_e32 v[75:76], v[73:74]
	v_fma_f64 v[77:78], -v[73:74], v[75:76], 1.0
	v_fma_f64 v[75:76], v[75:76], v[77:78], v[75:76]
	v_fma_f64 v[77:78], -v[73:74], v[75:76], 1.0
	v_fma_f64 v[75:76], v[75:76], v[77:78], v[75:76]
	v_mul_f64 v[77:78], v[81:82], v[75:76]
	v_fma_f64 v[73:74], -v[73:74], v[77:78], v[81:82]
	v_div_fmas_f64 v[73:74], v[73:74], v[75:76], v[77:78]
                                        ; implicit-def: $vgpr77_vgpr78
	v_div_fixup_f64 v[3:4], v[73:74], v[3:4], 1.0
                                        ; implicit-def: $vgpr73_vgpr74
	v_mul_f64 v[75:76], v[1:2], v[3:4]
	v_xor_b32_e32 v4, 0x80000000, v4
	v_xor_b32_e32 v2, 0x80000000, v76
	v_mov_b32_e32 v1, v75
.LBB97_4:
	s_andn2_saveexec_b32 s9, s9
	s_cbranch_execz .LBB97_6
; %bb.5:
	v_div_scale_f64 v[1:2], null, v[73:74], v[73:74], v[77:78]
	v_div_scale_f64 v[81:82], vcc_lo, v[77:78], v[73:74], v[77:78]
	v_rcp_f64_e32 v[3:4], v[1:2]
	v_fma_f64 v[75:76], -v[1:2], v[3:4], 1.0
	v_fma_f64 v[3:4], v[3:4], v[75:76], v[3:4]
	v_fma_f64 v[75:76], -v[1:2], v[3:4], 1.0
	v_fma_f64 v[3:4], v[3:4], v[75:76], v[3:4]
	v_mul_f64 v[75:76], v[81:82], v[3:4]
	v_fma_f64 v[1:2], -v[1:2], v[75:76], v[81:82]
	v_div_fmas_f64 v[1:2], v[1:2], v[3:4], v[75:76]
	v_div_fixup_f64 v[1:2], v[1:2], v[73:74], v[77:78]
	v_fma_f64 v[3:4], v[77:78], v[1:2], v[73:74]
	v_div_scale_f64 v[73:74], null, v[3:4], v[3:4], 1.0
	v_rcp_f64_e32 v[75:76], v[73:74]
	v_fma_f64 v[77:78], -v[73:74], v[75:76], 1.0
	v_fma_f64 v[75:76], v[75:76], v[77:78], v[75:76]
	v_fma_f64 v[77:78], -v[73:74], v[75:76], 1.0
	v_fma_f64 v[75:76], v[75:76], v[77:78], v[75:76]
	v_div_scale_f64 v[77:78], vcc_lo, 1.0, v[3:4], 1.0
	v_mul_f64 v[81:82], v[77:78], v[75:76]
	v_fma_f64 v[73:74], -v[73:74], v[81:82], v[77:78]
	v_div_fmas_f64 v[73:74], v[73:74], v[75:76], v[81:82]
	v_div_fixup_f64 v[75:76], v[73:74], v[3:4], 1.0
	v_mul_f64 v[3:4], v[1:2], -v[75:76]
	v_xor_b32_e32 v2, 0x80000000, v76
	v_mov_b32_e32 v1, v75
.LBB97_6:
	s_or_b32 exec_lo, exec_lo, s9
	buffer_store_dword v4, v80, s[0:3], 0 offen offset:12
	v_xor_b32_e32 v4, 0x80000000, v4
	buffer_store_dword v76, v80, s[0:3], 0 offen offset:4
	buffer_store_dword v75, v80, s[0:3], 0 offen
	buffer_store_dword v3, v80, s[0:3], 0 offen offset:8
	s_branch .LBB97_8
.LBB97_7:
	v_mov_b32_e32 v1, 0
	v_mov_b32_e32 v3, 0
	;; [unrolled: 1-line block ×4, first 2 shown]
.LBB97_8:
	v_add_nc_u32_e32 v74, 0x220, v79
	v_mov_b32_e32 v73, v79
	s_mov_b32 s41, 16
	s_mov_b32 s40, 32
	s_mov_b32 s39, 48
	s_mov_b32 s38, 64
	s_mov_b32 s37, s4
	s_mov_b32 s36, s5
	s_mov_b32 s35, s6
	s_mov_b32 s34, s7
	s_mov_b32 s33, s10
	s_mov_b32 s31, s11
	s_mov_b32 s30, s12
	s_mov_b32 s29, s13
	s_mov_b32 s28, s14
	s_mov_b32 s27, s15
	s_mov_b32 s26, s16
	s_mov_b32 s25, s17
	s_mov_b32 s24, s18
	s_mov_b32 s23, s19
	s_mov_b32 s22, s20
	s_mov_b32 s20, s43
	s_mov_b32 s19, s44
	s_mov_b32 s18, s45
	s_mov_b32 s17, s46
	s_mov_b32 s16, s47
	s_mov_b32 s15, s48
	s_mov_b32 s14, s49
	s_mov_b32 s13, s50
	s_mov_b32 s12, s51
	s_mov_b32 s11, s52
	s_mov_b32 s10, s53
	s_mov_b32 s9, s54
	s_mov_b32 s7, s55
	s_cmpk_eq_i32 s8, 0x79
	ds_write_b128 v79, v[1:4]
	s_cbranch_scc1 .LBB97_268
; %bb.9:
	v_mov_b32_e32 v4, s9
	v_cmp_eq_u32_e64 s4, 33, v0
	s_clause 0x3
	buffer_load_dword v1, v4, s[0:3], 0 offen
	buffer_load_dword v2, v4, s[0:3], 0 offen offset:4
	buffer_load_dword v3, v4, s[0:3], 0 offen offset:8
	;; [unrolled: 1-line block ×3, first 2 shown]
	s_waitcnt vmcnt(0)
	ds_write_b128 v74, v[1:4]
	s_waitcnt lgkmcnt(0)
	s_waitcnt_vscnt null, 0x0
	s_barrier
	buffer_gl0_inv
	s_and_saveexec_b32 s5, s4
	s_cbranch_execz .LBB97_13
; %bb.10:
	ds_read_b128 v[1:4], v74
	s_andn2_b32 vcc_lo, exec_lo, s42
	s_cbranch_vccnz .LBB97_12
; %bb.11:
	s_clause 0x3
	buffer_load_dword v75, v73, s[0:3], 0 offen offset:8
	buffer_load_dword v76, v73, s[0:3], 0 offen offset:12
	buffer_load_dword v77, v73, s[0:3], 0 offen
	buffer_load_dword v78, v73, s[0:3], 0 offen offset:4
	s_waitcnt vmcnt(2) lgkmcnt(0)
	v_mul_f64 v[80:81], v[3:4], v[75:76]
	v_mul_f64 v[75:76], v[1:2], v[75:76]
	s_waitcnt vmcnt(0)
	v_fma_f64 v[1:2], v[1:2], v[77:78], -v[80:81]
	v_fma_f64 v[3:4], v[3:4], v[77:78], v[75:76]
.LBB97_12:
	v_mov_b32_e32 v75, 0
	ds_read_b128 v[75:78], v75 offset:512
	s_waitcnt lgkmcnt(0)
	v_mul_f64 v[80:81], v[3:4], v[77:78]
	v_mul_f64 v[77:78], v[1:2], v[77:78]
	v_fma_f64 v[1:2], v[1:2], v[75:76], -v[80:81]
	v_fma_f64 v[3:4], v[3:4], v[75:76], v[77:78]
	buffer_store_dword v2, off, s[0:3], 0 offset:516
	buffer_store_dword v1, off, s[0:3], 0 offset:512
	;; [unrolled: 1-line block ×4, first 2 shown]
.LBB97_13:
	s_or_b32 exec_lo, exec_lo, s5
	v_mov_b32_e32 v4, s10
	v_cmp_lt_u32_e64 s5, 31, v0
	s_clause 0x3
	buffer_load_dword v1, v4, s[0:3], 0 offen
	buffer_load_dword v2, v4, s[0:3], 0 offen offset:4
	buffer_load_dword v3, v4, s[0:3], 0 offen offset:8
	;; [unrolled: 1-line block ×3, first 2 shown]
	s_waitcnt vmcnt(0)
	ds_write_b128 v74, v[1:4]
	s_waitcnt lgkmcnt(0)
	s_waitcnt_vscnt null, 0x0
	s_barrier
	buffer_gl0_inv
	s_and_saveexec_b32 s6, s5
	s_cbranch_execz .LBB97_19
; %bb.14:
	ds_read_b128 v[1:4], v74
	s_andn2_b32 vcc_lo, exec_lo, s42
	s_cbranch_vccnz .LBB97_16
; %bb.15:
	s_clause 0x3
	buffer_load_dword v75, v73, s[0:3], 0 offen offset:8
	buffer_load_dword v76, v73, s[0:3], 0 offen offset:12
	buffer_load_dword v77, v73, s[0:3], 0 offen
	buffer_load_dword v78, v73, s[0:3], 0 offen offset:4
	s_waitcnt vmcnt(2) lgkmcnt(0)
	v_mul_f64 v[80:81], v[3:4], v[75:76]
	v_mul_f64 v[75:76], v[1:2], v[75:76]
	s_waitcnt vmcnt(0)
	v_fma_f64 v[1:2], v[1:2], v[77:78], -v[80:81]
	v_fma_f64 v[3:4], v[3:4], v[77:78], v[75:76]
.LBB97_16:
	s_and_saveexec_b32 s8, s4
	s_cbranch_execz .LBB97_18
; %bb.17:
	s_clause 0x3
	buffer_load_dword v80, off, s[0:3], 0 offset:520
	buffer_load_dword v81, off, s[0:3], 0 offset:524
	;; [unrolled: 1-line block ×4, first 2 shown]
	v_mov_b32_e32 v75, 0
	ds_read_b128 v[75:78], v75 offset:1056
	s_waitcnt vmcnt(2) lgkmcnt(0)
	v_mul_f64 v[84:85], v[75:76], v[80:81]
	v_mul_f64 v[80:81], v[77:78], v[80:81]
	s_waitcnt vmcnt(0)
	v_fma_f64 v[77:78], v[77:78], v[82:83], v[84:85]
	v_fma_f64 v[75:76], v[75:76], v[82:83], -v[80:81]
	v_add_f64 v[3:4], v[3:4], v[77:78]
	v_add_f64 v[1:2], v[1:2], v[75:76]
.LBB97_18:
	s_or_b32 exec_lo, exec_lo, s8
	v_mov_b32_e32 v75, 0
	ds_read_b128 v[75:78], v75 offset:496
	s_waitcnt lgkmcnt(0)
	v_mul_f64 v[80:81], v[3:4], v[77:78]
	v_mul_f64 v[77:78], v[1:2], v[77:78]
	v_fma_f64 v[1:2], v[1:2], v[75:76], -v[80:81]
	v_fma_f64 v[3:4], v[3:4], v[75:76], v[77:78]
	buffer_store_dword v2, off, s[0:3], 0 offset:500
	buffer_store_dword v1, off, s[0:3], 0 offset:496
	;; [unrolled: 1-line block ×4, first 2 shown]
.LBB97_19:
	s_or_b32 exec_lo, exec_lo, s6
	v_mov_b32_e32 v4, s11
	v_cmp_lt_u32_e64 s4, 30, v0
	s_clause 0x3
	buffer_load_dword v1, v4, s[0:3], 0 offen
	buffer_load_dword v2, v4, s[0:3], 0 offen offset:4
	buffer_load_dword v3, v4, s[0:3], 0 offen offset:8
	;; [unrolled: 1-line block ×3, first 2 shown]
	s_waitcnt vmcnt(0)
	ds_write_b128 v74, v[1:4]
	s_waitcnt lgkmcnt(0)
	s_waitcnt_vscnt null, 0x0
	s_barrier
	buffer_gl0_inv
	s_and_saveexec_b32 s6, s4
	s_cbranch_execz .LBB97_27
; %bb.20:
	ds_read_b128 v[1:4], v74
	s_andn2_b32 vcc_lo, exec_lo, s42
	s_cbranch_vccnz .LBB97_22
; %bb.21:
	s_clause 0x3
	buffer_load_dword v75, v73, s[0:3], 0 offen offset:8
	buffer_load_dword v76, v73, s[0:3], 0 offen offset:12
	buffer_load_dword v77, v73, s[0:3], 0 offen
	buffer_load_dword v78, v73, s[0:3], 0 offen offset:4
	s_waitcnt vmcnt(2) lgkmcnt(0)
	v_mul_f64 v[80:81], v[3:4], v[75:76]
	v_mul_f64 v[75:76], v[1:2], v[75:76]
	s_waitcnt vmcnt(0)
	v_fma_f64 v[1:2], v[1:2], v[77:78], -v[80:81]
	v_fma_f64 v[3:4], v[3:4], v[77:78], v[75:76]
.LBB97_22:
	s_and_saveexec_b32 s8, s5
	s_cbranch_execz .LBB97_26
; %bb.23:
	v_subrev_nc_u32_e32 v75, 31, v0
	s_movk_i32 s43, 0x410
	s_mov_b32 s5, 0
	s_mov_b32 s44, s10
	.p2align	6
.LBB97_24:                              ; =>This Inner Loop Header: Depth=1
	v_mov_b32_e32 v78, s44
	v_add_nc_u32_e32 v75, -1, v75
	s_add_i32 s44, s44, 16
	s_clause 0x3
	buffer_load_dword v76, v78, s[0:3], 0 offen offset:8
	buffer_load_dword v77, v78, s[0:3], 0 offen offset:12
	buffer_load_dword v84, v78, s[0:3], 0 offen
	buffer_load_dword v85, v78, s[0:3], 0 offen offset:4
	v_mov_b32_e32 v78, s43
	v_cmp_eq_u32_e32 vcc_lo, 0, v75
	s_add_i32 s43, s43, 16
	ds_read_b128 v[80:83], v78
	s_or_b32 s5, vcc_lo, s5
	s_waitcnt vmcnt(2) lgkmcnt(0)
	v_mul_f64 v[86:87], v[82:83], v[76:77]
	v_mul_f64 v[76:77], v[80:81], v[76:77]
	s_waitcnt vmcnt(0)
	v_fma_f64 v[80:81], v[80:81], v[84:85], -v[86:87]
	v_fma_f64 v[76:77], v[82:83], v[84:85], v[76:77]
	v_add_f64 v[1:2], v[1:2], v[80:81]
	v_add_f64 v[3:4], v[3:4], v[76:77]
	s_andn2_b32 exec_lo, exec_lo, s5
	s_cbranch_execnz .LBB97_24
; %bb.25:
	s_or_b32 exec_lo, exec_lo, s5
.LBB97_26:
	s_or_b32 exec_lo, exec_lo, s8
	v_mov_b32_e32 v75, 0
	ds_read_b128 v[75:78], v75 offset:480
	s_waitcnt lgkmcnt(0)
	v_mul_f64 v[80:81], v[3:4], v[77:78]
	v_mul_f64 v[77:78], v[1:2], v[77:78]
	v_fma_f64 v[1:2], v[1:2], v[75:76], -v[80:81]
	v_fma_f64 v[3:4], v[3:4], v[75:76], v[77:78]
	buffer_store_dword v2, off, s[0:3], 0 offset:484
	buffer_store_dword v1, off, s[0:3], 0 offset:480
	;; [unrolled: 1-line block ×4, first 2 shown]
.LBB97_27:
	s_or_b32 exec_lo, exec_lo, s6
	v_mov_b32_e32 v4, s12
	v_cmp_lt_u32_e64 s5, 29, v0
	s_clause 0x3
	buffer_load_dword v1, v4, s[0:3], 0 offen
	buffer_load_dword v2, v4, s[0:3], 0 offen offset:4
	buffer_load_dword v3, v4, s[0:3], 0 offen offset:8
	;; [unrolled: 1-line block ×3, first 2 shown]
	s_waitcnt vmcnt(0)
	ds_write_b128 v74, v[1:4]
	s_waitcnt lgkmcnt(0)
	s_waitcnt_vscnt null, 0x0
	s_barrier
	buffer_gl0_inv
	s_and_saveexec_b32 s6, s5
	s_cbranch_execz .LBB97_35
; %bb.28:
	ds_read_b128 v[1:4], v74
	s_andn2_b32 vcc_lo, exec_lo, s42
	s_cbranch_vccnz .LBB97_30
; %bb.29:
	s_clause 0x3
	buffer_load_dword v75, v73, s[0:3], 0 offen offset:8
	buffer_load_dword v76, v73, s[0:3], 0 offen offset:12
	buffer_load_dword v77, v73, s[0:3], 0 offen
	buffer_load_dword v78, v73, s[0:3], 0 offen offset:4
	s_waitcnt vmcnt(2) lgkmcnt(0)
	v_mul_f64 v[80:81], v[3:4], v[75:76]
	v_mul_f64 v[75:76], v[1:2], v[75:76]
	s_waitcnt vmcnt(0)
	v_fma_f64 v[1:2], v[1:2], v[77:78], -v[80:81]
	v_fma_f64 v[3:4], v[3:4], v[77:78], v[75:76]
.LBB97_30:
	s_and_saveexec_b32 s8, s4
	s_cbranch_execz .LBB97_34
; %bb.31:
	v_subrev_nc_u32_e32 v75, 30, v0
	s_movk_i32 s43, 0x400
	s_mov_b32 s4, 0
	s_mov_b32 s44, s11
	.p2align	6
.LBB97_32:                              ; =>This Inner Loop Header: Depth=1
	v_mov_b32_e32 v78, s44
	v_add_nc_u32_e32 v75, -1, v75
	s_add_i32 s44, s44, 16
	s_clause 0x3
	buffer_load_dword v76, v78, s[0:3], 0 offen offset:8
	buffer_load_dword v77, v78, s[0:3], 0 offen offset:12
	buffer_load_dword v84, v78, s[0:3], 0 offen
	buffer_load_dword v85, v78, s[0:3], 0 offen offset:4
	v_mov_b32_e32 v78, s43
	v_cmp_eq_u32_e32 vcc_lo, 0, v75
	s_add_i32 s43, s43, 16
	ds_read_b128 v[80:83], v78
	s_or_b32 s4, vcc_lo, s4
	s_waitcnt vmcnt(2) lgkmcnt(0)
	v_mul_f64 v[86:87], v[82:83], v[76:77]
	v_mul_f64 v[76:77], v[80:81], v[76:77]
	s_waitcnt vmcnt(0)
	v_fma_f64 v[80:81], v[80:81], v[84:85], -v[86:87]
	v_fma_f64 v[76:77], v[82:83], v[84:85], v[76:77]
	v_add_f64 v[1:2], v[1:2], v[80:81]
	v_add_f64 v[3:4], v[3:4], v[76:77]
	s_andn2_b32 exec_lo, exec_lo, s4
	s_cbranch_execnz .LBB97_32
; %bb.33:
	s_or_b32 exec_lo, exec_lo, s4
.LBB97_34:
	s_or_b32 exec_lo, exec_lo, s8
	v_mov_b32_e32 v75, 0
	ds_read_b128 v[75:78], v75 offset:464
	s_waitcnt lgkmcnt(0)
	v_mul_f64 v[80:81], v[3:4], v[77:78]
	v_mul_f64 v[77:78], v[1:2], v[77:78]
	v_fma_f64 v[1:2], v[1:2], v[75:76], -v[80:81]
	v_fma_f64 v[3:4], v[3:4], v[75:76], v[77:78]
	buffer_store_dword v2, off, s[0:3], 0 offset:468
	buffer_store_dword v1, off, s[0:3], 0 offset:464
	;; [unrolled: 1-line block ×4, first 2 shown]
.LBB97_35:
	s_or_b32 exec_lo, exec_lo, s6
	v_mov_b32_e32 v4, s13
	v_cmp_lt_u32_e64 s4, 28, v0
	s_clause 0x3
	buffer_load_dword v1, v4, s[0:3], 0 offen
	buffer_load_dword v2, v4, s[0:3], 0 offen offset:4
	buffer_load_dword v3, v4, s[0:3], 0 offen offset:8
	;; [unrolled: 1-line block ×3, first 2 shown]
	s_waitcnt vmcnt(0)
	ds_write_b128 v74, v[1:4]
	s_waitcnt lgkmcnt(0)
	s_waitcnt_vscnt null, 0x0
	s_barrier
	buffer_gl0_inv
	s_and_saveexec_b32 s6, s4
	s_cbranch_execz .LBB97_43
; %bb.36:
	ds_read_b128 v[1:4], v74
	s_andn2_b32 vcc_lo, exec_lo, s42
	s_cbranch_vccnz .LBB97_38
; %bb.37:
	s_clause 0x3
	buffer_load_dword v75, v73, s[0:3], 0 offen offset:8
	buffer_load_dword v76, v73, s[0:3], 0 offen offset:12
	buffer_load_dword v77, v73, s[0:3], 0 offen
	buffer_load_dword v78, v73, s[0:3], 0 offen offset:4
	s_waitcnt vmcnt(2) lgkmcnt(0)
	v_mul_f64 v[80:81], v[3:4], v[75:76]
	v_mul_f64 v[75:76], v[1:2], v[75:76]
	s_waitcnt vmcnt(0)
	v_fma_f64 v[1:2], v[1:2], v[77:78], -v[80:81]
	v_fma_f64 v[3:4], v[3:4], v[77:78], v[75:76]
.LBB97_38:
	s_and_saveexec_b32 s8, s5
	s_cbranch_execz .LBB97_42
; %bb.39:
	v_subrev_nc_u32_e32 v75, 29, v0
	s_movk_i32 s43, 0x3f0
	s_mov_b32 s5, 0
	s_mov_b32 s44, s12
	.p2align	6
.LBB97_40:                              ; =>This Inner Loop Header: Depth=1
	v_mov_b32_e32 v78, s44
	v_add_nc_u32_e32 v75, -1, v75
	s_add_i32 s44, s44, 16
	s_clause 0x3
	buffer_load_dword v76, v78, s[0:3], 0 offen offset:8
	buffer_load_dword v77, v78, s[0:3], 0 offen offset:12
	buffer_load_dword v84, v78, s[0:3], 0 offen
	buffer_load_dword v85, v78, s[0:3], 0 offen offset:4
	v_mov_b32_e32 v78, s43
	v_cmp_eq_u32_e32 vcc_lo, 0, v75
	s_add_i32 s43, s43, 16
	ds_read_b128 v[80:83], v78
	s_or_b32 s5, vcc_lo, s5
	s_waitcnt vmcnt(2) lgkmcnt(0)
	v_mul_f64 v[86:87], v[82:83], v[76:77]
	v_mul_f64 v[76:77], v[80:81], v[76:77]
	s_waitcnt vmcnt(0)
	v_fma_f64 v[80:81], v[80:81], v[84:85], -v[86:87]
	v_fma_f64 v[76:77], v[82:83], v[84:85], v[76:77]
	v_add_f64 v[1:2], v[1:2], v[80:81]
	v_add_f64 v[3:4], v[3:4], v[76:77]
	s_andn2_b32 exec_lo, exec_lo, s5
	s_cbranch_execnz .LBB97_40
; %bb.41:
	s_or_b32 exec_lo, exec_lo, s5
.LBB97_42:
	s_or_b32 exec_lo, exec_lo, s8
	v_mov_b32_e32 v75, 0
	ds_read_b128 v[75:78], v75 offset:448
	s_waitcnt lgkmcnt(0)
	v_mul_f64 v[80:81], v[3:4], v[77:78]
	v_mul_f64 v[77:78], v[1:2], v[77:78]
	v_fma_f64 v[1:2], v[1:2], v[75:76], -v[80:81]
	v_fma_f64 v[3:4], v[3:4], v[75:76], v[77:78]
	buffer_store_dword v2, off, s[0:3], 0 offset:452
	buffer_store_dword v1, off, s[0:3], 0 offset:448
	;; [unrolled: 1-line block ×4, first 2 shown]
.LBB97_43:
	s_or_b32 exec_lo, exec_lo, s6
	v_mov_b32_e32 v4, s14
	v_cmp_lt_u32_e64 s5, 27, v0
	s_clause 0x3
	buffer_load_dword v1, v4, s[0:3], 0 offen
	buffer_load_dword v2, v4, s[0:3], 0 offen offset:4
	buffer_load_dword v3, v4, s[0:3], 0 offen offset:8
	;; [unrolled: 1-line block ×3, first 2 shown]
	s_waitcnt vmcnt(0)
	ds_write_b128 v74, v[1:4]
	s_waitcnt lgkmcnt(0)
	s_waitcnt_vscnt null, 0x0
	s_barrier
	buffer_gl0_inv
	s_and_saveexec_b32 s6, s5
	s_cbranch_execz .LBB97_51
; %bb.44:
	ds_read_b128 v[1:4], v74
	s_andn2_b32 vcc_lo, exec_lo, s42
	s_cbranch_vccnz .LBB97_46
; %bb.45:
	s_clause 0x3
	buffer_load_dword v75, v73, s[0:3], 0 offen offset:8
	buffer_load_dword v76, v73, s[0:3], 0 offen offset:12
	buffer_load_dword v77, v73, s[0:3], 0 offen
	buffer_load_dword v78, v73, s[0:3], 0 offen offset:4
	s_waitcnt vmcnt(2) lgkmcnt(0)
	v_mul_f64 v[80:81], v[3:4], v[75:76]
	v_mul_f64 v[75:76], v[1:2], v[75:76]
	s_waitcnt vmcnt(0)
	v_fma_f64 v[1:2], v[1:2], v[77:78], -v[80:81]
	v_fma_f64 v[3:4], v[3:4], v[77:78], v[75:76]
.LBB97_46:
	s_and_saveexec_b32 s8, s4
	s_cbranch_execz .LBB97_50
; %bb.47:
	v_subrev_nc_u32_e32 v75, 28, v0
	s_movk_i32 s43, 0x3e0
	s_mov_b32 s4, 0
	s_mov_b32 s44, s13
	.p2align	6
.LBB97_48:                              ; =>This Inner Loop Header: Depth=1
	v_mov_b32_e32 v78, s44
	v_add_nc_u32_e32 v75, -1, v75
	s_add_i32 s44, s44, 16
	s_clause 0x3
	buffer_load_dword v76, v78, s[0:3], 0 offen offset:8
	buffer_load_dword v77, v78, s[0:3], 0 offen offset:12
	buffer_load_dword v84, v78, s[0:3], 0 offen
	buffer_load_dword v85, v78, s[0:3], 0 offen offset:4
	v_mov_b32_e32 v78, s43
	v_cmp_eq_u32_e32 vcc_lo, 0, v75
	s_add_i32 s43, s43, 16
	ds_read_b128 v[80:83], v78
	s_or_b32 s4, vcc_lo, s4
	s_waitcnt vmcnt(2) lgkmcnt(0)
	v_mul_f64 v[86:87], v[82:83], v[76:77]
	v_mul_f64 v[76:77], v[80:81], v[76:77]
	s_waitcnt vmcnt(0)
	v_fma_f64 v[80:81], v[80:81], v[84:85], -v[86:87]
	v_fma_f64 v[76:77], v[82:83], v[84:85], v[76:77]
	v_add_f64 v[1:2], v[1:2], v[80:81]
	v_add_f64 v[3:4], v[3:4], v[76:77]
	s_andn2_b32 exec_lo, exec_lo, s4
	s_cbranch_execnz .LBB97_48
; %bb.49:
	s_or_b32 exec_lo, exec_lo, s4
.LBB97_50:
	s_or_b32 exec_lo, exec_lo, s8
	v_mov_b32_e32 v75, 0
	ds_read_b128 v[75:78], v75 offset:432
	s_waitcnt lgkmcnt(0)
	v_mul_f64 v[80:81], v[3:4], v[77:78]
	v_mul_f64 v[77:78], v[1:2], v[77:78]
	v_fma_f64 v[1:2], v[1:2], v[75:76], -v[80:81]
	v_fma_f64 v[3:4], v[3:4], v[75:76], v[77:78]
	buffer_store_dword v2, off, s[0:3], 0 offset:436
	buffer_store_dword v1, off, s[0:3], 0 offset:432
	;; [unrolled: 1-line block ×4, first 2 shown]
.LBB97_51:
	s_or_b32 exec_lo, exec_lo, s6
	v_mov_b32_e32 v4, s15
	v_cmp_lt_u32_e64 s4, 26, v0
	s_clause 0x3
	buffer_load_dword v1, v4, s[0:3], 0 offen
	buffer_load_dword v2, v4, s[0:3], 0 offen offset:4
	buffer_load_dword v3, v4, s[0:3], 0 offen offset:8
	;; [unrolled: 1-line block ×3, first 2 shown]
	s_waitcnt vmcnt(0)
	ds_write_b128 v74, v[1:4]
	s_waitcnt lgkmcnt(0)
	s_waitcnt_vscnt null, 0x0
	s_barrier
	buffer_gl0_inv
	s_and_saveexec_b32 s6, s4
	s_cbranch_execz .LBB97_59
; %bb.52:
	ds_read_b128 v[1:4], v74
	s_andn2_b32 vcc_lo, exec_lo, s42
	s_cbranch_vccnz .LBB97_54
; %bb.53:
	s_clause 0x3
	buffer_load_dword v75, v73, s[0:3], 0 offen offset:8
	buffer_load_dword v76, v73, s[0:3], 0 offen offset:12
	buffer_load_dword v77, v73, s[0:3], 0 offen
	buffer_load_dword v78, v73, s[0:3], 0 offen offset:4
	s_waitcnt vmcnt(2) lgkmcnt(0)
	v_mul_f64 v[80:81], v[3:4], v[75:76]
	v_mul_f64 v[75:76], v[1:2], v[75:76]
	s_waitcnt vmcnt(0)
	v_fma_f64 v[1:2], v[1:2], v[77:78], -v[80:81]
	v_fma_f64 v[3:4], v[3:4], v[77:78], v[75:76]
.LBB97_54:
	s_and_saveexec_b32 s8, s5
	s_cbranch_execz .LBB97_58
; %bb.55:
	v_subrev_nc_u32_e32 v75, 27, v0
	s_movk_i32 s43, 0x3d0
	s_mov_b32 s5, 0
	s_mov_b32 s44, s14
	.p2align	6
.LBB97_56:                              ; =>This Inner Loop Header: Depth=1
	v_mov_b32_e32 v78, s44
	v_add_nc_u32_e32 v75, -1, v75
	s_add_i32 s44, s44, 16
	s_clause 0x3
	buffer_load_dword v76, v78, s[0:3], 0 offen offset:8
	buffer_load_dword v77, v78, s[0:3], 0 offen offset:12
	buffer_load_dword v84, v78, s[0:3], 0 offen
	buffer_load_dword v85, v78, s[0:3], 0 offen offset:4
	v_mov_b32_e32 v78, s43
	v_cmp_eq_u32_e32 vcc_lo, 0, v75
	s_add_i32 s43, s43, 16
	ds_read_b128 v[80:83], v78
	s_or_b32 s5, vcc_lo, s5
	s_waitcnt vmcnt(2) lgkmcnt(0)
	v_mul_f64 v[86:87], v[82:83], v[76:77]
	v_mul_f64 v[76:77], v[80:81], v[76:77]
	s_waitcnt vmcnt(0)
	v_fma_f64 v[80:81], v[80:81], v[84:85], -v[86:87]
	v_fma_f64 v[76:77], v[82:83], v[84:85], v[76:77]
	v_add_f64 v[1:2], v[1:2], v[80:81]
	v_add_f64 v[3:4], v[3:4], v[76:77]
	s_andn2_b32 exec_lo, exec_lo, s5
	s_cbranch_execnz .LBB97_56
; %bb.57:
	s_or_b32 exec_lo, exec_lo, s5
.LBB97_58:
	s_or_b32 exec_lo, exec_lo, s8
	v_mov_b32_e32 v75, 0
	ds_read_b128 v[75:78], v75 offset:416
	s_waitcnt lgkmcnt(0)
	v_mul_f64 v[80:81], v[3:4], v[77:78]
	v_mul_f64 v[77:78], v[1:2], v[77:78]
	v_fma_f64 v[1:2], v[1:2], v[75:76], -v[80:81]
	v_fma_f64 v[3:4], v[3:4], v[75:76], v[77:78]
	buffer_store_dword v2, off, s[0:3], 0 offset:420
	buffer_store_dword v1, off, s[0:3], 0 offset:416
	;; [unrolled: 1-line block ×4, first 2 shown]
.LBB97_59:
	s_or_b32 exec_lo, exec_lo, s6
	v_mov_b32_e32 v4, s16
	v_cmp_lt_u32_e64 s5, 25, v0
	s_clause 0x3
	buffer_load_dword v1, v4, s[0:3], 0 offen
	buffer_load_dword v2, v4, s[0:3], 0 offen offset:4
	buffer_load_dword v3, v4, s[0:3], 0 offen offset:8
	;; [unrolled: 1-line block ×3, first 2 shown]
	s_waitcnt vmcnt(0)
	ds_write_b128 v74, v[1:4]
	s_waitcnt lgkmcnt(0)
	s_waitcnt_vscnt null, 0x0
	s_barrier
	buffer_gl0_inv
	s_and_saveexec_b32 s6, s5
	s_cbranch_execz .LBB97_67
; %bb.60:
	ds_read_b128 v[1:4], v74
	s_andn2_b32 vcc_lo, exec_lo, s42
	s_cbranch_vccnz .LBB97_62
; %bb.61:
	s_clause 0x3
	buffer_load_dword v75, v73, s[0:3], 0 offen offset:8
	buffer_load_dword v76, v73, s[0:3], 0 offen offset:12
	buffer_load_dword v77, v73, s[0:3], 0 offen
	buffer_load_dword v78, v73, s[0:3], 0 offen offset:4
	s_waitcnt vmcnt(2) lgkmcnt(0)
	v_mul_f64 v[80:81], v[3:4], v[75:76]
	v_mul_f64 v[75:76], v[1:2], v[75:76]
	s_waitcnt vmcnt(0)
	v_fma_f64 v[1:2], v[1:2], v[77:78], -v[80:81]
	v_fma_f64 v[3:4], v[3:4], v[77:78], v[75:76]
.LBB97_62:
	s_and_saveexec_b32 s8, s4
	s_cbranch_execz .LBB97_66
; %bb.63:
	v_subrev_nc_u32_e32 v75, 26, v0
	s_movk_i32 s43, 0x3c0
	s_mov_b32 s4, 0
	s_mov_b32 s44, s15
	.p2align	6
.LBB97_64:                              ; =>This Inner Loop Header: Depth=1
	v_mov_b32_e32 v78, s44
	v_add_nc_u32_e32 v75, -1, v75
	s_add_i32 s44, s44, 16
	s_clause 0x3
	buffer_load_dword v76, v78, s[0:3], 0 offen offset:8
	buffer_load_dword v77, v78, s[0:3], 0 offen offset:12
	buffer_load_dword v84, v78, s[0:3], 0 offen
	buffer_load_dword v85, v78, s[0:3], 0 offen offset:4
	v_mov_b32_e32 v78, s43
	v_cmp_eq_u32_e32 vcc_lo, 0, v75
	s_add_i32 s43, s43, 16
	ds_read_b128 v[80:83], v78
	s_or_b32 s4, vcc_lo, s4
	s_waitcnt vmcnt(2) lgkmcnt(0)
	v_mul_f64 v[86:87], v[82:83], v[76:77]
	v_mul_f64 v[76:77], v[80:81], v[76:77]
	s_waitcnt vmcnt(0)
	v_fma_f64 v[80:81], v[80:81], v[84:85], -v[86:87]
	v_fma_f64 v[76:77], v[82:83], v[84:85], v[76:77]
	v_add_f64 v[1:2], v[1:2], v[80:81]
	v_add_f64 v[3:4], v[3:4], v[76:77]
	s_andn2_b32 exec_lo, exec_lo, s4
	s_cbranch_execnz .LBB97_64
; %bb.65:
	s_or_b32 exec_lo, exec_lo, s4
.LBB97_66:
	s_or_b32 exec_lo, exec_lo, s8
	v_mov_b32_e32 v75, 0
	ds_read_b128 v[75:78], v75 offset:400
	s_waitcnt lgkmcnt(0)
	v_mul_f64 v[80:81], v[3:4], v[77:78]
	v_mul_f64 v[77:78], v[1:2], v[77:78]
	v_fma_f64 v[1:2], v[1:2], v[75:76], -v[80:81]
	v_fma_f64 v[3:4], v[3:4], v[75:76], v[77:78]
	buffer_store_dword v2, off, s[0:3], 0 offset:404
	buffer_store_dword v1, off, s[0:3], 0 offset:400
	;; [unrolled: 1-line block ×4, first 2 shown]
.LBB97_67:
	s_or_b32 exec_lo, exec_lo, s6
	v_mov_b32_e32 v4, s17
	v_cmp_lt_u32_e64 s4, 24, v0
	s_clause 0x3
	buffer_load_dword v1, v4, s[0:3], 0 offen
	buffer_load_dword v2, v4, s[0:3], 0 offen offset:4
	buffer_load_dword v3, v4, s[0:3], 0 offen offset:8
	;; [unrolled: 1-line block ×3, first 2 shown]
	s_waitcnt vmcnt(0)
	ds_write_b128 v74, v[1:4]
	s_waitcnt lgkmcnt(0)
	s_waitcnt_vscnt null, 0x0
	s_barrier
	buffer_gl0_inv
	s_and_saveexec_b32 s6, s4
	s_cbranch_execz .LBB97_75
; %bb.68:
	ds_read_b128 v[1:4], v74
	s_andn2_b32 vcc_lo, exec_lo, s42
	s_cbranch_vccnz .LBB97_70
; %bb.69:
	s_clause 0x3
	buffer_load_dword v75, v73, s[0:3], 0 offen offset:8
	buffer_load_dword v76, v73, s[0:3], 0 offen offset:12
	buffer_load_dword v77, v73, s[0:3], 0 offen
	buffer_load_dword v78, v73, s[0:3], 0 offen offset:4
	s_waitcnt vmcnt(2) lgkmcnt(0)
	v_mul_f64 v[80:81], v[3:4], v[75:76]
	v_mul_f64 v[75:76], v[1:2], v[75:76]
	s_waitcnt vmcnt(0)
	v_fma_f64 v[1:2], v[1:2], v[77:78], -v[80:81]
	v_fma_f64 v[3:4], v[3:4], v[77:78], v[75:76]
.LBB97_70:
	s_and_saveexec_b32 s8, s5
	s_cbranch_execz .LBB97_74
; %bb.71:
	v_subrev_nc_u32_e32 v75, 25, v0
	s_movk_i32 s43, 0x3b0
	s_mov_b32 s5, 0
	s_mov_b32 s44, s16
	.p2align	6
.LBB97_72:                              ; =>This Inner Loop Header: Depth=1
	v_mov_b32_e32 v78, s44
	v_add_nc_u32_e32 v75, -1, v75
	s_add_i32 s44, s44, 16
	s_clause 0x3
	buffer_load_dword v76, v78, s[0:3], 0 offen offset:8
	buffer_load_dword v77, v78, s[0:3], 0 offen offset:12
	buffer_load_dword v84, v78, s[0:3], 0 offen
	buffer_load_dword v85, v78, s[0:3], 0 offen offset:4
	v_mov_b32_e32 v78, s43
	v_cmp_eq_u32_e32 vcc_lo, 0, v75
	s_add_i32 s43, s43, 16
	ds_read_b128 v[80:83], v78
	s_or_b32 s5, vcc_lo, s5
	s_waitcnt vmcnt(2) lgkmcnt(0)
	v_mul_f64 v[86:87], v[82:83], v[76:77]
	v_mul_f64 v[76:77], v[80:81], v[76:77]
	s_waitcnt vmcnt(0)
	v_fma_f64 v[80:81], v[80:81], v[84:85], -v[86:87]
	v_fma_f64 v[76:77], v[82:83], v[84:85], v[76:77]
	v_add_f64 v[1:2], v[1:2], v[80:81]
	v_add_f64 v[3:4], v[3:4], v[76:77]
	s_andn2_b32 exec_lo, exec_lo, s5
	s_cbranch_execnz .LBB97_72
; %bb.73:
	s_or_b32 exec_lo, exec_lo, s5
.LBB97_74:
	s_or_b32 exec_lo, exec_lo, s8
	v_mov_b32_e32 v75, 0
	ds_read_b128 v[75:78], v75 offset:384
	s_waitcnt lgkmcnt(0)
	v_mul_f64 v[80:81], v[3:4], v[77:78]
	v_mul_f64 v[77:78], v[1:2], v[77:78]
	v_fma_f64 v[1:2], v[1:2], v[75:76], -v[80:81]
	v_fma_f64 v[3:4], v[3:4], v[75:76], v[77:78]
	buffer_store_dword v2, off, s[0:3], 0 offset:388
	buffer_store_dword v1, off, s[0:3], 0 offset:384
	;; [unrolled: 1-line block ×4, first 2 shown]
.LBB97_75:
	s_or_b32 exec_lo, exec_lo, s6
	v_mov_b32_e32 v4, s18
	v_cmp_lt_u32_e64 s5, 23, v0
	s_clause 0x3
	buffer_load_dword v1, v4, s[0:3], 0 offen
	buffer_load_dword v2, v4, s[0:3], 0 offen offset:4
	buffer_load_dword v3, v4, s[0:3], 0 offen offset:8
	;; [unrolled: 1-line block ×3, first 2 shown]
	s_waitcnt vmcnt(0)
	ds_write_b128 v74, v[1:4]
	s_waitcnt lgkmcnt(0)
	s_waitcnt_vscnt null, 0x0
	s_barrier
	buffer_gl0_inv
	s_and_saveexec_b32 s6, s5
	s_cbranch_execz .LBB97_83
; %bb.76:
	ds_read_b128 v[1:4], v74
	s_andn2_b32 vcc_lo, exec_lo, s42
	s_cbranch_vccnz .LBB97_78
; %bb.77:
	s_clause 0x3
	buffer_load_dword v75, v73, s[0:3], 0 offen offset:8
	buffer_load_dword v76, v73, s[0:3], 0 offen offset:12
	buffer_load_dword v77, v73, s[0:3], 0 offen
	buffer_load_dword v78, v73, s[0:3], 0 offen offset:4
	s_waitcnt vmcnt(2) lgkmcnt(0)
	v_mul_f64 v[80:81], v[3:4], v[75:76]
	v_mul_f64 v[75:76], v[1:2], v[75:76]
	s_waitcnt vmcnt(0)
	v_fma_f64 v[1:2], v[1:2], v[77:78], -v[80:81]
	v_fma_f64 v[3:4], v[3:4], v[77:78], v[75:76]
.LBB97_78:
	s_and_saveexec_b32 s8, s4
	s_cbranch_execz .LBB97_82
; %bb.79:
	v_subrev_nc_u32_e32 v75, 24, v0
	s_movk_i32 s43, 0x3a0
	s_mov_b32 s4, 0
	s_mov_b32 s44, s17
	.p2align	6
.LBB97_80:                              ; =>This Inner Loop Header: Depth=1
	v_mov_b32_e32 v78, s44
	v_add_nc_u32_e32 v75, -1, v75
	s_add_i32 s44, s44, 16
	s_clause 0x3
	buffer_load_dword v76, v78, s[0:3], 0 offen offset:8
	buffer_load_dword v77, v78, s[0:3], 0 offen offset:12
	buffer_load_dword v84, v78, s[0:3], 0 offen
	buffer_load_dword v85, v78, s[0:3], 0 offen offset:4
	v_mov_b32_e32 v78, s43
	v_cmp_eq_u32_e32 vcc_lo, 0, v75
	s_add_i32 s43, s43, 16
	ds_read_b128 v[80:83], v78
	s_or_b32 s4, vcc_lo, s4
	s_waitcnt vmcnt(2) lgkmcnt(0)
	v_mul_f64 v[86:87], v[82:83], v[76:77]
	v_mul_f64 v[76:77], v[80:81], v[76:77]
	s_waitcnt vmcnt(0)
	v_fma_f64 v[80:81], v[80:81], v[84:85], -v[86:87]
	v_fma_f64 v[76:77], v[82:83], v[84:85], v[76:77]
	v_add_f64 v[1:2], v[1:2], v[80:81]
	v_add_f64 v[3:4], v[3:4], v[76:77]
	s_andn2_b32 exec_lo, exec_lo, s4
	s_cbranch_execnz .LBB97_80
; %bb.81:
	s_or_b32 exec_lo, exec_lo, s4
.LBB97_82:
	s_or_b32 exec_lo, exec_lo, s8
	v_mov_b32_e32 v75, 0
	ds_read_b128 v[75:78], v75 offset:368
	s_waitcnt lgkmcnt(0)
	v_mul_f64 v[80:81], v[3:4], v[77:78]
	v_mul_f64 v[77:78], v[1:2], v[77:78]
	v_fma_f64 v[1:2], v[1:2], v[75:76], -v[80:81]
	v_fma_f64 v[3:4], v[3:4], v[75:76], v[77:78]
	buffer_store_dword v2, off, s[0:3], 0 offset:372
	buffer_store_dword v1, off, s[0:3], 0 offset:368
	;; [unrolled: 1-line block ×4, first 2 shown]
.LBB97_83:
	s_or_b32 exec_lo, exec_lo, s6
	v_mov_b32_e32 v4, s19
	v_cmp_lt_u32_e64 s4, 22, v0
	s_clause 0x3
	buffer_load_dword v1, v4, s[0:3], 0 offen
	buffer_load_dword v2, v4, s[0:3], 0 offen offset:4
	buffer_load_dword v3, v4, s[0:3], 0 offen offset:8
	;; [unrolled: 1-line block ×3, first 2 shown]
	s_waitcnt vmcnt(0)
	ds_write_b128 v74, v[1:4]
	s_waitcnt lgkmcnt(0)
	s_waitcnt_vscnt null, 0x0
	s_barrier
	buffer_gl0_inv
	s_and_saveexec_b32 s6, s4
	s_cbranch_execz .LBB97_91
; %bb.84:
	ds_read_b128 v[1:4], v74
	s_andn2_b32 vcc_lo, exec_lo, s42
	s_cbranch_vccnz .LBB97_86
; %bb.85:
	s_clause 0x3
	buffer_load_dword v75, v73, s[0:3], 0 offen offset:8
	buffer_load_dword v76, v73, s[0:3], 0 offen offset:12
	buffer_load_dword v77, v73, s[0:3], 0 offen
	buffer_load_dword v78, v73, s[0:3], 0 offen offset:4
	s_waitcnt vmcnt(2) lgkmcnt(0)
	v_mul_f64 v[80:81], v[3:4], v[75:76]
	v_mul_f64 v[75:76], v[1:2], v[75:76]
	s_waitcnt vmcnt(0)
	v_fma_f64 v[1:2], v[1:2], v[77:78], -v[80:81]
	v_fma_f64 v[3:4], v[3:4], v[77:78], v[75:76]
.LBB97_86:
	s_and_saveexec_b32 s8, s5
	s_cbranch_execz .LBB97_90
; %bb.87:
	v_subrev_nc_u32_e32 v75, 23, v0
	s_movk_i32 s43, 0x390
	s_mov_b32 s5, 0
	s_mov_b32 s44, s18
	.p2align	6
.LBB97_88:                              ; =>This Inner Loop Header: Depth=1
	v_mov_b32_e32 v78, s44
	v_add_nc_u32_e32 v75, -1, v75
	s_add_i32 s44, s44, 16
	s_clause 0x3
	buffer_load_dword v76, v78, s[0:3], 0 offen offset:8
	buffer_load_dword v77, v78, s[0:3], 0 offen offset:12
	buffer_load_dword v84, v78, s[0:3], 0 offen
	buffer_load_dword v85, v78, s[0:3], 0 offen offset:4
	v_mov_b32_e32 v78, s43
	v_cmp_eq_u32_e32 vcc_lo, 0, v75
	s_add_i32 s43, s43, 16
	ds_read_b128 v[80:83], v78
	s_or_b32 s5, vcc_lo, s5
	s_waitcnt vmcnt(2) lgkmcnt(0)
	v_mul_f64 v[86:87], v[82:83], v[76:77]
	v_mul_f64 v[76:77], v[80:81], v[76:77]
	s_waitcnt vmcnt(0)
	v_fma_f64 v[80:81], v[80:81], v[84:85], -v[86:87]
	v_fma_f64 v[76:77], v[82:83], v[84:85], v[76:77]
	v_add_f64 v[1:2], v[1:2], v[80:81]
	v_add_f64 v[3:4], v[3:4], v[76:77]
	s_andn2_b32 exec_lo, exec_lo, s5
	s_cbranch_execnz .LBB97_88
; %bb.89:
	s_or_b32 exec_lo, exec_lo, s5
.LBB97_90:
	s_or_b32 exec_lo, exec_lo, s8
	v_mov_b32_e32 v75, 0
	ds_read_b128 v[75:78], v75 offset:352
	s_waitcnt lgkmcnt(0)
	v_mul_f64 v[80:81], v[3:4], v[77:78]
	v_mul_f64 v[77:78], v[1:2], v[77:78]
	v_fma_f64 v[1:2], v[1:2], v[75:76], -v[80:81]
	v_fma_f64 v[3:4], v[3:4], v[75:76], v[77:78]
	buffer_store_dword v2, off, s[0:3], 0 offset:356
	buffer_store_dword v1, off, s[0:3], 0 offset:352
	;; [unrolled: 1-line block ×4, first 2 shown]
.LBB97_91:
	s_or_b32 exec_lo, exec_lo, s6
	v_mov_b32_e32 v4, s20
	v_cmp_lt_u32_e64 s5, 21, v0
	s_clause 0x3
	buffer_load_dword v1, v4, s[0:3], 0 offen
	buffer_load_dword v2, v4, s[0:3], 0 offen offset:4
	buffer_load_dword v3, v4, s[0:3], 0 offen offset:8
	;; [unrolled: 1-line block ×3, first 2 shown]
	s_waitcnt vmcnt(0)
	ds_write_b128 v74, v[1:4]
	s_waitcnt lgkmcnt(0)
	s_waitcnt_vscnt null, 0x0
	s_barrier
	buffer_gl0_inv
	s_and_saveexec_b32 s6, s5
	s_cbranch_execz .LBB97_99
; %bb.92:
	ds_read_b128 v[1:4], v74
	s_andn2_b32 vcc_lo, exec_lo, s42
	s_cbranch_vccnz .LBB97_94
; %bb.93:
	s_clause 0x3
	buffer_load_dword v75, v73, s[0:3], 0 offen offset:8
	buffer_load_dword v76, v73, s[0:3], 0 offen offset:12
	buffer_load_dword v77, v73, s[0:3], 0 offen
	buffer_load_dword v78, v73, s[0:3], 0 offen offset:4
	s_waitcnt vmcnt(2) lgkmcnt(0)
	v_mul_f64 v[80:81], v[3:4], v[75:76]
	v_mul_f64 v[75:76], v[1:2], v[75:76]
	s_waitcnt vmcnt(0)
	v_fma_f64 v[1:2], v[1:2], v[77:78], -v[80:81]
	v_fma_f64 v[3:4], v[3:4], v[77:78], v[75:76]
.LBB97_94:
	s_and_saveexec_b32 s8, s4
	s_cbranch_execz .LBB97_98
; %bb.95:
	v_subrev_nc_u32_e32 v75, 22, v0
	s_movk_i32 s43, 0x380
	s_mov_b32 s4, 0
	s_mov_b32 s44, s19
	.p2align	6
.LBB97_96:                              ; =>This Inner Loop Header: Depth=1
	v_mov_b32_e32 v78, s44
	v_add_nc_u32_e32 v75, -1, v75
	s_add_i32 s44, s44, 16
	s_clause 0x3
	buffer_load_dword v76, v78, s[0:3], 0 offen offset:8
	buffer_load_dword v77, v78, s[0:3], 0 offen offset:12
	buffer_load_dword v84, v78, s[0:3], 0 offen
	buffer_load_dword v85, v78, s[0:3], 0 offen offset:4
	v_mov_b32_e32 v78, s43
	v_cmp_eq_u32_e32 vcc_lo, 0, v75
	s_add_i32 s43, s43, 16
	ds_read_b128 v[80:83], v78
	s_or_b32 s4, vcc_lo, s4
	s_waitcnt vmcnt(2) lgkmcnt(0)
	v_mul_f64 v[86:87], v[82:83], v[76:77]
	v_mul_f64 v[76:77], v[80:81], v[76:77]
	s_waitcnt vmcnt(0)
	v_fma_f64 v[80:81], v[80:81], v[84:85], -v[86:87]
	v_fma_f64 v[76:77], v[82:83], v[84:85], v[76:77]
	v_add_f64 v[1:2], v[1:2], v[80:81]
	v_add_f64 v[3:4], v[3:4], v[76:77]
	s_andn2_b32 exec_lo, exec_lo, s4
	s_cbranch_execnz .LBB97_96
; %bb.97:
	s_or_b32 exec_lo, exec_lo, s4
.LBB97_98:
	s_or_b32 exec_lo, exec_lo, s8
	v_mov_b32_e32 v75, 0
	ds_read_b128 v[75:78], v75 offset:336
	s_waitcnt lgkmcnt(0)
	v_mul_f64 v[80:81], v[3:4], v[77:78]
	v_mul_f64 v[77:78], v[1:2], v[77:78]
	v_fma_f64 v[1:2], v[1:2], v[75:76], -v[80:81]
	v_fma_f64 v[3:4], v[3:4], v[75:76], v[77:78]
	buffer_store_dword v2, off, s[0:3], 0 offset:340
	buffer_store_dword v1, off, s[0:3], 0 offset:336
	;; [unrolled: 1-line block ×4, first 2 shown]
.LBB97_99:
	s_or_b32 exec_lo, exec_lo, s6
	v_mov_b32_e32 v4, s21
	v_cmp_lt_u32_e64 s4, 20, v0
	s_clause 0x3
	buffer_load_dword v1, v4, s[0:3], 0 offen
	buffer_load_dword v2, v4, s[0:3], 0 offen offset:4
	buffer_load_dword v3, v4, s[0:3], 0 offen offset:8
	;; [unrolled: 1-line block ×3, first 2 shown]
	s_waitcnt vmcnt(0)
	ds_write_b128 v74, v[1:4]
	s_waitcnt lgkmcnt(0)
	s_waitcnt_vscnt null, 0x0
	s_barrier
	buffer_gl0_inv
	s_and_saveexec_b32 s6, s4
	s_cbranch_execz .LBB97_107
; %bb.100:
	ds_read_b128 v[1:4], v74
	s_andn2_b32 vcc_lo, exec_lo, s42
	s_cbranch_vccnz .LBB97_102
; %bb.101:
	s_clause 0x3
	buffer_load_dword v75, v73, s[0:3], 0 offen offset:8
	buffer_load_dword v76, v73, s[0:3], 0 offen offset:12
	buffer_load_dword v77, v73, s[0:3], 0 offen
	buffer_load_dword v78, v73, s[0:3], 0 offen offset:4
	s_waitcnt vmcnt(2) lgkmcnt(0)
	v_mul_f64 v[80:81], v[3:4], v[75:76]
	v_mul_f64 v[75:76], v[1:2], v[75:76]
	s_waitcnt vmcnt(0)
	v_fma_f64 v[1:2], v[1:2], v[77:78], -v[80:81]
	v_fma_f64 v[3:4], v[3:4], v[77:78], v[75:76]
.LBB97_102:
	s_and_saveexec_b32 s8, s5
	s_cbranch_execz .LBB97_106
; %bb.103:
	v_subrev_nc_u32_e32 v75, 21, v0
	s_movk_i32 s43, 0x370
	s_mov_b32 s5, 0
	s_mov_b32 s44, s20
	.p2align	6
.LBB97_104:                             ; =>This Inner Loop Header: Depth=1
	v_mov_b32_e32 v78, s44
	v_add_nc_u32_e32 v75, -1, v75
	s_add_i32 s44, s44, 16
	s_clause 0x3
	buffer_load_dword v76, v78, s[0:3], 0 offen offset:8
	buffer_load_dword v77, v78, s[0:3], 0 offen offset:12
	buffer_load_dword v84, v78, s[0:3], 0 offen
	buffer_load_dword v85, v78, s[0:3], 0 offen offset:4
	v_mov_b32_e32 v78, s43
	v_cmp_eq_u32_e32 vcc_lo, 0, v75
	s_add_i32 s43, s43, 16
	ds_read_b128 v[80:83], v78
	s_or_b32 s5, vcc_lo, s5
	s_waitcnt vmcnt(2) lgkmcnt(0)
	v_mul_f64 v[86:87], v[82:83], v[76:77]
	v_mul_f64 v[76:77], v[80:81], v[76:77]
	s_waitcnt vmcnt(0)
	v_fma_f64 v[80:81], v[80:81], v[84:85], -v[86:87]
	v_fma_f64 v[76:77], v[82:83], v[84:85], v[76:77]
	v_add_f64 v[1:2], v[1:2], v[80:81]
	v_add_f64 v[3:4], v[3:4], v[76:77]
	s_andn2_b32 exec_lo, exec_lo, s5
	s_cbranch_execnz .LBB97_104
; %bb.105:
	s_or_b32 exec_lo, exec_lo, s5
.LBB97_106:
	s_or_b32 exec_lo, exec_lo, s8
	v_mov_b32_e32 v75, 0
	ds_read_b128 v[75:78], v75 offset:320
	s_waitcnt lgkmcnt(0)
	v_mul_f64 v[80:81], v[3:4], v[77:78]
	v_mul_f64 v[77:78], v[1:2], v[77:78]
	v_fma_f64 v[1:2], v[1:2], v[75:76], -v[80:81]
	v_fma_f64 v[3:4], v[3:4], v[75:76], v[77:78]
	buffer_store_dword v2, off, s[0:3], 0 offset:324
	buffer_store_dword v1, off, s[0:3], 0 offset:320
	;; [unrolled: 1-line block ×4, first 2 shown]
.LBB97_107:
	s_or_b32 exec_lo, exec_lo, s6
	v_mov_b32_e32 v4, s22
	v_cmp_lt_u32_e64 s5, 19, v0
	s_clause 0x3
	buffer_load_dword v1, v4, s[0:3], 0 offen
	buffer_load_dword v2, v4, s[0:3], 0 offen offset:4
	buffer_load_dword v3, v4, s[0:3], 0 offen offset:8
	buffer_load_dword v4, v4, s[0:3], 0 offen offset:12
	s_waitcnt vmcnt(0)
	ds_write_b128 v74, v[1:4]
	s_waitcnt lgkmcnt(0)
	s_waitcnt_vscnt null, 0x0
	s_barrier
	buffer_gl0_inv
	s_and_saveexec_b32 s6, s5
	s_cbranch_execz .LBB97_115
; %bb.108:
	ds_read_b128 v[1:4], v74
	s_andn2_b32 vcc_lo, exec_lo, s42
	s_cbranch_vccnz .LBB97_110
; %bb.109:
	s_clause 0x3
	buffer_load_dword v75, v73, s[0:3], 0 offen offset:8
	buffer_load_dword v76, v73, s[0:3], 0 offen offset:12
	buffer_load_dword v77, v73, s[0:3], 0 offen
	buffer_load_dword v78, v73, s[0:3], 0 offen offset:4
	s_waitcnt vmcnt(2) lgkmcnt(0)
	v_mul_f64 v[80:81], v[3:4], v[75:76]
	v_mul_f64 v[75:76], v[1:2], v[75:76]
	s_waitcnt vmcnt(0)
	v_fma_f64 v[1:2], v[1:2], v[77:78], -v[80:81]
	v_fma_f64 v[3:4], v[3:4], v[77:78], v[75:76]
.LBB97_110:
	s_and_saveexec_b32 s8, s4
	s_cbranch_execz .LBB97_114
; %bb.111:
	v_subrev_nc_u32_e32 v75, 20, v0
	s_movk_i32 s43, 0x360
	s_mov_b32 s4, 0
	s_mov_b32 s44, s21
	.p2align	6
.LBB97_112:                             ; =>This Inner Loop Header: Depth=1
	v_mov_b32_e32 v78, s44
	v_add_nc_u32_e32 v75, -1, v75
	s_add_i32 s44, s44, 16
	s_clause 0x3
	buffer_load_dword v76, v78, s[0:3], 0 offen offset:8
	buffer_load_dword v77, v78, s[0:3], 0 offen offset:12
	buffer_load_dword v84, v78, s[0:3], 0 offen
	buffer_load_dword v85, v78, s[0:3], 0 offen offset:4
	v_mov_b32_e32 v78, s43
	v_cmp_eq_u32_e32 vcc_lo, 0, v75
	s_add_i32 s43, s43, 16
	ds_read_b128 v[80:83], v78
	s_or_b32 s4, vcc_lo, s4
	s_waitcnt vmcnt(2) lgkmcnt(0)
	v_mul_f64 v[86:87], v[82:83], v[76:77]
	v_mul_f64 v[76:77], v[80:81], v[76:77]
	s_waitcnt vmcnt(0)
	v_fma_f64 v[80:81], v[80:81], v[84:85], -v[86:87]
	v_fma_f64 v[76:77], v[82:83], v[84:85], v[76:77]
	v_add_f64 v[1:2], v[1:2], v[80:81]
	v_add_f64 v[3:4], v[3:4], v[76:77]
	s_andn2_b32 exec_lo, exec_lo, s4
	s_cbranch_execnz .LBB97_112
; %bb.113:
	s_or_b32 exec_lo, exec_lo, s4
.LBB97_114:
	s_or_b32 exec_lo, exec_lo, s8
	v_mov_b32_e32 v75, 0
	ds_read_b128 v[75:78], v75 offset:304
	s_waitcnt lgkmcnt(0)
	v_mul_f64 v[80:81], v[3:4], v[77:78]
	v_mul_f64 v[77:78], v[1:2], v[77:78]
	v_fma_f64 v[1:2], v[1:2], v[75:76], -v[80:81]
	v_fma_f64 v[3:4], v[3:4], v[75:76], v[77:78]
	buffer_store_dword v2, off, s[0:3], 0 offset:308
	buffer_store_dword v1, off, s[0:3], 0 offset:304
	;; [unrolled: 1-line block ×4, first 2 shown]
.LBB97_115:
	s_or_b32 exec_lo, exec_lo, s6
	v_mov_b32_e32 v4, s23
	v_cmp_lt_u32_e64 s4, 18, v0
	s_clause 0x3
	buffer_load_dword v1, v4, s[0:3], 0 offen
	buffer_load_dword v2, v4, s[0:3], 0 offen offset:4
	buffer_load_dword v3, v4, s[0:3], 0 offen offset:8
	;; [unrolled: 1-line block ×3, first 2 shown]
	s_waitcnt vmcnt(0)
	ds_write_b128 v74, v[1:4]
	s_waitcnt lgkmcnt(0)
	s_waitcnt_vscnt null, 0x0
	s_barrier
	buffer_gl0_inv
	s_and_saveexec_b32 s6, s4
	s_cbranch_execz .LBB97_123
; %bb.116:
	ds_read_b128 v[1:4], v74
	s_andn2_b32 vcc_lo, exec_lo, s42
	s_cbranch_vccnz .LBB97_118
; %bb.117:
	s_clause 0x3
	buffer_load_dword v75, v73, s[0:3], 0 offen offset:8
	buffer_load_dword v76, v73, s[0:3], 0 offen offset:12
	buffer_load_dword v77, v73, s[0:3], 0 offen
	buffer_load_dword v78, v73, s[0:3], 0 offen offset:4
	s_waitcnt vmcnt(2) lgkmcnt(0)
	v_mul_f64 v[80:81], v[3:4], v[75:76]
	v_mul_f64 v[75:76], v[1:2], v[75:76]
	s_waitcnt vmcnt(0)
	v_fma_f64 v[1:2], v[1:2], v[77:78], -v[80:81]
	v_fma_f64 v[3:4], v[3:4], v[77:78], v[75:76]
.LBB97_118:
	s_and_saveexec_b32 s8, s5
	s_cbranch_execz .LBB97_122
; %bb.119:
	v_subrev_nc_u32_e32 v75, 19, v0
	s_movk_i32 s43, 0x350
	s_mov_b32 s5, 0
	s_mov_b32 s44, s22
	.p2align	6
.LBB97_120:                             ; =>This Inner Loop Header: Depth=1
	v_mov_b32_e32 v78, s44
	v_add_nc_u32_e32 v75, -1, v75
	s_add_i32 s44, s44, 16
	s_clause 0x3
	buffer_load_dword v76, v78, s[0:3], 0 offen offset:8
	buffer_load_dword v77, v78, s[0:3], 0 offen offset:12
	buffer_load_dword v84, v78, s[0:3], 0 offen
	buffer_load_dword v85, v78, s[0:3], 0 offen offset:4
	v_mov_b32_e32 v78, s43
	v_cmp_eq_u32_e32 vcc_lo, 0, v75
	s_add_i32 s43, s43, 16
	ds_read_b128 v[80:83], v78
	s_or_b32 s5, vcc_lo, s5
	s_waitcnt vmcnt(2) lgkmcnt(0)
	v_mul_f64 v[86:87], v[82:83], v[76:77]
	v_mul_f64 v[76:77], v[80:81], v[76:77]
	s_waitcnt vmcnt(0)
	v_fma_f64 v[80:81], v[80:81], v[84:85], -v[86:87]
	v_fma_f64 v[76:77], v[82:83], v[84:85], v[76:77]
	v_add_f64 v[1:2], v[1:2], v[80:81]
	v_add_f64 v[3:4], v[3:4], v[76:77]
	s_andn2_b32 exec_lo, exec_lo, s5
	s_cbranch_execnz .LBB97_120
; %bb.121:
	s_or_b32 exec_lo, exec_lo, s5
.LBB97_122:
	s_or_b32 exec_lo, exec_lo, s8
	v_mov_b32_e32 v75, 0
	ds_read_b128 v[75:78], v75 offset:288
	s_waitcnt lgkmcnt(0)
	v_mul_f64 v[80:81], v[3:4], v[77:78]
	v_mul_f64 v[77:78], v[1:2], v[77:78]
	v_fma_f64 v[1:2], v[1:2], v[75:76], -v[80:81]
	v_fma_f64 v[3:4], v[3:4], v[75:76], v[77:78]
	buffer_store_dword v2, off, s[0:3], 0 offset:292
	buffer_store_dword v1, off, s[0:3], 0 offset:288
	;; [unrolled: 1-line block ×4, first 2 shown]
.LBB97_123:
	s_or_b32 exec_lo, exec_lo, s6
	v_mov_b32_e32 v4, s24
	v_cmp_lt_u32_e64 s5, 17, v0
	s_clause 0x3
	buffer_load_dword v1, v4, s[0:3], 0 offen
	buffer_load_dword v2, v4, s[0:3], 0 offen offset:4
	buffer_load_dword v3, v4, s[0:3], 0 offen offset:8
	;; [unrolled: 1-line block ×3, first 2 shown]
	s_waitcnt vmcnt(0)
	ds_write_b128 v74, v[1:4]
	s_waitcnt lgkmcnt(0)
	s_waitcnt_vscnt null, 0x0
	s_barrier
	buffer_gl0_inv
	s_and_saveexec_b32 s6, s5
	s_cbranch_execz .LBB97_131
; %bb.124:
	ds_read_b128 v[1:4], v74
	s_andn2_b32 vcc_lo, exec_lo, s42
	s_cbranch_vccnz .LBB97_126
; %bb.125:
	s_clause 0x3
	buffer_load_dword v75, v73, s[0:3], 0 offen offset:8
	buffer_load_dword v76, v73, s[0:3], 0 offen offset:12
	buffer_load_dword v77, v73, s[0:3], 0 offen
	buffer_load_dword v78, v73, s[0:3], 0 offen offset:4
	s_waitcnt vmcnt(2) lgkmcnt(0)
	v_mul_f64 v[80:81], v[3:4], v[75:76]
	v_mul_f64 v[75:76], v[1:2], v[75:76]
	s_waitcnt vmcnt(0)
	v_fma_f64 v[1:2], v[1:2], v[77:78], -v[80:81]
	v_fma_f64 v[3:4], v[3:4], v[77:78], v[75:76]
.LBB97_126:
	s_and_saveexec_b32 s8, s4
	s_cbranch_execz .LBB97_130
; %bb.127:
	v_subrev_nc_u32_e32 v75, 18, v0
	s_movk_i32 s43, 0x340
	s_mov_b32 s4, 0
	s_mov_b32 s44, s23
	.p2align	6
.LBB97_128:                             ; =>This Inner Loop Header: Depth=1
	v_mov_b32_e32 v78, s44
	v_add_nc_u32_e32 v75, -1, v75
	s_add_i32 s44, s44, 16
	s_clause 0x3
	buffer_load_dword v76, v78, s[0:3], 0 offen offset:8
	buffer_load_dword v77, v78, s[0:3], 0 offen offset:12
	buffer_load_dword v84, v78, s[0:3], 0 offen
	buffer_load_dword v85, v78, s[0:3], 0 offen offset:4
	v_mov_b32_e32 v78, s43
	v_cmp_eq_u32_e32 vcc_lo, 0, v75
	s_add_i32 s43, s43, 16
	ds_read_b128 v[80:83], v78
	s_or_b32 s4, vcc_lo, s4
	s_waitcnt vmcnt(2) lgkmcnt(0)
	v_mul_f64 v[86:87], v[82:83], v[76:77]
	v_mul_f64 v[76:77], v[80:81], v[76:77]
	s_waitcnt vmcnt(0)
	v_fma_f64 v[80:81], v[80:81], v[84:85], -v[86:87]
	v_fma_f64 v[76:77], v[82:83], v[84:85], v[76:77]
	v_add_f64 v[1:2], v[1:2], v[80:81]
	v_add_f64 v[3:4], v[3:4], v[76:77]
	s_andn2_b32 exec_lo, exec_lo, s4
	s_cbranch_execnz .LBB97_128
; %bb.129:
	s_or_b32 exec_lo, exec_lo, s4
.LBB97_130:
	s_or_b32 exec_lo, exec_lo, s8
	v_mov_b32_e32 v75, 0
	ds_read_b128 v[75:78], v75 offset:272
	s_waitcnt lgkmcnt(0)
	v_mul_f64 v[80:81], v[3:4], v[77:78]
	v_mul_f64 v[77:78], v[1:2], v[77:78]
	v_fma_f64 v[1:2], v[1:2], v[75:76], -v[80:81]
	v_fma_f64 v[3:4], v[3:4], v[75:76], v[77:78]
	buffer_store_dword v2, off, s[0:3], 0 offset:276
	buffer_store_dword v1, off, s[0:3], 0 offset:272
	;; [unrolled: 1-line block ×4, first 2 shown]
.LBB97_131:
	s_or_b32 exec_lo, exec_lo, s6
	v_mov_b32_e32 v4, s25
	v_cmp_lt_u32_e64 s4, 16, v0
	s_clause 0x3
	buffer_load_dword v1, v4, s[0:3], 0 offen
	buffer_load_dword v2, v4, s[0:3], 0 offen offset:4
	buffer_load_dword v3, v4, s[0:3], 0 offen offset:8
	;; [unrolled: 1-line block ×3, first 2 shown]
	s_waitcnt vmcnt(0)
	ds_write_b128 v74, v[1:4]
	s_waitcnt lgkmcnt(0)
	s_waitcnt_vscnt null, 0x0
	s_barrier
	buffer_gl0_inv
	s_and_saveexec_b32 s6, s4
	s_cbranch_execz .LBB97_139
; %bb.132:
	ds_read_b128 v[1:4], v74
	s_andn2_b32 vcc_lo, exec_lo, s42
	s_cbranch_vccnz .LBB97_134
; %bb.133:
	s_clause 0x3
	buffer_load_dword v75, v73, s[0:3], 0 offen offset:8
	buffer_load_dword v76, v73, s[0:3], 0 offen offset:12
	buffer_load_dword v77, v73, s[0:3], 0 offen
	buffer_load_dword v78, v73, s[0:3], 0 offen offset:4
	s_waitcnt vmcnt(2) lgkmcnt(0)
	v_mul_f64 v[80:81], v[3:4], v[75:76]
	v_mul_f64 v[75:76], v[1:2], v[75:76]
	s_waitcnt vmcnt(0)
	v_fma_f64 v[1:2], v[1:2], v[77:78], -v[80:81]
	v_fma_f64 v[3:4], v[3:4], v[77:78], v[75:76]
.LBB97_134:
	s_and_saveexec_b32 s8, s5
	s_cbranch_execz .LBB97_138
; %bb.135:
	v_subrev_nc_u32_e32 v75, 17, v0
	s_movk_i32 s43, 0x330
	s_mov_b32 s5, 0
	s_mov_b32 s44, s24
	.p2align	6
.LBB97_136:                             ; =>This Inner Loop Header: Depth=1
	v_mov_b32_e32 v78, s44
	v_add_nc_u32_e32 v75, -1, v75
	s_add_i32 s44, s44, 16
	s_clause 0x3
	buffer_load_dword v76, v78, s[0:3], 0 offen offset:8
	buffer_load_dword v77, v78, s[0:3], 0 offen offset:12
	buffer_load_dword v84, v78, s[0:3], 0 offen
	buffer_load_dword v85, v78, s[0:3], 0 offen offset:4
	v_mov_b32_e32 v78, s43
	v_cmp_eq_u32_e32 vcc_lo, 0, v75
	s_add_i32 s43, s43, 16
	ds_read_b128 v[80:83], v78
	s_or_b32 s5, vcc_lo, s5
	s_waitcnt vmcnt(2) lgkmcnt(0)
	v_mul_f64 v[86:87], v[82:83], v[76:77]
	v_mul_f64 v[76:77], v[80:81], v[76:77]
	s_waitcnt vmcnt(0)
	v_fma_f64 v[80:81], v[80:81], v[84:85], -v[86:87]
	v_fma_f64 v[76:77], v[82:83], v[84:85], v[76:77]
	v_add_f64 v[1:2], v[1:2], v[80:81]
	v_add_f64 v[3:4], v[3:4], v[76:77]
	s_andn2_b32 exec_lo, exec_lo, s5
	s_cbranch_execnz .LBB97_136
; %bb.137:
	s_or_b32 exec_lo, exec_lo, s5
.LBB97_138:
	s_or_b32 exec_lo, exec_lo, s8
	v_mov_b32_e32 v75, 0
	ds_read_b128 v[75:78], v75 offset:256
	s_waitcnt lgkmcnt(0)
	v_mul_f64 v[80:81], v[3:4], v[77:78]
	v_mul_f64 v[77:78], v[1:2], v[77:78]
	v_fma_f64 v[1:2], v[1:2], v[75:76], -v[80:81]
	v_fma_f64 v[3:4], v[3:4], v[75:76], v[77:78]
	buffer_store_dword v2, off, s[0:3], 0 offset:260
	buffer_store_dword v1, off, s[0:3], 0 offset:256
	;; [unrolled: 1-line block ×4, first 2 shown]
.LBB97_139:
	s_or_b32 exec_lo, exec_lo, s6
	v_mov_b32_e32 v4, s26
	v_cmp_lt_u32_e64 s5, 15, v0
	s_clause 0x3
	buffer_load_dword v1, v4, s[0:3], 0 offen
	buffer_load_dword v2, v4, s[0:3], 0 offen offset:4
	buffer_load_dword v3, v4, s[0:3], 0 offen offset:8
	;; [unrolled: 1-line block ×3, first 2 shown]
	s_waitcnt vmcnt(0)
	ds_write_b128 v74, v[1:4]
	s_waitcnt lgkmcnt(0)
	s_waitcnt_vscnt null, 0x0
	s_barrier
	buffer_gl0_inv
	s_and_saveexec_b32 s6, s5
	s_cbranch_execz .LBB97_147
; %bb.140:
	ds_read_b128 v[1:4], v74
	s_andn2_b32 vcc_lo, exec_lo, s42
	s_cbranch_vccnz .LBB97_142
; %bb.141:
	s_clause 0x3
	buffer_load_dword v75, v73, s[0:3], 0 offen offset:8
	buffer_load_dword v76, v73, s[0:3], 0 offen offset:12
	buffer_load_dword v77, v73, s[0:3], 0 offen
	buffer_load_dword v78, v73, s[0:3], 0 offen offset:4
	s_waitcnt vmcnt(2) lgkmcnt(0)
	v_mul_f64 v[80:81], v[3:4], v[75:76]
	v_mul_f64 v[75:76], v[1:2], v[75:76]
	s_waitcnt vmcnt(0)
	v_fma_f64 v[1:2], v[1:2], v[77:78], -v[80:81]
	v_fma_f64 v[3:4], v[3:4], v[77:78], v[75:76]
.LBB97_142:
	s_and_saveexec_b32 s8, s4
	s_cbranch_execz .LBB97_146
; %bb.143:
	v_add_nc_u32_e32 v75, -16, v0
	s_movk_i32 s43, 0x320
	s_mov_b32 s4, 0
	s_mov_b32 s44, s25
	.p2align	6
.LBB97_144:                             ; =>This Inner Loop Header: Depth=1
	v_mov_b32_e32 v78, s44
	v_add_nc_u32_e32 v75, -1, v75
	s_add_i32 s44, s44, 16
	s_clause 0x3
	buffer_load_dword v76, v78, s[0:3], 0 offen offset:8
	buffer_load_dword v77, v78, s[0:3], 0 offen offset:12
	buffer_load_dword v84, v78, s[0:3], 0 offen
	buffer_load_dword v85, v78, s[0:3], 0 offen offset:4
	v_mov_b32_e32 v78, s43
	v_cmp_eq_u32_e32 vcc_lo, 0, v75
	s_add_i32 s43, s43, 16
	ds_read_b128 v[80:83], v78
	s_or_b32 s4, vcc_lo, s4
	s_waitcnt vmcnt(2) lgkmcnt(0)
	v_mul_f64 v[86:87], v[82:83], v[76:77]
	v_mul_f64 v[76:77], v[80:81], v[76:77]
	s_waitcnt vmcnt(0)
	v_fma_f64 v[80:81], v[80:81], v[84:85], -v[86:87]
	v_fma_f64 v[76:77], v[82:83], v[84:85], v[76:77]
	v_add_f64 v[1:2], v[1:2], v[80:81]
	v_add_f64 v[3:4], v[3:4], v[76:77]
	s_andn2_b32 exec_lo, exec_lo, s4
	s_cbranch_execnz .LBB97_144
; %bb.145:
	s_or_b32 exec_lo, exec_lo, s4
.LBB97_146:
	s_or_b32 exec_lo, exec_lo, s8
	v_mov_b32_e32 v75, 0
	ds_read_b128 v[75:78], v75 offset:240
	s_waitcnt lgkmcnt(0)
	v_mul_f64 v[80:81], v[3:4], v[77:78]
	v_mul_f64 v[77:78], v[1:2], v[77:78]
	v_fma_f64 v[1:2], v[1:2], v[75:76], -v[80:81]
	v_fma_f64 v[3:4], v[3:4], v[75:76], v[77:78]
	buffer_store_dword v2, off, s[0:3], 0 offset:244
	buffer_store_dword v1, off, s[0:3], 0 offset:240
	;; [unrolled: 1-line block ×4, first 2 shown]
.LBB97_147:
	s_or_b32 exec_lo, exec_lo, s6
	v_mov_b32_e32 v4, s27
	v_cmp_lt_u32_e64 s4, 14, v0
	s_clause 0x3
	buffer_load_dword v1, v4, s[0:3], 0 offen
	buffer_load_dword v2, v4, s[0:3], 0 offen offset:4
	buffer_load_dword v3, v4, s[0:3], 0 offen offset:8
	;; [unrolled: 1-line block ×3, first 2 shown]
	s_waitcnt vmcnt(0)
	ds_write_b128 v74, v[1:4]
	s_waitcnt lgkmcnt(0)
	s_waitcnt_vscnt null, 0x0
	s_barrier
	buffer_gl0_inv
	s_and_saveexec_b32 s6, s4
	s_cbranch_execz .LBB97_155
; %bb.148:
	ds_read_b128 v[1:4], v74
	s_andn2_b32 vcc_lo, exec_lo, s42
	s_cbranch_vccnz .LBB97_150
; %bb.149:
	s_clause 0x3
	buffer_load_dword v75, v73, s[0:3], 0 offen offset:8
	buffer_load_dword v76, v73, s[0:3], 0 offen offset:12
	buffer_load_dword v77, v73, s[0:3], 0 offen
	buffer_load_dword v78, v73, s[0:3], 0 offen offset:4
	s_waitcnt vmcnt(2) lgkmcnt(0)
	v_mul_f64 v[80:81], v[3:4], v[75:76]
	v_mul_f64 v[75:76], v[1:2], v[75:76]
	s_waitcnt vmcnt(0)
	v_fma_f64 v[1:2], v[1:2], v[77:78], -v[80:81]
	v_fma_f64 v[3:4], v[3:4], v[77:78], v[75:76]
.LBB97_150:
	s_and_saveexec_b32 s8, s5
	s_cbranch_execz .LBB97_154
; %bb.151:
	v_add_nc_u32_e32 v75, -15, v0
	s_movk_i32 s43, 0x310
	s_mov_b32 s5, 0
	s_mov_b32 s44, s26
	.p2align	6
.LBB97_152:                             ; =>This Inner Loop Header: Depth=1
	v_mov_b32_e32 v78, s44
	v_add_nc_u32_e32 v75, -1, v75
	s_add_i32 s44, s44, 16
	s_clause 0x3
	buffer_load_dword v76, v78, s[0:3], 0 offen offset:8
	buffer_load_dword v77, v78, s[0:3], 0 offen offset:12
	buffer_load_dword v84, v78, s[0:3], 0 offen
	buffer_load_dword v85, v78, s[0:3], 0 offen offset:4
	v_mov_b32_e32 v78, s43
	v_cmp_eq_u32_e32 vcc_lo, 0, v75
	s_add_i32 s43, s43, 16
	ds_read_b128 v[80:83], v78
	s_or_b32 s5, vcc_lo, s5
	s_waitcnt vmcnt(2) lgkmcnt(0)
	v_mul_f64 v[86:87], v[82:83], v[76:77]
	v_mul_f64 v[76:77], v[80:81], v[76:77]
	s_waitcnt vmcnt(0)
	v_fma_f64 v[80:81], v[80:81], v[84:85], -v[86:87]
	v_fma_f64 v[76:77], v[82:83], v[84:85], v[76:77]
	v_add_f64 v[1:2], v[1:2], v[80:81]
	v_add_f64 v[3:4], v[3:4], v[76:77]
	s_andn2_b32 exec_lo, exec_lo, s5
	s_cbranch_execnz .LBB97_152
; %bb.153:
	s_or_b32 exec_lo, exec_lo, s5
.LBB97_154:
	s_or_b32 exec_lo, exec_lo, s8
	v_mov_b32_e32 v75, 0
	ds_read_b128 v[75:78], v75 offset:224
	s_waitcnt lgkmcnt(0)
	v_mul_f64 v[80:81], v[3:4], v[77:78]
	v_mul_f64 v[77:78], v[1:2], v[77:78]
	v_fma_f64 v[1:2], v[1:2], v[75:76], -v[80:81]
	v_fma_f64 v[3:4], v[3:4], v[75:76], v[77:78]
	buffer_store_dword v2, off, s[0:3], 0 offset:228
	buffer_store_dword v1, off, s[0:3], 0 offset:224
	buffer_store_dword v4, off, s[0:3], 0 offset:236
	buffer_store_dword v3, off, s[0:3], 0 offset:232
.LBB97_155:
	s_or_b32 exec_lo, exec_lo, s6
	v_mov_b32_e32 v4, s28
	v_cmp_lt_u32_e64 s5, 13, v0
	s_clause 0x3
	buffer_load_dword v1, v4, s[0:3], 0 offen
	buffer_load_dword v2, v4, s[0:3], 0 offen offset:4
	buffer_load_dword v3, v4, s[0:3], 0 offen offset:8
	;; [unrolled: 1-line block ×3, first 2 shown]
	s_waitcnt vmcnt(0)
	ds_write_b128 v74, v[1:4]
	s_waitcnt lgkmcnt(0)
	s_waitcnt_vscnt null, 0x0
	s_barrier
	buffer_gl0_inv
	s_and_saveexec_b32 s6, s5
	s_cbranch_execz .LBB97_163
; %bb.156:
	ds_read_b128 v[1:4], v74
	s_andn2_b32 vcc_lo, exec_lo, s42
	s_cbranch_vccnz .LBB97_158
; %bb.157:
	s_clause 0x3
	buffer_load_dword v75, v73, s[0:3], 0 offen offset:8
	buffer_load_dword v76, v73, s[0:3], 0 offen offset:12
	buffer_load_dword v77, v73, s[0:3], 0 offen
	buffer_load_dword v78, v73, s[0:3], 0 offen offset:4
	s_waitcnt vmcnt(2) lgkmcnt(0)
	v_mul_f64 v[80:81], v[3:4], v[75:76]
	v_mul_f64 v[75:76], v[1:2], v[75:76]
	s_waitcnt vmcnt(0)
	v_fma_f64 v[1:2], v[1:2], v[77:78], -v[80:81]
	v_fma_f64 v[3:4], v[3:4], v[77:78], v[75:76]
.LBB97_158:
	s_and_saveexec_b32 s8, s4
	s_cbranch_execz .LBB97_162
; %bb.159:
	v_add_nc_u32_e32 v75, -14, v0
	s_movk_i32 s43, 0x300
	s_mov_b32 s4, 0
	s_mov_b32 s44, s27
	.p2align	6
.LBB97_160:                             ; =>This Inner Loop Header: Depth=1
	v_mov_b32_e32 v78, s44
	v_add_nc_u32_e32 v75, -1, v75
	s_add_i32 s44, s44, 16
	s_clause 0x3
	buffer_load_dword v76, v78, s[0:3], 0 offen offset:8
	buffer_load_dword v77, v78, s[0:3], 0 offen offset:12
	buffer_load_dword v84, v78, s[0:3], 0 offen
	buffer_load_dword v85, v78, s[0:3], 0 offen offset:4
	v_mov_b32_e32 v78, s43
	v_cmp_eq_u32_e32 vcc_lo, 0, v75
	s_add_i32 s43, s43, 16
	ds_read_b128 v[80:83], v78
	s_or_b32 s4, vcc_lo, s4
	s_waitcnt vmcnt(2) lgkmcnt(0)
	v_mul_f64 v[86:87], v[82:83], v[76:77]
	v_mul_f64 v[76:77], v[80:81], v[76:77]
	s_waitcnt vmcnt(0)
	v_fma_f64 v[80:81], v[80:81], v[84:85], -v[86:87]
	v_fma_f64 v[76:77], v[82:83], v[84:85], v[76:77]
	v_add_f64 v[1:2], v[1:2], v[80:81]
	v_add_f64 v[3:4], v[3:4], v[76:77]
	s_andn2_b32 exec_lo, exec_lo, s4
	s_cbranch_execnz .LBB97_160
; %bb.161:
	s_or_b32 exec_lo, exec_lo, s4
.LBB97_162:
	s_or_b32 exec_lo, exec_lo, s8
	v_mov_b32_e32 v75, 0
	ds_read_b128 v[75:78], v75 offset:208
	s_waitcnt lgkmcnt(0)
	v_mul_f64 v[80:81], v[3:4], v[77:78]
	v_mul_f64 v[77:78], v[1:2], v[77:78]
	v_fma_f64 v[1:2], v[1:2], v[75:76], -v[80:81]
	v_fma_f64 v[3:4], v[3:4], v[75:76], v[77:78]
	buffer_store_dword v2, off, s[0:3], 0 offset:212
	buffer_store_dword v1, off, s[0:3], 0 offset:208
	;; [unrolled: 1-line block ×4, first 2 shown]
.LBB97_163:
	s_or_b32 exec_lo, exec_lo, s6
	v_mov_b32_e32 v4, s29
	v_cmp_lt_u32_e64 s4, 12, v0
	s_clause 0x3
	buffer_load_dword v1, v4, s[0:3], 0 offen
	buffer_load_dword v2, v4, s[0:3], 0 offen offset:4
	buffer_load_dword v3, v4, s[0:3], 0 offen offset:8
	;; [unrolled: 1-line block ×3, first 2 shown]
	s_waitcnt vmcnt(0)
	ds_write_b128 v74, v[1:4]
	s_waitcnt lgkmcnt(0)
	s_waitcnt_vscnt null, 0x0
	s_barrier
	buffer_gl0_inv
	s_and_saveexec_b32 s6, s4
	s_cbranch_execz .LBB97_171
; %bb.164:
	ds_read_b128 v[1:4], v74
	s_andn2_b32 vcc_lo, exec_lo, s42
	s_cbranch_vccnz .LBB97_166
; %bb.165:
	s_clause 0x3
	buffer_load_dword v75, v73, s[0:3], 0 offen offset:8
	buffer_load_dword v76, v73, s[0:3], 0 offen offset:12
	buffer_load_dword v77, v73, s[0:3], 0 offen
	buffer_load_dword v78, v73, s[0:3], 0 offen offset:4
	s_waitcnt vmcnt(2) lgkmcnt(0)
	v_mul_f64 v[80:81], v[3:4], v[75:76]
	v_mul_f64 v[75:76], v[1:2], v[75:76]
	s_waitcnt vmcnt(0)
	v_fma_f64 v[1:2], v[1:2], v[77:78], -v[80:81]
	v_fma_f64 v[3:4], v[3:4], v[77:78], v[75:76]
.LBB97_166:
	s_and_saveexec_b32 s8, s5
	s_cbranch_execz .LBB97_170
; %bb.167:
	v_add_nc_u32_e32 v75, -13, v0
	s_movk_i32 s43, 0x2f0
	s_mov_b32 s5, 0
	s_mov_b32 s44, s28
	.p2align	6
.LBB97_168:                             ; =>This Inner Loop Header: Depth=1
	v_mov_b32_e32 v78, s44
	v_add_nc_u32_e32 v75, -1, v75
	s_add_i32 s44, s44, 16
	s_clause 0x3
	buffer_load_dword v76, v78, s[0:3], 0 offen offset:8
	buffer_load_dword v77, v78, s[0:3], 0 offen offset:12
	buffer_load_dword v84, v78, s[0:3], 0 offen
	buffer_load_dword v85, v78, s[0:3], 0 offen offset:4
	v_mov_b32_e32 v78, s43
	v_cmp_eq_u32_e32 vcc_lo, 0, v75
	s_add_i32 s43, s43, 16
	ds_read_b128 v[80:83], v78
	s_or_b32 s5, vcc_lo, s5
	s_waitcnt vmcnt(2) lgkmcnt(0)
	v_mul_f64 v[86:87], v[82:83], v[76:77]
	v_mul_f64 v[76:77], v[80:81], v[76:77]
	s_waitcnt vmcnt(0)
	v_fma_f64 v[80:81], v[80:81], v[84:85], -v[86:87]
	v_fma_f64 v[76:77], v[82:83], v[84:85], v[76:77]
	v_add_f64 v[1:2], v[1:2], v[80:81]
	v_add_f64 v[3:4], v[3:4], v[76:77]
	s_andn2_b32 exec_lo, exec_lo, s5
	s_cbranch_execnz .LBB97_168
; %bb.169:
	s_or_b32 exec_lo, exec_lo, s5
.LBB97_170:
	s_or_b32 exec_lo, exec_lo, s8
	v_mov_b32_e32 v75, 0
	ds_read_b128 v[75:78], v75 offset:192
	s_waitcnt lgkmcnt(0)
	v_mul_f64 v[80:81], v[3:4], v[77:78]
	v_mul_f64 v[77:78], v[1:2], v[77:78]
	v_fma_f64 v[1:2], v[1:2], v[75:76], -v[80:81]
	v_fma_f64 v[3:4], v[3:4], v[75:76], v[77:78]
	buffer_store_dword v2, off, s[0:3], 0 offset:196
	buffer_store_dword v1, off, s[0:3], 0 offset:192
	;; [unrolled: 1-line block ×4, first 2 shown]
.LBB97_171:
	s_or_b32 exec_lo, exec_lo, s6
	v_mov_b32_e32 v4, s30
	v_cmp_lt_u32_e64 s5, 11, v0
	s_clause 0x3
	buffer_load_dword v1, v4, s[0:3], 0 offen
	buffer_load_dword v2, v4, s[0:3], 0 offen offset:4
	buffer_load_dword v3, v4, s[0:3], 0 offen offset:8
	;; [unrolled: 1-line block ×3, first 2 shown]
	s_waitcnt vmcnt(0)
	ds_write_b128 v74, v[1:4]
	s_waitcnt lgkmcnt(0)
	s_waitcnt_vscnt null, 0x0
	s_barrier
	buffer_gl0_inv
	s_and_saveexec_b32 s6, s5
	s_cbranch_execz .LBB97_179
; %bb.172:
	ds_read_b128 v[1:4], v74
	s_andn2_b32 vcc_lo, exec_lo, s42
	s_cbranch_vccnz .LBB97_174
; %bb.173:
	s_clause 0x3
	buffer_load_dword v75, v73, s[0:3], 0 offen offset:8
	buffer_load_dword v76, v73, s[0:3], 0 offen offset:12
	buffer_load_dword v77, v73, s[0:3], 0 offen
	buffer_load_dword v78, v73, s[0:3], 0 offen offset:4
	s_waitcnt vmcnt(2) lgkmcnt(0)
	v_mul_f64 v[80:81], v[3:4], v[75:76]
	v_mul_f64 v[75:76], v[1:2], v[75:76]
	s_waitcnt vmcnt(0)
	v_fma_f64 v[1:2], v[1:2], v[77:78], -v[80:81]
	v_fma_f64 v[3:4], v[3:4], v[77:78], v[75:76]
.LBB97_174:
	s_and_saveexec_b32 s8, s4
	s_cbranch_execz .LBB97_178
; %bb.175:
	v_add_nc_u32_e32 v75, -12, v0
	s_movk_i32 s43, 0x2e0
	s_mov_b32 s4, 0
	s_mov_b32 s44, s29
	.p2align	6
.LBB97_176:                             ; =>This Inner Loop Header: Depth=1
	v_mov_b32_e32 v78, s44
	v_add_nc_u32_e32 v75, -1, v75
	s_add_i32 s44, s44, 16
	s_clause 0x3
	buffer_load_dword v76, v78, s[0:3], 0 offen offset:8
	buffer_load_dword v77, v78, s[0:3], 0 offen offset:12
	buffer_load_dword v84, v78, s[0:3], 0 offen
	buffer_load_dword v85, v78, s[0:3], 0 offen offset:4
	v_mov_b32_e32 v78, s43
	v_cmp_eq_u32_e32 vcc_lo, 0, v75
	s_add_i32 s43, s43, 16
	ds_read_b128 v[80:83], v78
	s_or_b32 s4, vcc_lo, s4
	s_waitcnt vmcnt(2) lgkmcnt(0)
	v_mul_f64 v[86:87], v[82:83], v[76:77]
	v_mul_f64 v[76:77], v[80:81], v[76:77]
	s_waitcnt vmcnt(0)
	v_fma_f64 v[80:81], v[80:81], v[84:85], -v[86:87]
	v_fma_f64 v[76:77], v[82:83], v[84:85], v[76:77]
	v_add_f64 v[1:2], v[1:2], v[80:81]
	v_add_f64 v[3:4], v[3:4], v[76:77]
	s_andn2_b32 exec_lo, exec_lo, s4
	s_cbranch_execnz .LBB97_176
; %bb.177:
	s_or_b32 exec_lo, exec_lo, s4
.LBB97_178:
	s_or_b32 exec_lo, exec_lo, s8
	v_mov_b32_e32 v75, 0
	ds_read_b128 v[75:78], v75 offset:176
	s_waitcnt lgkmcnt(0)
	v_mul_f64 v[80:81], v[3:4], v[77:78]
	v_mul_f64 v[77:78], v[1:2], v[77:78]
	v_fma_f64 v[1:2], v[1:2], v[75:76], -v[80:81]
	v_fma_f64 v[3:4], v[3:4], v[75:76], v[77:78]
	buffer_store_dword v2, off, s[0:3], 0 offset:180
	buffer_store_dword v1, off, s[0:3], 0 offset:176
	;; [unrolled: 1-line block ×4, first 2 shown]
.LBB97_179:
	s_or_b32 exec_lo, exec_lo, s6
	v_mov_b32_e32 v4, s31
	v_cmp_lt_u32_e64 s4, 10, v0
	s_clause 0x3
	buffer_load_dword v1, v4, s[0:3], 0 offen
	buffer_load_dword v2, v4, s[0:3], 0 offen offset:4
	buffer_load_dword v3, v4, s[0:3], 0 offen offset:8
	buffer_load_dword v4, v4, s[0:3], 0 offen offset:12
	s_waitcnt vmcnt(0)
	ds_write_b128 v74, v[1:4]
	s_waitcnt lgkmcnt(0)
	s_waitcnt_vscnt null, 0x0
	s_barrier
	buffer_gl0_inv
	s_and_saveexec_b32 s6, s4
	s_cbranch_execz .LBB97_187
; %bb.180:
	ds_read_b128 v[1:4], v74
	s_andn2_b32 vcc_lo, exec_lo, s42
	s_cbranch_vccnz .LBB97_182
; %bb.181:
	s_clause 0x3
	buffer_load_dword v75, v73, s[0:3], 0 offen offset:8
	buffer_load_dword v76, v73, s[0:3], 0 offen offset:12
	buffer_load_dword v77, v73, s[0:3], 0 offen
	buffer_load_dword v78, v73, s[0:3], 0 offen offset:4
	s_waitcnt vmcnt(2) lgkmcnt(0)
	v_mul_f64 v[80:81], v[3:4], v[75:76]
	v_mul_f64 v[75:76], v[1:2], v[75:76]
	s_waitcnt vmcnt(0)
	v_fma_f64 v[1:2], v[1:2], v[77:78], -v[80:81]
	v_fma_f64 v[3:4], v[3:4], v[77:78], v[75:76]
.LBB97_182:
	s_and_saveexec_b32 s8, s5
	s_cbranch_execz .LBB97_186
; %bb.183:
	v_add_nc_u32_e32 v75, -11, v0
	s_movk_i32 s43, 0x2d0
	s_mov_b32 s5, 0
	s_mov_b32 s44, s30
	.p2align	6
.LBB97_184:                             ; =>This Inner Loop Header: Depth=1
	v_mov_b32_e32 v78, s44
	v_add_nc_u32_e32 v75, -1, v75
	s_add_i32 s44, s44, 16
	s_clause 0x3
	buffer_load_dword v76, v78, s[0:3], 0 offen offset:8
	buffer_load_dword v77, v78, s[0:3], 0 offen offset:12
	buffer_load_dword v84, v78, s[0:3], 0 offen
	buffer_load_dword v85, v78, s[0:3], 0 offen offset:4
	v_mov_b32_e32 v78, s43
	v_cmp_eq_u32_e32 vcc_lo, 0, v75
	s_add_i32 s43, s43, 16
	ds_read_b128 v[80:83], v78
	s_or_b32 s5, vcc_lo, s5
	s_waitcnt vmcnt(2) lgkmcnt(0)
	v_mul_f64 v[86:87], v[82:83], v[76:77]
	v_mul_f64 v[76:77], v[80:81], v[76:77]
	s_waitcnt vmcnt(0)
	v_fma_f64 v[80:81], v[80:81], v[84:85], -v[86:87]
	v_fma_f64 v[76:77], v[82:83], v[84:85], v[76:77]
	v_add_f64 v[1:2], v[1:2], v[80:81]
	v_add_f64 v[3:4], v[3:4], v[76:77]
	s_andn2_b32 exec_lo, exec_lo, s5
	s_cbranch_execnz .LBB97_184
; %bb.185:
	s_or_b32 exec_lo, exec_lo, s5
.LBB97_186:
	s_or_b32 exec_lo, exec_lo, s8
	v_mov_b32_e32 v75, 0
	ds_read_b128 v[75:78], v75 offset:160
	s_waitcnt lgkmcnt(0)
	v_mul_f64 v[80:81], v[3:4], v[77:78]
	v_mul_f64 v[77:78], v[1:2], v[77:78]
	v_fma_f64 v[1:2], v[1:2], v[75:76], -v[80:81]
	v_fma_f64 v[3:4], v[3:4], v[75:76], v[77:78]
	buffer_store_dword v2, off, s[0:3], 0 offset:164
	buffer_store_dword v1, off, s[0:3], 0 offset:160
	;; [unrolled: 1-line block ×4, first 2 shown]
.LBB97_187:
	s_or_b32 exec_lo, exec_lo, s6
	v_mov_b32_e32 v4, s33
	v_cmp_lt_u32_e64 s5, 9, v0
	s_clause 0x3
	buffer_load_dword v1, v4, s[0:3], 0 offen
	buffer_load_dword v2, v4, s[0:3], 0 offen offset:4
	buffer_load_dword v3, v4, s[0:3], 0 offen offset:8
	;; [unrolled: 1-line block ×3, first 2 shown]
	s_waitcnt vmcnt(0)
	ds_write_b128 v74, v[1:4]
	s_waitcnt lgkmcnt(0)
	s_waitcnt_vscnt null, 0x0
	s_barrier
	buffer_gl0_inv
	s_and_saveexec_b32 s6, s5
	s_cbranch_execz .LBB97_195
; %bb.188:
	ds_read_b128 v[1:4], v74
	s_andn2_b32 vcc_lo, exec_lo, s42
	s_cbranch_vccnz .LBB97_190
; %bb.189:
	s_clause 0x3
	buffer_load_dword v75, v73, s[0:3], 0 offen offset:8
	buffer_load_dword v76, v73, s[0:3], 0 offen offset:12
	buffer_load_dword v77, v73, s[0:3], 0 offen
	buffer_load_dword v78, v73, s[0:3], 0 offen offset:4
	s_waitcnt vmcnt(2) lgkmcnt(0)
	v_mul_f64 v[80:81], v[3:4], v[75:76]
	v_mul_f64 v[75:76], v[1:2], v[75:76]
	s_waitcnt vmcnt(0)
	v_fma_f64 v[1:2], v[1:2], v[77:78], -v[80:81]
	v_fma_f64 v[3:4], v[3:4], v[77:78], v[75:76]
.LBB97_190:
	s_and_saveexec_b32 s8, s4
	s_cbranch_execz .LBB97_194
; %bb.191:
	v_add_nc_u32_e32 v75, -10, v0
	s_movk_i32 s43, 0x2c0
	s_mov_b32 s4, 0
	s_mov_b32 s44, s31
	.p2align	6
.LBB97_192:                             ; =>This Inner Loop Header: Depth=1
	v_mov_b32_e32 v78, s44
	v_add_nc_u32_e32 v75, -1, v75
	s_add_i32 s44, s44, 16
	s_clause 0x3
	buffer_load_dword v76, v78, s[0:3], 0 offen offset:8
	buffer_load_dword v77, v78, s[0:3], 0 offen offset:12
	buffer_load_dword v84, v78, s[0:3], 0 offen
	buffer_load_dword v85, v78, s[0:3], 0 offen offset:4
	v_mov_b32_e32 v78, s43
	v_cmp_eq_u32_e32 vcc_lo, 0, v75
	s_add_i32 s43, s43, 16
	ds_read_b128 v[80:83], v78
	s_or_b32 s4, vcc_lo, s4
	s_waitcnt vmcnt(2) lgkmcnt(0)
	v_mul_f64 v[86:87], v[82:83], v[76:77]
	v_mul_f64 v[76:77], v[80:81], v[76:77]
	s_waitcnt vmcnt(0)
	v_fma_f64 v[80:81], v[80:81], v[84:85], -v[86:87]
	v_fma_f64 v[76:77], v[82:83], v[84:85], v[76:77]
	v_add_f64 v[1:2], v[1:2], v[80:81]
	v_add_f64 v[3:4], v[3:4], v[76:77]
	s_andn2_b32 exec_lo, exec_lo, s4
	s_cbranch_execnz .LBB97_192
; %bb.193:
	s_or_b32 exec_lo, exec_lo, s4
.LBB97_194:
	s_or_b32 exec_lo, exec_lo, s8
	v_mov_b32_e32 v75, 0
	ds_read_b128 v[75:78], v75 offset:144
	s_waitcnt lgkmcnt(0)
	v_mul_f64 v[80:81], v[3:4], v[77:78]
	v_mul_f64 v[77:78], v[1:2], v[77:78]
	v_fma_f64 v[1:2], v[1:2], v[75:76], -v[80:81]
	v_fma_f64 v[3:4], v[3:4], v[75:76], v[77:78]
	buffer_store_dword v2, off, s[0:3], 0 offset:148
	buffer_store_dword v1, off, s[0:3], 0 offset:144
	;; [unrolled: 1-line block ×4, first 2 shown]
.LBB97_195:
	s_or_b32 exec_lo, exec_lo, s6
	v_mov_b32_e32 v4, s34
	v_cmp_lt_u32_e64 s4, 8, v0
	s_clause 0x3
	buffer_load_dword v1, v4, s[0:3], 0 offen
	buffer_load_dword v2, v4, s[0:3], 0 offen offset:4
	buffer_load_dword v3, v4, s[0:3], 0 offen offset:8
	;; [unrolled: 1-line block ×3, first 2 shown]
	s_waitcnt vmcnt(0)
	ds_write_b128 v74, v[1:4]
	s_waitcnt lgkmcnt(0)
	s_waitcnt_vscnt null, 0x0
	s_barrier
	buffer_gl0_inv
	s_and_saveexec_b32 s6, s4
	s_cbranch_execz .LBB97_203
; %bb.196:
	ds_read_b128 v[1:4], v74
	s_andn2_b32 vcc_lo, exec_lo, s42
	s_cbranch_vccnz .LBB97_198
; %bb.197:
	s_clause 0x3
	buffer_load_dword v75, v73, s[0:3], 0 offen offset:8
	buffer_load_dword v76, v73, s[0:3], 0 offen offset:12
	buffer_load_dword v77, v73, s[0:3], 0 offen
	buffer_load_dword v78, v73, s[0:3], 0 offen offset:4
	s_waitcnt vmcnt(2) lgkmcnt(0)
	v_mul_f64 v[80:81], v[3:4], v[75:76]
	v_mul_f64 v[75:76], v[1:2], v[75:76]
	s_waitcnt vmcnt(0)
	v_fma_f64 v[1:2], v[1:2], v[77:78], -v[80:81]
	v_fma_f64 v[3:4], v[3:4], v[77:78], v[75:76]
.LBB97_198:
	s_and_saveexec_b32 s8, s5
	s_cbranch_execz .LBB97_202
; %bb.199:
	v_add_nc_u32_e32 v75, -9, v0
	s_movk_i32 s43, 0x2b0
	s_mov_b32 s5, 0
	s_mov_b32 s44, s33
	.p2align	6
.LBB97_200:                             ; =>This Inner Loop Header: Depth=1
	v_mov_b32_e32 v78, s44
	v_add_nc_u32_e32 v75, -1, v75
	s_add_i32 s44, s44, 16
	s_clause 0x3
	buffer_load_dword v76, v78, s[0:3], 0 offen offset:8
	buffer_load_dword v77, v78, s[0:3], 0 offen offset:12
	buffer_load_dword v84, v78, s[0:3], 0 offen
	buffer_load_dword v85, v78, s[0:3], 0 offen offset:4
	v_mov_b32_e32 v78, s43
	v_cmp_eq_u32_e32 vcc_lo, 0, v75
	s_add_i32 s43, s43, 16
	ds_read_b128 v[80:83], v78
	s_or_b32 s5, vcc_lo, s5
	s_waitcnt vmcnt(2) lgkmcnt(0)
	v_mul_f64 v[86:87], v[82:83], v[76:77]
	v_mul_f64 v[76:77], v[80:81], v[76:77]
	s_waitcnt vmcnt(0)
	v_fma_f64 v[80:81], v[80:81], v[84:85], -v[86:87]
	v_fma_f64 v[76:77], v[82:83], v[84:85], v[76:77]
	v_add_f64 v[1:2], v[1:2], v[80:81]
	v_add_f64 v[3:4], v[3:4], v[76:77]
	s_andn2_b32 exec_lo, exec_lo, s5
	s_cbranch_execnz .LBB97_200
; %bb.201:
	s_or_b32 exec_lo, exec_lo, s5
.LBB97_202:
	s_or_b32 exec_lo, exec_lo, s8
	v_mov_b32_e32 v75, 0
	ds_read_b128 v[75:78], v75 offset:128
	s_waitcnt lgkmcnt(0)
	v_mul_f64 v[80:81], v[3:4], v[77:78]
	v_mul_f64 v[77:78], v[1:2], v[77:78]
	v_fma_f64 v[1:2], v[1:2], v[75:76], -v[80:81]
	v_fma_f64 v[3:4], v[3:4], v[75:76], v[77:78]
	buffer_store_dword v2, off, s[0:3], 0 offset:132
	buffer_store_dword v1, off, s[0:3], 0 offset:128
	;; [unrolled: 1-line block ×4, first 2 shown]
.LBB97_203:
	s_or_b32 exec_lo, exec_lo, s6
	v_mov_b32_e32 v4, s35
	v_cmp_lt_u32_e64 s5, 7, v0
	s_clause 0x3
	buffer_load_dword v1, v4, s[0:3], 0 offen
	buffer_load_dword v2, v4, s[0:3], 0 offen offset:4
	buffer_load_dword v3, v4, s[0:3], 0 offen offset:8
	;; [unrolled: 1-line block ×3, first 2 shown]
	s_waitcnt vmcnt(0)
	ds_write_b128 v74, v[1:4]
	s_waitcnt lgkmcnt(0)
	s_waitcnt_vscnt null, 0x0
	s_barrier
	buffer_gl0_inv
	s_and_saveexec_b32 s6, s5
	s_cbranch_execz .LBB97_211
; %bb.204:
	ds_read_b128 v[1:4], v74
	s_andn2_b32 vcc_lo, exec_lo, s42
	s_cbranch_vccnz .LBB97_206
; %bb.205:
	s_clause 0x3
	buffer_load_dword v75, v73, s[0:3], 0 offen offset:8
	buffer_load_dword v76, v73, s[0:3], 0 offen offset:12
	buffer_load_dword v77, v73, s[0:3], 0 offen
	buffer_load_dword v78, v73, s[0:3], 0 offen offset:4
	s_waitcnt vmcnt(2) lgkmcnt(0)
	v_mul_f64 v[80:81], v[3:4], v[75:76]
	v_mul_f64 v[75:76], v[1:2], v[75:76]
	s_waitcnt vmcnt(0)
	v_fma_f64 v[1:2], v[1:2], v[77:78], -v[80:81]
	v_fma_f64 v[3:4], v[3:4], v[77:78], v[75:76]
.LBB97_206:
	s_and_saveexec_b32 s8, s4
	s_cbranch_execz .LBB97_210
; %bb.207:
	v_add_nc_u32_e32 v75, -8, v0
	s_movk_i32 s43, 0x2a0
	s_mov_b32 s4, 0
	s_mov_b32 s44, s34
	.p2align	6
.LBB97_208:                             ; =>This Inner Loop Header: Depth=1
	v_mov_b32_e32 v78, s44
	v_add_nc_u32_e32 v75, -1, v75
	s_add_i32 s44, s44, 16
	s_clause 0x3
	buffer_load_dword v76, v78, s[0:3], 0 offen offset:8
	buffer_load_dword v77, v78, s[0:3], 0 offen offset:12
	buffer_load_dword v84, v78, s[0:3], 0 offen
	buffer_load_dword v85, v78, s[0:3], 0 offen offset:4
	v_mov_b32_e32 v78, s43
	v_cmp_eq_u32_e32 vcc_lo, 0, v75
	s_add_i32 s43, s43, 16
	ds_read_b128 v[80:83], v78
	s_or_b32 s4, vcc_lo, s4
	s_waitcnt vmcnt(2) lgkmcnt(0)
	v_mul_f64 v[86:87], v[82:83], v[76:77]
	v_mul_f64 v[76:77], v[80:81], v[76:77]
	s_waitcnt vmcnt(0)
	v_fma_f64 v[80:81], v[80:81], v[84:85], -v[86:87]
	v_fma_f64 v[76:77], v[82:83], v[84:85], v[76:77]
	v_add_f64 v[1:2], v[1:2], v[80:81]
	v_add_f64 v[3:4], v[3:4], v[76:77]
	s_andn2_b32 exec_lo, exec_lo, s4
	s_cbranch_execnz .LBB97_208
; %bb.209:
	s_or_b32 exec_lo, exec_lo, s4
.LBB97_210:
	s_or_b32 exec_lo, exec_lo, s8
	v_mov_b32_e32 v75, 0
	ds_read_b128 v[75:78], v75 offset:112
	s_waitcnt lgkmcnt(0)
	v_mul_f64 v[80:81], v[3:4], v[77:78]
	v_mul_f64 v[77:78], v[1:2], v[77:78]
	v_fma_f64 v[1:2], v[1:2], v[75:76], -v[80:81]
	v_fma_f64 v[3:4], v[3:4], v[75:76], v[77:78]
	buffer_store_dword v2, off, s[0:3], 0 offset:116
	buffer_store_dword v1, off, s[0:3], 0 offset:112
	;; [unrolled: 1-line block ×4, first 2 shown]
.LBB97_211:
	s_or_b32 exec_lo, exec_lo, s6
	v_mov_b32_e32 v4, s36
	v_cmp_lt_u32_e64 s4, 6, v0
	s_clause 0x3
	buffer_load_dword v1, v4, s[0:3], 0 offen
	buffer_load_dword v2, v4, s[0:3], 0 offen offset:4
	buffer_load_dword v3, v4, s[0:3], 0 offen offset:8
	;; [unrolled: 1-line block ×3, first 2 shown]
	s_waitcnt vmcnt(0)
	ds_write_b128 v74, v[1:4]
	s_waitcnt lgkmcnt(0)
	s_waitcnt_vscnt null, 0x0
	s_barrier
	buffer_gl0_inv
	s_and_saveexec_b32 s6, s4
	s_cbranch_execz .LBB97_219
; %bb.212:
	ds_read_b128 v[1:4], v74
	s_andn2_b32 vcc_lo, exec_lo, s42
	s_cbranch_vccnz .LBB97_214
; %bb.213:
	s_clause 0x3
	buffer_load_dword v75, v73, s[0:3], 0 offen offset:8
	buffer_load_dword v76, v73, s[0:3], 0 offen offset:12
	buffer_load_dword v77, v73, s[0:3], 0 offen
	buffer_load_dword v78, v73, s[0:3], 0 offen offset:4
	s_waitcnt vmcnt(2) lgkmcnt(0)
	v_mul_f64 v[80:81], v[3:4], v[75:76]
	v_mul_f64 v[75:76], v[1:2], v[75:76]
	s_waitcnt vmcnt(0)
	v_fma_f64 v[1:2], v[1:2], v[77:78], -v[80:81]
	v_fma_f64 v[3:4], v[3:4], v[77:78], v[75:76]
.LBB97_214:
	s_and_saveexec_b32 s8, s5
	s_cbranch_execz .LBB97_218
; %bb.215:
	v_add_nc_u32_e32 v75, -7, v0
	s_movk_i32 s43, 0x290
	s_mov_b32 s5, 0
	s_mov_b32 s44, s35
	.p2align	6
.LBB97_216:                             ; =>This Inner Loop Header: Depth=1
	v_mov_b32_e32 v78, s44
	v_add_nc_u32_e32 v75, -1, v75
	s_add_i32 s44, s44, 16
	s_clause 0x3
	buffer_load_dword v76, v78, s[0:3], 0 offen offset:8
	buffer_load_dword v77, v78, s[0:3], 0 offen offset:12
	buffer_load_dword v84, v78, s[0:3], 0 offen
	buffer_load_dword v85, v78, s[0:3], 0 offen offset:4
	v_mov_b32_e32 v78, s43
	v_cmp_eq_u32_e32 vcc_lo, 0, v75
	s_add_i32 s43, s43, 16
	ds_read_b128 v[80:83], v78
	s_or_b32 s5, vcc_lo, s5
	s_waitcnt vmcnt(2) lgkmcnt(0)
	v_mul_f64 v[86:87], v[82:83], v[76:77]
	v_mul_f64 v[76:77], v[80:81], v[76:77]
	s_waitcnt vmcnt(0)
	v_fma_f64 v[80:81], v[80:81], v[84:85], -v[86:87]
	v_fma_f64 v[76:77], v[82:83], v[84:85], v[76:77]
	v_add_f64 v[1:2], v[1:2], v[80:81]
	v_add_f64 v[3:4], v[3:4], v[76:77]
	s_andn2_b32 exec_lo, exec_lo, s5
	s_cbranch_execnz .LBB97_216
; %bb.217:
	s_or_b32 exec_lo, exec_lo, s5
.LBB97_218:
	s_or_b32 exec_lo, exec_lo, s8
	v_mov_b32_e32 v75, 0
	ds_read_b128 v[75:78], v75 offset:96
	s_waitcnt lgkmcnt(0)
	v_mul_f64 v[80:81], v[3:4], v[77:78]
	v_mul_f64 v[77:78], v[1:2], v[77:78]
	v_fma_f64 v[1:2], v[1:2], v[75:76], -v[80:81]
	v_fma_f64 v[3:4], v[3:4], v[75:76], v[77:78]
	buffer_store_dword v2, off, s[0:3], 0 offset:100
	buffer_store_dword v1, off, s[0:3], 0 offset:96
	;; [unrolled: 1-line block ×4, first 2 shown]
.LBB97_219:
	s_or_b32 exec_lo, exec_lo, s6
	v_mov_b32_e32 v4, s37
	v_cmp_lt_u32_e64 s5, 5, v0
	s_clause 0x3
	buffer_load_dword v1, v4, s[0:3], 0 offen
	buffer_load_dword v2, v4, s[0:3], 0 offen offset:4
	buffer_load_dword v3, v4, s[0:3], 0 offen offset:8
	;; [unrolled: 1-line block ×3, first 2 shown]
	s_waitcnt vmcnt(0)
	ds_write_b128 v74, v[1:4]
	s_waitcnt lgkmcnt(0)
	s_waitcnt_vscnt null, 0x0
	s_barrier
	buffer_gl0_inv
	s_and_saveexec_b32 s6, s5
	s_cbranch_execz .LBB97_227
; %bb.220:
	ds_read_b128 v[1:4], v74
	s_andn2_b32 vcc_lo, exec_lo, s42
	s_cbranch_vccnz .LBB97_222
; %bb.221:
	s_clause 0x3
	buffer_load_dword v75, v73, s[0:3], 0 offen offset:8
	buffer_load_dword v76, v73, s[0:3], 0 offen offset:12
	buffer_load_dword v77, v73, s[0:3], 0 offen
	buffer_load_dword v78, v73, s[0:3], 0 offen offset:4
	s_waitcnt vmcnt(2) lgkmcnt(0)
	v_mul_f64 v[80:81], v[3:4], v[75:76]
	v_mul_f64 v[75:76], v[1:2], v[75:76]
	s_waitcnt vmcnt(0)
	v_fma_f64 v[1:2], v[1:2], v[77:78], -v[80:81]
	v_fma_f64 v[3:4], v[3:4], v[77:78], v[75:76]
.LBB97_222:
	s_and_saveexec_b32 s8, s4
	s_cbranch_execz .LBB97_226
; %bb.223:
	v_add_nc_u32_e32 v75, -6, v0
	s_movk_i32 s43, 0x280
	s_mov_b32 s4, 0
	s_mov_b32 s44, s36
	.p2align	6
.LBB97_224:                             ; =>This Inner Loop Header: Depth=1
	v_mov_b32_e32 v78, s44
	v_add_nc_u32_e32 v75, -1, v75
	s_add_i32 s44, s44, 16
	s_clause 0x3
	buffer_load_dword v76, v78, s[0:3], 0 offen offset:8
	buffer_load_dword v77, v78, s[0:3], 0 offen offset:12
	buffer_load_dword v84, v78, s[0:3], 0 offen
	buffer_load_dword v85, v78, s[0:3], 0 offen offset:4
	v_mov_b32_e32 v78, s43
	v_cmp_eq_u32_e32 vcc_lo, 0, v75
	s_add_i32 s43, s43, 16
	ds_read_b128 v[80:83], v78
	s_or_b32 s4, vcc_lo, s4
	s_waitcnt vmcnt(2) lgkmcnt(0)
	v_mul_f64 v[86:87], v[82:83], v[76:77]
	v_mul_f64 v[76:77], v[80:81], v[76:77]
	s_waitcnt vmcnt(0)
	v_fma_f64 v[80:81], v[80:81], v[84:85], -v[86:87]
	v_fma_f64 v[76:77], v[82:83], v[84:85], v[76:77]
	v_add_f64 v[1:2], v[1:2], v[80:81]
	v_add_f64 v[3:4], v[3:4], v[76:77]
	s_andn2_b32 exec_lo, exec_lo, s4
	s_cbranch_execnz .LBB97_224
; %bb.225:
	s_or_b32 exec_lo, exec_lo, s4
.LBB97_226:
	s_or_b32 exec_lo, exec_lo, s8
	v_mov_b32_e32 v75, 0
	ds_read_b128 v[75:78], v75 offset:80
	s_waitcnt lgkmcnt(0)
	v_mul_f64 v[80:81], v[3:4], v[77:78]
	v_mul_f64 v[77:78], v[1:2], v[77:78]
	v_fma_f64 v[1:2], v[1:2], v[75:76], -v[80:81]
	v_fma_f64 v[3:4], v[3:4], v[75:76], v[77:78]
	buffer_store_dword v2, off, s[0:3], 0 offset:84
	buffer_store_dword v1, off, s[0:3], 0 offset:80
	buffer_store_dword v4, off, s[0:3], 0 offset:92
	buffer_store_dword v3, off, s[0:3], 0 offset:88
.LBB97_227:
	s_or_b32 exec_lo, exec_lo, s6
	v_mov_b32_e32 v4, s38
	v_cmp_lt_u32_e64 s4, 4, v0
	s_clause 0x3
	buffer_load_dword v1, v4, s[0:3], 0 offen
	buffer_load_dword v2, v4, s[0:3], 0 offen offset:4
	buffer_load_dword v3, v4, s[0:3], 0 offen offset:8
	;; [unrolled: 1-line block ×3, first 2 shown]
	s_waitcnt vmcnt(0)
	ds_write_b128 v74, v[1:4]
	s_waitcnt lgkmcnt(0)
	s_waitcnt_vscnt null, 0x0
	s_barrier
	buffer_gl0_inv
	s_and_saveexec_b32 s6, s4
	s_cbranch_execz .LBB97_235
; %bb.228:
	ds_read_b128 v[1:4], v74
	s_andn2_b32 vcc_lo, exec_lo, s42
	s_cbranch_vccnz .LBB97_230
; %bb.229:
	s_clause 0x3
	buffer_load_dword v75, v73, s[0:3], 0 offen offset:8
	buffer_load_dword v76, v73, s[0:3], 0 offen offset:12
	buffer_load_dword v77, v73, s[0:3], 0 offen
	buffer_load_dword v78, v73, s[0:3], 0 offen offset:4
	s_waitcnt vmcnt(2) lgkmcnt(0)
	v_mul_f64 v[80:81], v[3:4], v[75:76]
	v_mul_f64 v[75:76], v[1:2], v[75:76]
	s_waitcnt vmcnt(0)
	v_fma_f64 v[1:2], v[1:2], v[77:78], -v[80:81]
	v_fma_f64 v[3:4], v[3:4], v[77:78], v[75:76]
.LBB97_230:
	s_and_saveexec_b32 s8, s5
	s_cbranch_execz .LBB97_234
; %bb.231:
	v_add_nc_u32_e32 v75, -5, v0
	s_movk_i32 s43, 0x270
	s_mov_b32 s5, 0
	s_mov_b32 s44, s37
	.p2align	6
.LBB97_232:                             ; =>This Inner Loop Header: Depth=1
	v_mov_b32_e32 v78, s44
	v_add_nc_u32_e32 v75, -1, v75
	s_add_i32 s44, s44, 16
	s_clause 0x3
	buffer_load_dword v76, v78, s[0:3], 0 offen offset:8
	buffer_load_dword v77, v78, s[0:3], 0 offen offset:12
	buffer_load_dword v84, v78, s[0:3], 0 offen
	buffer_load_dword v85, v78, s[0:3], 0 offen offset:4
	v_mov_b32_e32 v78, s43
	v_cmp_eq_u32_e32 vcc_lo, 0, v75
	s_add_i32 s43, s43, 16
	ds_read_b128 v[80:83], v78
	s_or_b32 s5, vcc_lo, s5
	s_waitcnt vmcnt(2) lgkmcnt(0)
	v_mul_f64 v[86:87], v[82:83], v[76:77]
	v_mul_f64 v[76:77], v[80:81], v[76:77]
	s_waitcnt vmcnt(0)
	v_fma_f64 v[80:81], v[80:81], v[84:85], -v[86:87]
	v_fma_f64 v[76:77], v[82:83], v[84:85], v[76:77]
	v_add_f64 v[1:2], v[1:2], v[80:81]
	v_add_f64 v[3:4], v[3:4], v[76:77]
	s_andn2_b32 exec_lo, exec_lo, s5
	s_cbranch_execnz .LBB97_232
; %bb.233:
	s_or_b32 exec_lo, exec_lo, s5
.LBB97_234:
	s_or_b32 exec_lo, exec_lo, s8
	v_mov_b32_e32 v75, 0
	ds_read_b128 v[75:78], v75 offset:64
	s_waitcnt lgkmcnt(0)
	v_mul_f64 v[80:81], v[3:4], v[77:78]
	v_mul_f64 v[77:78], v[1:2], v[77:78]
	v_fma_f64 v[1:2], v[1:2], v[75:76], -v[80:81]
	v_fma_f64 v[3:4], v[3:4], v[75:76], v[77:78]
	buffer_store_dword v2, off, s[0:3], 0 offset:68
	buffer_store_dword v1, off, s[0:3], 0 offset:64
	;; [unrolled: 1-line block ×4, first 2 shown]
.LBB97_235:
	s_or_b32 exec_lo, exec_lo, s6
	v_mov_b32_e32 v4, s39
	v_cmp_lt_u32_e64 s5, 3, v0
	s_clause 0x3
	buffer_load_dword v1, v4, s[0:3], 0 offen
	buffer_load_dword v2, v4, s[0:3], 0 offen offset:4
	buffer_load_dword v3, v4, s[0:3], 0 offen offset:8
	;; [unrolled: 1-line block ×3, first 2 shown]
	s_waitcnt vmcnt(0)
	ds_write_b128 v74, v[1:4]
	s_waitcnt lgkmcnt(0)
	s_waitcnt_vscnt null, 0x0
	s_barrier
	buffer_gl0_inv
	s_and_saveexec_b32 s6, s5
	s_cbranch_execz .LBB97_243
; %bb.236:
	ds_read_b128 v[1:4], v74
	s_andn2_b32 vcc_lo, exec_lo, s42
	s_cbranch_vccnz .LBB97_238
; %bb.237:
	s_clause 0x3
	buffer_load_dword v75, v73, s[0:3], 0 offen offset:8
	buffer_load_dword v76, v73, s[0:3], 0 offen offset:12
	buffer_load_dword v77, v73, s[0:3], 0 offen
	buffer_load_dword v78, v73, s[0:3], 0 offen offset:4
	s_waitcnt vmcnt(2) lgkmcnt(0)
	v_mul_f64 v[80:81], v[3:4], v[75:76]
	v_mul_f64 v[75:76], v[1:2], v[75:76]
	s_waitcnt vmcnt(0)
	v_fma_f64 v[1:2], v[1:2], v[77:78], -v[80:81]
	v_fma_f64 v[3:4], v[3:4], v[77:78], v[75:76]
.LBB97_238:
	s_and_saveexec_b32 s8, s4
	s_cbranch_execz .LBB97_242
; %bb.239:
	v_add_nc_u32_e32 v75, -4, v0
	s_movk_i32 s43, 0x260
	s_mov_b32 s4, 0
	s_mov_b32 s44, s38
	.p2align	6
.LBB97_240:                             ; =>This Inner Loop Header: Depth=1
	v_mov_b32_e32 v78, s44
	v_add_nc_u32_e32 v75, -1, v75
	s_add_i32 s44, s44, 16
	s_clause 0x3
	buffer_load_dword v76, v78, s[0:3], 0 offen offset:8
	buffer_load_dword v77, v78, s[0:3], 0 offen offset:12
	buffer_load_dword v84, v78, s[0:3], 0 offen
	buffer_load_dword v85, v78, s[0:3], 0 offen offset:4
	v_mov_b32_e32 v78, s43
	v_cmp_eq_u32_e32 vcc_lo, 0, v75
	s_add_i32 s43, s43, 16
	ds_read_b128 v[80:83], v78
	s_or_b32 s4, vcc_lo, s4
	s_waitcnt vmcnt(2) lgkmcnt(0)
	v_mul_f64 v[86:87], v[82:83], v[76:77]
	v_mul_f64 v[76:77], v[80:81], v[76:77]
	s_waitcnt vmcnt(0)
	v_fma_f64 v[80:81], v[80:81], v[84:85], -v[86:87]
	v_fma_f64 v[76:77], v[82:83], v[84:85], v[76:77]
	v_add_f64 v[1:2], v[1:2], v[80:81]
	v_add_f64 v[3:4], v[3:4], v[76:77]
	s_andn2_b32 exec_lo, exec_lo, s4
	s_cbranch_execnz .LBB97_240
; %bb.241:
	s_or_b32 exec_lo, exec_lo, s4
.LBB97_242:
	s_or_b32 exec_lo, exec_lo, s8
	v_mov_b32_e32 v75, 0
	ds_read_b128 v[75:78], v75 offset:48
	s_waitcnt lgkmcnt(0)
	v_mul_f64 v[80:81], v[3:4], v[77:78]
	v_mul_f64 v[77:78], v[1:2], v[77:78]
	v_fma_f64 v[1:2], v[1:2], v[75:76], -v[80:81]
	v_fma_f64 v[3:4], v[3:4], v[75:76], v[77:78]
	buffer_store_dword v2, off, s[0:3], 0 offset:52
	buffer_store_dword v1, off, s[0:3], 0 offset:48
	;; [unrolled: 1-line block ×4, first 2 shown]
.LBB97_243:
	s_or_b32 exec_lo, exec_lo, s6
	v_mov_b32_e32 v4, s40
	v_cmp_lt_u32_e64 s6, 2, v0
	s_clause 0x3
	buffer_load_dword v1, v4, s[0:3], 0 offen
	buffer_load_dword v2, v4, s[0:3], 0 offen offset:4
	buffer_load_dword v3, v4, s[0:3], 0 offen offset:8
	;; [unrolled: 1-line block ×3, first 2 shown]
	s_waitcnt vmcnt(0)
	ds_write_b128 v74, v[1:4]
	s_waitcnt lgkmcnt(0)
	s_waitcnt_vscnt null, 0x0
	s_barrier
	buffer_gl0_inv
	s_and_saveexec_b32 s4, s6
	s_cbranch_execz .LBB97_251
; %bb.244:
	ds_read_b128 v[1:4], v74
	s_andn2_b32 vcc_lo, exec_lo, s42
	s_cbranch_vccnz .LBB97_246
; %bb.245:
	s_clause 0x3
	buffer_load_dword v75, v73, s[0:3], 0 offen offset:8
	buffer_load_dword v76, v73, s[0:3], 0 offen offset:12
	buffer_load_dword v77, v73, s[0:3], 0 offen
	buffer_load_dword v78, v73, s[0:3], 0 offen offset:4
	s_waitcnt vmcnt(2) lgkmcnt(0)
	v_mul_f64 v[80:81], v[3:4], v[75:76]
	v_mul_f64 v[75:76], v[1:2], v[75:76]
	s_waitcnt vmcnt(0)
	v_fma_f64 v[1:2], v[1:2], v[77:78], -v[80:81]
	v_fma_f64 v[3:4], v[3:4], v[77:78], v[75:76]
.LBB97_246:
	s_and_saveexec_b32 s8, s5
	s_cbranch_execz .LBB97_250
; %bb.247:
	v_add_nc_u32_e32 v75, -3, v0
	s_movk_i32 s43, 0x250
	s_mov_b32 s5, 0
	s_mov_b32 s44, s39
	.p2align	6
.LBB97_248:                             ; =>This Inner Loop Header: Depth=1
	v_mov_b32_e32 v78, s44
	v_add_nc_u32_e32 v75, -1, v75
	s_add_i32 s44, s44, 16
	s_clause 0x3
	buffer_load_dword v76, v78, s[0:3], 0 offen offset:8
	buffer_load_dword v77, v78, s[0:3], 0 offen offset:12
	buffer_load_dword v84, v78, s[0:3], 0 offen
	buffer_load_dword v85, v78, s[0:3], 0 offen offset:4
	v_mov_b32_e32 v78, s43
	v_cmp_eq_u32_e32 vcc_lo, 0, v75
	s_add_i32 s43, s43, 16
	ds_read_b128 v[80:83], v78
	s_or_b32 s5, vcc_lo, s5
	s_waitcnt vmcnt(2) lgkmcnt(0)
	v_mul_f64 v[86:87], v[82:83], v[76:77]
	v_mul_f64 v[76:77], v[80:81], v[76:77]
	s_waitcnt vmcnt(0)
	v_fma_f64 v[80:81], v[80:81], v[84:85], -v[86:87]
	v_fma_f64 v[76:77], v[82:83], v[84:85], v[76:77]
	v_add_f64 v[1:2], v[1:2], v[80:81]
	v_add_f64 v[3:4], v[3:4], v[76:77]
	s_andn2_b32 exec_lo, exec_lo, s5
	s_cbranch_execnz .LBB97_248
; %bb.249:
	s_or_b32 exec_lo, exec_lo, s5
.LBB97_250:
	s_or_b32 exec_lo, exec_lo, s8
	v_mov_b32_e32 v75, 0
	ds_read_b128 v[75:78], v75 offset:32
	s_waitcnt lgkmcnt(0)
	v_mul_f64 v[80:81], v[3:4], v[77:78]
	v_mul_f64 v[77:78], v[1:2], v[77:78]
	v_fma_f64 v[1:2], v[1:2], v[75:76], -v[80:81]
	v_fma_f64 v[3:4], v[3:4], v[75:76], v[77:78]
	buffer_store_dword v2, off, s[0:3], 0 offset:36
	buffer_store_dword v1, off, s[0:3], 0 offset:32
	;; [unrolled: 1-line block ×4, first 2 shown]
.LBB97_251:
	s_or_b32 exec_lo, exec_lo, s4
	v_mov_b32_e32 v4, s41
	v_cmp_lt_u32_e64 s4, 1, v0
	s_clause 0x3
	buffer_load_dword v1, v4, s[0:3], 0 offen
	buffer_load_dword v2, v4, s[0:3], 0 offen offset:4
	buffer_load_dword v3, v4, s[0:3], 0 offen offset:8
	;; [unrolled: 1-line block ×3, first 2 shown]
	s_waitcnt vmcnt(0)
	ds_write_b128 v74, v[1:4]
	s_waitcnt lgkmcnt(0)
	s_waitcnt_vscnt null, 0x0
	s_barrier
	buffer_gl0_inv
	s_and_saveexec_b32 s5, s4
	s_cbranch_execz .LBB97_259
; %bb.252:
	ds_read_b128 v[1:4], v74
	s_andn2_b32 vcc_lo, exec_lo, s42
	s_cbranch_vccnz .LBB97_254
; %bb.253:
	s_clause 0x3
	buffer_load_dword v75, v73, s[0:3], 0 offen offset:8
	buffer_load_dword v76, v73, s[0:3], 0 offen offset:12
	buffer_load_dword v77, v73, s[0:3], 0 offen
	buffer_load_dword v78, v73, s[0:3], 0 offen offset:4
	s_waitcnt vmcnt(2) lgkmcnt(0)
	v_mul_f64 v[80:81], v[3:4], v[75:76]
	v_mul_f64 v[75:76], v[1:2], v[75:76]
	s_waitcnt vmcnt(0)
	v_fma_f64 v[1:2], v[1:2], v[77:78], -v[80:81]
	v_fma_f64 v[3:4], v[3:4], v[77:78], v[75:76]
.LBB97_254:
	s_and_saveexec_b32 s8, s6
	s_cbranch_execz .LBB97_258
; %bb.255:
	v_add_nc_u32_e32 v75, -2, v0
	s_movk_i32 s43, 0x240
	s_mov_b32 s6, 0
	s_mov_b32 s44, s40
	.p2align	6
.LBB97_256:                             ; =>This Inner Loop Header: Depth=1
	v_mov_b32_e32 v78, s44
	v_add_nc_u32_e32 v75, -1, v75
	s_add_i32 s44, s44, 16
	s_clause 0x3
	buffer_load_dword v76, v78, s[0:3], 0 offen offset:8
	buffer_load_dword v77, v78, s[0:3], 0 offen offset:12
	buffer_load_dword v84, v78, s[0:3], 0 offen
	buffer_load_dword v85, v78, s[0:3], 0 offen offset:4
	v_mov_b32_e32 v78, s43
	v_cmp_eq_u32_e32 vcc_lo, 0, v75
	s_add_i32 s43, s43, 16
	ds_read_b128 v[80:83], v78
	s_or_b32 s6, vcc_lo, s6
	s_waitcnt vmcnt(2) lgkmcnt(0)
	v_mul_f64 v[86:87], v[82:83], v[76:77]
	v_mul_f64 v[76:77], v[80:81], v[76:77]
	s_waitcnt vmcnt(0)
	v_fma_f64 v[80:81], v[80:81], v[84:85], -v[86:87]
	v_fma_f64 v[76:77], v[82:83], v[84:85], v[76:77]
	v_add_f64 v[1:2], v[1:2], v[80:81]
	v_add_f64 v[3:4], v[3:4], v[76:77]
	s_andn2_b32 exec_lo, exec_lo, s6
	s_cbranch_execnz .LBB97_256
; %bb.257:
	s_or_b32 exec_lo, exec_lo, s6
.LBB97_258:
	s_or_b32 exec_lo, exec_lo, s8
	v_mov_b32_e32 v75, 0
	ds_read_b128 v[75:78], v75 offset:16
	s_waitcnt lgkmcnt(0)
	v_mul_f64 v[80:81], v[3:4], v[77:78]
	v_mul_f64 v[77:78], v[1:2], v[77:78]
	v_fma_f64 v[1:2], v[1:2], v[75:76], -v[80:81]
	v_fma_f64 v[3:4], v[3:4], v[75:76], v[77:78]
	buffer_store_dword v2, off, s[0:3], 0 offset:20
	buffer_store_dword v1, off, s[0:3], 0 offset:16
	;; [unrolled: 1-line block ×4, first 2 shown]
.LBB97_259:
	s_or_b32 exec_lo, exec_lo, s5
	s_clause 0x3
	buffer_load_dword v1, off, s[0:3], 0
	buffer_load_dword v2, off, s[0:3], 0 offset:4
	buffer_load_dword v3, off, s[0:3], 0 offset:8
	;; [unrolled: 1-line block ×3, first 2 shown]
	s_mov_b32 s6, 0
	s_mov_b32 s5, 0
	s_mov_b32 s8, exec_lo
                                        ; implicit-def: $sgpr43
	s_waitcnt vmcnt(0)
	ds_write_b128 v74, v[1:4]
	s_waitcnt lgkmcnt(0)
	s_waitcnt_vscnt null, 0x0
	s_barrier
	buffer_gl0_inv
                                        ; implicit-def: $vgpr1_vgpr2
	v_cmpx_ne_u32_e32 0, v0
	s_cbranch_execz .LBB97_267
; %bb.260:
	ds_read_b128 v[1:4], v74
	s_andn2_b32 vcc_lo, exec_lo, s42
	s_cbranch_vccnz .LBB97_262
; %bb.261:
	s_clause 0x3
	buffer_load_dword v75, v73, s[0:3], 0 offen offset:8
	buffer_load_dword v76, v73, s[0:3], 0 offen offset:12
	buffer_load_dword v77, v73, s[0:3], 0 offen
	buffer_load_dword v78, v73, s[0:3], 0 offen offset:4
	s_waitcnt vmcnt(2) lgkmcnt(0)
	v_mul_f64 v[80:81], v[3:4], v[75:76]
	v_mul_f64 v[75:76], v[1:2], v[75:76]
	s_waitcnt vmcnt(0)
	v_fma_f64 v[1:2], v[1:2], v[77:78], -v[80:81]
	v_fma_f64 v[3:4], v[3:4], v[77:78], v[75:76]
.LBB97_262:
	s_and_saveexec_b32 s5, s4
	s_cbranch_execz .LBB97_266
; %bb.263:
	v_add_nc_u32_e32 v75, -1, v0
	s_movk_i32 s43, 0x230
	s_mov_b32 s4, 0
	s_mov_b32 s44, s41
	.p2align	6
.LBB97_264:                             ; =>This Inner Loop Header: Depth=1
	v_mov_b32_e32 v78, s44
	v_add_nc_u32_e32 v75, -1, v75
	s_add_i32 s44, s44, 16
	s_clause 0x3
	buffer_load_dword v76, v78, s[0:3], 0 offen offset:8
	buffer_load_dword v77, v78, s[0:3], 0 offen offset:12
	buffer_load_dword v84, v78, s[0:3], 0 offen
	buffer_load_dword v85, v78, s[0:3], 0 offen offset:4
	v_mov_b32_e32 v78, s43
	v_cmp_eq_u32_e32 vcc_lo, 0, v75
	s_add_i32 s43, s43, 16
	ds_read_b128 v[80:83], v78
	s_or_b32 s4, vcc_lo, s4
	s_waitcnt vmcnt(2) lgkmcnt(0)
	v_mul_f64 v[86:87], v[82:83], v[76:77]
	v_mul_f64 v[76:77], v[80:81], v[76:77]
	s_waitcnt vmcnt(0)
	v_fma_f64 v[80:81], v[80:81], v[84:85], -v[86:87]
	v_fma_f64 v[76:77], v[82:83], v[84:85], v[76:77]
	v_add_f64 v[1:2], v[1:2], v[80:81]
	v_add_f64 v[3:4], v[3:4], v[76:77]
	s_andn2_b32 exec_lo, exec_lo, s4
	s_cbranch_execnz .LBB97_264
; %bb.265:
	s_or_b32 exec_lo, exec_lo, s4
.LBB97_266:
	s_or_b32 exec_lo, exec_lo, s5
	v_mov_b32_e32 v75, 0
	s_mov_b32 s5, exec_lo
	s_or_b32 s43, 0, 8
	ds_read_b128 v[75:78], v75
	s_waitcnt lgkmcnt(0)
	v_mul_f64 v[80:81], v[3:4], v[77:78]
	v_mul_f64 v[77:78], v[1:2], v[77:78]
	v_fma_f64 v[80:81], v[1:2], v[75:76], -v[80:81]
	v_fma_f64 v[1:2], v[3:4], v[75:76], v[77:78]
	buffer_store_dword v81, off, s[0:3], 0 offset:4
	buffer_store_dword v80, off, s[0:3], 0
.LBB97_267:
	s_or_b32 exec_lo, exec_lo, s8
	s_and_b32 vcc_lo, exec_lo, s6
	s_cbranch_vccnz .LBB97_269
	s_branch .LBB97_528
.LBB97_268:
	s_mov_b32 s5, 0
                                        ; implicit-def: $vgpr1_vgpr2
                                        ; implicit-def: $sgpr43
	s_cbranch_execz .LBB97_528
.LBB97_269:
	v_mov_b32_e32 v4, s41
	v_cmp_eq_u32_e64 s4, 0, v0
	v_cndmask_b32_e64 v75, 0, 1, s42
	s_clause 0x3
	buffer_load_dword v1, v4, s[0:3], 0 offen
	buffer_load_dword v2, v4, s[0:3], 0 offen offset:4
	buffer_load_dword v3, v4, s[0:3], 0 offen offset:8
	;; [unrolled: 1-line block ×3, first 2 shown]
	s_waitcnt vmcnt(0)
	ds_write_b128 v74, v[1:4]
	s_waitcnt lgkmcnt(0)
	s_waitcnt_vscnt null, 0x0
	s_barrier
	buffer_gl0_inv
	s_and_saveexec_b32 s6, s4
	s_cbranch_execz .LBB97_273
; %bb.270:
	ds_read_b128 v[1:4], v74
	s_andn2_b32 vcc_lo, exec_lo, s42
	s_cbranch_vccnz .LBB97_272
; %bb.271:
	s_clause 0x3
	buffer_load_dword v76, v73, s[0:3], 0 offen offset:8
	buffer_load_dword v77, v73, s[0:3], 0 offen offset:12
	buffer_load_dword v80, v73, s[0:3], 0 offen
	buffer_load_dword v81, v73, s[0:3], 0 offen offset:4
	s_waitcnt vmcnt(2) lgkmcnt(0)
	v_mul_f64 v[82:83], v[3:4], v[76:77]
	v_mul_f64 v[76:77], v[1:2], v[76:77]
	s_waitcnt vmcnt(0)
	v_fma_f64 v[1:2], v[1:2], v[80:81], -v[82:83]
	v_fma_f64 v[3:4], v[3:4], v[80:81], v[76:77]
.LBB97_272:
	v_mov_b32_e32 v76, 0
	ds_read_b128 v[80:83], v76 offset:16
	s_waitcnt lgkmcnt(0)
	v_mul_f64 v[76:77], v[3:4], v[82:83]
	v_mul_f64 v[82:83], v[1:2], v[82:83]
	v_fma_f64 v[1:2], v[1:2], v[80:81], -v[76:77]
	v_fma_f64 v[3:4], v[3:4], v[80:81], v[82:83]
	buffer_store_dword v2, off, s[0:3], 0 offset:20
	buffer_store_dword v1, off, s[0:3], 0 offset:16
	;; [unrolled: 1-line block ×4, first 2 shown]
.LBB97_273:
	s_or_b32 exec_lo, exec_lo, s6
	v_mov_b32_e32 v4, s40
	s_mov_b32 s6, exec_lo
	s_clause 0x3
	buffer_load_dword v1, v4, s[0:3], 0 offen
	buffer_load_dword v2, v4, s[0:3], 0 offen offset:4
	buffer_load_dword v3, v4, s[0:3], 0 offen offset:8
	;; [unrolled: 1-line block ×3, first 2 shown]
	s_waitcnt vmcnt(0)
	ds_write_b128 v74, v[1:4]
	s_waitcnt lgkmcnt(0)
	s_waitcnt_vscnt null, 0x0
	s_barrier
	buffer_gl0_inv
	v_cmpx_gt_u32_e32 2, v0
	s_cbranch_execz .LBB97_279
; %bb.274:
	ds_read_b128 v[1:4], v74
	v_cmp_ne_u32_e32 vcc_lo, 1, v75
	s_cbranch_vccnz .LBB97_276
; %bb.275:
	s_clause 0x3
	buffer_load_dword v76, v73, s[0:3], 0 offen offset:8
	buffer_load_dword v77, v73, s[0:3], 0 offen offset:12
	buffer_load_dword v80, v73, s[0:3], 0 offen
	buffer_load_dword v81, v73, s[0:3], 0 offen offset:4
	s_waitcnt vmcnt(2) lgkmcnt(0)
	v_mul_f64 v[82:83], v[3:4], v[76:77]
	v_mul_f64 v[76:77], v[1:2], v[76:77]
	s_waitcnt vmcnt(0)
	v_fma_f64 v[1:2], v[1:2], v[80:81], -v[82:83]
	v_fma_f64 v[3:4], v[3:4], v[80:81], v[76:77]
.LBB97_276:
	s_and_saveexec_b32 s8, s4
	s_cbranch_execz .LBB97_278
; %bb.277:
	s_clause 0x3
	buffer_load_dword v76, off, s[0:3], 0 offset:24
	buffer_load_dword v77, off, s[0:3], 0 offset:28
	buffer_load_dword v84, off, s[0:3], 0 offset:16
	buffer_load_dword v85, off, s[0:3], 0 offset:20
	v_mov_b32_e32 v78, 0
	ds_read_b128 v[80:83], v78 offset:560
	s_waitcnt vmcnt(2) lgkmcnt(0)
	v_mul_f64 v[86:87], v[82:83], v[76:77]
	v_mul_f64 v[76:77], v[80:81], v[76:77]
	s_waitcnt vmcnt(0)
	v_fma_f64 v[80:81], v[80:81], v[84:85], -v[86:87]
	v_fma_f64 v[76:77], v[82:83], v[84:85], v[76:77]
	v_add_f64 v[1:2], v[1:2], v[80:81]
	v_add_f64 v[3:4], v[3:4], v[76:77]
.LBB97_278:
	s_or_b32 exec_lo, exec_lo, s8
	v_mov_b32_e32 v76, 0
	ds_read_b128 v[80:83], v76 offset:32
	s_waitcnt lgkmcnt(0)
	v_mul_f64 v[76:77], v[3:4], v[82:83]
	v_mul_f64 v[82:83], v[1:2], v[82:83]
	v_fma_f64 v[1:2], v[1:2], v[80:81], -v[76:77]
	v_fma_f64 v[3:4], v[3:4], v[80:81], v[82:83]
	buffer_store_dword v2, off, s[0:3], 0 offset:36
	buffer_store_dword v1, off, s[0:3], 0 offset:32
	;; [unrolled: 1-line block ×4, first 2 shown]
.LBB97_279:
	s_or_b32 exec_lo, exec_lo, s6
	v_mov_b32_e32 v4, s39
	s_mov_b32 s6, exec_lo
	s_clause 0x3
	buffer_load_dword v1, v4, s[0:3], 0 offen
	buffer_load_dword v2, v4, s[0:3], 0 offen offset:4
	buffer_load_dword v3, v4, s[0:3], 0 offen offset:8
	;; [unrolled: 1-line block ×3, first 2 shown]
	s_waitcnt vmcnt(0)
	ds_write_b128 v74, v[1:4]
	s_waitcnt lgkmcnt(0)
	s_waitcnt_vscnt null, 0x0
	s_barrier
	buffer_gl0_inv
	v_cmpx_gt_u32_e32 3, v0
	s_cbranch_execz .LBB97_287
; %bb.280:
	ds_read_b128 v[1:4], v74
	v_cmp_ne_u32_e32 vcc_lo, 1, v75
	s_cbranch_vccnz .LBB97_282
; %bb.281:
	s_clause 0x3
	buffer_load_dword v76, v73, s[0:3], 0 offen offset:8
	buffer_load_dword v77, v73, s[0:3], 0 offen offset:12
	buffer_load_dword v80, v73, s[0:3], 0 offen
	buffer_load_dword v81, v73, s[0:3], 0 offen offset:4
	s_waitcnt vmcnt(2) lgkmcnt(0)
	v_mul_f64 v[82:83], v[3:4], v[76:77]
	v_mul_f64 v[76:77], v[1:2], v[76:77]
	s_waitcnt vmcnt(0)
	v_fma_f64 v[1:2], v[1:2], v[80:81], -v[82:83]
	v_fma_f64 v[3:4], v[3:4], v[80:81], v[76:77]
.LBB97_282:
	s_mov_b32 s8, exec_lo
	v_cmpx_ne_u32_e32 2, v0
	s_cbranch_execz .LBB97_286
; %bb.283:
	s_clause 0x3
	buffer_load_dword v76, v73, s[0:3], 0 offen offset:24
	buffer_load_dword v77, v73, s[0:3], 0 offen offset:28
	;; [unrolled: 1-line block ×4, first 2 shown]
	ds_read_b128 v[80:83], v74 offset:16
	s_waitcnt vmcnt(2) lgkmcnt(0)
	v_mul_f64 v[86:87], v[82:83], v[76:77]
	v_mul_f64 v[76:77], v[80:81], v[76:77]
	s_waitcnt vmcnt(0)
	v_fma_f64 v[80:81], v[80:81], v[84:85], -v[86:87]
	v_fma_f64 v[76:77], v[82:83], v[84:85], v[76:77]
	v_add_f64 v[1:2], v[1:2], v[80:81]
	v_add_f64 v[3:4], v[3:4], v[76:77]
	s_and_saveexec_b32 s42, s4
	s_cbranch_execz .LBB97_285
; %bb.284:
	s_clause 0x3
	buffer_load_dword v76, off, s[0:3], 0 offset:40
	buffer_load_dword v77, off, s[0:3], 0 offset:44
	buffer_load_dword v84, off, s[0:3], 0 offset:32
	buffer_load_dword v85, off, s[0:3], 0 offset:36
	v_mov_b32_e32 v78, 0
	ds_read_b128 v[80:83], v78 offset:576
	s_waitcnt vmcnt(2) lgkmcnt(0)
	v_mul_f64 v[86:87], v[80:81], v[76:77]
	v_mul_f64 v[76:77], v[82:83], v[76:77]
	s_waitcnt vmcnt(0)
	v_fma_f64 v[82:83], v[82:83], v[84:85], v[86:87]
	v_fma_f64 v[76:77], v[80:81], v[84:85], -v[76:77]
	v_add_f64 v[3:4], v[3:4], v[82:83]
	v_add_f64 v[1:2], v[1:2], v[76:77]
.LBB97_285:
	s_or_b32 exec_lo, exec_lo, s42
.LBB97_286:
	s_or_b32 exec_lo, exec_lo, s8
	v_mov_b32_e32 v76, 0
	ds_read_b128 v[80:83], v76 offset:48
	s_waitcnt lgkmcnt(0)
	v_mul_f64 v[76:77], v[3:4], v[82:83]
	v_mul_f64 v[82:83], v[1:2], v[82:83]
	v_fma_f64 v[1:2], v[1:2], v[80:81], -v[76:77]
	v_fma_f64 v[3:4], v[3:4], v[80:81], v[82:83]
	buffer_store_dword v2, off, s[0:3], 0 offset:52
	buffer_store_dword v1, off, s[0:3], 0 offset:48
	;; [unrolled: 1-line block ×4, first 2 shown]
.LBB97_287:
	s_or_b32 exec_lo, exec_lo, s6
	v_mov_b32_e32 v4, s38
	s_mov_b32 s4, exec_lo
	s_clause 0x3
	buffer_load_dword v1, v4, s[0:3], 0 offen
	buffer_load_dword v2, v4, s[0:3], 0 offen offset:4
	buffer_load_dword v3, v4, s[0:3], 0 offen offset:8
	;; [unrolled: 1-line block ×3, first 2 shown]
	s_waitcnt vmcnt(0)
	ds_write_b128 v74, v[1:4]
	s_waitcnt lgkmcnt(0)
	s_waitcnt_vscnt null, 0x0
	s_barrier
	buffer_gl0_inv
	v_cmpx_gt_u32_e32 4, v0
	s_cbranch_execz .LBB97_295
; %bb.288:
	ds_read_b128 v[1:4], v74
	v_cmp_ne_u32_e32 vcc_lo, 1, v75
	s_cbranch_vccnz .LBB97_290
; %bb.289:
	s_clause 0x3
	buffer_load_dword v76, v73, s[0:3], 0 offen offset:8
	buffer_load_dword v77, v73, s[0:3], 0 offen offset:12
	buffer_load_dword v80, v73, s[0:3], 0 offen
	buffer_load_dword v81, v73, s[0:3], 0 offen offset:4
	s_waitcnt vmcnt(2) lgkmcnt(0)
	v_mul_f64 v[82:83], v[3:4], v[76:77]
	v_mul_f64 v[76:77], v[1:2], v[76:77]
	s_waitcnt vmcnt(0)
	v_fma_f64 v[1:2], v[1:2], v[80:81], -v[82:83]
	v_fma_f64 v[3:4], v[3:4], v[80:81], v[76:77]
.LBB97_290:
	s_mov_b32 s6, exec_lo
	v_cmpx_ne_u32_e32 3, v0
	s_cbranch_execz .LBB97_294
; %bb.291:
	v_add_nc_u32_e32 v76, 0x230, v79
	v_add3_u32 v77, 0, v79, 16
	v_mov_b32_e32 v78, v0
	s_mov_b32 s8, 0
	.p2align	6
.LBB97_292:                             ; =>This Inner Loop Header: Depth=1
	s_clause 0x3
	buffer_load_dword v84, v77, s[0:3], 0 offen offset:8
	buffer_load_dword v85, v77, s[0:3], 0 offen offset:12
	buffer_load_dword v86, v77, s[0:3], 0 offen
	buffer_load_dword v87, v77, s[0:3], 0 offen offset:4
	ds_read_b128 v[80:83], v76
	v_add_nc_u32_e32 v78, 1, v78
	v_add_nc_u32_e32 v76, 16, v76
	;; [unrolled: 1-line block ×3, first 2 shown]
	v_cmp_lt_u32_e32 vcc_lo, 2, v78
	s_or_b32 s8, vcc_lo, s8
	s_waitcnt vmcnt(2) lgkmcnt(0)
	v_mul_f64 v[88:89], v[82:83], v[84:85]
	v_mul_f64 v[84:85], v[80:81], v[84:85]
	s_waitcnt vmcnt(0)
	v_fma_f64 v[80:81], v[80:81], v[86:87], -v[88:89]
	v_fma_f64 v[82:83], v[82:83], v[86:87], v[84:85]
	v_add_f64 v[1:2], v[1:2], v[80:81]
	v_add_f64 v[3:4], v[3:4], v[82:83]
	s_andn2_b32 exec_lo, exec_lo, s8
	s_cbranch_execnz .LBB97_292
; %bb.293:
	s_or_b32 exec_lo, exec_lo, s8
.LBB97_294:
	s_or_b32 exec_lo, exec_lo, s6
	v_mov_b32_e32 v76, 0
	ds_read_b128 v[80:83], v76 offset:64
	s_waitcnt lgkmcnt(0)
	v_mul_f64 v[76:77], v[3:4], v[82:83]
	v_mul_f64 v[82:83], v[1:2], v[82:83]
	v_fma_f64 v[1:2], v[1:2], v[80:81], -v[76:77]
	v_fma_f64 v[3:4], v[3:4], v[80:81], v[82:83]
	buffer_store_dword v2, off, s[0:3], 0 offset:68
	buffer_store_dword v1, off, s[0:3], 0 offset:64
	;; [unrolled: 1-line block ×4, first 2 shown]
.LBB97_295:
	s_or_b32 exec_lo, exec_lo, s4
	v_mov_b32_e32 v4, s37
	s_mov_b32 s4, exec_lo
	s_clause 0x3
	buffer_load_dword v1, v4, s[0:3], 0 offen
	buffer_load_dword v2, v4, s[0:3], 0 offen offset:4
	buffer_load_dword v3, v4, s[0:3], 0 offen offset:8
	;; [unrolled: 1-line block ×3, first 2 shown]
	s_waitcnt vmcnt(0)
	ds_write_b128 v74, v[1:4]
	s_waitcnt lgkmcnt(0)
	s_waitcnt_vscnt null, 0x0
	s_barrier
	buffer_gl0_inv
	v_cmpx_gt_u32_e32 5, v0
	s_cbranch_execz .LBB97_303
; %bb.296:
	ds_read_b128 v[1:4], v74
	v_cmp_ne_u32_e32 vcc_lo, 1, v75
	s_cbranch_vccnz .LBB97_298
; %bb.297:
	s_clause 0x3
	buffer_load_dword v76, v73, s[0:3], 0 offen offset:8
	buffer_load_dword v77, v73, s[0:3], 0 offen offset:12
	buffer_load_dword v80, v73, s[0:3], 0 offen
	buffer_load_dword v81, v73, s[0:3], 0 offen offset:4
	s_waitcnt vmcnt(2) lgkmcnt(0)
	v_mul_f64 v[82:83], v[3:4], v[76:77]
	v_mul_f64 v[76:77], v[1:2], v[76:77]
	s_waitcnt vmcnt(0)
	v_fma_f64 v[1:2], v[1:2], v[80:81], -v[82:83]
	v_fma_f64 v[3:4], v[3:4], v[80:81], v[76:77]
.LBB97_298:
	s_mov_b32 s6, exec_lo
	v_cmpx_ne_u32_e32 4, v0
	s_cbranch_execz .LBB97_302
; %bb.299:
	v_add_nc_u32_e32 v76, 0x230, v79
	v_add3_u32 v77, 0, v79, 16
	v_mov_b32_e32 v78, v0
	s_mov_b32 s8, 0
	.p2align	6
.LBB97_300:                             ; =>This Inner Loop Header: Depth=1
	s_clause 0x3
	buffer_load_dword v84, v77, s[0:3], 0 offen offset:8
	buffer_load_dword v85, v77, s[0:3], 0 offen offset:12
	buffer_load_dword v86, v77, s[0:3], 0 offen
	buffer_load_dword v87, v77, s[0:3], 0 offen offset:4
	ds_read_b128 v[80:83], v76
	v_add_nc_u32_e32 v78, 1, v78
	v_add_nc_u32_e32 v76, 16, v76
	;; [unrolled: 1-line block ×3, first 2 shown]
	v_cmp_lt_u32_e32 vcc_lo, 3, v78
	s_or_b32 s8, vcc_lo, s8
	s_waitcnt vmcnt(2) lgkmcnt(0)
	v_mul_f64 v[88:89], v[82:83], v[84:85]
	v_mul_f64 v[84:85], v[80:81], v[84:85]
	s_waitcnt vmcnt(0)
	v_fma_f64 v[80:81], v[80:81], v[86:87], -v[88:89]
	v_fma_f64 v[82:83], v[82:83], v[86:87], v[84:85]
	v_add_f64 v[1:2], v[1:2], v[80:81]
	v_add_f64 v[3:4], v[3:4], v[82:83]
	s_andn2_b32 exec_lo, exec_lo, s8
	s_cbranch_execnz .LBB97_300
; %bb.301:
	s_or_b32 exec_lo, exec_lo, s8
.LBB97_302:
	s_or_b32 exec_lo, exec_lo, s6
	v_mov_b32_e32 v76, 0
	ds_read_b128 v[80:83], v76 offset:80
	s_waitcnt lgkmcnt(0)
	v_mul_f64 v[76:77], v[3:4], v[82:83]
	v_mul_f64 v[82:83], v[1:2], v[82:83]
	v_fma_f64 v[1:2], v[1:2], v[80:81], -v[76:77]
	v_fma_f64 v[3:4], v[3:4], v[80:81], v[82:83]
	buffer_store_dword v2, off, s[0:3], 0 offset:84
	buffer_store_dword v1, off, s[0:3], 0 offset:80
	;; [unrolled: 1-line block ×4, first 2 shown]
.LBB97_303:
	s_or_b32 exec_lo, exec_lo, s4
	v_mov_b32_e32 v4, s36
	s_mov_b32 s4, exec_lo
	s_clause 0x3
	buffer_load_dword v1, v4, s[0:3], 0 offen
	buffer_load_dword v2, v4, s[0:3], 0 offen offset:4
	buffer_load_dword v3, v4, s[0:3], 0 offen offset:8
	buffer_load_dword v4, v4, s[0:3], 0 offen offset:12
	s_waitcnt vmcnt(0)
	ds_write_b128 v74, v[1:4]
	s_waitcnt lgkmcnt(0)
	s_waitcnt_vscnt null, 0x0
	s_barrier
	buffer_gl0_inv
	v_cmpx_gt_u32_e32 6, v0
	s_cbranch_execz .LBB97_311
; %bb.304:
	ds_read_b128 v[1:4], v74
	v_cmp_ne_u32_e32 vcc_lo, 1, v75
	s_cbranch_vccnz .LBB97_306
; %bb.305:
	s_clause 0x3
	buffer_load_dword v76, v73, s[0:3], 0 offen offset:8
	buffer_load_dword v77, v73, s[0:3], 0 offen offset:12
	buffer_load_dword v80, v73, s[0:3], 0 offen
	buffer_load_dword v81, v73, s[0:3], 0 offen offset:4
	s_waitcnt vmcnt(2) lgkmcnt(0)
	v_mul_f64 v[82:83], v[3:4], v[76:77]
	v_mul_f64 v[76:77], v[1:2], v[76:77]
	s_waitcnt vmcnt(0)
	v_fma_f64 v[1:2], v[1:2], v[80:81], -v[82:83]
	v_fma_f64 v[3:4], v[3:4], v[80:81], v[76:77]
.LBB97_306:
	s_mov_b32 s6, exec_lo
	v_cmpx_ne_u32_e32 5, v0
	s_cbranch_execz .LBB97_310
; %bb.307:
	v_add_nc_u32_e32 v76, 0x230, v79
	v_add3_u32 v77, 0, v79, 16
	v_mov_b32_e32 v78, v0
	s_mov_b32 s8, 0
	.p2align	6
.LBB97_308:                             ; =>This Inner Loop Header: Depth=1
	s_clause 0x3
	buffer_load_dword v84, v77, s[0:3], 0 offen offset:8
	buffer_load_dword v85, v77, s[0:3], 0 offen offset:12
	buffer_load_dword v86, v77, s[0:3], 0 offen
	buffer_load_dword v87, v77, s[0:3], 0 offen offset:4
	ds_read_b128 v[80:83], v76
	v_add_nc_u32_e32 v78, 1, v78
	v_add_nc_u32_e32 v76, 16, v76
	;; [unrolled: 1-line block ×3, first 2 shown]
	v_cmp_lt_u32_e32 vcc_lo, 4, v78
	s_or_b32 s8, vcc_lo, s8
	s_waitcnt vmcnt(2) lgkmcnt(0)
	v_mul_f64 v[88:89], v[82:83], v[84:85]
	v_mul_f64 v[84:85], v[80:81], v[84:85]
	s_waitcnt vmcnt(0)
	v_fma_f64 v[80:81], v[80:81], v[86:87], -v[88:89]
	v_fma_f64 v[82:83], v[82:83], v[86:87], v[84:85]
	v_add_f64 v[1:2], v[1:2], v[80:81]
	v_add_f64 v[3:4], v[3:4], v[82:83]
	s_andn2_b32 exec_lo, exec_lo, s8
	s_cbranch_execnz .LBB97_308
; %bb.309:
	s_or_b32 exec_lo, exec_lo, s8
.LBB97_310:
	s_or_b32 exec_lo, exec_lo, s6
	v_mov_b32_e32 v76, 0
	ds_read_b128 v[80:83], v76 offset:96
	s_waitcnt lgkmcnt(0)
	v_mul_f64 v[76:77], v[3:4], v[82:83]
	v_mul_f64 v[82:83], v[1:2], v[82:83]
	v_fma_f64 v[1:2], v[1:2], v[80:81], -v[76:77]
	v_fma_f64 v[3:4], v[3:4], v[80:81], v[82:83]
	buffer_store_dword v2, off, s[0:3], 0 offset:100
	buffer_store_dword v1, off, s[0:3], 0 offset:96
	;; [unrolled: 1-line block ×4, first 2 shown]
.LBB97_311:
	s_or_b32 exec_lo, exec_lo, s4
	v_mov_b32_e32 v4, s35
	s_mov_b32 s4, exec_lo
	s_clause 0x3
	buffer_load_dword v1, v4, s[0:3], 0 offen
	buffer_load_dword v2, v4, s[0:3], 0 offen offset:4
	buffer_load_dword v3, v4, s[0:3], 0 offen offset:8
	;; [unrolled: 1-line block ×3, first 2 shown]
	s_waitcnt vmcnt(0)
	ds_write_b128 v74, v[1:4]
	s_waitcnt lgkmcnt(0)
	s_waitcnt_vscnt null, 0x0
	s_barrier
	buffer_gl0_inv
	v_cmpx_gt_u32_e32 7, v0
	s_cbranch_execz .LBB97_319
; %bb.312:
	ds_read_b128 v[1:4], v74
	v_cmp_ne_u32_e32 vcc_lo, 1, v75
	s_cbranch_vccnz .LBB97_314
; %bb.313:
	s_clause 0x3
	buffer_load_dword v76, v73, s[0:3], 0 offen offset:8
	buffer_load_dword v77, v73, s[0:3], 0 offen offset:12
	buffer_load_dword v80, v73, s[0:3], 0 offen
	buffer_load_dword v81, v73, s[0:3], 0 offen offset:4
	s_waitcnt vmcnt(2) lgkmcnt(0)
	v_mul_f64 v[82:83], v[3:4], v[76:77]
	v_mul_f64 v[76:77], v[1:2], v[76:77]
	s_waitcnt vmcnt(0)
	v_fma_f64 v[1:2], v[1:2], v[80:81], -v[82:83]
	v_fma_f64 v[3:4], v[3:4], v[80:81], v[76:77]
.LBB97_314:
	s_mov_b32 s6, exec_lo
	v_cmpx_ne_u32_e32 6, v0
	s_cbranch_execz .LBB97_318
; %bb.315:
	v_add_nc_u32_e32 v76, 0x230, v79
	v_add3_u32 v77, 0, v79, 16
	v_mov_b32_e32 v78, v0
	s_mov_b32 s8, 0
	.p2align	6
.LBB97_316:                             ; =>This Inner Loop Header: Depth=1
	s_clause 0x3
	buffer_load_dword v84, v77, s[0:3], 0 offen offset:8
	buffer_load_dword v85, v77, s[0:3], 0 offen offset:12
	buffer_load_dword v86, v77, s[0:3], 0 offen
	buffer_load_dword v87, v77, s[0:3], 0 offen offset:4
	ds_read_b128 v[80:83], v76
	v_add_nc_u32_e32 v78, 1, v78
	v_add_nc_u32_e32 v76, 16, v76
	;; [unrolled: 1-line block ×3, first 2 shown]
	v_cmp_lt_u32_e32 vcc_lo, 5, v78
	s_or_b32 s8, vcc_lo, s8
	s_waitcnt vmcnt(2) lgkmcnt(0)
	v_mul_f64 v[88:89], v[82:83], v[84:85]
	v_mul_f64 v[84:85], v[80:81], v[84:85]
	s_waitcnt vmcnt(0)
	v_fma_f64 v[80:81], v[80:81], v[86:87], -v[88:89]
	v_fma_f64 v[82:83], v[82:83], v[86:87], v[84:85]
	v_add_f64 v[1:2], v[1:2], v[80:81]
	v_add_f64 v[3:4], v[3:4], v[82:83]
	s_andn2_b32 exec_lo, exec_lo, s8
	s_cbranch_execnz .LBB97_316
; %bb.317:
	s_or_b32 exec_lo, exec_lo, s8
.LBB97_318:
	s_or_b32 exec_lo, exec_lo, s6
	v_mov_b32_e32 v76, 0
	ds_read_b128 v[80:83], v76 offset:112
	s_waitcnt lgkmcnt(0)
	v_mul_f64 v[76:77], v[3:4], v[82:83]
	v_mul_f64 v[82:83], v[1:2], v[82:83]
	v_fma_f64 v[1:2], v[1:2], v[80:81], -v[76:77]
	v_fma_f64 v[3:4], v[3:4], v[80:81], v[82:83]
	buffer_store_dword v2, off, s[0:3], 0 offset:116
	buffer_store_dword v1, off, s[0:3], 0 offset:112
	;; [unrolled: 1-line block ×4, first 2 shown]
.LBB97_319:
	s_or_b32 exec_lo, exec_lo, s4
	v_mov_b32_e32 v4, s34
	s_mov_b32 s4, exec_lo
	s_clause 0x3
	buffer_load_dword v1, v4, s[0:3], 0 offen
	buffer_load_dword v2, v4, s[0:3], 0 offen offset:4
	buffer_load_dword v3, v4, s[0:3], 0 offen offset:8
	;; [unrolled: 1-line block ×3, first 2 shown]
	s_waitcnt vmcnt(0)
	ds_write_b128 v74, v[1:4]
	s_waitcnt lgkmcnt(0)
	s_waitcnt_vscnt null, 0x0
	s_barrier
	buffer_gl0_inv
	v_cmpx_gt_u32_e32 8, v0
	s_cbranch_execz .LBB97_327
; %bb.320:
	ds_read_b128 v[1:4], v74
	v_cmp_ne_u32_e32 vcc_lo, 1, v75
	s_cbranch_vccnz .LBB97_322
; %bb.321:
	s_clause 0x3
	buffer_load_dword v76, v73, s[0:3], 0 offen offset:8
	buffer_load_dword v77, v73, s[0:3], 0 offen offset:12
	buffer_load_dword v80, v73, s[0:3], 0 offen
	buffer_load_dword v81, v73, s[0:3], 0 offen offset:4
	s_waitcnt vmcnt(2) lgkmcnt(0)
	v_mul_f64 v[82:83], v[3:4], v[76:77]
	v_mul_f64 v[76:77], v[1:2], v[76:77]
	s_waitcnt vmcnt(0)
	v_fma_f64 v[1:2], v[1:2], v[80:81], -v[82:83]
	v_fma_f64 v[3:4], v[3:4], v[80:81], v[76:77]
.LBB97_322:
	s_mov_b32 s6, exec_lo
	v_cmpx_ne_u32_e32 7, v0
	s_cbranch_execz .LBB97_326
; %bb.323:
	v_add_nc_u32_e32 v76, 0x230, v79
	v_add3_u32 v77, 0, v79, 16
	v_mov_b32_e32 v78, v0
	s_mov_b32 s8, 0
	.p2align	6
.LBB97_324:                             ; =>This Inner Loop Header: Depth=1
	s_clause 0x3
	buffer_load_dword v84, v77, s[0:3], 0 offen offset:8
	buffer_load_dword v85, v77, s[0:3], 0 offen offset:12
	buffer_load_dword v86, v77, s[0:3], 0 offen
	buffer_load_dword v87, v77, s[0:3], 0 offen offset:4
	ds_read_b128 v[80:83], v76
	v_add_nc_u32_e32 v78, 1, v78
	v_add_nc_u32_e32 v76, 16, v76
	v_add_nc_u32_e32 v77, 16, v77
	v_cmp_lt_u32_e32 vcc_lo, 6, v78
	s_or_b32 s8, vcc_lo, s8
	s_waitcnt vmcnt(2) lgkmcnt(0)
	v_mul_f64 v[88:89], v[82:83], v[84:85]
	v_mul_f64 v[84:85], v[80:81], v[84:85]
	s_waitcnt vmcnt(0)
	v_fma_f64 v[80:81], v[80:81], v[86:87], -v[88:89]
	v_fma_f64 v[82:83], v[82:83], v[86:87], v[84:85]
	v_add_f64 v[1:2], v[1:2], v[80:81]
	v_add_f64 v[3:4], v[3:4], v[82:83]
	s_andn2_b32 exec_lo, exec_lo, s8
	s_cbranch_execnz .LBB97_324
; %bb.325:
	s_or_b32 exec_lo, exec_lo, s8
.LBB97_326:
	s_or_b32 exec_lo, exec_lo, s6
	v_mov_b32_e32 v76, 0
	ds_read_b128 v[80:83], v76 offset:128
	s_waitcnt lgkmcnt(0)
	v_mul_f64 v[76:77], v[3:4], v[82:83]
	v_mul_f64 v[82:83], v[1:2], v[82:83]
	v_fma_f64 v[1:2], v[1:2], v[80:81], -v[76:77]
	v_fma_f64 v[3:4], v[3:4], v[80:81], v[82:83]
	buffer_store_dword v2, off, s[0:3], 0 offset:132
	buffer_store_dword v1, off, s[0:3], 0 offset:128
	;; [unrolled: 1-line block ×4, first 2 shown]
.LBB97_327:
	s_or_b32 exec_lo, exec_lo, s4
	v_mov_b32_e32 v4, s33
	s_mov_b32 s4, exec_lo
	s_clause 0x3
	buffer_load_dword v1, v4, s[0:3], 0 offen
	buffer_load_dword v2, v4, s[0:3], 0 offen offset:4
	buffer_load_dword v3, v4, s[0:3], 0 offen offset:8
	;; [unrolled: 1-line block ×3, first 2 shown]
	s_waitcnt vmcnt(0)
	ds_write_b128 v74, v[1:4]
	s_waitcnt lgkmcnt(0)
	s_waitcnt_vscnt null, 0x0
	s_barrier
	buffer_gl0_inv
	v_cmpx_gt_u32_e32 9, v0
	s_cbranch_execz .LBB97_335
; %bb.328:
	ds_read_b128 v[1:4], v74
	v_cmp_ne_u32_e32 vcc_lo, 1, v75
	s_cbranch_vccnz .LBB97_330
; %bb.329:
	s_clause 0x3
	buffer_load_dword v76, v73, s[0:3], 0 offen offset:8
	buffer_load_dword v77, v73, s[0:3], 0 offen offset:12
	buffer_load_dword v80, v73, s[0:3], 0 offen
	buffer_load_dword v81, v73, s[0:3], 0 offen offset:4
	s_waitcnt vmcnt(2) lgkmcnt(0)
	v_mul_f64 v[82:83], v[3:4], v[76:77]
	v_mul_f64 v[76:77], v[1:2], v[76:77]
	s_waitcnt vmcnt(0)
	v_fma_f64 v[1:2], v[1:2], v[80:81], -v[82:83]
	v_fma_f64 v[3:4], v[3:4], v[80:81], v[76:77]
.LBB97_330:
	s_mov_b32 s6, exec_lo
	v_cmpx_ne_u32_e32 8, v0
	s_cbranch_execz .LBB97_334
; %bb.331:
	v_add_nc_u32_e32 v76, 0x230, v79
	v_add3_u32 v77, 0, v79, 16
	v_mov_b32_e32 v78, v0
	s_mov_b32 s8, 0
	.p2align	6
.LBB97_332:                             ; =>This Inner Loop Header: Depth=1
	s_clause 0x3
	buffer_load_dword v84, v77, s[0:3], 0 offen offset:8
	buffer_load_dword v85, v77, s[0:3], 0 offen offset:12
	buffer_load_dword v86, v77, s[0:3], 0 offen
	buffer_load_dword v87, v77, s[0:3], 0 offen offset:4
	ds_read_b128 v[80:83], v76
	v_add_nc_u32_e32 v78, 1, v78
	v_add_nc_u32_e32 v76, 16, v76
	;; [unrolled: 1-line block ×3, first 2 shown]
	v_cmp_lt_u32_e32 vcc_lo, 7, v78
	s_or_b32 s8, vcc_lo, s8
	s_waitcnt vmcnt(2) lgkmcnt(0)
	v_mul_f64 v[88:89], v[82:83], v[84:85]
	v_mul_f64 v[84:85], v[80:81], v[84:85]
	s_waitcnt vmcnt(0)
	v_fma_f64 v[80:81], v[80:81], v[86:87], -v[88:89]
	v_fma_f64 v[82:83], v[82:83], v[86:87], v[84:85]
	v_add_f64 v[1:2], v[1:2], v[80:81]
	v_add_f64 v[3:4], v[3:4], v[82:83]
	s_andn2_b32 exec_lo, exec_lo, s8
	s_cbranch_execnz .LBB97_332
; %bb.333:
	s_or_b32 exec_lo, exec_lo, s8
.LBB97_334:
	s_or_b32 exec_lo, exec_lo, s6
	v_mov_b32_e32 v76, 0
	ds_read_b128 v[80:83], v76 offset:144
	s_waitcnt lgkmcnt(0)
	v_mul_f64 v[76:77], v[3:4], v[82:83]
	v_mul_f64 v[82:83], v[1:2], v[82:83]
	v_fma_f64 v[1:2], v[1:2], v[80:81], -v[76:77]
	v_fma_f64 v[3:4], v[3:4], v[80:81], v[82:83]
	buffer_store_dword v2, off, s[0:3], 0 offset:148
	buffer_store_dword v1, off, s[0:3], 0 offset:144
	;; [unrolled: 1-line block ×4, first 2 shown]
.LBB97_335:
	s_or_b32 exec_lo, exec_lo, s4
	v_mov_b32_e32 v4, s31
	s_mov_b32 s4, exec_lo
	s_clause 0x3
	buffer_load_dword v1, v4, s[0:3], 0 offen
	buffer_load_dword v2, v4, s[0:3], 0 offen offset:4
	buffer_load_dword v3, v4, s[0:3], 0 offen offset:8
	;; [unrolled: 1-line block ×3, first 2 shown]
	s_waitcnt vmcnt(0)
	ds_write_b128 v74, v[1:4]
	s_waitcnt lgkmcnt(0)
	s_waitcnt_vscnt null, 0x0
	s_barrier
	buffer_gl0_inv
	v_cmpx_gt_u32_e32 10, v0
	s_cbranch_execz .LBB97_343
; %bb.336:
	ds_read_b128 v[1:4], v74
	v_cmp_ne_u32_e32 vcc_lo, 1, v75
	s_cbranch_vccnz .LBB97_338
; %bb.337:
	s_clause 0x3
	buffer_load_dword v76, v73, s[0:3], 0 offen offset:8
	buffer_load_dword v77, v73, s[0:3], 0 offen offset:12
	buffer_load_dword v80, v73, s[0:3], 0 offen
	buffer_load_dword v81, v73, s[0:3], 0 offen offset:4
	s_waitcnt vmcnt(2) lgkmcnt(0)
	v_mul_f64 v[82:83], v[3:4], v[76:77]
	v_mul_f64 v[76:77], v[1:2], v[76:77]
	s_waitcnt vmcnt(0)
	v_fma_f64 v[1:2], v[1:2], v[80:81], -v[82:83]
	v_fma_f64 v[3:4], v[3:4], v[80:81], v[76:77]
.LBB97_338:
	s_mov_b32 s6, exec_lo
	v_cmpx_ne_u32_e32 9, v0
	s_cbranch_execz .LBB97_342
; %bb.339:
	v_add_nc_u32_e32 v76, 0x230, v79
	v_add3_u32 v77, 0, v79, 16
	v_mov_b32_e32 v78, v0
	s_mov_b32 s8, 0
	.p2align	6
.LBB97_340:                             ; =>This Inner Loop Header: Depth=1
	s_clause 0x3
	buffer_load_dword v84, v77, s[0:3], 0 offen offset:8
	buffer_load_dword v85, v77, s[0:3], 0 offen offset:12
	buffer_load_dword v86, v77, s[0:3], 0 offen
	buffer_load_dword v87, v77, s[0:3], 0 offen offset:4
	ds_read_b128 v[80:83], v76
	v_add_nc_u32_e32 v78, 1, v78
	v_add_nc_u32_e32 v76, 16, v76
	;; [unrolled: 1-line block ×3, first 2 shown]
	v_cmp_lt_u32_e32 vcc_lo, 8, v78
	s_or_b32 s8, vcc_lo, s8
	s_waitcnt vmcnt(2) lgkmcnt(0)
	v_mul_f64 v[88:89], v[82:83], v[84:85]
	v_mul_f64 v[84:85], v[80:81], v[84:85]
	s_waitcnt vmcnt(0)
	v_fma_f64 v[80:81], v[80:81], v[86:87], -v[88:89]
	v_fma_f64 v[82:83], v[82:83], v[86:87], v[84:85]
	v_add_f64 v[1:2], v[1:2], v[80:81]
	v_add_f64 v[3:4], v[3:4], v[82:83]
	s_andn2_b32 exec_lo, exec_lo, s8
	s_cbranch_execnz .LBB97_340
; %bb.341:
	s_or_b32 exec_lo, exec_lo, s8
.LBB97_342:
	s_or_b32 exec_lo, exec_lo, s6
	v_mov_b32_e32 v76, 0
	ds_read_b128 v[80:83], v76 offset:160
	s_waitcnt lgkmcnt(0)
	v_mul_f64 v[76:77], v[3:4], v[82:83]
	v_mul_f64 v[82:83], v[1:2], v[82:83]
	v_fma_f64 v[1:2], v[1:2], v[80:81], -v[76:77]
	v_fma_f64 v[3:4], v[3:4], v[80:81], v[82:83]
	buffer_store_dword v2, off, s[0:3], 0 offset:164
	buffer_store_dword v1, off, s[0:3], 0 offset:160
	;; [unrolled: 1-line block ×4, first 2 shown]
.LBB97_343:
	s_or_b32 exec_lo, exec_lo, s4
	v_mov_b32_e32 v4, s30
	s_mov_b32 s4, exec_lo
	s_clause 0x3
	buffer_load_dword v1, v4, s[0:3], 0 offen
	buffer_load_dword v2, v4, s[0:3], 0 offen offset:4
	buffer_load_dword v3, v4, s[0:3], 0 offen offset:8
	;; [unrolled: 1-line block ×3, first 2 shown]
	s_waitcnt vmcnt(0)
	ds_write_b128 v74, v[1:4]
	s_waitcnt lgkmcnt(0)
	s_waitcnt_vscnt null, 0x0
	s_barrier
	buffer_gl0_inv
	v_cmpx_gt_u32_e32 11, v0
	s_cbranch_execz .LBB97_351
; %bb.344:
	ds_read_b128 v[1:4], v74
	v_cmp_ne_u32_e32 vcc_lo, 1, v75
	s_cbranch_vccnz .LBB97_346
; %bb.345:
	s_clause 0x3
	buffer_load_dword v76, v73, s[0:3], 0 offen offset:8
	buffer_load_dword v77, v73, s[0:3], 0 offen offset:12
	buffer_load_dword v80, v73, s[0:3], 0 offen
	buffer_load_dword v81, v73, s[0:3], 0 offen offset:4
	s_waitcnt vmcnt(2) lgkmcnt(0)
	v_mul_f64 v[82:83], v[3:4], v[76:77]
	v_mul_f64 v[76:77], v[1:2], v[76:77]
	s_waitcnt vmcnt(0)
	v_fma_f64 v[1:2], v[1:2], v[80:81], -v[82:83]
	v_fma_f64 v[3:4], v[3:4], v[80:81], v[76:77]
.LBB97_346:
	s_mov_b32 s6, exec_lo
	v_cmpx_ne_u32_e32 10, v0
	s_cbranch_execz .LBB97_350
; %bb.347:
	v_add_nc_u32_e32 v76, 0x230, v79
	v_add3_u32 v77, 0, v79, 16
	v_mov_b32_e32 v78, v0
	s_mov_b32 s8, 0
	.p2align	6
.LBB97_348:                             ; =>This Inner Loop Header: Depth=1
	s_clause 0x3
	buffer_load_dword v84, v77, s[0:3], 0 offen offset:8
	buffer_load_dword v85, v77, s[0:3], 0 offen offset:12
	buffer_load_dword v86, v77, s[0:3], 0 offen
	buffer_load_dword v87, v77, s[0:3], 0 offen offset:4
	ds_read_b128 v[80:83], v76
	v_add_nc_u32_e32 v78, 1, v78
	v_add_nc_u32_e32 v76, 16, v76
	;; [unrolled: 1-line block ×3, first 2 shown]
	v_cmp_lt_u32_e32 vcc_lo, 9, v78
	s_or_b32 s8, vcc_lo, s8
	s_waitcnt vmcnt(2) lgkmcnt(0)
	v_mul_f64 v[88:89], v[82:83], v[84:85]
	v_mul_f64 v[84:85], v[80:81], v[84:85]
	s_waitcnt vmcnt(0)
	v_fma_f64 v[80:81], v[80:81], v[86:87], -v[88:89]
	v_fma_f64 v[82:83], v[82:83], v[86:87], v[84:85]
	v_add_f64 v[1:2], v[1:2], v[80:81]
	v_add_f64 v[3:4], v[3:4], v[82:83]
	s_andn2_b32 exec_lo, exec_lo, s8
	s_cbranch_execnz .LBB97_348
; %bb.349:
	s_or_b32 exec_lo, exec_lo, s8
.LBB97_350:
	s_or_b32 exec_lo, exec_lo, s6
	v_mov_b32_e32 v76, 0
	ds_read_b128 v[80:83], v76 offset:176
	s_waitcnt lgkmcnt(0)
	v_mul_f64 v[76:77], v[3:4], v[82:83]
	v_mul_f64 v[82:83], v[1:2], v[82:83]
	v_fma_f64 v[1:2], v[1:2], v[80:81], -v[76:77]
	v_fma_f64 v[3:4], v[3:4], v[80:81], v[82:83]
	buffer_store_dword v2, off, s[0:3], 0 offset:180
	buffer_store_dword v1, off, s[0:3], 0 offset:176
	;; [unrolled: 1-line block ×4, first 2 shown]
.LBB97_351:
	s_or_b32 exec_lo, exec_lo, s4
	v_mov_b32_e32 v4, s29
	s_mov_b32 s4, exec_lo
	s_clause 0x3
	buffer_load_dword v1, v4, s[0:3], 0 offen
	buffer_load_dword v2, v4, s[0:3], 0 offen offset:4
	buffer_load_dword v3, v4, s[0:3], 0 offen offset:8
	;; [unrolled: 1-line block ×3, first 2 shown]
	s_waitcnt vmcnt(0)
	ds_write_b128 v74, v[1:4]
	s_waitcnt lgkmcnt(0)
	s_waitcnt_vscnt null, 0x0
	s_barrier
	buffer_gl0_inv
	v_cmpx_gt_u32_e32 12, v0
	s_cbranch_execz .LBB97_359
; %bb.352:
	ds_read_b128 v[1:4], v74
	v_cmp_ne_u32_e32 vcc_lo, 1, v75
	s_cbranch_vccnz .LBB97_354
; %bb.353:
	s_clause 0x3
	buffer_load_dword v76, v73, s[0:3], 0 offen offset:8
	buffer_load_dword v77, v73, s[0:3], 0 offen offset:12
	buffer_load_dword v80, v73, s[0:3], 0 offen
	buffer_load_dword v81, v73, s[0:3], 0 offen offset:4
	s_waitcnt vmcnt(2) lgkmcnt(0)
	v_mul_f64 v[82:83], v[3:4], v[76:77]
	v_mul_f64 v[76:77], v[1:2], v[76:77]
	s_waitcnt vmcnt(0)
	v_fma_f64 v[1:2], v[1:2], v[80:81], -v[82:83]
	v_fma_f64 v[3:4], v[3:4], v[80:81], v[76:77]
.LBB97_354:
	s_mov_b32 s6, exec_lo
	v_cmpx_ne_u32_e32 11, v0
	s_cbranch_execz .LBB97_358
; %bb.355:
	v_add_nc_u32_e32 v76, 0x230, v79
	v_add3_u32 v77, 0, v79, 16
	v_mov_b32_e32 v78, v0
	s_mov_b32 s8, 0
	.p2align	6
.LBB97_356:                             ; =>This Inner Loop Header: Depth=1
	s_clause 0x3
	buffer_load_dword v84, v77, s[0:3], 0 offen offset:8
	buffer_load_dword v85, v77, s[0:3], 0 offen offset:12
	buffer_load_dword v86, v77, s[0:3], 0 offen
	buffer_load_dword v87, v77, s[0:3], 0 offen offset:4
	ds_read_b128 v[80:83], v76
	v_add_nc_u32_e32 v78, 1, v78
	v_add_nc_u32_e32 v76, 16, v76
	;; [unrolled: 1-line block ×3, first 2 shown]
	v_cmp_lt_u32_e32 vcc_lo, 10, v78
	s_or_b32 s8, vcc_lo, s8
	s_waitcnt vmcnt(2) lgkmcnt(0)
	v_mul_f64 v[88:89], v[82:83], v[84:85]
	v_mul_f64 v[84:85], v[80:81], v[84:85]
	s_waitcnt vmcnt(0)
	v_fma_f64 v[80:81], v[80:81], v[86:87], -v[88:89]
	v_fma_f64 v[82:83], v[82:83], v[86:87], v[84:85]
	v_add_f64 v[1:2], v[1:2], v[80:81]
	v_add_f64 v[3:4], v[3:4], v[82:83]
	s_andn2_b32 exec_lo, exec_lo, s8
	s_cbranch_execnz .LBB97_356
; %bb.357:
	s_or_b32 exec_lo, exec_lo, s8
.LBB97_358:
	s_or_b32 exec_lo, exec_lo, s6
	v_mov_b32_e32 v76, 0
	ds_read_b128 v[80:83], v76 offset:192
	s_waitcnt lgkmcnt(0)
	v_mul_f64 v[76:77], v[3:4], v[82:83]
	v_mul_f64 v[82:83], v[1:2], v[82:83]
	v_fma_f64 v[1:2], v[1:2], v[80:81], -v[76:77]
	v_fma_f64 v[3:4], v[3:4], v[80:81], v[82:83]
	buffer_store_dword v2, off, s[0:3], 0 offset:196
	buffer_store_dword v1, off, s[0:3], 0 offset:192
	buffer_store_dword v4, off, s[0:3], 0 offset:204
	buffer_store_dword v3, off, s[0:3], 0 offset:200
.LBB97_359:
	s_or_b32 exec_lo, exec_lo, s4
	v_mov_b32_e32 v4, s28
	s_mov_b32 s4, exec_lo
	s_clause 0x3
	buffer_load_dword v1, v4, s[0:3], 0 offen
	buffer_load_dword v2, v4, s[0:3], 0 offen offset:4
	buffer_load_dword v3, v4, s[0:3], 0 offen offset:8
	;; [unrolled: 1-line block ×3, first 2 shown]
	s_waitcnt vmcnt(0)
	ds_write_b128 v74, v[1:4]
	s_waitcnt lgkmcnt(0)
	s_waitcnt_vscnt null, 0x0
	s_barrier
	buffer_gl0_inv
	v_cmpx_gt_u32_e32 13, v0
	s_cbranch_execz .LBB97_367
; %bb.360:
	ds_read_b128 v[1:4], v74
	v_cmp_ne_u32_e32 vcc_lo, 1, v75
	s_cbranch_vccnz .LBB97_362
; %bb.361:
	s_clause 0x3
	buffer_load_dword v76, v73, s[0:3], 0 offen offset:8
	buffer_load_dword v77, v73, s[0:3], 0 offen offset:12
	buffer_load_dword v80, v73, s[0:3], 0 offen
	buffer_load_dword v81, v73, s[0:3], 0 offen offset:4
	s_waitcnt vmcnt(2) lgkmcnt(0)
	v_mul_f64 v[82:83], v[3:4], v[76:77]
	v_mul_f64 v[76:77], v[1:2], v[76:77]
	s_waitcnt vmcnt(0)
	v_fma_f64 v[1:2], v[1:2], v[80:81], -v[82:83]
	v_fma_f64 v[3:4], v[3:4], v[80:81], v[76:77]
.LBB97_362:
	s_mov_b32 s6, exec_lo
	v_cmpx_ne_u32_e32 12, v0
	s_cbranch_execz .LBB97_366
; %bb.363:
	v_add_nc_u32_e32 v76, 0x230, v79
	v_add3_u32 v77, 0, v79, 16
	v_mov_b32_e32 v78, v0
	s_mov_b32 s8, 0
	.p2align	6
.LBB97_364:                             ; =>This Inner Loop Header: Depth=1
	s_clause 0x3
	buffer_load_dword v84, v77, s[0:3], 0 offen offset:8
	buffer_load_dword v85, v77, s[0:3], 0 offen offset:12
	buffer_load_dword v86, v77, s[0:3], 0 offen
	buffer_load_dword v87, v77, s[0:3], 0 offen offset:4
	ds_read_b128 v[80:83], v76
	v_add_nc_u32_e32 v78, 1, v78
	v_add_nc_u32_e32 v76, 16, v76
	;; [unrolled: 1-line block ×3, first 2 shown]
	v_cmp_lt_u32_e32 vcc_lo, 11, v78
	s_or_b32 s8, vcc_lo, s8
	s_waitcnt vmcnt(2) lgkmcnt(0)
	v_mul_f64 v[88:89], v[82:83], v[84:85]
	v_mul_f64 v[84:85], v[80:81], v[84:85]
	s_waitcnt vmcnt(0)
	v_fma_f64 v[80:81], v[80:81], v[86:87], -v[88:89]
	v_fma_f64 v[82:83], v[82:83], v[86:87], v[84:85]
	v_add_f64 v[1:2], v[1:2], v[80:81]
	v_add_f64 v[3:4], v[3:4], v[82:83]
	s_andn2_b32 exec_lo, exec_lo, s8
	s_cbranch_execnz .LBB97_364
; %bb.365:
	s_or_b32 exec_lo, exec_lo, s8
.LBB97_366:
	s_or_b32 exec_lo, exec_lo, s6
	v_mov_b32_e32 v76, 0
	ds_read_b128 v[80:83], v76 offset:208
	s_waitcnt lgkmcnt(0)
	v_mul_f64 v[76:77], v[3:4], v[82:83]
	v_mul_f64 v[82:83], v[1:2], v[82:83]
	v_fma_f64 v[1:2], v[1:2], v[80:81], -v[76:77]
	v_fma_f64 v[3:4], v[3:4], v[80:81], v[82:83]
	buffer_store_dword v2, off, s[0:3], 0 offset:212
	buffer_store_dword v1, off, s[0:3], 0 offset:208
	;; [unrolled: 1-line block ×4, first 2 shown]
.LBB97_367:
	s_or_b32 exec_lo, exec_lo, s4
	v_mov_b32_e32 v4, s27
	s_mov_b32 s4, exec_lo
	s_clause 0x3
	buffer_load_dword v1, v4, s[0:3], 0 offen
	buffer_load_dword v2, v4, s[0:3], 0 offen offset:4
	buffer_load_dword v3, v4, s[0:3], 0 offen offset:8
	;; [unrolled: 1-line block ×3, first 2 shown]
	s_waitcnt vmcnt(0)
	ds_write_b128 v74, v[1:4]
	s_waitcnt lgkmcnt(0)
	s_waitcnt_vscnt null, 0x0
	s_barrier
	buffer_gl0_inv
	v_cmpx_gt_u32_e32 14, v0
	s_cbranch_execz .LBB97_375
; %bb.368:
	ds_read_b128 v[1:4], v74
	v_cmp_ne_u32_e32 vcc_lo, 1, v75
	s_cbranch_vccnz .LBB97_370
; %bb.369:
	s_clause 0x3
	buffer_load_dword v76, v73, s[0:3], 0 offen offset:8
	buffer_load_dword v77, v73, s[0:3], 0 offen offset:12
	buffer_load_dword v80, v73, s[0:3], 0 offen
	buffer_load_dword v81, v73, s[0:3], 0 offen offset:4
	s_waitcnt vmcnt(2) lgkmcnt(0)
	v_mul_f64 v[82:83], v[3:4], v[76:77]
	v_mul_f64 v[76:77], v[1:2], v[76:77]
	s_waitcnt vmcnt(0)
	v_fma_f64 v[1:2], v[1:2], v[80:81], -v[82:83]
	v_fma_f64 v[3:4], v[3:4], v[80:81], v[76:77]
.LBB97_370:
	s_mov_b32 s6, exec_lo
	v_cmpx_ne_u32_e32 13, v0
	s_cbranch_execz .LBB97_374
; %bb.371:
	v_add_nc_u32_e32 v76, 0x230, v79
	v_add3_u32 v77, 0, v79, 16
	v_mov_b32_e32 v78, v0
	s_mov_b32 s8, 0
	.p2align	6
.LBB97_372:                             ; =>This Inner Loop Header: Depth=1
	s_clause 0x3
	buffer_load_dword v84, v77, s[0:3], 0 offen offset:8
	buffer_load_dword v85, v77, s[0:3], 0 offen offset:12
	buffer_load_dword v86, v77, s[0:3], 0 offen
	buffer_load_dword v87, v77, s[0:3], 0 offen offset:4
	ds_read_b128 v[80:83], v76
	v_add_nc_u32_e32 v78, 1, v78
	v_add_nc_u32_e32 v76, 16, v76
	;; [unrolled: 1-line block ×3, first 2 shown]
	v_cmp_lt_u32_e32 vcc_lo, 12, v78
	s_or_b32 s8, vcc_lo, s8
	s_waitcnt vmcnt(2) lgkmcnt(0)
	v_mul_f64 v[88:89], v[82:83], v[84:85]
	v_mul_f64 v[84:85], v[80:81], v[84:85]
	s_waitcnt vmcnt(0)
	v_fma_f64 v[80:81], v[80:81], v[86:87], -v[88:89]
	v_fma_f64 v[82:83], v[82:83], v[86:87], v[84:85]
	v_add_f64 v[1:2], v[1:2], v[80:81]
	v_add_f64 v[3:4], v[3:4], v[82:83]
	s_andn2_b32 exec_lo, exec_lo, s8
	s_cbranch_execnz .LBB97_372
; %bb.373:
	s_or_b32 exec_lo, exec_lo, s8
.LBB97_374:
	s_or_b32 exec_lo, exec_lo, s6
	v_mov_b32_e32 v76, 0
	ds_read_b128 v[80:83], v76 offset:224
	s_waitcnt lgkmcnt(0)
	v_mul_f64 v[76:77], v[3:4], v[82:83]
	v_mul_f64 v[82:83], v[1:2], v[82:83]
	v_fma_f64 v[1:2], v[1:2], v[80:81], -v[76:77]
	v_fma_f64 v[3:4], v[3:4], v[80:81], v[82:83]
	buffer_store_dword v2, off, s[0:3], 0 offset:228
	buffer_store_dword v1, off, s[0:3], 0 offset:224
	;; [unrolled: 1-line block ×4, first 2 shown]
.LBB97_375:
	s_or_b32 exec_lo, exec_lo, s4
	v_mov_b32_e32 v4, s26
	s_mov_b32 s4, exec_lo
	s_clause 0x3
	buffer_load_dword v1, v4, s[0:3], 0 offen
	buffer_load_dword v2, v4, s[0:3], 0 offen offset:4
	buffer_load_dword v3, v4, s[0:3], 0 offen offset:8
	;; [unrolled: 1-line block ×3, first 2 shown]
	s_waitcnt vmcnt(0)
	ds_write_b128 v74, v[1:4]
	s_waitcnt lgkmcnt(0)
	s_waitcnt_vscnt null, 0x0
	s_barrier
	buffer_gl0_inv
	v_cmpx_gt_u32_e32 15, v0
	s_cbranch_execz .LBB97_383
; %bb.376:
	ds_read_b128 v[1:4], v74
	v_cmp_ne_u32_e32 vcc_lo, 1, v75
	s_cbranch_vccnz .LBB97_378
; %bb.377:
	s_clause 0x3
	buffer_load_dword v76, v73, s[0:3], 0 offen offset:8
	buffer_load_dword v77, v73, s[0:3], 0 offen offset:12
	buffer_load_dword v80, v73, s[0:3], 0 offen
	buffer_load_dword v81, v73, s[0:3], 0 offen offset:4
	s_waitcnt vmcnt(2) lgkmcnt(0)
	v_mul_f64 v[82:83], v[3:4], v[76:77]
	v_mul_f64 v[76:77], v[1:2], v[76:77]
	s_waitcnt vmcnt(0)
	v_fma_f64 v[1:2], v[1:2], v[80:81], -v[82:83]
	v_fma_f64 v[3:4], v[3:4], v[80:81], v[76:77]
.LBB97_378:
	s_mov_b32 s6, exec_lo
	v_cmpx_ne_u32_e32 14, v0
	s_cbranch_execz .LBB97_382
; %bb.379:
	v_add_nc_u32_e32 v76, 0x230, v79
	v_add3_u32 v77, 0, v79, 16
	v_mov_b32_e32 v78, v0
	s_mov_b32 s8, 0
	.p2align	6
.LBB97_380:                             ; =>This Inner Loop Header: Depth=1
	s_clause 0x3
	buffer_load_dword v84, v77, s[0:3], 0 offen offset:8
	buffer_load_dword v85, v77, s[0:3], 0 offen offset:12
	buffer_load_dword v86, v77, s[0:3], 0 offen
	buffer_load_dword v87, v77, s[0:3], 0 offen offset:4
	ds_read_b128 v[80:83], v76
	v_add_nc_u32_e32 v78, 1, v78
	v_add_nc_u32_e32 v76, 16, v76
	;; [unrolled: 1-line block ×3, first 2 shown]
	v_cmp_lt_u32_e32 vcc_lo, 13, v78
	s_or_b32 s8, vcc_lo, s8
	s_waitcnt vmcnt(2) lgkmcnt(0)
	v_mul_f64 v[88:89], v[82:83], v[84:85]
	v_mul_f64 v[84:85], v[80:81], v[84:85]
	s_waitcnt vmcnt(0)
	v_fma_f64 v[80:81], v[80:81], v[86:87], -v[88:89]
	v_fma_f64 v[82:83], v[82:83], v[86:87], v[84:85]
	v_add_f64 v[1:2], v[1:2], v[80:81]
	v_add_f64 v[3:4], v[3:4], v[82:83]
	s_andn2_b32 exec_lo, exec_lo, s8
	s_cbranch_execnz .LBB97_380
; %bb.381:
	s_or_b32 exec_lo, exec_lo, s8
.LBB97_382:
	s_or_b32 exec_lo, exec_lo, s6
	v_mov_b32_e32 v76, 0
	ds_read_b128 v[80:83], v76 offset:240
	s_waitcnt lgkmcnt(0)
	v_mul_f64 v[76:77], v[3:4], v[82:83]
	v_mul_f64 v[82:83], v[1:2], v[82:83]
	v_fma_f64 v[1:2], v[1:2], v[80:81], -v[76:77]
	v_fma_f64 v[3:4], v[3:4], v[80:81], v[82:83]
	buffer_store_dword v2, off, s[0:3], 0 offset:244
	buffer_store_dword v1, off, s[0:3], 0 offset:240
	;; [unrolled: 1-line block ×4, first 2 shown]
.LBB97_383:
	s_or_b32 exec_lo, exec_lo, s4
	v_mov_b32_e32 v4, s25
	s_mov_b32 s4, exec_lo
	s_clause 0x3
	buffer_load_dword v1, v4, s[0:3], 0 offen
	buffer_load_dword v2, v4, s[0:3], 0 offen offset:4
	buffer_load_dword v3, v4, s[0:3], 0 offen offset:8
	;; [unrolled: 1-line block ×3, first 2 shown]
	s_waitcnt vmcnt(0)
	ds_write_b128 v74, v[1:4]
	s_waitcnt lgkmcnt(0)
	s_waitcnt_vscnt null, 0x0
	s_barrier
	buffer_gl0_inv
	v_cmpx_gt_u32_e32 16, v0
	s_cbranch_execz .LBB97_391
; %bb.384:
	ds_read_b128 v[1:4], v74
	v_cmp_ne_u32_e32 vcc_lo, 1, v75
	s_cbranch_vccnz .LBB97_386
; %bb.385:
	s_clause 0x3
	buffer_load_dword v76, v73, s[0:3], 0 offen offset:8
	buffer_load_dword v77, v73, s[0:3], 0 offen offset:12
	buffer_load_dword v80, v73, s[0:3], 0 offen
	buffer_load_dword v81, v73, s[0:3], 0 offen offset:4
	s_waitcnt vmcnt(2) lgkmcnt(0)
	v_mul_f64 v[82:83], v[3:4], v[76:77]
	v_mul_f64 v[76:77], v[1:2], v[76:77]
	s_waitcnt vmcnt(0)
	v_fma_f64 v[1:2], v[1:2], v[80:81], -v[82:83]
	v_fma_f64 v[3:4], v[3:4], v[80:81], v[76:77]
.LBB97_386:
	s_mov_b32 s6, exec_lo
	v_cmpx_ne_u32_e32 15, v0
	s_cbranch_execz .LBB97_390
; %bb.387:
	v_add_nc_u32_e32 v76, 0x230, v79
	v_add3_u32 v77, 0, v79, 16
	v_mov_b32_e32 v78, v0
	s_mov_b32 s8, 0
	.p2align	6
.LBB97_388:                             ; =>This Inner Loop Header: Depth=1
	s_clause 0x3
	buffer_load_dword v84, v77, s[0:3], 0 offen offset:8
	buffer_load_dword v85, v77, s[0:3], 0 offen offset:12
	buffer_load_dword v86, v77, s[0:3], 0 offen
	buffer_load_dword v87, v77, s[0:3], 0 offen offset:4
	ds_read_b128 v[80:83], v76
	v_add_nc_u32_e32 v78, 1, v78
	v_add_nc_u32_e32 v76, 16, v76
	v_add_nc_u32_e32 v77, 16, v77
	v_cmp_lt_u32_e32 vcc_lo, 14, v78
	s_or_b32 s8, vcc_lo, s8
	s_waitcnt vmcnt(2) lgkmcnt(0)
	v_mul_f64 v[88:89], v[82:83], v[84:85]
	v_mul_f64 v[84:85], v[80:81], v[84:85]
	s_waitcnt vmcnt(0)
	v_fma_f64 v[80:81], v[80:81], v[86:87], -v[88:89]
	v_fma_f64 v[82:83], v[82:83], v[86:87], v[84:85]
	v_add_f64 v[1:2], v[1:2], v[80:81]
	v_add_f64 v[3:4], v[3:4], v[82:83]
	s_andn2_b32 exec_lo, exec_lo, s8
	s_cbranch_execnz .LBB97_388
; %bb.389:
	s_or_b32 exec_lo, exec_lo, s8
.LBB97_390:
	s_or_b32 exec_lo, exec_lo, s6
	v_mov_b32_e32 v76, 0
	ds_read_b128 v[80:83], v76 offset:256
	s_waitcnt lgkmcnt(0)
	v_mul_f64 v[76:77], v[3:4], v[82:83]
	v_mul_f64 v[82:83], v[1:2], v[82:83]
	v_fma_f64 v[1:2], v[1:2], v[80:81], -v[76:77]
	v_fma_f64 v[3:4], v[3:4], v[80:81], v[82:83]
	buffer_store_dword v2, off, s[0:3], 0 offset:260
	buffer_store_dword v1, off, s[0:3], 0 offset:256
	;; [unrolled: 1-line block ×4, first 2 shown]
.LBB97_391:
	s_or_b32 exec_lo, exec_lo, s4
	v_mov_b32_e32 v4, s24
	s_mov_b32 s4, exec_lo
	s_clause 0x3
	buffer_load_dword v1, v4, s[0:3], 0 offen
	buffer_load_dword v2, v4, s[0:3], 0 offen offset:4
	buffer_load_dword v3, v4, s[0:3], 0 offen offset:8
	;; [unrolled: 1-line block ×3, first 2 shown]
	s_waitcnt vmcnt(0)
	ds_write_b128 v74, v[1:4]
	s_waitcnt lgkmcnt(0)
	s_waitcnt_vscnt null, 0x0
	s_barrier
	buffer_gl0_inv
	v_cmpx_gt_u32_e32 17, v0
	s_cbranch_execz .LBB97_399
; %bb.392:
	ds_read_b128 v[1:4], v74
	v_cmp_ne_u32_e32 vcc_lo, 1, v75
	s_cbranch_vccnz .LBB97_394
; %bb.393:
	s_clause 0x3
	buffer_load_dword v76, v73, s[0:3], 0 offen offset:8
	buffer_load_dword v77, v73, s[0:3], 0 offen offset:12
	buffer_load_dword v80, v73, s[0:3], 0 offen
	buffer_load_dword v81, v73, s[0:3], 0 offen offset:4
	s_waitcnt vmcnt(2) lgkmcnt(0)
	v_mul_f64 v[82:83], v[3:4], v[76:77]
	v_mul_f64 v[76:77], v[1:2], v[76:77]
	s_waitcnt vmcnt(0)
	v_fma_f64 v[1:2], v[1:2], v[80:81], -v[82:83]
	v_fma_f64 v[3:4], v[3:4], v[80:81], v[76:77]
.LBB97_394:
	s_mov_b32 s6, exec_lo
	v_cmpx_ne_u32_e32 16, v0
	s_cbranch_execz .LBB97_398
; %bb.395:
	v_add_nc_u32_e32 v76, 0x230, v79
	v_add3_u32 v77, 0, v79, 16
	v_mov_b32_e32 v78, v0
	s_mov_b32 s8, 0
	.p2align	6
.LBB97_396:                             ; =>This Inner Loop Header: Depth=1
	s_clause 0x3
	buffer_load_dword v84, v77, s[0:3], 0 offen offset:8
	buffer_load_dword v85, v77, s[0:3], 0 offen offset:12
	buffer_load_dword v86, v77, s[0:3], 0 offen
	buffer_load_dword v87, v77, s[0:3], 0 offen offset:4
	ds_read_b128 v[80:83], v76
	v_add_nc_u32_e32 v78, 1, v78
	v_add_nc_u32_e32 v76, 16, v76
	;; [unrolled: 1-line block ×3, first 2 shown]
	v_cmp_lt_u32_e32 vcc_lo, 15, v78
	s_or_b32 s8, vcc_lo, s8
	s_waitcnt vmcnt(2) lgkmcnt(0)
	v_mul_f64 v[88:89], v[82:83], v[84:85]
	v_mul_f64 v[84:85], v[80:81], v[84:85]
	s_waitcnt vmcnt(0)
	v_fma_f64 v[80:81], v[80:81], v[86:87], -v[88:89]
	v_fma_f64 v[82:83], v[82:83], v[86:87], v[84:85]
	v_add_f64 v[1:2], v[1:2], v[80:81]
	v_add_f64 v[3:4], v[3:4], v[82:83]
	s_andn2_b32 exec_lo, exec_lo, s8
	s_cbranch_execnz .LBB97_396
; %bb.397:
	s_or_b32 exec_lo, exec_lo, s8
.LBB97_398:
	s_or_b32 exec_lo, exec_lo, s6
	v_mov_b32_e32 v76, 0
	ds_read_b128 v[80:83], v76 offset:272
	s_waitcnt lgkmcnt(0)
	v_mul_f64 v[76:77], v[3:4], v[82:83]
	v_mul_f64 v[82:83], v[1:2], v[82:83]
	v_fma_f64 v[1:2], v[1:2], v[80:81], -v[76:77]
	v_fma_f64 v[3:4], v[3:4], v[80:81], v[82:83]
	buffer_store_dword v2, off, s[0:3], 0 offset:276
	buffer_store_dword v1, off, s[0:3], 0 offset:272
	;; [unrolled: 1-line block ×4, first 2 shown]
.LBB97_399:
	s_or_b32 exec_lo, exec_lo, s4
	v_mov_b32_e32 v4, s23
	s_mov_b32 s4, exec_lo
	s_clause 0x3
	buffer_load_dword v1, v4, s[0:3], 0 offen
	buffer_load_dword v2, v4, s[0:3], 0 offen offset:4
	buffer_load_dword v3, v4, s[0:3], 0 offen offset:8
	;; [unrolled: 1-line block ×3, first 2 shown]
	s_waitcnt vmcnt(0)
	ds_write_b128 v74, v[1:4]
	s_waitcnt lgkmcnt(0)
	s_waitcnt_vscnt null, 0x0
	s_barrier
	buffer_gl0_inv
	v_cmpx_gt_u32_e32 18, v0
	s_cbranch_execz .LBB97_407
; %bb.400:
	ds_read_b128 v[1:4], v74
	v_cmp_ne_u32_e32 vcc_lo, 1, v75
	s_cbranch_vccnz .LBB97_402
; %bb.401:
	s_clause 0x3
	buffer_load_dword v76, v73, s[0:3], 0 offen offset:8
	buffer_load_dword v77, v73, s[0:3], 0 offen offset:12
	buffer_load_dword v80, v73, s[0:3], 0 offen
	buffer_load_dword v81, v73, s[0:3], 0 offen offset:4
	s_waitcnt vmcnt(2) lgkmcnt(0)
	v_mul_f64 v[82:83], v[3:4], v[76:77]
	v_mul_f64 v[76:77], v[1:2], v[76:77]
	s_waitcnt vmcnt(0)
	v_fma_f64 v[1:2], v[1:2], v[80:81], -v[82:83]
	v_fma_f64 v[3:4], v[3:4], v[80:81], v[76:77]
.LBB97_402:
	s_mov_b32 s6, exec_lo
	v_cmpx_ne_u32_e32 17, v0
	s_cbranch_execz .LBB97_406
; %bb.403:
	v_add_nc_u32_e32 v76, 0x230, v79
	v_add3_u32 v77, 0, v79, 16
	v_mov_b32_e32 v78, v0
	s_mov_b32 s8, 0
	.p2align	6
.LBB97_404:                             ; =>This Inner Loop Header: Depth=1
	s_clause 0x3
	buffer_load_dword v84, v77, s[0:3], 0 offen offset:8
	buffer_load_dword v85, v77, s[0:3], 0 offen offset:12
	buffer_load_dword v86, v77, s[0:3], 0 offen
	buffer_load_dword v87, v77, s[0:3], 0 offen offset:4
	ds_read_b128 v[80:83], v76
	v_add_nc_u32_e32 v78, 1, v78
	v_add_nc_u32_e32 v76, 16, v76
	;; [unrolled: 1-line block ×3, first 2 shown]
	v_cmp_lt_u32_e32 vcc_lo, 16, v78
	s_or_b32 s8, vcc_lo, s8
	s_waitcnt vmcnt(2) lgkmcnt(0)
	v_mul_f64 v[88:89], v[82:83], v[84:85]
	v_mul_f64 v[84:85], v[80:81], v[84:85]
	s_waitcnt vmcnt(0)
	v_fma_f64 v[80:81], v[80:81], v[86:87], -v[88:89]
	v_fma_f64 v[82:83], v[82:83], v[86:87], v[84:85]
	v_add_f64 v[1:2], v[1:2], v[80:81]
	v_add_f64 v[3:4], v[3:4], v[82:83]
	s_andn2_b32 exec_lo, exec_lo, s8
	s_cbranch_execnz .LBB97_404
; %bb.405:
	s_or_b32 exec_lo, exec_lo, s8
.LBB97_406:
	s_or_b32 exec_lo, exec_lo, s6
	v_mov_b32_e32 v76, 0
	ds_read_b128 v[80:83], v76 offset:288
	s_waitcnt lgkmcnt(0)
	v_mul_f64 v[76:77], v[3:4], v[82:83]
	v_mul_f64 v[82:83], v[1:2], v[82:83]
	v_fma_f64 v[1:2], v[1:2], v[80:81], -v[76:77]
	v_fma_f64 v[3:4], v[3:4], v[80:81], v[82:83]
	buffer_store_dword v2, off, s[0:3], 0 offset:292
	buffer_store_dword v1, off, s[0:3], 0 offset:288
	;; [unrolled: 1-line block ×4, first 2 shown]
.LBB97_407:
	s_or_b32 exec_lo, exec_lo, s4
	v_mov_b32_e32 v4, s22
	s_mov_b32 s4, exec_lo
	s_clause 0x3
	buffer_load_dword v1, v4, s[0:3], 0 offen
	buffer_load_dword v2, v4, s[0:3], 0 offen offset:4
	buffer_load_dword v3, v4, s[0:3], 0 offen offset:8
	;; [unrolled: 1-line block ×3, first 2 shown]
	s_waitcnt vmcnt(0)
	ds_write_b128 v74, v[1:4]
	s_waitcnt lgkmcnt(0)
	s_waitcnt_vscnt null, 0x0
	s_barrier
	buffer_gl0_inv
	v_cmpx_gt_u32_e32 19, v0
	s_cbranch_execz .LBB97_415
; %bb.408:
	ds_read_b128 v[1:4], v74
	v_cmp_ne_u32_e32 vcc_lo, 1, v75
	s_cbranch_vccnz .LBB97_410
; %bb.409:
	s_clause 0x3
	buffer_load_dword v76, v73, s[0:3], 0 offen offset:8
	buffer_load_dword v77, v73, s[0:3], 0 offen offset:12
	buffer_load_dword v80, v73, s[0:3], 0 offen
	buffer_load_dword v81, v73, s[0:3], 0 offen offset:4
	s_waitcnt vmcnt(2) lgkmcnt(0)
	v_mul_f64 v[82:83], v[3:4], v[76:77]
	v_mul_f64 v[76:77], v[1:2], v[76:77]
	s_waitcnt vmcnt(0)
	v_fma_f64 v[1:2], v[1:2], v[80:81], -v[82:83]
	v_fma_f64 v[3:4], v[3:4], v[80:81], v[76:77]
.LBB97_410:
	s_mov_b32 s6, exec_lo
	v_cmpx_ne_u32_e32 18, v0
	s_cbranch_execz .LBB97_414
; %bb.411:
	v_add_nc_u32_e32 v76, 0x230, v79
	v_add3_u32 v77, 0, v79, 16
	v_mov_b32_e32 v78, v0
	s_mov_b32 s8, 0
	.p2align	6
.LBB97_412:                             ; =>This Inner Loop Header: Depth=1
	s_clause 0x3
	buffer_load_dword v84, v77, s[0:3], 0 offen offset:8
	buffer_load_dword v85, v77, s[0:3], 0 offen offset:12
	buffer_load_dword v86, v77, s[0:3], 0 offen
	buffer_load_dword v87, v77, s[0:3], 0 offen offset:4
	ds_read_b128 v[80:83], v76
	v_add_nc_u32_e32 v78, 1, v78
	v_add_nc_u32_e32 v76, 16, v76
	;; [unrolled: 1-line block ×3, first 2 shown]
	v_cmp_lt_u32_e32 vcc_lo, 17, v78
	s_or_b32 s8, vcc_lo, s8
	s_waitcnt vmcnt(2) lgkmcnt(0)
	v_mul_f64 v[88:89], v[82:83], v[84:85]
	v_mul_f64 v[84:85], v[80:81], v[84:85]
	s_waitcnt vmcnt(0)
	v_fma_f64 v[80:81], v[80:81], v[86:87], -v[88:89]
	v_fma_f64 v[82:83], v[82:83], v[86:87], v[84:85]
	v_add_f64 v[1:2], v[1:2], v[80:81]
	v_add_f64 v[3:4], v[3:4], v[82:83]
	s_andn2_b32 exec_lo, exec_lo, s8
	s_cbranch_execnz .LBB97_412
; %bb.413:
	s_or_b32 exec_lo, exec_lo, s8
.LBB97_414:
	s_or_b32 exec_lo, exec_lo, s6
	v_mov_b32_e32 v76, 0
	ds_read_b128 v[80:83], v76 offset:304
	s_waitcnt lgkmcnt(0)
	v_mul_f64 v[76:77], v[3:4], v[82:83]
	v_mul_f64 v[82:83], v[1:2], v[82:83]
	v_fma_f64 v[1:2], v[1:2], v[80:81], -v[76:77]
	v_fma_f64 v[3:4], v[3:4], v[80:81], v[82:83]
	buffer_store_dword v2, off, s[0:3], 0 offset:308
	buffer_store_dword v1, off, s[0:3], 0 offset:304
	;; [unrolled: 1-line block ×4, first 2 shown]
.LBB97_415:
	s_or_b32 exec_lo, exec_lo, s4
	v_mov_b32_e32 v4, s21
	s_mov_b32 s4, exec_lo
	s_clause 0x3
	buffer_load_dword v1, v4, s[0:3], 0 offen
	buffer_load_dword v2, v4, s[0:3], 0 offen offset:4
	buffer_load_dword v3, v4, s[0:3], 0 offen offset:8
	;; [unrolled: 1-line block ×3, first 2 shown]
	s_waitcnt vmcnt(0)
	ds_write_b128 v74, v[1:4]
	s_waitcnt lgkmcnt(0)
	s_waitcnt_vscnt null, 0x0
	s_barrier
	buffer_gl0_inv
	v_cmpx_gt_u32_e32 20, v0
	s_cbranch_execz .LBB97_423
; %bb.416:
	ds_read_b128 v[1:4], v74
	v_cmp_ne_u32_e32 vcc_lo, 1, v75
	s_cbranch_vccnz .LBB97_418
; %bb.417:
	s_clause 0x3
	buffer_load_dword v76, v73, s[0:3], 0 offen offset:8
	buffer_load_dword v77, v73, s[0:3], 0 offen offset:12
	buffer_load_dword v80, v73, s[0:3], 0 offen
	buffer_load_dword v81, v73, s[0:3], 0 offen offset:4
	s_waitcnt vmcnt(2) lgkmcnt(0)
	v_mul_f64 v[82:83], v[3:4], v[76:77]
	v_mul_f64 v[76:77], v[1:2], v[76:77]
	s_waitcnt vmcnt(0)
	v_fma_f64 v[1:2], v[1:2], v[80:81], -v[82:83]
	v_fma_f64 v[3:4], v[3:4], v[80:81], v[76:77]
.LBB97_418:
	s_mov_b32 s6, exec_lo
	v_cmpx_ne_u32_e32 19, v0
	s_cbranch_execz .LBB97_422
; %bb.419:
	v_add_nc_u32_e32 v76, 0x230, v79
	v_add3_u32 v77, 0, v79, 16
	v_mov_b32_e32 v78, v0
	s_mov_b32 s8, 0
	.p2align	6
.LBB97_420:                             ; =>This Inner Loop Header: Depth=1
	s_clause 0x3
	buffer_load_dword v84, v77, s[0:3], 0 offen offset:8
	buffer_load_dword v85, v77, s[0:3], 0 offen offset:12
	buffer_load_dword v86, v77, s[0:3], 0 offen
	buffer_load_dword v87, v77, s[0:3], 0 offen offset:4
	ds_read_b128 v[80:83], v76
	v_add_nc_u32_e32 v78, 1, v78
	v_add_nc_u32_e32 v76, 16, v76
	;; [unrolled: 1-line block ×3, first 2 shown]
	v_cmp_lt_u32_e32 vcc_lo, 18, v78
	s_or_b32 s8, vcc_lo, s8
	s_waitcnt vmcnt(2) lgkmcnt(0)
	v_mul_f64 v[88:89], v[82:83], v[84:85]
	v_mul_f64 v[84:85], v[80:81], v[84:85]
	s_waitcnt vmcnt(0)
	v_fma_f64 v[80:81], v[80:81], v[86:87], -v[88:89]
	v_fma_f64 v[82:83], v[82:83], v[86:87], v[84:85]
	v_add_f64 v[1:2], v[1:2], v[80:81]
	v_add_f64 v[3:4], v[3:4], v[82:83]
	s_andn2_b32 exec_lo, exec_lo, s8
	s_cbranch_execnz .LBB97_420
; %bb.421:
	s_or_b32 exec_lo, exec_lo, s8
.LBB97_422:
	s_or_b32 exec_lo, exec_lo, s6
	v_mov_b32_e32 v76, 0
	ds_read_b128 v[80:83], v76 offset:320
	s_waitcnt lgkmcnt(0)
	v_mul_f64 v[76:77], v[3:4], v[82:83]
	v_mul_f64 v[82:83], v[1:2], v[82:83]
	v_fma_f64 v[1:2], v[1:2], v[80:81], -v[76:77]
	v_fma_f64 v[3:4], v[3:4], v[80:81], v[82:83]
	buffer_store_dword v2, off, s[0:3], 0 offset:324
	buffer_store_dword v1, off, s[0:3], 0 offset:320
	;; [unrolled: 1-line block ×4, first 2 shown]
.LBB97_423:
	s_or_b32 exec_lo, exec_lo, s4
	v_mov_b32_e32 v4, s20
	s_mov_b32 s4, exec_lo
	s_clause 0x3
	buffer_load_dword v1, v4, s[0:3], 0 offen
	buffer_load_dword v2, v4, s[0:3], 0 offen offset:4
	buffer_load_dword v3, v4, s[0:3], 0 offen offset:8
	;; [unrolled: 1-line block ×3, first 2 shown]
	s_waitcnt vmcnt(0)
	ds_write_b128 v74, v[1:4]
	s_waitcnt lgkmcnt(0)
	s_waitcnt_vscnt null, 0x0
	s_barrier
	buffer_gl0_inv
	v_cmpx_gt_u32_e32 21, v0
	s_cbranch_execz .LBB97_431
; %bb.424:
	ds_read_b128 v[1:4], v74
	v_cmp_ne_u32_e32 vcc_lo, 1, v75
	s_cbranch_vccnz .LBB97_426
; %bb.425:
	s_clause 0x3
	buffer_load_dword v76, v73, s[0:3], 0 offen offset:8
	buffer_load_dword v77, v73, s[0:3], 0 offen offset:12
	buffer_load_dword v80, v73, s[0:3], 0 offen
	buffer_load_dword v81, v73, s[0:3], 0 offen offset:4
	s_waitcnt vmcnt(2) lgkmcnt(0)
	v_mul_f64 v[82:83], v[3:4], v[76:77]
	v_mul_f64 v[76:77], v[1:2], v[76:77]
	s_waitcnt vmcnt(0)
	v_fma_f64 v[1:2], v[1:2], v[80:81], -v[82:83]
	v_fma_f64 v[3:4], v[3:4], v[80:81], v[76:77]
.LBB97_426:
	s_mov_b32 s6, exec_lo
	v_cmpx_ne_u32_e32 20, v0
	s_cbranch_execz .LBB97_430
; %bb.427:
	v_add_nc_u32_e32 v76, 0x230, v79
	v_add3_u32 v77, 0, v79, 16
	v_mov_b32_e32 v78, v0
	s_mov_b32 s8, 0
	.p2align	6
.LBB97_428:                             ; =>This Inner Loop Header: Depth=1
	s_clause 0x3
	buffer_load_dword v84, v77, s[0:3], 0 offen offset:8
	buffer_load_dword v85, v77, s[0:3], 0 offen offset:12
	buffer_load_dword v86, v77, s[0:3], 0 offen
	buffer_load_dword v87, v77, s[0:3], 0 offen offset:4
	ds_read_b128 v[80:83], v76
	v_add_nc_u32_e32 v78, 1, v78
	v_add_nc_u32_e32 v76, 16, v76
	;; [unrolled: 1-line block ×3, first 2 shown]
	v_cmp_lt_u32_e32 vcc_lo, 19, v78
	s_or_b32 s8, vcc_lo, s8
	s_waitcnt vmcnt(2) lgkmcnt(0)
	v_mul_f64 v[88:89], v[82:83], v[84:85]
	v_mul_f64 v[84:85], v[80:81], v[84:85]
	s_waitcnt vmcnt(0)
	v_fma_f64 v[80:81], v[80:81], v[86:87], -v[88:89]
	v_fma_f64 v[82:83], v[82:83], v[86:87], v[84:85]
	v_add_f64 v[1:2], v[1:2], v[80:81]
	v_add_f64 v[3:4], v[3:4], v[82:83]
	s_andn2_b32 exec_lo, exec_lo, s8
	s_cbranch_execnz .LBB97_428
; %bb.429:
	s_or_b32 exec_lo, exec_lo, s8
.LBB97_430:
	s_or_b32 exec_lo, exec_lo, s6
	v_mov_b32_e32 v76, 0
	ds_read_b128 v[80:83], v76 offset:336
	s_waitcnt lgkmcnt(0)
	v_mul_f64 v[76:77], v[3:4], v[82:83]
	v_mul_f64 v[82:83], v[1:2], v[82:83]
	v_fma_f64 v[1:2], v[1:2], v[80:81], -v[76:77]
	v_fma_f64 v[3:4], v[3:4], v[80:81], v[82:83]
	buffer_store_dword v2, off, s[0:3], 0 offset:340
	buffer_store_dword v1, off, s[0:3], 0 offset:336
	buffer_store_dword v4, off, s[0:3], 0 offset:348
	buffer_store_dword v3, off, s[0:3], 0 offset:344
.LBB97_431:
	s_or_b32 exec_lo, exec_lo, s4
	v_mov_b32_e32 v4, s19
	s_mov_b32 s4, exec_lo
	s_clause 0x3
	buffer_load_dword v1, v4, s[0:3], 0 offen
	buffer_load_dword v2, v4, s[0:3], 0 offen offset:4
	buffer_load_dword v3, v4, s[0:3], 0 offen offset:8
	;; [unrolled: 1-line block ×3, first 2 shown]
	s_waitcnt vmcnt(0)
	ds_write_b128 v74, v[1:4]
	s_waitcnt lgkmcnt(0)
	s_waitcnt_vscnt null, 0x0
	s_barrier
	buffer_gl0_inv
	v_cmpx_gt_u32_e32 22, v0
	s_cbranch_execz .LBB97_439
; %bb.432:
	ds_read_b128 v[1:4], v74
	v_cmp_ne_u32_e32 vcc_lo, 1, v75
	s_cbranch_vccnz .LBB97_434
; %bb.433:
	s_clause 0x3
	buffer_load_dword v76, v73, s[0:3], 0 offen offset:8
	buffer_load_dword v77, v73, s[0:3], 0 offen offset:12
	buffer_load_dword v80, v73, s[0:3], 0 offen
	buffer_load_dword v81, v73, s[0:3], 0 offen offset:4
	s_waitcnt vmcnt(2) lgkmcnt(0)
	v_mul_f64 v[82:83], v[3:4], v[76:77]
	v_mul_f64 v[76:77], v[1:2], v[76:77]
	s_waitcnt vmcnt(0)
	v_fma_f64 v[1:2], v[1:2], v[80:81], -v[82:83]
	v_fma_f64 v[3:4], v[3:4], v[80:81], v[76:77]
.LBB97_434:
	s_mov_b32 s6, exec_lo
	v_cmpx_ne_u32_e32 21, v0
	s_cbranch_execz .LBB97_438
; %bb.435:
	v_add_nc_u32_e32 v76, 0x230, v79
	v_add3_u32 v77, 0, v79, 16
	v_mov_b32_e32 v78, v0
	s_mov_b32 s8, 0
	.p2align	6
.LBB97_436:                             ; =>This Inner Loop Header: Depth=1
	s_clause 0x3
	buffer_load_dword v84, v77, s[0:3], 0 offen offset:8
	buffer_load_dword v85, v77, s[0:3], 0 offen offset:12
	buffer_load_dword v86, v77, s[0:3], 0 offen
	buffer_load_dword v87, v77, s[0:3], 0 offen offset:4
	ds_read_b128 v[80:83], v76
	v_add_nc_u32_e32 v78, 1, v78
	v_add_nc_u32_e32 v76, 16, v76
	;; [unrolled: 1-line block ×3, first 2 shown]
	v_cmp_lt_u32_e32 vcc_lo, 20, v78
	s_or_b32 s8, vcc_lo, s8
	s_waitcnt vmcnt(2) lgkmcnt(0)
	v_mul_f64 v[88:89], v[82:83], v[84:85]
	v_mul_f64 v[84:85], v[80:81], v[84:85]
	s_waitcnt vmcnt(0)
	v_fma_f64 v[80:81], v[80:81], v[86:87], -v[88:89]
	v_fma_f64 v[82:83], v[82:83], v[86:87], v[84:85]
	v_add_f64 v[1:2], v[1:2], v[80:81]
	v_add_f64 v[3:4], v[3:4], v[82:83]
	s_andn2_b32 exec_lo, exec_lo, s8
	s_cbranch_execnz .LBB97_436
; %bb.437:
	s_or_b32 exec_lo, exec_lo, s8
.LBB97_438:
	s_or_b32 exec_lo, exec_lo, s6
	v_mov_b32_e32 v76, 0
	ds_read_b128 v[80:83], v76 offset:352
	s_waitcnt lgkmcnt(0)
	v_mul_f64 v[76:77], v[3:4], v[82:83]
	v_mul_f64 v[82:83], v[1:2], v[82:83]
	v_fma_f64 v[1:2], v[1:2], v[80:81], -v[76:77]
	v_fma_f64 v[3:4], v[3:4], v[80:81], v[82:83]
	buffer_store_dword v2, off, s[0:3], 0 offset:356
	buffer_store_dword v1, off, s[0:3], 0 offset:352
	;; [unrolled: 1-line block ×4, first 2 shown]
.LBB97_439:
	s_or_b32 exec_lo, exec_lo, s4
	v_mov_b32_e32 v4, s18
	s_mov_b32 s4, exec_lo
	s_clause 0x3
	buffer_load_dword v1, v4, s[0:3], 0 offen
	buffer_load_dword v2, v4, s[0:3], 0 offen offset:4
	buffer_load_dword v3, v4, s[0:3], 0 offen offset:8
	;; [unrolled: 1-line block ×3, first 2 shown]
	s_waitcnt vmcnt(0)
	ds_write_b128 v74, v[1:4]
	s_waitcnt lgkmcnt(0)
	s_waitcnt_vscnt null, 0x0
	s_barrier
	buffer_gl0_inv
	v_cmpx_gt_u32_e32 23, v0
	s_cbranch_execz .LBB97_447
; %bb.440:
	ds_read_b128 v[1:4], v74
	v_cmp_ne_u32_e32 vcc_lo, 1, v75
	s_cbranch_vccnz .LBB97_442
; %bb.441:
	s_clause 0x3
	buffer_load_dword v76, v73, s[0:3], 0 offen offset:8
	buffer_load_dword v77, v73, s[0:3], 0 offen offset:12
	buffer_load_dword v80, v73, s[0:3], 0 offen
	buffer_load_dword v81, v73, s[0:3], 0 offen offset:4
	s_waitcnt vmcnt(2) lgkmcnt(0)
	v_mul_f64 v[82:83], v[3:4], v[76:77]
	v_mul_f64 v[76:77], v[1:2], v[76:77]
	s_waitcnt vmcnt(0)
	v_fma_f64 v[1:2], v[1:2], v[80:81], -v[82:83]
	v_fma_f64 v[3:4], v[3:4], v[80:81], v[76:77]
.LBB97_442:
	s_mov_b32 s6, exec_lo
	v_cmpx_ne_u32_e32 22, v0
	s_cbranch_execz .LBB97_446
; %bb.443:
	v_add_nc_u32_e32 v76, 0x230, v79
	v_add3_u32 v77, 0, v79, 16
	v_mov_b32_e32 v78, v0
	s_mov_b32 s8, 0
	.p2align	6
.LBB97_444:                             ; =>This Inner Loop Header: Depth=1
	s_clause 0x3
	buffer_load_dword v84, v77, s[0:3], 0 offen offset:8
	buffer_load_dword v85, v77, s[0:3], 0 offen offset:12
	buffer_load_dword v86, v77, s[0:3], 0 offen
	buffer_load_dword v87, v77, s[0:3], 0 offen offset:4
	ds_read_b128 v[80:83], v76
	v_add_nc_u32_e32 v78, 1, v78
	v_add_nc_u32_e32 v76, 16, v76
	;; [unrolled: 1-line block ×3, first 2 shown]
	v_cmp_lt_u32_e32 vcc_lo, 21, v78
	s_or_b32 s8, vcc_lo, s8
	s_waitcnt vmcnt(2) lgkmcnt(0)
	v_mul_f64 v[88:89], v[82:83], v[84:85]
	v_mul_f64 v[84:85], v[80:81], v[84:85]
	s_waitcnt vmcnt(0)
	v_fma_f64 v[80:81], v[80:81], v[86:87], -v[88:89]
	v_fma_f64 v[82:83], v[82:83], v[86:87], v[84:85]
	v_add_f64 v[1:2], v[1:2], v[80:81]
	v_add_f64 v[3:4], v[3:4], v[82:83]
	s_andn2_b32 exec_lo, exec_lo, s8
	s_cbranch_execnz .LBB97_444
; %bb.445:
	s_or_b32 exec_lo, exec_lo, s8
.LBB97_446:
	s_or_b32 exec_lo, exec_lo, s6
	v_mov_b32_e32 v76, 0
	ds_read_b128 v[80:83], v76 offset:368
	s_waitcnt lgkmcnt(0)
	v_mul_f64 v[76:77], v[3:4], v[82:83]
	v_mul_f64 v[82:83], v[1:2], v[82:83]
	v_fma_f64 v[1:2], v[1:2], v[80:81], -v[76:77]
	v_fma_f64 v[3:4], v[3:4], v[80:81], v[82:83]
	buffer_store_dword v2, off, s[0:3], 0 offset:372
	buffer_store_dword v1, off, s[0:3], 0 offset:368
	;; [unrolled: 1-line block ×4, first 2 shown]
.LBB97_447:
	s_or_b32 exec_lo, exec_lo, s4
	v_mov_b32_e32 v4, s17
	s_mov_b32 s4, exec_lo
	s_clause 0x3
	buffer_load_dword v1, v4, s[0:3], 0 offen
	buffer_load_dword v2, v4, s[0:3], 0 offen offset:4
	buffer_load_dword v3, v4, s[0:3], 0 offen offset:8
	buffer_load_dword v4, v4, s[0:3], 0 offen offset:12
	s_waitcnt vmcnt(0)
	ds_write_b128 v74, v[1:4]
	s_waitcnt lgkmcnt(0)
	s_waitcnt_vscnt null, 0x0
	s_barrier
	buffer_gl0_inv
	v_cmpx_gt_u32_e32 24, v0
	s_cbranch_execz .LBB97_455
; %bb.448:
	ds_read_b128 v[1:4], v74
	v_cmp_ne_u32_e32 vcc_lo, 1, v75
	s_cbranch_vccnz .LBB97_450
; %bb.449:
	s_clause 0x3
	buffer_load_dword v76, v73, s[0:3], 0 offen offset:8
	buffer_load_dword v77, v73, s[0:3], 0 offen offset:12
	buffer_load_dword v80, v73, s[0:3], 0 offen
	buffer_load_dword v81, v73, s[0:3], 0 offen offset:4
	s_waitcnt vmcnt(2) lgkmcnt(0)
	v_mul_f64 v[82:83], v[3:4], v[76:77]
	v_mul_f64 v[76:77], v[1:2], v[76:77]
	s_waitcnt vmcnt(0)
	v_fma_f64 v[1:2], v[1:2], v[80:81], -v[82:83]
	v_fma_f64 v[3:4], v[3:4], v[80:81], v[76:77]
.LBB97_450:
	s_mov_b32 s6, exec_lo
	v_cmpx_ne_u32_e32 23, v0
	s_cbranch_execz .LBB97_454
; %bb.451:
	v_add_nc_u32_e32 v76, 0x230, v79
	v_add3_u32 v77, 0, v79, 16
	v_mov_b32_e32 v78, v0
	s_mov_b32 s8, 0
	.p2align	6
.LBB97_452:                             ; =>This Inner Loop Header: Depth=1
	s_clause 0x3
	buffer_load_dword v84, v77, s[0:3], 0 offen offset:8
	buffer_load_dword v85, v77, s[0:3], 0 offen offset:12
	buffer_load_dword v86, v77, s[0:3], 0 offen
	buffer_load_dword v87, v77, s[0:3], 0 offen offset:4
	ds_read_b128 v[80:83], v76
	v_add_nc_u32_e32 v78, 1, v78
	v_add_nc_u32_e32 v76, 16, v76
	;; [unrolled: 1-line block ×3, first 2 shown]
	v_cmp_lt_u32_e32 vcc_lo, 22, v78
	s_or_b32 s8, vcc_lo, s8
	s_waitcnt vmcnt(2) lgkmcnt(0)
	v_mul_f64 v[88:89], v[82:83], v[84:85]
	v_mul_f64 v[84:85], v[80:81], v[84:85]
	s_waitcnt vmcnt(0)
	v_fma_f64 v[80:81], v[80:81], v[86:87], -v[88:89]
	v_fma_f64 v[82:83], v[82:83], v[86:87], v[84:85]
	v_add_f64 v[1:2], v[1:2], v[80:81]
	v_add_f64 v[3:4], v[3:4], v[82:83]
	s_andn2_b32 exec_lo, exec_lo, s8
	s_cbranch_execnz .LBB97_452
; %bb.453:
	s_or_b32 exec_lo, exec_lo, s8
.LBB97_454:
	s_or_b32 exec_lo, exec_lo, s6
	v_mov_b32_e32 v76, 0
	ds_read_b128 v[80:83], v76 offset:384
	s_waitcnt lgkmcnt(0)
	v_mul_f64 v[76:77], v[3:4], v[82:83]
	v_mul_f64 v[82:83], v[1:2], v[82:83]
	v_fma_f64 v[1:2], v[1:2], v[80:81], -v[76:77]
	v_fma_f64 v[3:4], v[3:4], v[80:81], v[82:83]
	buffer_store_dword v2, off, s[0:3], 0 offset:388
	buffer_store_dword v1, off, s[0:3], 0 offset:384
	;; [unrolled: 1-line block ×4, first 2 shown]
.LBB97_455:
	s_or_b32 exec_lo, exec_lo, s4
	v_mov_b32_e32 v4, s16
	s_mov_b32 s4, exec_lo
	s_clause 0x3
	buffer_load_dword v1, v4, s[0:3], 0 offen
	buffer_load_dword v2, v4, s[0:3], 0 offen offset:4
	buffer_load_dword v3, v4, s[0:3], 0 offen offset:8
	;; [unrolled: 1-line block ×3, first 2 shown]
	s_waitcnt vmcnt(0)
	ds_write_b128 v74, v[1:4]
	s_waitcnt lgkmcnt(0)
	s_waitcnt_vscnt null, 0x0
	s_barrier
	buffer_gl0_inv
	v_cmpx_gt_u32_e32 25, v0
	s_cbranch_execz .LBB97_463
; %bb.456:
	ds_read_b128 v[1:4], v74
	v_cmp_ne_u32_e32 vcc_lo, 1, v75
	s_cbranch_vccnz .LBB97_458
; %bb.457:
	s_clause 0x3
	buffer_load_dword v76, v73, s[0:3], 0 offen offset:8
	buffer_load_dword v77, v73, s[0:3], 0 offen offset:12
	buffer_load_dword v80, v73, s[0:3], 0 offen
	buffer_load_dword v81, v73, s[0:3], 0 offen offset:4
	s_waitcnt vmcnt(2) lgkmcnt(0)
	v_mul_f64 v[82:83], v[3:4], v[76:77]
	v_mul_f64 v[76:77], v[1:2], v[76:77]
	s_waitcnt vmcnt(0)
	v_fma_f64 v[1:2], v[1:2], v[80:81], -v[82:83]
	v_fma_f64 v[3:4], v[3:4], v[80:81], v[76:77]
.LBB97_458:
	s_mov_b32 s6, exec_lo
	v_cmpx_ne_u32_e32 24, v0
	s_cbranch_execz .LBB97_462
; %bb.459:
	v_add_nc_u32_e32 v76, 0x230, v79
	v_add3_u32 v77, 0, v79, 16
	v_mov_b32_e32 v78, v0
	s_mov_b32 s8, 0
	.p2align	6
.LBB97_460:                             ; =>This Inner Loop Header: Depth=1
	s_clause 0x3
	buffer_load_dword v84, v77, s[0:3], 0 offen offset:8
	buffer_load_dword v85, v77, s[0:3], 0 offen offset:12
	buffer_load_dword v86, v77, s[0:3], 0 offen
	buffer_load_dword v87, v77, s[0:3], 0 offen offset:4
	ds_read_b128 v[80:83], v76
	v_add_nc_u32_e32 v78, 1, v78
	v_add_nc_u32_e32 v76, 16, v76
	;; [unrolled: 1-line block ×3, first 2 shown]
	v_cmp_lt_u32_e32 vcc_lo, 23, v78
	s_or_b32 s8, vcc_lo, s8
	s_waitcnt vmcnt(2) lgkmcnt(0)
	v_mul_f64 v[88:89], v[82:83], v[84:85]
	v_mul_f64 v[84:85], v[80:81], v[84:85]
	s_waitcnt vmcnt(0)
	v_fma_f64 v[80:81], v[80:81], v[86:87], -v[88:89]
	v_fma_f64 v[82:83], v[82:83], v[86:87], v[84:85]
	v_add_f64 v[1:2], v[1:2], v[80:81]
	v_add_f64 v[3:4], v[3:4], v[82:83]
	s_andn2_b32 exec_lo, exec_lo, s8
	s_cbranch_execnz .LBB97_460
; %bb.461:
	s_or_b32 exec_lo, exec_lo, s8
.LBB97_462:
	s_or_b32 exec_lo, exec_lo, s6
	v_mov_b32_e32 v76, 0
	ds_read_b128 v[80:83], v76 offset:400
	s_waitcnt lgkmcnt(0)
	v_mul_f64 v[76:77], v[3:4], v[82:83]
	v_mul_f64 v[82:83], v[1:2], v[82:83]
	v_fma_f64 v[1:2], v[1:2], v[80:81], -v[76:77]
	v_fma_f64 v[3:4], v[3:4], v[80:81], v[82:83]
	buffer_store_dword v2, off, s[0:3], 0 offset:404
	buffer_store_dword v1, off, s[0:3], 0 offset:400
	;; [unrolled: 1-line block ×4, first 2 shown]
.LBB97_463:
	s_or_b32 exec_lo, exec_lo, s4
	v_mov_b32_e32 v4, s15
	s_mov_b32 s4, exec_lo
	s_clause 0x3
	buffer_load_dword v1, v4, s[0:3], 0 offen
	buffer_load_dword v2, v4, s[0:3], 0 offen offset:4
	buffer_load_dword v3, v4, s[0:3], 0 offen offset:8
	;; [unrolled: 1-line block ×3, first 2 shown]
	s_waitcnt vmcnt(0)
	ds_write_b128 v74, v[1:4]
	s_waitcnt lgkmcnt(0)
	s_waitcnt_vscnt null, 0x0
	s_barrier
	buffer_gl0_inv
	v_cmpx_gt_u32_e32 26, v0
	s_cbranch_execz .LBB97_471
; %bb.464:
	ds_read_b128 v[1:4], v74
	v_cmp_ne_u32_e32 vcc_lo, 1, v75
	s_cbranch_vccnz .LBB97_466
; %bb.465:
	s_clause 0x3
	buffer_load_dword v76, v73, s[0:3], 0 offen offset:8
	buffer_load_dword v77, v73, s[0:3], 0 offen offset:12
	buffer_load_dword v80, v73, s[0:3], 0 offen
	buffer_load_dword v81, v73, s[0:3], 0 offen offset:4
	s_waitcnt vmcnt(2) lgkmcnt(0)
	v_mul_f64 v[82:83], v[3:4], v[76:77]
	v_mul_f64 v[76:77], v[1:2], v[76:77]
	s_waitcnt vmcnt(0)
	v_fma_f64 v[1:2], v[1:2], v[80:81], -v[82:83]
	v_fma_f64 v[3:4], v[3:4], v[80:81], v[76:77]
.LBB97_466:
	s_mov_b32 s6, exec_lo
	v_cmpx_ne_u32_e32 25, v0
	s_cbranch_execz .LBB97_470
; %bb.467:
	v_add_nc_u32_e32 v76, 0x230, v79
	v_add3_u32 v77, 0, v79, 16
	v_mov_b32_e32 v78, v0
	s_mov_b32 s8, 0
	.p2align	6
.LBB97_468:                             ; =>This Inner Loop Header: Depth=1
	s_clause 0x3
	buffer_load_dword v84, v77, s[0:3], 0 offen offset:8
	buffer_load_dword v85, v77, s[0:3], 0 offen offset:12
	buffer_load_dword v86, v77, s[0:3], 0 offen
	buffer_load_dword v87, v77, s[0:3], 0 offen offset:4
	ds_read_b128 v[80:83], v76
	v_add_nc_u32_e32 v78, 1, v78
	v_add_nc_u32_e32 v76, 16, v76
	;; [unrolled: 1-line block ×3, first 2 shown]
	v_cmp_lt_u32_e32 vcc_lo, 24, v78
	s_or_b32 s8, vcc_lo, s8
	s_waitcnt vmcnt(2) lgkmcnt(0)
	v_mul_f64 v[88:89], v[82:83], v[84:85]
	v_mul_f64 v[84:85], v[80:81], v[84:85]
	s_waitcnt vmcnt(0)
	v_fma_f64 v[80:81], v[80:81], v[86:87], -v[88:89]
	v_fma_f64 v[82:83], v[82:83], v[86:87], v[84:85]
	v_add_f64 v[1:2], v[1:2], v[80:81]
	v_add_f64 v[3:4], v[3:4], v[82:83]
	s_andn2_b32 exec_lo, exec_lo, s8
	s_cbranch_execnz .LBB97_468
; %bb.469:
	s_or_b32 exec_lo, exec_lo, s8
.LBB97_470:
	s_or_b32 exec_lo, exec_lo, s6
	v_mov_b32_e32 v76, 0
	ds_read_b128 v[80:83], v76 offset:416
	s_waitcnt lgkmcnt(0)
	v_mul_f64 v[76:77], v[3:4], v[82:83]
	v_mul_f64 v[82:83], v[1:2], v[82:83]
	v_fma_f64 v[1:2], v[1:2], v[80:81], -v[76:77]
	v_fma_f64 v[3:4], v[3:4], v[80:81], v[82:83]
	buffer_store_dword v2, off, s[0:3], 0 offset:420
	buffer_store_dword v1, off, s[0:3], 0 offset:416
	;; [unrolled: 1-line block ×4, first 2 shown]
.LBB97_471:
	s_or_b32 exec_lo, exec_lo, s4
	v_mov_b32_e32 v4, s14
	s_mov_b32 s4, exec_lo
	s_clause 0x3
	buffer_load_dword v1, v4, s[0:3], 0 offen
	buffer_load_dword v2, v4, s[0:3], 0 offen offset:4
	buffer_load_dword v3, v4, s[0:3], 0 offen offset:8
	;; [unrolled: 1-line block ×3, first 2 shown]
	s_waitcnt vmcnt(0)
	ds_write_b128 v74, v[1:4]
	s_waitcnt lgkmcnt(0)
	s_waitcnt_vscnt null, 0x0
	s_barrier
	buffer_gl0_inv
	v_cmpx_gt_u32_e32 27, v0
	s_cbranch_execz .LBB97_479
; %bb.472:
	ds_read_b128 v[1:4], v74
	v_cmp_ne_u32_e32 vcc_lo, 1, v75
	s_cbranch_vccnz .LBB97_474
; %bb.473:
	s_clause 0x3
	buffer_load_dword v76, v73, s[0:3], 0 offen offset:8
	buffer_load_dword v77, v73, s[0:3], 0 offen offset:12
	buffer_load_dword v80, v73, s[0:3], 0 offen
	buffer_load_dword v81, v73, s[0:3], 0 offen offset:4
	s_waitcnt vmcnt(2) lgkmcnt(0)
	v_mul_f64 v[82:83], v[3:4], v[76:77]
	v_mul_f64 v[76:77], v[1:2], v[76:77]
	s_waitcnt vmcnt(0)
	v_fma_f64 v[1:2], v[1:2], v[80:81], -v[82:83]
	v_fma_f64 v[3:4], v[3:4], v[80:81], v[76:77]
.LBB97_474:
	s_mov_b32 s6, exec_lo
	v_cmpx_ne_u32_e32 26, v0
	s_cbranch_execz .LBB97_478
; %bb.475:
	v_add_nc_u32_e32 v76, 0x230, v79
	v_add3_u32 v77, 0, v79, 16
	v_mov_b32_e32 v78, v0
	s_mov_b32 s8, 0
	.p2align	6
.LBB97_476:                             ; =>This Inner Loop Header: Depth=1
	s_clause 0x3
	buffer_load_dword v84, v77, s[0:3], 0 offen offset:8
	buffer_load_dword v85, v77, s[0:3], 0 offen offset:12
	buffer_load_dword v86, v77, s[0:3], 0 offen
	buffer_load_dword v87, v77, s[0:3], 0 offen offset:4
	ds_read_b128 v[80:83], v76
	v_add_nc_u32_e32 v78, 1, v78
	v_add_nc_u32_e32 v76, 16, v76
	;; [unrolled: 1-line block ×3, first 2 shown]
	v_cmp_lt_u32_e32 vcc_lo, 25, v78
	s_or_b32 s8, vcc_lo, s8
	s_waitcnt vmcnt(2) lgkmcnt(0)
	v_mul_f64 v[88:89], v[82:83], v[84:85]
	v_mul_f64 v[84:85], v[80:81], v[84:85]
	s_waitcnt vmcnt(0)
	v_fma_f64 v[80:81], v[80:81], v[86:87], -v[88:89]
	v_fma_f64 v[82:83], v[82:83], v[86:87], v[84:85]
	v_add_f64 v[1:2], v[1:2], v[80:81]
	v_add_f64 v[3:4], v[3:4], v[82:83]
	s_andn2_b32 exec_lo, exec_lo, s8
	s_cbranch_execnz .LBB97_476
; %bb.477:
	s_or_b32 exec_lo, exec_lo, s8
.LBB97_478:
	s_or_b32 exec_lo, exec_lo, s6
	v_mov_b32_e32 v76, 0
	ds_read_b128 v[80:83], v76 offset:432
	s_waitcnt lgkmcnt(0)
	v_mul_f64 v[76:77], v[3:4], v[82:83]
	v_mul_f64 v[82:83], v[1:2], v[82:83]
	v_fma_f64 v[1:2], v[1:2], v[80:81], -v[76:77]
	v_fma_f64 v[3:4], v[3:4], v[80:81], v[82:83]
	buffer_store_dword v2, off, s[0:3], 0 offset:436
	buffer_store_dword v1, off, s[0:3], 0 offset:432
	buffer_store_dword v4, off, s[0:3], 0 offset:444
	buffer_store_dword v3, off, s[0:3], 0 offset:440
.LBB97_479:
	s_or_b32 exec_lo, exec_lo, s4
	v_mov_b32_e32 v4, s13
	s_mov_b32 s4, exec_lo
	s_clause 0x3
	buffer_load_dword v1, v4, s[0:3], 0 offen
	buffer_load_dword v2, v4, s[0:3], 0 offen offset:4
	buffer_load_dword v3, v4, s[0:3], 0 offen offset:8
	;; [unrolled: 1-line block ×3, first 2 shown]
	s_waitcnt vmcnt(0)
	ds_write_b128 v74, v[1:4]
	s_waitcnt lgkmcnt(0)
	s_waitcnt_vscnt null, 0x0
	s_barrier
	buffer_gl0_inv
	v_cmpx_gt_u32_e32 28, v0
	s_cbranch_execz .LBB97_487
; %bb.480:
	ds_read_b128 v[1:4], v74
	v_cmp_ne_u32_e32 vcc_lo, 1, v75
	s_cbranch_vccnz .LBB97_482
; %bb.481:
	s_clause 0x3
	buffer_load_dword v76, v73, s[0:3], 0 offen offset:8
	buffer_load_dword v77, v73, s[0:3], 0 offen offset:12
	buffer_load_dword v80, v73, s[0:3], 0 offen
	buffer_load_dword v81, v73, s[0:3], 0 offen offset:4
	s_waitcnt vmcnt(2) lgkmcnt(0)
	v_mul_f64 v[82:83], v[3:4], v[76:77]
	v_mul_f64 v[76:77], v[1:2], v[76:77]
	s_waitcnt vmcnt(0)
	v_fma_f64 v[1:2], v[1:2], v[80:81], -v[82:83]
	v_fma_f64 v[3:4], v[3:4], v[80:81], v[76:77]
.LBB97_482:
	s_mov_b32 s6, exec_lo
	v_cmpx_ne_u32_e32 27, v0
	s_cbranch_execz .LBB97_486
; %bb.483:
	v_add_nc_u32_e32 v76, 0x230, v79
	v_add3_u32 v77, 0, v79, 16
	v_mov_b32_e32 v78, v0
	s_mov_b32 s8, 0
	.p2align	6
.LBB97_484:                             ; =>This Inner Loop Header: Depth=1
	s_clause 0x3
	buffer_load_dword v84, v77, s[0:3], 0 offen offset:8
	buffer_load_dword v85, v77, s[0:3], 0 offen offset:12
	buffer_load_dword v86, v77, s[0:3], 0 offen
	buffer_load_dword v87, v77, s[0:3], 0 offen offset:4
	ds_read_b128 v[80:83], v76
	v_add_nc_u32_e32 v78, 1, v78
	v_add_nc_u32_e32 v76, 16, v76
	;; [unrolled: 1-line block ×3, first 2 shown]
	v_cmp_lt_u32_e32 vcc_lo, 26, v78
	s_or_b32 s8, vcc_lo, s8
	s_waitcnt vmcnt(2) lgkmcnt(0)
	v_mul_f64 v[88:89], v[82:83], v[84:85]
	v_mul_f64 v[84:85], v[80:81], v[84:85]
	s_waitcnt vmcnt(0)
	v_fma_f64 v[80:81], v[80:81], v[86:87], -v[88:89]
	v_fma_f64 v[82:83], v[82:83], v[86:87], v[84:85]
	v_add_f64 v[1:2], v[1:2], v[80:81]
	v_add_f64 v[3:4], v[3:4], v[82:83]
	s_andn2_b32 exec_lo, exec_lo, s8
	s_cbranch_execnz .LBB97_484
; %bb.485:
	s_or_b32 exec_lo, exec_lo, s8
.LBB97_486:
	s_or_b32 exec_lo, exec_lo, s6
	v_mov_b32_e32 v76, 0
	ds_read_b128 v[80:83], v76 offset:448
	s_waitcnt lgkmcnt(0)
	v_mul_f64 v[76:77], v[3:4], v[82:83]
	v_mul_f64 v[82:83], v[1:2], v[82:83]
	v_fma_f64 v[1:2], v[1:2], v[80:81], -v[76:77]
	v_fma_f64 v[3:4], v[3:4], v[80:81], v[82:83]
	buffer_store_dword v2, off, s[0:3], 0 offset:452
	buffer_store_dword v1, off, s[0:3], 0 offset:448
	;; [unrolled: 1-line block ×4, first 2 shown]
.LBB97_487:
	s_or_b32 exec_lo, exec_lo, s4
	v_mov_b32_e32 v4, s12
	s_mov_b32 s4, exec_lo
	s_clause 0x3
	buffer_load_dword v1, v4, s[0:3], 0 offen
	buffer_load_dword v2, v4, s[0:3], 0 offen offset:4
	buffer_load_dword v3, v4, s[0:3], 0 offen offset:8
	;; [unrolled: 1-line block ×3, first 2 shown]
	s_waitcnt vmcnt(0)
	ds_write_b128 v74, v[1:4]
	s_waitcnt lgkmcnt(0)
	s_waitcnt_vscnt null, 0x0
	s_barrier
	buffer_gl0_inv
	v_cmpx_gt_u32_e32 29, v0
	s_cbranch_execz .LBB97_495
; %bb.488:
	ds_read_b128 v[1:4], v74
	v_cmp_ne_u32_e32 vcc_lo, 1, v75
	s_cbranch_vccnz .LBB97_490
; %bb.489:
	s_clause 0x3
	buffer_load_dword v76, v73, s[0:3], 0 offen offset:8
	buffer_load_dword v77, v73, s[0:3], 0 offen offset:12
	buffer_load_dword v80, v73, s[0:3], 0 offen
	buffer_load_dword v81, v73, s[0:3], 0 offen offset:4
	s_waitcnt vmcnt(2) lgkmcnt(0)
	v_mul_f64 v[82:83], v[3:4], v[76:77]
	v_mul_f64 v[76:77], v[1:2], v[76:77]
	s_waitcnt vmcnt(0)
	v_fma_f64 v[1:2], v[1:2], v[80:81], -v[82:83]
	v_fma_f64 v[3:4], v[3:4], v[80:81], v[76:77]
.LBB97_490:
	s_mov_b32 s6, exec_lo
	v_cmpx_ne_u32_e32 28, v0
	s_cbranch_execz .LBB97_494
; %bb.491:
	v_add_nc_u32_e32 v76, 0x230, v79
	v_add3_u32 v77, 0, v79, 16
	v_mov_b32_e32 v78, v0
	s_mov_b32 s8, 0
	.p2align	6
.LBB97_492:                             ; =>This Inner Loop Header: Depth=1
	s_clause 0x3
	buffer_load_dword v84, v77, s[0:3], 0 offen offset:8
	buffer_load_dword v85, v77, s[0:3], 0 offen offset:12
	buffer_load_dword v86, v77, s[0:3], 0 offen
	buffer_load_dword v87, v77, s[0:3], 0 offen offset:4
	ds_read_b128 v[80:83], v76
	v_add_nc_u32_e32 v78, 1, v78
	v_add_nc_u32_e32 v76, 16, v76
	;; [unrolled: 1-line block ×3, first 2 shown]
	v_cmp_lt_u32_e32 vcc_lo, 27, v78
	s_or_b32 s8, vcc_lo, s8
	s_waitcnt vmcnt(2) lgkmcnt(0)
	v_mul_f64 v[88:89], v[82:83], v[84:85]
	v_mul_f64 v[84:85], v[80:81], v[84:85]
	s_waitcnt vmcnt(0)
	v_fma_f64 v[80:81], v[80:81], v[86:87], -v[88:89]
	v_fma_f64 v[82:83], v[82:83], v[86:87], v[84:85]
	v_add_f64 v[1:2], v[1:2], v[80:81]
	v_add_f64 v[3:4], v[3:4], v[82:83]
	s_andn2_b32 exec_lo, exec_lo, s8
	s_cbranch_execnz .LBB97_492
; %bb.493:
	s_or_b32 exec_lo, exec_lo, s8
.LBB97_494:
	s_or_b32 exec_lo, exec_lo, s6
	v_mov_b32_e32 v76, 0
	ds_read_b128 v[80:83], v76 offset:464
	s_waitcnt lgkmcnt(0)
	v_mul_f64 v[76:77], v[3:4], v[82:83]
	v_mul_f64 v[82:83], v[1:2], v[82:83]
	v_fma_f64 v[1:2], v[1:2], v[80:81], -v[76:77]
	v_fma_f64 v[3:4], v[3:4], v[80:81], v[82:83]
	buffer_store_dword v2, off, s[0:3], 0 offset:468
	buffer_store_dword v1, off, s[0:3], 0 offset:464
	;; [unrolled: 1-line block ×4, first 2 shown]
.LBB97_495:
	s_or_b32 exec_lo, exec_lo, s4
	v_mov_b32_e32 v4, s11
	s_mov_b32 s4, exec_lo
	s_clause 0x3
	buffer_load_dword v1, v4, s[0:3], 0 offen
	buffer_load_dword v2, v4, s[0:3], 0 offen offset:4
	buffer_load_dword v3, v4, s[0:3], 0 offen offset:8
	buffer_load_dword v4, v4, s[0:3], 0 offen offset:12
	s_waitcnt vmcnt(0)
	ds_write_b128 v74, v[1:4]
	s_waitcnt lgkmcnt(0)
	s_waitcnt_vscnt null, 0x0
	s_barrier
	buffer_gl0_inv
	v_cmpx_gt_u32_e32 30, v0
	s_cbranch_execz .LBB97_503
; %bb.496:
	ds_read_b128 v[1:4], v74
	v_cmp_ne_u32_e32 vcc_lo, 1, v75
	s_cbranch_vccnz .LBB97_498
; %bb.497:
	s_clause 0x3
	buffer_load_dword v76, v73, s[0:3], 0 offen offset:8
	buffer_load_dword v77, v73, s[0:3], 0 offen offset:12
	buffer_load_dword v80, v73, s[0:3], 0 offen
	buffer_load_dword v81, v73, s[0:3], 0 offen offset:4
	s_waitcnt vmcnt(2) lgkmcnt(0)
	v_mul_f64 v[82:83], v[3:4], v[76:77]
	v_mul_f64 v[76:77], v[1:2], v[76:77]
	s_waitcnt vmcnt(0)
	v_fma_f64 v[1:2], v[1:2], v[80:81], -v[82:83]
	v_fma_f64 v[3:4], v[3:4], v[80:81], v[76:77]
.LBB97_498:
	s_mov_b32 s6, exec_lo
	v_cmpx_ne_u32_e32 29, v0
	s_cbranch_execz .LBB97_502
; %bb.499:
	v_add_nc_u32_e32 v76, 0x230, v79
	v_add3_u32 v77, 0, v79, 16
	v_mov_b32_e32 v78, v0
	s_mov_b32 s8, 0
	.p2align	6
.LBB97_500:                             ; =>This Inner Loop Header: Depth=1
	s_clause 0x3
	buffer_load_dword v84, v77, s[0:3], 0 offen offset:8
	buffer_load_dword v85, v77, s[0:3], 0 offen offset:12
	buffer_load_dword v86, v77, s[0:3], 0 offen
	buffer_load_dword v87, v77, s[0:3], 0 offen offset:4
	ds_read_b128 v[80:83], v76
	v_add_nc_u32_e32 v78, 1, v78
	v_add_nc_u32_e32 v76, 16, v76
	;; [unrolled: 1-line block ×3, first 2 shown]
	v_cmp_lt_u32_e32 vcc_lo, 28, v78
	s_or_b32 s8, vcc_lo, s8
	s_waitcnt vmcnt(2) lgkmcnt(0)
	v_mul_f64 v[88:89], v[82:83], v[84:85]
	v_mul_f64 v[84:85], v[80:81], v[84:85]
	s_waitcnt vmcnt(0)
	v_fma_f64 v[80:81], v[80:81], v[86:87], -v[88:89]
	v_fma_f64 v[82:83], v[82:83], v[86:87], v[84:85]
	v_add_f64 v[1:2], v[1:2], v[80:81]
	v_add_f64 v[3:4], v[3:4], v[82:83]
	s_andn2_b32 exec_lo, exec_lo, s8
	s_cbranch_execnz .LBB97_500
; %bb.501:
	s_or_b32 exec_lo, exec_lo, s8
.LBB97_502:
	s_or_b32 exec_lo, exec_lo, s6
	v_mov_b32_e32 v76, 0
	ds_read_b128 v[80:83], v76 offset:480
	s_waitcnt lgkmcnt(0)
	v_mul_f64 v[76:77], v[3:4], v[82:83]
	v_mul_f64 v[82:83], v[1:2], v[82:83]
	v_fma_f64 v[1:2], v[1:2], v[80:81], -v[76:77]
	v_fma_f64 v[3:4], v[3:4], v[80:81], v[82:83]
	buffer_store_dword v2, off, s[0:3], 0 offset:484
	buffer_store_dword v1, off, s[0:3], 0 offset:480
	buffer_store_dword v4, off, s[0:3], 0 offset:492
	buffer_store_dword v3, off, s[0:3], 0 offset:488
.LBB97_503:
	s_or_b32 exec_lo, exec_lo, s4
	v_mov_b32_e32 v4, s10
	s_mov_b32 s4, exec_lo
	s_clause 0x3
	buffer_load_dword v1, v4, s[0:3], 0 offen
	buffer_load_dword v2, v4, s[0:3], 0 offen offset:4
	buffer_load_dword v3, v4, s[0:3], 0 offen offset:8
	;; [unrolled: 1-line block ×3, first 2 shown]
	s_waitcnt vmcnt(0)
	ds_write_b128 v74, v[1:4]
	s_waitcnt lgkmcnt(0)
	s_waitcnt_vscnt null, 0x0
	s_barrier
	buffer_gl0_inv
	v_cmpx_gt_u32_e32 31, v0
	s_cbranch_execz .LBB97_511
; %bb.504:
	ds_read_b128 v[1:4], v74
	v_cmp_ne_u32_e32 vcc_lo, 1, v75
	s_cbranch_vccnz .LBB97_506
; %bb.505:
	s_clause 0x3
	buffer_load_dword v76, v73, s[0:3], 0 offen offset:8
	buffer_load_dword v77, v73, s[0:3], 0 offen offset:12
	buffer_load_dword v80, v73, s[0:3], 0 offen
	buffer_load_dword v81, v73, s[0:3], 0 offen offset:4
	s_waitcnt vmcnt(2) lgkmcnt(0)
	v_mul_f64 v[82:83], v[3:4], v[76:77]
	v_mul_f64 v[76:77], v[1:2], v[76:77]
	s_waitcnt vmcnt(0)
	v_fma_f64 v[1:2], v[1:2], v[80:81], -v[82:83]
	v_fma_f64 v[3:4], v[3:4], v[80:81], v[76:77]
.LBB97_506:
	s_mov_b32 s6, exec_lo
	v_cmpx_ne_u32_e32 30, v0
	s_cbranch_execz .LBB97_510
; %bb.507:
	v_add_nc_u32_e32 v76, 0x230, v79
	v_add3_u32 v77, 0, v79, 16
	v_mov_b32_e32 v78, v0
	s_mov_b32 s8, 0
	.p2align	6
.LBB97_508:                             ; =>This Inner Loop Header: Depth=1
	s_clause 0x3
	buffer_load_dword v84, v77, s[0:3], 0 offen offset:8
	buffer_load_dword v85, v77, s[0:3], 0 offen offset:12
	buffer_load_dword v86, v77, s[0:3], 0 offen
	buffer_load_dword v87, v77, s[0:3], 0 offen offset:4
	ds_read_b128 v[80:83], v76
	v_add_nc_u32_e32 v78, 1, v78
	v_add_nc_u32_e32 v76, 16, v76
	;; [unrolled: 1-line block ×3, first 2 shown]
	v_cmp_lt_u32_e32 vcc_lo, 29, v78
	s_or_b32 s8, vcc_lo, s8
	s_waitcnt vmcnt(2) lgkmcnt(0)
	v_mul_f64 v[88:89], v[82:83], v[84:85]
	v_mul_f64 v[84:85], v[80:81], v[84:85]
	s_waitcnt vmcnt(0)
	v_fma_f64 v[80:81], v[80:81], v[86:87], -v[88:89]
	v_fma_f64 v[82:83], v[82:83], v[86:87], v[84:85]
	v_add_f64 v[1:2], v[1:2], v[80:81]
	v_add_f64 v[3:4], v[3:4], v[82:83]
	s_andn2_b32 exec_lo, exec_lo, s8
	s_cbranch_execnz .LBB97_508
; %bb.509:
	s_or_b32 exec_lo, exec_lo, s8
.LBB97_510:
	s_or_b32 exec_lo, exec_lo, s6
	v_mov_b32_e32 v76, 0
	ds_read_b128 v[80:83], v76 offset:496
	s_waitcnt lgkmcnt(0)
	v_mul_f64 v[76:77], v[3:4], v[82:83]
	v_mul_f64 v[82:83], v[1:2], v[82:83]
	v_fma_f64 v[1:2], v[1:2], v[80:81], -v[76:77]
	v_fma_f64 v[3:4], v[3:4], v[80:81], v[82:83]
	buffer_store_dword v2, off, s[0:3], 0 offset:500
	buffer_store_dword v1, off, s[0:3], 0 offset:496
	;; [unrolled: 1-line block ×4, first 2 shown]
.LBB97_511:
	s_or_b32 exec_lo, exec_lo, s4
	v_mov_b32_e32 v4, s9
	v_cmp_gt_u32_e64 s4, 32, v0
	s_clause 0x3
	buffer_load_dword v1, v4, s[0:3], 0 offen
	buffer_load_dword v2, v4, s[0:3], 0 offen offset:4
	buffer_load_dword v3, v4, s[0:3], 0 offen offset:8
	;; [unrolled: 1-line block ×3, first 2 shown]
	s_waitcnt vmcnt(0)
	ds_write_b128 v74, v[1:4]
	s_waitcnt lgkmcnt(0)
	s_waitcnt_vscnt null, 0x0
	s_barrier
	buffer_gl0_inv
	s_and_saveexec_b32 s6, s4
	s_cbranch_execz .LBB97_519
; %bb.512:
	ds_read_b128 v[1:4], v74
	v_cmp_ne_u32_e32 vcc_lo, 1, v75
	s_cbranch_vccnz .LBB97_514
; %bb.513:
	s_clause 0x3
	buffer_load_dword v76, v73, s[0:3], 0 offen offset:8
	buffer_load_dword v77, v73, s[0:3], 0 offen offset:12
	buffer_load_dword v80, v73, s[0:3], 0 offen
	buffer_load_dword v81, v73, s[0:3], 0 offen offset:4
	s_waitcnt vmcnt(2) lgkmcnt(0)
	v_mul_f64 v[82:83], v[3:4], v[76:77]
	v_mul_f64 v[76:77], v[1:2], v[76:77]
	s_waitcnt vmcnt(0)
	v_fma_f64 v[1:2], v[1:2], v[80:81], -v[82:83]
	v_fma_f64 v[3:4], v[3:4], v[80:81], v[76:77]
.LBB97_514:
	s_mov_b32 s8, exec_lo
	v_cmpx_ne_u32_e32 31, v0
	s_cbranch_execz .LBB97_518
; %bb.515:
	v_add_nc_u32_e32 v76, 0x230, v79
	v_add3_u32 v77, 0, v79, 16
	v_mov_b32_e32 v78, v0
	s_mov_b32 s42, 0
	.p2align	6
.LBB97_516:                             ; =>This Inner Loop Header: Depth=1
	s_clause 0x3
	buffer_load_dword v84, v77, s[0:3], 0 offen offset:8
	buffer_load_dword v85, v77, s[0:3], 0 offen offset:12
	buffer_load_dword v86, v77, s[0:3], 0 offen
	buffer_load_dword v87, v77, s[0:3], 0 offen offset:4
	ds_read_b128 v[80:83], v76
	v_add_nc_u32_e32 v78, 1, v78
	v_add_nc_u32_e32 v76, 16, v76
	;; [unrolled: 1-line block ×3, first 2 shown]
	v_cmp_lt_u32_e32 vcc_lo, 30, v78
	s_or_b32 s42, vcc_lo, s42
	s_waitcnt vmcnt(2) lgkmcnt(0)
	v_mul_f64 v[88:89], v[82:83], v[84:85]
	v_mul_f64 v[84:85], v[80:81], v[84:85]
	s_waitcnt vmcnt(0)
	v_fma_f64 v[80:81], v[80:81], v[86:87], -v[88:89]
	v_fma_f64 v[82:83], v[82:83], v[86:87], v[84:85]
	v_add_f64 v[1:2], v[1:2], v[80:81]
	v_add_f64 v[3:4], v[3:4], v[82:83]
	s_andn2_b32 exec_lo, exec_lo, s42
	s_cbranch_execnz .LBB97_516
; %bb.517:
	s_or_b32 exec_lo, exec_lo, s42
.LBB97_518:
	s_or_b32 exec_lo, exec_lo, s8
	v_mov_b32_e32 v76, 0
	ds_read_b128 v[80:83], v76 offset:512
	s_waitcnt lgkmcnt(0)
	v_mul_f64 v[76:77], v[3:4], v[82:83]
	v_mul_f64 v[82:83], v[1:2], v[82:83]
	v_fma_f64 v[1:2], v[1:2], v[80:81], -v[76:77]
	v_fma_f64 v[3:4], v[3:4], v[80:81], v[82:83]
	buffer_store_dword v2, off, s[0:3], 0 offset:516
	buffer_store_dword v1, off, s[0:3], 0 offset:512
	;; [unrolled: 1-line block ×4, first 2 shown]
.LBB97_519:
	s_or_b32 exec_lo, exec_lo, s6
	v_mov_b32_e32 v4, s7
	s_mov_b32 s6, exec_lo
                                        ; implicit-def: $sgpr43
	s_clause 0x3
	buffer_load_dword v1, v4, s[0:3], 0 offen
	buffer_load_dword v2, v4, s[0:3], 0 offen offset:4
	buffer_load_dword v3, v4, s[0:3], 0 offen offset:8
	;; [unrolled: 1-line block ×3, first 2 shown]
	s_waitcnt vmcnt(0)
	ds_write_b128 v74, v[1:4]
	s_waitcnt lgkmcnt(0)
	s_waitcnt_vscnt null, 0x0
	s_barrier
	buffer_gl0_inv
                                        ; implicit-def: $vgpr1_vgpr2
	v_cmpx_ne_u32_e32 33, v0
	s_cbranch_execz .LBB97_527
; %bb.520:
	ds_read_b128 v[1:4], v74
	v_cmp_ne_u32_e32 vcc_lo, 1, v75
	s_cbranch_vccnz .LBB97_522
; %bb.521:
	s_clause 0x3
	buffer_load_dword v74, v73, s[0:3], 0 offen offset:8
	buffer_load_dword v75, v73, s[0:3], 0 offen offset:12
	buffer_load_dword v76, v73, s[0:3], 0 offen
	buffer_load_dword v77, v73, s[0:3], 0 offen offset:4
	s_waitcnt vmcnt(2) lgkmcnt(0)
	v_mul_f64 v[80:81], v[3:4], v[74:75]
	v_mul_f64 v[73:74], v[1:2], v[74:75]
	s_waitcnt vmcnt(0)
	v_fma_f64 v[1:2], v[1:2], v[76:77], -v[80:81]
	v_fma_f64 v[3:4], v[3:4], v[76:77], v[73:74]
.LBB97_522:
	s_and_saveexec_b32 s8, s4
	s_cbranch_execz .LBB97_526
; %bb.523:
	v_add_nc_u32_e32 v73, 0x230, v79
	v_add3_u32 v74, 0, v79, 16
	s_mov_b32 s4, 0
	.p2align	6
.LBB97_524:                             ; =>This Inner Loop Header: Depth=1
	s_clause 0x3
	buffer_load_dword v79, v74, s[0:3], 0 offen offset:8
	buffer_load_dword v80, v74, s[0:3], 0 offen offset:12
	buffer_load_dword v81, v74, s[0:3], 0 offen
	buffer_load_dword v82, v74, s[0:3], 0 offen offset:4
	ds_read_b128 v[75:78], v73
	v_add_nc_u32_e32 v0, 1, v0
	v_add_nc_u32_e32 v73, 16, v73
	;; [unrolled: 1-line block ×3, first 2 shown]
	v_cmp_lt_u32_e32 vcc_lo, 31, v0
	s_or_b32 s4, vcc_lo, s4
	s_waitcnt vmcnt(2) lgkmcnt(0)
	v_mul_f64 v[83:84], v[77:78], v[79:80]
	v_mul_f64 v[79:80], v[75:76], v[79:80]
	s_waitcnt vmcnt(0)
	v_fma_f64 v[75:76], v[75:76], v[81:82], -v[83:84]
	v_fma_f64 v[77:78], v[77:78], v[81:82], v[79:80]
	v_add_f64 v[1:2], v[1:2], v[75:76]
	v_add_f64 v[3:4], v[3:4], v[77:78]
	s_andn2_b32 exec_lo, exec_lo, s4
	s_cbranch_execnz .LBB97_524
; %bb.525:
	s_or_b32 exec_lo, exec_lo, s4
.LBB97_526:
	s_or_b32 exec_lo, exec_lo, s8
	v_mov_b32_e32 v0, 0
	s_movk_i32 s43, 0x218
	s_or_b32 s5, s5, exec_lo
	ds_read_b128 v[73:76], v0 offset:528
	s_waitcnt lgkmcnt(0)
	v_mul_f64 v[77:78], v[3:4], v[75:76]
	v_mul_f64 v[75:76], v[1:2], v[75:76]
	v_fma_f64 v[77:78], v[1:2], v[73:74], -v[77:78]
	v_fma_f64 v[1:2], v[3:4], v[73:74], v[75:76]
	buffer_store_dword v78, off, s[0:3], 0 offset:532
	buffer_store_dword v77, off, s[0:3], 0 offset:528
.LBB97_527:
	s_or_b32 exec_lo, exec_lo, s6
.LBB97_528:
	s_and_saveexec_b32 s4, s5
	s_cbranch_execz .LBB97_530
; %bb.529:
	v_mov_b32_e32 v0, s43
	buffer_store_dword v2, v0, s[0:3], 0 offen offset:4
	buffer_store_dword v1, v0, s[0:3], 0 offen
.LBB97_530:
	s_or_b32 exec_lo, exec_lo, s4
	s_clause 0x3
	buffer_load_dword v0, off, s[0:3], 0
	buffer_load_dword v1, off, s[0:3], 0 offset:4
	buffer_load_dword v2, off, s[0:3], 0 offset:8
	;; [unrolled: 1-line block ×3, first 2 shown]
	v_mov_b32_e32 v4, s41
	s_waitcnt vmcnt(0)
	flat_store_dwordx4 v[5:6], v[0:3]
	s_clause 0x3
	buffer_load_dword v0, v4, s[0:3], 0 offen
	buffer_load_dword v1, v4, s[0:3], 0 offen offset:4
	buffer_load_dword v2, v4, s[0:3], 0 offen offset:8
	buffer_load_dword v3, v4, s[0:3], 0 offen offset:12
	v_mov_b32_e32 v4, s40
	s_waitcnt vmcnt(0)
	flat_store_dwordx4 v[59:60], v[0:3]
	s_clause 0x3
	buffer_load_dword v0, v4, s[0:3], 0 offen
	buffer_load_dword v1, v4, s[0:3], 0 offen offset:4
	buffer_load_dword v2, v4, s[0:3], 0 offen offset:8
	buffer_load_dword v3, v4, s[0:3], 0 offen offset:12
	v_mov_b32_e32 v4, s39
	s_waitcnt vmcnt(0)
	flat_store_dwordx4 v[57:58], v[0:3]
	s_clause 0x3
	buffer_load_dword v0, v4, s[0:3], 0 offen
	buffer_load_dword v1, v4, s[0:3], 0 offen offset:4
	buffer_load_dword v2, v4, s[0:3], 0 offen offset:8
	buffer_load_dword v3, v4, s[0:3], 0 offen offset:12
	v_mov_b32_e32 v4, s38
	s_waitcnt vmcnt(0)
	flat_store_dwordx4 v[55:56], v[0:3]
	s_clause 0x3
	buffer_load_dword v0, v4, s[0:3], 0 offen
	buffer_load_dword v1, v4, s[0:3], 0 offen offset:4
	buffer_load_dword v2, v4, s[0:3], 0 offen offset:8
	buffer_load_dword v3, v4, s[0:3], 0 offen offset:12
	v_mov_b32_e32 v4, s37
	s_waitcnt vmcnt(0)
	flat_store_dwordx4 v[53:54], v[0:3]
	s_clause 0x3
	buffer_load_dword v0, v4, s[0:3], 0 offen
	buffer_load_dword v1, v4, s[0:3], 0 offen offset:4
	buffer_load_dword v2, v4, s[0:3], 0 offen offset:8
	buffer_load_dword v3, v4, s[0:3], 0 offen offset:12
	v_mov_b32_e32 v4, s36
	s_waitcnt vmcnt(0)
	flat_store_dwordx4 v[49:50], v[0:3]
	s_clause 0x3
	buffer_load_dword v0, v4, s[0:3], 0 offen
	buffer_load_dword v1, v4, s[0:3], 0 offen offset:4
	buffer_load_dword v2, v4, s[0:3], 0 offen offset:8
	buffer_load_dword v3, v4, s[0:3], 0 offen offset:12
	v_mov_b32_e32 v4, s35
	s_waitcnt vmcnt(0)
	flat_store_dwordx4 v[47:48], v[0:3]
	s_clause 0x3
	buffer_load_dword v0, v4, s[0:3], 0 offen
	buffer_load_dword v1, v4, s[0:3], 0 offen offset:4
	buffer_load_dword v2, v4, s[0:3], 0 offen offset:8
	buffer_load_dword v3, v4, s[0:3], 0 offen offset:12
	v_mov_b32_e32 v4, s34
	s_waitcnt vmcnt(0)
	flat_store_dwordx4 v[45:46], v[0:3]
	s_clause 0x3
	buffer_load_dword v0, v4, s[0:3], 0 offen
	buffer_load_dword v1, v4, s[0:3], 0 offen offset:4
	buffer_load_dword v2, v4, s[0:3], 0 offen offset:8
	buffer_load_dword v3, v4, s[0:3], 0 offen offset:12
	v_mov_b32_e32 v4, s33
	s_waitcnt vmcnt(0)
	flat_store_dwordx4 v[43:44], v[0:3]
	s_clause 0x3
	buffer_load_dword v0, v4, s[0:3], 0 offen
	buffer_load_dword v1, v4, s[0:3], 0 offen offset:4
	buffer_load_dword v2, v4, s[0:3], 0 offen offset:8
	buffer_load_dword v3, v4, s[0:3], 0 offen offset:12
	v_mov_b32_e32 v4, s31
	s_waitcnt vmcnt(0)
	flat_store_dwordx4 v[41:42], v[0:3]
	s_clause 0x3
	buffer_load_dword v0, v4, s[0:3], 0 offen
	buffer_load_dword v1, v4, s[0:3], 0 offen offset:4
	buffer_load_dword v2, v4, s[0:3], 0 offen offset:8
	buffer_load_dword v3, v4, s[0:3], 0 offen offset:12
	v_mov_b32_e32 v4, s30
	s_waitcnt vmcnt(0)
	flat_store_dwordx4 v[39:40], v[0:3]
	s_clause 0x3
	buffer_load_dword v0, v4, s[0:3], 0 offen
	buffer_load_dword v1, v4, s[0:3], 0 offen offset:4
	buffer_load_dword v2, v4, s[0:3], 0 offen offset:8
	buffer_load_dword v3, v4, s[0:3], 0 offen offset:12
	v_mov_b32_e32 v4, s29
	s_waitcnt vmcnt(0)
	flat_store_dwordx4 v[37:38], v[0:3]
	s_clause 0x3
	buffer_load_dword v0, v4, s[0:3], 0 offen
	buffer_load_dword v1, v4, s[0:3], 0 offen offset:4
	buffer_load_dword v2, v4, s[0:3], 0 offen offset:8
	buffer_load_dword v3, v4, s[0:3], 0 offen offset:12
	v_mov_b32_e32 v4, s28
	s_waitcnt vmcnt(0)
	flat_store_dwordx4 v[35:36], v[0:3]
	s_clause 0x3
	buffer_load_dword v0, v4, s[0:3], 0 offen
	buffer_load_dword v1, v4, s[0:3], 0 offen offset:4
	buffer_load_dword v2, v4, s[0:3], 0 offen offset:8
	buffer_load_dword v3, v4, s[0:3], 0 offen offset:12
	v_mov_b32_e32 v4, s27
	s_waitcnt vmcnt(0)
	flat_store_dwordx4 v[31:32], v[0:3]
	s_clause 0x3
	buffer_load_dword v0, v4, s[0:3], 0 offen
	buffer_load_dword v1, v4, s[0:3], 0 offen offset:4
	buffer_load_dword v2, v4, s[0:3], 0 offen offset:8
	buffer_load_dword v3, v4, s[0:3], 0 offen offset:12
	v_mov_b32_e32 v4, s26
	s_waitcnt vmcnt(0)
	flat_store_dwordx4 v[29:30], v[0:3]
	s_clause 0x3
	buffer_load_dword v0, v4, s[0:3], 0 offen
	buffer_load_dword v1, v4, s[0:3], 0 offen offset:4
	buffer_load_dword v2, v4, s[0:3], 0 offen offset:8
	buffer_load_dword v3, v4, s[0:3], 0 offen offset:12
	v_mov_b32_e32 v4, s25
	s_waitcnt vmcnt(0)
	flat_store_dwordx4 v[27:28], v[0:3]
	s_clause 0x3
	buffer_load_dword v0, v4, s[0:3], 0 offen
	buffer_load_dword v1, v4, s[0:3], 0 offen offset:4
	buffer_load_dword v2, v4, s[0:3], 0 offen offset:8
	buffer_load_dword v3, v4, s[0:3], 0 offen offset:12
	v_mov_b32_e32 v4, s24
	s_waitcnt vmcnt(0)
	flat_store_dwordx4 v[25:26], v[0:3]
	s_clause 0x3
	buffer_load_dword v0, v4, s[0:3], 0 offen
	buffer_load_dword v1, v4, s[0:3], 0 offen offset:4
	buffer_load_dword v2, v4, s[0:3], 0 offen offset:8
	buffer_load_dword v3, v4, s[0:3], 0 offen offset:12
	v_mov_b32_e32 v4, s23
	s_waitcnt vmcnt(0)
	flat_store_dwordx4 v[23:24], v[0:3]
	s_clause 0x3
	buffer_load_dword v0, v4, s[0:3], 0 offen
	buffer_load_dword v1, v4, s[0:3], 0 offen offset:4
	buffer_load_dword v2, v4, s[0:3], 0 offen offset:8
	buffer_load_dword v3, v4, s[0:3], 0 offen offset:12
	v_mov_b32_e32 v4, s22
	s_waitcnt vmcnt(0)
	flat_store_dwordx4 v[21:22], v[0:3]
	s_clause 0x3
	buffer_load_dword v0, v4, s[0:3], 0 offen
	buffer_load_dword v1, v4, s[0:3], 0 offen offset:4
	buffer_load_dword v2, v4, s[0:3], 0 offen offset:8
	buffer_load_dword v3, v4, s[0:3], 0 offen offset:12
	v_mov_b32_e32 v4, s21
	s_waitcnt vmcnt(0)
	flat_store_dwordx4 v[19:20], v[0:3]
	s_clause 0x3
	buffer_load_dword v0, v4, s[0:3], 0 offen
	buffer_load_dword v1, v4, s[0:3], 0 offen offset:4
	buffer_load_dword v2, v4, s[0:3], 0 offen offset:8
	buffer_load_dword v3, v4, s[0:3], 0 offen offset:12
	v_mov_b32_e32 v4, s20
	s_waitcnt vmcnt(0)
	flat_store_dwordx4 v[17:18], v[0:3]
	s_clause 0x3
	buffer_load_dword v0, v4, s[0:3], 0 offen
	buffer_load_dword v1, v4, s[0:3], 0 offen offset:4
	buffer_load_dword v2, v4, s[0:3], 0 offen offset:8
	buffer_load_dword v3, v4, s[0:3], 0 offen offset:12
	v_mov_b32_e32 v4, s19
	s_waitcnt vmcnt(0)
	flat_store_dwordx4 v[15:16], v[0:3]
	s_clause 0x3
	buffer_load_dword v0, v4, s[0:3], 0 offen
	buffer_load_dword v1, v4, s[0:3], 0 offen offset:4
	buffer_load_dword v2, v4, s[0:3], 0 offen offset:8
	buffer_load_dword v3, v4, s[0:3], 0 offen offset:12
	v_mov_b32_e32 v4, s18
	s_waitcnt vmcnt(0)
	flat_store_dwordx4 v[13:14], v[0:3]
	s_clause 0x3
	buffer_load_dword v0, v4, s[0:3], 0 offen
	buffer_load_dword v1, v4, s[0:3], 0 offen offset:4
	buffer_load_dword v2, v4, s[0:3], 0 offen offset:8
	buffer_load_dword v3, v4, s[0:3], 0 offen offset:12
	v_mov_b32_e32 v4, s17
	s_waitcnt vmcnt(0)
	flat_store_dwordx4 v[11:12], v[0:3]
	s_clause 0x3
	buffer_load_dword v0, v4, s[0:3], 0 offen
	buffer_load_dword v1, v4, s[0:3], 0 offen offset:4
	buffer_load_dword v2, v4, s[0:3], 0 offen offset:8
	buffer_load_dword v3, v4, s[0:3], 0 offen offset:12
	v_mov_b32_e32 v4, s16
	s_waitcnt vmcnt(0)
	flat_store_dwordx4 v[9:10], v[0:3]
	s_clause 0x3
	buffer_load_dword v0, v4, s[0:3], 0 offen
	buffer_load_dword v1, v4, s[0:3], 0 offen offset:4
	buffer_load_dword v2, v4, s[0:3], 0 offen offset:8
	buffer_load_dword v3, v4, s[0:3], 0 offen offset:12
	v_mov_b32_e32 v4, s15
	s_waitcnt vmcnt(0)
	flat_store_dwordx4 v[7:8], v[0:3]
	s_clause 0x3
	buffer_load_dword v0, v4, s[0:3], 0 offen
	buffer_load_dword v1, v4, s[0:3], 0 offen offset:4
	buffer_load_dword v2, v4, s[0:3], 0 offen offset:8
	buffer_load_dword v3, v4, s[0:3], 0 offen offset:12
	v_mov_b32_e32 v4, s14
	s_waitcnt vmcnt(0)
	flat_store_dwordx4 v[33:34], v[0:3]
	s_clause 0x3
	buffer_load_dword v0, v4, s[0:3], 0 offen
	buffer_load_dword v1, v4, s[0:3], 0 offen offset:4
	buffer_load_dword v2, v4, s[0:3], 0 offen offset:8
	buffer_load_dword v3, v4, s[0:3], 0 offen offset:12
	v_mov_b32_e32 v4, s13
	s_waitcnt vmcnt(0)
	flat_store_dwordx4 v[51:52], v[0:3]
	s_clause 0x3
	buffer_load_dword v0, v4, s[0:3], 0 offen
	buffer_load_dword v1, v4, s[0:3], 0 offen offset:4
	buffer_load_dword v2, v4, s[0:3], 0 offen offset:8
	buffer_load_dword v3, v4, s[0:3], 0 offen offset:12
	v_mov_b32_e32 v4, s12
	s_waitcnt vmcnt(0)
	flat_store_dwordx4 v[61:62], v[0:3]
	s_clause 0x3
	buffer_load_dword v0, v4, s[0:3], 0 offen
	buffer_load_dword v1, v4, s[0:3], 0 offen offset:4
	buffer_load_dword v2, v4, s[0:3], 0 offen offset:8
	buffer_load_dword v3, v4, s[0:3], 0 offen offset:12
	v_mov_b32_e32 v4, s11
	s_waitcnt vmcnt(0)
	flat_store_dwordx4 v[63:64], v[0:3]
	s_clause 0x3
	buffer_load_dword v0, v4, s[0:3], 0 offen
	buffer_load_dword v1, v4, s[0:3], 0 offen offset:4
	buffer_load_dword v2, v4, s[0:3], 0 offen offset:8
	buffer_load_dword v3, v4, s[0:3], 0 offen offset:12
	v_mov_b32_e32 v4, s10
	s_waitcnt vmcnt(0)
	flat_store_dwordx4 v[65:66], v[0:3]
	s_clause 0x3
	buffer_load_dword v0, v4, s[0:3], 0 offen
	buffer_load_dword v1, v4, s[0:3], 0 offen offset:4
	buffer_load_dword v2, v4, s[0:3], 0 offen offset:8
	buffer_load_dword v3, v4, s[0:3], 0 offen offset:12
	v_mov_b32_e32 v4, s9
	s_waitcnt vmcnt(0)
	flat_store_dwordx4 v[67:68], v[0:3]
	s_clause 0x3
	buffer_load_dword v0, v4, s[0:3], 0 offen
	buffer_load_dword v1, v4, s[0:3], 0 offen offset:4
	buffer_load_dword v2, v4, s[0:3], 0 offen offset:8
	buffer_load_dword v3, v4, s[0:3], 0 offen offset:12
	v_mov_b32_e32 v4, s7
	s_waitcnt vmcnt(0)
	flat_store_dwordx4 v[69:70], v[0:3]
	s_clause 0x3
	buffer_load_dword v0, v4, s[0:3], 0 offen
	buffer_load_dword v1, v4, s[0:3], 0 offen offset:4
	buffer_load_dword v2, v4, s[0:3], 0 offen offset:8
	buffer_load_dword v3, v4, s[0:3], 0 offen offset:12
	s_waitcnt vmcnt(0)
	flat_store_dwordx4 v[71:72], v[0:3]
.LBB97_531:
	s_endpgm
	.section	.rodata,"a",@progbits
	.p2align	6, 0x0
	.amdhsa_kernel _ZN9rocsolver6v33100L18trti2_kernel_smallILi34E19rocblas_complex_numIdEPKPS3_EEv13rocblas_fill_17rocblas_diagonal_T1_iil
		.amdhsa_group_segment_fixed_size 1088
		.amdhsa_private_segment_fixed_size 560
		.amdhsa_kernarg_size 32
		.amdhsa_user_sgpr_count 6
		.amdhsa_user_sgpr_private_segment_buffer 1
		.amdhsa_user_sgpr_dispatch_ptr 0
		.amdhsa_user_sgpr_queue_ptr 0
		.amdhsa_user_sgpr_kernarg_segment_ptr 1
		.amdhsa_user_sgpr_dispatch_id 0
		.amdhsa_user_sgpr_flat_scratch_init 0
		.amdhsa_user_sgpr_private_segment_size 0
		.amdhsa_wavefront_size32 1
		.amdhsa_uses_dynamic_stack 0
		.amdhsa_system_sgpr_private_segment_wavefront_offset 1
		.amdhsa_system_sgpr_workgroup_id_x 1
		.amdhsa_system_sgpr_workgroup_id_y 0
		.amdhsa_system_sgpr_workgroup_id_z 0
		.amdhsa_system_sgpr_workgroup_info 0
		.amdhsa_system_vgpr_workitem_id 0
		.amdhsa_next_free_vgpr 90
		.amdhsa_next_free_sgpr 56
		.amdhsa_reserve_vcc 1
		.amdhsa_reserve_flat_scratch 0
		.amdhsa_float_round_mode_32 0
		.amdhsa_float_round_mode_16_64 0
		.amdhsa_float_denorm_mode_32 3
		.amdhsa_float_denorm_mode_16_64 3
		.amdhsa_dx10_clamp 1
		.amdhsa_ieee_mode 1
		.amdhsa_fp16_overflow 0
		.amdhsa_workgroup_processor_mode 1
		.amdhsa_memory_ordered 1
		.amdhsa_forward_progress 1
		.amdhsa_shared_vgpr_count 0
		.amdhsa_exception_fp_ieee_invalid_op 0
		.amdhsa_exception_fp_denorm_src 0
		.amdhsa_exception_fp_ieee_div_zero 0
		.amdhsa_exception_fp_ieee_overflow 0
		.amdhsa_exception_fp_ieee_underflow 0
		.amdhsa_exception_fp_ieee_inexact 0
		.amdhsa_exception_int_div_zero 0
	.end_amdhsa_kernel
	.section	.text._ZN9rocsolver6v33100L18trti2_kernel_smallILi34E19rocblas_complex_numIdEPKPS3_EEv13rocblas_fill_17rocblas_diagonal_T1_iil,"axG",@progbits,_ZN9rocsolver6v33100L18trti2_kernel_smallILi34E19rocblas_complex_numIdEPKPS3_EEv13rocblas_fill_17rocblas_diagonal_T1_iil,comdat
.Lfunc_end97:
	.size	_ZN9rocsolver6v33100L18trti2_kernel_smallILi34E19rocblas_complex_numIdEPKPS3_EEv13rocblas_fill_17rocblas_diagonal_T1_iil, .Lfunc_end97-_ZN9rocsolver6v33100L18trti2_kernel_smallILi34E19rocblas_complex_numIdEPKPS3_EEv13rocblas_fill_17rocblas_diagonal_T1_iil
                                        ; -- End function
	.set _ZN9rocsolver6v33100L18trti2_kernel_smallILi34E19rocblas_complex_numIdEPKPS3_EEv13rocblas_fill_17rocblas_diagonal_T1_iil.num_vgpr, 90
	.set _ZN9rocsolver6v33100L18trti2_kernel_smallILi34E19rocblas_complex_numIdEPKPS3_EEv13rocblas_fill_17rocblas_diagonal_T1_iil.num_agpr, 0
	.set _ZN9rocsolver6v33100L18trti2_kernel_smallILi34E19rocblas_complex_numIdEPKPS3_EEv13rocblas_fill_17rocblas_diagonal_T1_iil.numbered_sgpr, 56
	.set _ZN9rocsolver6v33100L18trti2_kernel_smallILi34E19rocblas_complex_numIdEPKPS3_EEv13rocblas_fill_17rocblas_diagonal_T1_iil.num_named_barrier, 0
	.set _ZN9rocsolver6v33100L18trti2_kernel_smallILi34E19rocblas_complex_numIdEPKPS3_EEv13rocblas_fill_17rocblas_diagonal_T1_iil.private_seg_size, 560
	.set _ZN9rocsolver6v33100L18trti2_kernel_smallILi34E19rocblas_complex_numIdEPKPS3_EEv13rocblas_fill_17rocblas_diagonal_T1_iil.uses_vcc, 1
	.set _ZN9rocsolver6v33100L18trti2_kernel_smallILi34E19rocblas_complex_numIdEPKPS3_EEv13rocblas_fill_17rocblas_diagonal_T1_iil.uses_flat_scratch, 0
	.set _ZN9rocsolver6v33100L18trti2_kernel_smallILi34E19rocblas_complex_numIdEPKPS3_EEv13rocblas_fill_17rocblas_diagonal_T1_iil.has_dyn_sized_stack, 0
	.set _ZN9rocsolver6v33100L18trti2_kernel_smallILi34E19rocblas_complex_numIdEPKPS3_EEv13rocblas_fill_17rocblas_diagonal_T1_iil.has_recursion, 0
	.set _ZN9rocsolver6v33100L18trti2_kernel_smallILi34E19rocblas_complex_numIdEPKPS3_EEv13rocblas_fill_17rocblas_diagonal_T1_iil.has_indirect_call, 0
	.section	.AMDGPU.csdata,"",@progbits
; Kernel info:
; codeLenInByte = 34396
; TotalNumSgprs: 58
; NumVgprs: 90
; ScratchSize: 560
; MemoryBound: 0
; FloatMode: 240
; IeeeMode: 1
; LDSByteSize: 1088 bytes/workgroup (compile time only)
; SGPRBlocks: 0
; VGPRBlocks: 11
; NumSGPRsForWavesPerEU: 58
; NumVGPRsForWavesPerEU: 90
; Occupancy: 10
; WaveLimiterHint : 1
; COMPUTE_PGM_RSRC2:SCRATCH_EN: 1
; COMPUTE_PGM_RSRC2:USER_SGPR: 6
; COMPUTE_PGM_RSRC2:TRAP_HANDLER: 0
; COMPUTE_PGM_RSRC2:TGID_X_EN: 1
; COMPUTE_PGM_RSRC2:TGID_Y_EN: 0
; COMPUTE_PGM_RSRC2:TGID_Z_EN: 0
; COMPUTE_PGM_RSRC2:TIDIG_COMP_CNT: 0
	.section	.text._ZN9rocsolver6v33100L18trti2_kernel_smallILi35E19rocblas_complex_numIdEPKPS3_EEv13rocblas_fill_17rocblas_diagonal_T1_iil,"axG",@progbits,_ZN9rocsolver6v33100L18trti2_kernel_smallILi35E19rocblas_complex_numIdEPKPS3_EEv13rocblas_fill_17rocblas_diagonal_T1_iil,comdat
	.globl	_ZN9rocsolver6v33100L18trti2_kernel_smallILi35E19rocblas_complex_numIdEPKPS3_EEv13rocblas_fill_17rocblas_diagonal_T1_iil ; -- Begin function _ZN9rocsolver6v33100L18trti2_kernel_smallILi35E19rocblas_complex_numIdEPKPS3_EEv13rocblas_fill_17rocblas_diagonal_T1_iil
	.p2align	8
	.type	_ZN9rocsolver6v33100L18trti2_kernel_smallILi35E19rocblas_complex_numIdEPKPS3_EEv13rocblas_fill_17rocblas_diagonal_T1_iil,@function
_ZN9rocsolver6v33100L18trti2_kernel_smallILi35E19rocblas_complex_numIdEPKPS3_EEv13rocblas_fill_17rocblas_diagonal_T1_iil: ; @_ZN9rocsolver6v33100L18trti2_kernel_smallILi35E19rocblas_complex_numIdEPKPS3_EEv13rocblas_fill_17rocblas_diagonal_T1_iil
; %bb.0:
	s_add_u32 s0, s0, s7
	s_addc_u32 s1, s1, 0
	s_mov_b32 s7, exec_lo
	v_cmpx_gt_u32_e32 35, v0
	s_cbranch_execz .LBB98_547
; %bb.1:
	s_clause 0x1
	s_load_dwordx2 s[12:13], s[4:5], 0x10
	s_load_dwordx4 s[8:11], s[4:5], 0x0
	s_ashr_i32 s7, s6, 31
	v_lshlrev_b32_e32 v81, 4, v0
	s_lshl_b64 s[4:5], s[6:7], 3
	s_movk_i32 s14, 0xd0
	s_movk_i32 s15, 0xe0
	;; [unrolled: 1-line block ×15, first 2 shown]
	s_waitcnt lgkmcnt(0)
	s_ashr_i32 s7, s12, 31
	s_add_u32 s4, s10, s4
	s_addc_u32 s5, s11, s5
	s_mov_b32 s6, s12
	s_load_dwordx2 s[4:5], s[4:5], 0x0
	s_lshl_b64 s[6:7], s[6:7], 4
	v_add3_u32 v7, s13, s13, v0
	s_movk_i32 s10, 0x90
	s_movk_i32 s11, 0xa0
	;; [unrolled: 1-line block ×4, first 2 shown]
	v_ashrrev_i32_e32 v8, 31, v7
	s_movk_i32 s51, 0x1d0
	s_movk_i32 s52, 0x1e0
	;; [unrolled: 1-line block ×4, first 2 shown]
	v_lshlrev_b64 v[8:9], 4, v[7:8]
	v_add_nc_u32_e32 v7, s13, v7
	s_movk_i32 s55, 0x210
	s_movk_i32 s56, 0x220
	s_waitcnt lgkmcnt(0)
	s_add_u32 s6, s4, s6
	s_addc_u32 s7, s5, s7
	v_add_co_u32 v5, s4, s6, v81
	v_add_co_ci_u32_e64 v6, null, s7, 0, s4
	s_mov_b32 s4, s13
	s_ashr_i32 s5, s13, 31
	s_lshl_b64 s[4:5], s[4:5], 4
	flat_load_dwordx4 v[1:4], v[5:6]
	v_add_co_u32 v59, vcc_lo, v5, s4
	v_add_co_ci_u32_e64 v60, null, s5, v6, vcc_lo
	v_add_co_u32 v57, vcc_lo, s6, v8
	v_add_co_ci_u32_e64 v58, null, s7, v9, vcc_lo
	v_ashrrev_i32_e32 v8, 31, v7
	s_cmpk_lg_i32 s9, 0x84
	s_movk_i32 s4, 0x50
	s_movk_i32 s5, 0x60
	s_cselect_b32 s42, -1, 0
	v_lshlrev_b64 v[8:9], 4, v[7:8]
	v_add_nc_u32_e32 v7, s13, v7
	s_cmpk_eq_i32 s9, 0x84
	s_waitcnt vmcnt(0) lgkmcnt(0)
	buffer_store_dword v4, off, s[0:3], 0 offset:12
	buffer_store_dword v3, off, s[0:3], 0 offset:8
	;; [unrolled: 1-line block ×3, first 2 shown]
	buffer_store_dword v1, off, s[0:3], 0
	flat_load_dwordx4 v[1:4], v[59:60]
	v_add_co_u32 v55, vcc_lo, s6, v8
	v_add_co_ci_u32_e64 v56, null, s7, v9, vcc_lo
	v_ashrrev_i32_e32 v8, 31, v7
	s_waitcnt vmcnt(0) lgkmcnt(0)
	buffer_store_dword v4, off, s[0:3], 0 offset:28
	buffer_store_dword v3, off, s[0:3], 0 offset:24
	;; [unrolled: 1-line block ×4, first 2 shown]
	flat_load_dwordx4 v[1:4], v[57:58]
	v_lshlrev_b64 v[8:9], 4, v[7:8]
	v_add_nc_u32_e32 v7, s13, v7
	s_waitcnt vmcnt(0) lgkmcnt(0)
	buffer_store_dword v4, off, s[0:3], 0 offset:44
	buffer_store_dword v3, off, s[0:3], 0 offset:40
	;; [unrolled: 1-line block ×4, first 2 shown]
	flat_load_dwordx4 v[1:4], v[55:56]
	v_add_co_u32 v53, vcc_lo, s6, v8
	v_add_co_ci_u32_e64 v54, null, s7, v9, vcc_lo
	v_ashrrev_i32_e32 v8, 31, v7
	s_waitcnt vmcnt(0) lgkmcnt(0)
	buffer_store_dword v4, off, s[0:3], 0 offset:60
	buffer_store_dword v3, off, s[0:3], 0 offset:56
	;; [unrolled: 1-line block ×4, first 2 shown]
	flat_load_dwordx4 v[1:4], v[53:54]
	v_lshlrev_b64 v[8:9], 4, v[7:8]
	v_add_nc_u32_e32 v7, s13, v7
	s_waitcnt vmcnt(0) lgkmcnt(0)
	buffer_store_dword v4, off, s[0:3], 0 offset:76
	buffer_store_dword v3, off, s[0:3], 0 offset:72
	;; [unrolled: 1-line block ×4, first 2 shown]
	v_add_co_u32 v49, vcc_lo, s6, v8
	v_add_co_ci_u32_e64 v50, null, s7, v9, vcc_lo
	v_ashrrev_i32_e32 v8, 31, v7
	flat_load_dwordx4 v[1:4], v[49:50]
	s_waitcnt vmcnt(0) lgkmcnt(0)
	buffer_store_dword v4, off, s[0:3], 0 offset:92
	buffer_store_dword v3, off, s[0:3], 0 offset:88
	buffer_store_dword v2, off, s[0:3], 0 offset:84
	buffer_store_dword v1, off, s[0:3], 0 offset:80
	v_lshlrev_b64 v[8:9], 4, v[7:8]
	v_add_nc_u32_e32 v7, s13, v7
	v_add_co_u32 v47, vcc_lo, s6, v8
	v_add_co_ci_u32_e64 v48, null, s7, v9, vcc_lo
	v_ashrrev_i32_e32 v8, 31, v7
	flat_load_dwordx4 v[1:4], v[47:48]
	s_waitcnt vmcnt(0) lgkmcnt(0)
	buffer_store_dword v4, off, s[0:3], 0 offset:108
	buffer_store_dword v3, off, s[0:3], 0 offset:104
	buffer_store_dword v2, off, s[0:3], 0 offset:100
	buffer_store_dword v1, off, s[0:3], 0 offset:96
	v_lshlrev_b64 v[8:9], 4, v[7:8]
	v_add_nc_u32_e32 v7, s13, v7
	;; [unrolled: 11-line block ×18, first 2 shown]
	v_add_co_u32 v11, vcc_lo, s6, v8
	v_add_co_ci_u32_e64 v12, null, s7, v9, vcc_lo
	v_ashrrev_i32_e32 v8, 31, v7
	v_add_nc_u32_e32 v33, s13, v7
	flat_load_dwordx4 v[1:4], v[11:12]
	s_waitcnt vmcnt(0) lgkmcnt(0)
	buffer_store_dword v4, off, s[0:3], 0 offset:380
	buffer_store_dword v3, off, s[0:3], 0 offset:376
	buffer_store_dword v2, off, s[0:3], 0 offset:372
	buffer_store_dword v1, off, s[0:3], 0 offset:368
	v_lshlrev_b64 v[9:10], 4, v[7:8]
	v_ashrrev_i32_e32 v34, 31, v33
	v_add_nc_u32_e32 v51, s13, v33
	v_add_co_u32 v9, vcc_lo, s6, v9
	v_add_co_ci_u32_e64 v10, null, s7, v10, vcc_lo
	v_lshlrev_b64 v[7:8], 4, v[33:34]
	v_ashrrev_i32_e32 v52, 31, v51
	v_add_nc_u32_e32 v61, s13, v51
	flat_load_dwordx4 v[1:4], v[9:10]
	s_waitcnt vmcnt(0) lgkmcnt(0)
	buffer_store_dword v4, off, s[0:3], 0 offset:396
	buffer_store_dword v3, off, s[0:3], 0 offset:392
	buffer_store_dword v2, off, s[0:3], 0 offset:388
	buffer_store_dword v1, off, s[0:3], 0 offset:384
	v_add_co_u32 v7, vcc_lo, s6, v7
	v_add_co_ci_u32_e64 v8, null, s7, v8, vcc_lo
	v_lshlrev_b64 v[33:34], 4, v[51:52]
	v_ashrrev_i32_e32 v62, 31, v61
	v_add_nc_u32_e32 v63, s13, v61
	flat_load_dwordx4 v[1:4], v[7:8]
	s_waitcnt vmcnt(0) lgkmcnt(0)
	buffer_store_dword v4, off, s[0:3], 0 offset:412
	buffer_store_dword v3, off, s[0:3], 0 offset:408
	buffer_store_dword v2, off, s[0:3], 0 offset:404
	buffer_store_dword v1, off, s[0:3], 0 offset:400
	;; [unrolled: 11-line block ×7, first 2 shown]
	v_add_co_u32 v67, vcc_lo, s6, v67
	v_add_co_ci_u32_e64 v68, null, s7, v68, vcc_lo
	v_lshlrev_b64 v[69:70], 4, v[71:72]
	v_ashrrev_i32_e32 v74, 31, v73
	flat_load_dwordx4 v[1:4], v[67:68]
	s_waitcnt vmcnt(0) lgkmcnt(0)
	buffer_store_dword v4, off, s[0:3], 0 offset:508
	buffer_store_dword v3, off, s[0:3], 0 offset:504
	;; [unrolled: 1-line block ×4, first 2 shown]
	v_add_co_u32 v69, vcc_lo, s6, v69
	v_add_co_ci_u32_e64 v70, null, s7, v70, vcc_lo
	v_lshlrev_b64 v[71:72], 4, v[73:74]
	v_add_nc_u32_e32 v73, s13, v73
	s_movk_i32 s13, 0xc0
	flat_load_dwordx4 v[1:4], v[69:70]
	s_waitcnt vmcnt(0) lgkmcnt(0)
	buffer_store_dword v4, off, s[0:3], 0 offset:524
	buffer_store_dword v3, off, s[0:3], 0 offset:520
	;; [unrolled: 1-line block ×4, first 2 shown]
	v_add_co_u32 v71, vcc_lo, s6, v71
	v_add_co_ci_u32_e64 v72, null, s7, v72, vcc_lo
	v_ashrrev_i32_e32 v74, 31, v73
	flat_load_dwordx4 v[1:4], v[71:72]
	s_waitcnt vmcnt(0) lgkmcnt(0)
	buffer_store_dword v4, off, s[0:3], 0 offset:540
	buffer_store_dword v3, off, s[0:3], 0 offset:536
	;; [unrolled: 1-line block ×4, first 2 shown]
	v_lshlrev_b64 v[73:74], 4, v[73:74]
	v_add_co_u32 v73, vcc_lo, s6, v73
	v_add_co_ci_u32_e64 v74, null, s7, v74, vcc_lo
	s_movk_i32 s6, 0x70
	s_movk_i32 s7, 0x80
	flat_load_dwordx4 v[1:4], v[73:74]
	s_waitcnt vmcnt(0) lgkmcnt(0)
	buffer_store_dword v4, off, s[0:3], 0 offset:556
	buffer_store_dword v3, off, s[0:3], 0 offset:552
	;; [unrolled: 1-line block ×4, first 2 shown]
	s_cbranch_scc1 .LBB98_7
; %bb.2:
	v_lshl_add_u32 v82, v0, 4, 0
                                        ; implicit-def: $vgpr77_vgpr78
                                        ; implicit-def: $vgpr3_vgpr4
	s_clause 0x3
	buffer_load_dword v75, v82, s[0:3], 0 offen
	buffer_load_dword v76, v82, s[0:3], 0 offen offset:4
	buffer_load_dword v79, v82, s[0:3], 0 offen offset:8
	;; [unrolled: 1-line block ×3, first 2 shown]
	s_waitcnt vmcnt(0)
	v_cmp_ngt_f64_e64 s9, |v[75:76]|, |v[79:80]|
	s_and_saveexec_b32 s22, s9
	s_xor_b32 s9, exec_lo, s22
	s_cbranch_execz .LBB98_4
; %bb.3:
	v_div_scale_f64 v[1:2], null, v[79:80], v[79:80], v[75:76]
	v_div_scale_f64 v[83:84], vcc_lo, v[75:76], v[79:80], v[75:76]
	v_rcp_f64_e32 v[3:4], v[1:2]
	v_fma_f64 v[77:78], -v[1:2], v[3:4], 1.0
	v_fma_f64 v[3:4], v[3:4], v[77:78], v[3:4]
	v_fma_f64 v[77:78], -v[1:2], v[3:4], 1.0
	v_fma_f64 v[3:4], v[3:4], v[77:78], v[3:4]
	v_mul_f64 v[77:78], v[83:84], v[3:4]
	v_fma_f64 v[1:2], -v[1:2], v[77:78], v[83:84]
	v_div_fmas_f64 v[1:2], v[1:2], v[3:4], v[77:78]
	v_div_fixup_f64 v[1:2], v[1:2], v[79:80], v[75:76]
	v_fma_f64 v[3:4], v[75:76], v[1:2], v[79:80]
	v_div_scale_f64 v[75:76], null, v[3:4], v[3:4], 1.0
	v_div_scale_f64 v[83:84], vcc_lo, 1.0, v[3:4], 1.0
	v_rcp_f64_e32 v[77:78], v[75:76]
	v_fma_f64 v[79:80], -v[75:76], v[77:78], 1.0
	v_fma_f64 v[77:78], v[77:78], v[79:80], v[77:78]
	v_fma_f64 v[79:80], -v[75:76], v[77:78], 1.0
	v_fma_f64 v[77:78], v[77:78], v[79:80], v[77:78]
	v_mul_f64 v[79:80], v[83:84], v[77:78]
	v_fma_f64 v[75:76], -v[75:76], v[79:80], v[83:84]
	v_div_fmas_f64 v[75:76], v[75:76], v[77:78], v[79:80]
                                        ; implicit-def: $vgpr79_vgpr80
	v_div_fixup_f64 v[3:4], v[75:76], v[3:4], 1.0
                                        ; implicit-def: $vgpr75_vgpr76
	v_mul_f64 v[77:78], v[1:2], v[3:4]
	v_xor_b32_e32 v4, 0x80000000, v4
	v_xor_b32_e32 v2, 0x80000000, v78
	v_mov_b32_e32 v1, v77
.LBB98_4:
	s_andn2_saveexec_b32 s9, s9
	s_cbranch_execz .LBB98_6
; %bb.5:
	v_div_scale_f64 v[1:2], null, v[75:76], v[75:76], v[79:80]
	v_div_scale_f64 v[83:84], vcc_lo, v[79:80], v[75:76], v[79:80]
	v_rcp_f64_e32 v[3:4], v[1:2]
	v_fma_f64 v[77:78], -v[1:2], v[3:4], 1.0
	v_fma_f64 v[3:4], v[3:4], v[77:78], v[3:4]
	v_fma_f64 v[77:78], -v[1:2], v[3:4], 1.0
	v_fma_f64 v[3:4], v[3:4], v[77:78], v[3:4]
	v_mul_f64 v[77:78], v[83:84], v[3:4]
	v_fma_f64 v[1:2], -v[1:2], v[77:78], v[83:84]
	v_div_fmas_f64 v[1:2], v[1:2], v[3:4], v[77:78]
	v_div_fixup_f64 v[1:2], v[1:2], v[75:76], v[79:80]
	v_fma_f64 v[3:4], v[79:80], v[1:2], v[75:76]
	v_div_scale_f64 v[75:76], null, v[3:4], v[3:4], 1.0
	v_rcp_f64_e32 v[77:78], v[75:76]
	v_fma_f64 v[79:80], -v[75:76], v[77:78], 1.0
	v_fma_f64 v[77:78], v[77:78], v[79:80], v[77:78]
	v_fma_f64 v[79:80], -v[75:76], v[77:78], 1.0
	v_fma_f64 v[77:78], v[77:78], v[79:80], v[77:78]
	v_div_scale_f64 v[79:80], vcc_lo, 1.0, v[3:4], 1.0
	v_mul_f64 v[83:84], v[79:80], v[77:78]
	v_fma_f64 v[75:76], -v[75:76], v[83:84], v[79:80]
	v_div_fmas_f64 v[75:76], v[75:76], v[77:78], v[83:84]
	v_div_fixup_f64 v[77:78], v[75:76], v[3:4], 1.0
	v_mul_f64 v[3:4], v[1:2], -v[77:78]
	v_xor_b32_e32 v2, 0x80000000, v78
	v_mov_b32_e32 v1, v77
.LBB98_6:
	s_or_b32 exec_lo, exec_lo, s9
	buffer_store_dword v4, v82, s[0:3], 0 offen offset:12
	v_xor_b32_e32 v4, 0x80000000, v4
	buffer_store_dword v78, v82, s[0:3], 0 offen offset:4
	buffer_store_dword v77, v82, s[0:3], 0 offen
	buffer_store_dword v3, v82, s[0:3], 0 offen offset:8
	s_branch .LBB98_8
.LBB98_7:
	v_mov_b32_e32 v1, 0
	v_mov_b32_e32 v3, 0
	;; [unrolled: 1-line block ×4, first 2 shown]
.LBB98_8:
	v_add_nc_u32_e32 v76, 0x230, v81
	v_mov_b32_e32 v75, v81
	s_mov_b32 s41, 16
	s_mov_b32 s40, 32
	;; [unrolled: 1-line block ×33, first 2 shown]
	s_cmpk_eq_i32 s8, 0x79
	ds_write_b128 v81, v[1:4]
	s_cbranch_scc1 .LBB98_276
; %bb.9:
	v_mov_b32_e32 v4, s7
	v_cmp_eq_u32_e64 s4, 34, v0
	s_clause 0x3
	buffer_load_dword v1, v4, s[0:3], 0 offen
	buffer_load_dword v2, v4, s[0:3], 0 offen offset:4
	buffer_load_dword v3, v4, s[0:3], 0 offen offset:8
	;; [unrolled: 1-line block ×3, first 2 shown]
	s_waitcnt vmcnt(0)
	ds_write_b128 v76, v[1:4]
	s_waitcnt lgkmcnt(0)
	s_waitcnt_vscnt null, 0x0
	s_barrier
	buffer_gl0_inv
	s_and_saveexec_b32 s5, s4
	s_cbranch_execz .LBB98_13
; %bb.10:
	ds_read_b128 v[1:4], v76
	s_andn2_b32 vcc_lo, exec_lo, s42
	s_cbranch_vccnz .LBB98_12
; %bb.11:
	s_clause 0x3
	buffer_load_dword v77, v75, s[0:3], 0 offen offset:8
	buffer_load_dword v78, v75, s[0:3], 0 offen offset:12
	buffer_load_dword v79, v75, s[0:3], 0 offen
	buffer_load_dword v80, v75, s[0:3], 0 offen offset:4
	s_waitcnt vmcnt(2) lgkmcnt(0)
	v_mul_f64 v[82:83], v[3:4], v[77:78]
	v_mul_f64 v[77:78], v[1:2], v[77:78]
	s_waitcnt vmcnt(0)
	v_fma_f64 v[1:2], v[1:2], v[79:80], -v[82:83]
	v_fma_f64 v[3:4], v[3:4], v[79:80], v[77:78]
.LBB98_12:
	v_mov_b32_e32 v77, 0
	ds_read_b128 v[77:80], v77 offset:528
	s_waitcnt lgkmcnt(0)
	v_mul_f64 v[82:83], v[3:4], v[79:80]
	v_mul_f64 v[79:80], v[1:2], v[79:80]
	v_fma_f64 v[1:2], v[1:2], v[77:78], -v[82:83]
	v_fma_f64 v[3:4], v[3:4], v[77:78], v[79:80]
	buffer_store_dword v2, off, s[0:3], 0 offset:532
	buffer_store_dword v1, off, s[0:3], 0 offset:528
	;; [unrolled: 1-line block ×4, first 2 shown]
.LBB98_13:
	s_or_b32 exec_lo, exec_lo, s5
	v_mov_b32_e32 v4, s9
	v_cmp_lt_u32_e64 s5, 32, v0
	s_clause 0x3
	buffer_load_dword v1, v4, s[0:3], 0 offen
	buffer_load_dword v2, v4, s[0:3], 0 offen offset:4
	buffer_load_dword v3, v4, s[0:3], 0 offen offset:8
	;; [unrolled: 1-line block ×3, first 2 shown]
	s_waitcnt vmcnt(0)
	ds_write_b128 v76, v[1:4]
	s_waitcnt lgkmcnt(0)
	s_waitcnt_vscnt null, 0x0
	s_barrier
	buffer_gl0_inv
	s_and_saveexec_b32 s8, s5
	s_cbranch_execz .LBB98_19
; %bb.14:
	ds_read_b128 v[1:4], v76
	s_andn2_b32 vcc_lo, exec_lo, s42
	s_cbranch_vccnz .LBB98_16
; %bb.15:
	s_clause 0x3
	buffer_load_dword v77, v75, s[0:3], 0 offen offset:8
	buffer_load_dword v78, v75, s[0:3], 0 offen offset:12
	buffer_load_dword v79, v75, s[0:3], 0 offen
	buffer_load_dword v80, v75, s[0:3], 0 offen offset:4
	s_waitcnt vmcnt(2) lgkmcnt(0)
	v_mul_f64 v[82:83], v[3:4], v[77:78]
	v_mul_f64 v[77:78], v[1:2], v[77:78]
	s_waitcnt vmcnt(0)
	v_fma_f64 v[1:2], v[1:2], v[79:80], -v[82:83]
	v_fma_f64 v[3:4], v[3:4], v[79:80], v[77:78]
.LBB98_16:
	s_and_saveexec_b32 s43, s4
	s_cbranch_execz .LBB98_18
; %bb.17:
	s_clause 0x3
	buffer_load_dword v82, off, s[0:3], 0 offset:536
	buffer_load_dword v83, off, s[0:3], 0 offset:540
	;; [unrolled: 1-line block ×4, first 2 shown]
	v_mov_b32_e32 v77, 0
	ds_read_b128 v[77:80], v77 offset:1088
	s_waitcnt vmcnt(2) lgkmcnt(0)
	v_mul_f64 v[86:87], v[77:78], v[82:83]
	v_mul_f64 v[82:83], v[79:80], v[82:83]
	s_waitcnt vmcnt(0)
	v_fma_f64 v[79:80], v[79:80], v[84:85], v[86:87]
	v_fma_f64 v[77:78], v[77:78], v[84:85], -v[82:83]
	v_add_f64 v[3:4], v[3:4], v[79:80]
	v_add_f64 v[1:2], v[1:2], v[77:78]
.LBB98_18:
	s_or_b32 exec_lo, exec_lo, s43
	v_mov_b32_e32 v77, 0
	ds_read_b128 v[77:80], v77 offset:512
	s_waitcnt lgkmcnt(0)
	v_mul_f64 v[82:83], v[3:4], v[79:80]
	v_mul_f64 v[79:80], v[1:2], v[79:80]
	v_fma_f64 v[1:2], v[1:2], v[77:78], -v[82:83]
	v_fma_f64 v[3:4], v[3:4], v[77:78], v[79:80]
	buffer_store_dword v2, off, s[0:3], 0 offset:516
	buffer_store_dword v1, off, s[0:3], 0 offset:512
	;; [unrolled: 1-line block ×4, first 2 shown]
.LBB98_19:
	s_or_b32 exec_lo, exec_lo, s8
	v_mov_b32_e32 v4, s10
	v_cmp_lt_u32_e64 s4, 31, v0
	s_clause 0x3
	buffer_load_dword v1, v4, s[0:3], 0 offen
	buffer_load_dword v2, v4, s[0:3], 0 offen offset:4
	buffer_load_dword v3, v4, s[0:3], 0 offen offset:8
	;; [unrolled: 1-line block ×3, first 2 shown]
	s_waitcnt vmcnt(0)
	ds_write_b128 v76, v[1:4]
	s_waitcnt lgkmcnt(0)
	s_waitcnt_vscnt null, 0x0
	s_barrier
	buffer_gl0_inv
	s_and_saveexec_b32 s8, s4
	s_cbranch_execz .LBB98_27
; %bb.20:
	ds_read_b128 v[1:4], v76
	s_andn2_b32 vcc_lo, exec_lo, s42
	s_cbranch_vccnz .LBB98_22
; %bb.21:
	s_clause 0x3
	buffer_load_dword v77, v75, s[0:3], 0 offen offset:8
	buffer_load_dword v78, v75, s[0:3], 0 offen offset:12
	buffer_load_dword v79, v75, s[0:3], 0 offen
	buffer_load_dword v80, v75, s[0:3], 0 offen offset:4
	s_waitcnt vmcnt(2) lgkmcnt(0)
	v_mul_f64 v[82:83], v[3:4], v[77:78]
	v_mul_f64 v[77:78], v[1:2], v[77:78]
	s_waitcnt vmcnt(0)
	v_fma_f64 v[1:2], v[1:2], v[79:80], -v[82:83]
	v_fma_f64 v[3:4], v[3:4], v[79:80], v[77:78]
.LBB98_22:
	s_and_saveexec_b32 s43, s5
	s_cbranch_execz .LBB98_26
; %bb.23:
	v_subrev_nc_u32_e32 v77, 32, v0
	s_movk_i32 s44, 0x430
	s_mov_b32 s5, 0
	s_mov_b32 s45, s9
	.p2align	6
.LBB98_24:                              ; =>This Inner Loop Header: Depth=1
	v_mov_b32_e32 v80, s45
	v_add_nc_u32_e32 v77, -1, v77
	s_add_i32 s45, s45, 16
	s_clause 0x3
	buffer_load_dword v78, v80, s[0:3], 0 offen offset:8
	buffer_load_dword v79, v80, s[0:3], 0 offen offset:12
	buffer_load_dword v86, v80, s[0:3], 0 offen
	buffer_load_dword v87, v80, s[0:3], 0 offen offset:4
	v_mov_b32_e32 v80, s44
	v_cmp_eq_u32_e32 vcc_lo, 0, v77
	s_add_i32 s44, s44, 16
	ds_read_b128 v[82:85], v80
	s_or_b32 s5, vcc_lo, s5
	s_waitcnt vmcnt(2) lgkmcnt(0)
	v_mul_f64 v[88:89], v[84:85], v[78:79]
	v_mul_f64 v[78:79], v[82:83], v[78:79]
	s_waitcnt vmcnt(0)
	v_fma_f64 v[82:83], v[82:83], v[86:87], -v[88:89]
	v_fma_f64 v[78:79], v[84:85], v[86:87], v[78:79]
	v_add_f64 v[1:2], v[1:2], v[82:83]
	v_add_f64 v[3:4], v[3:4], v[78:79]
	s_andn2_b32 exec_lo, exec_lo, s5
	s_cbranch_execnz .LBB98_24
; %bb.25:
	s_or_b32 exec_lo, exec_lo, s5
.LBB98_26:
	s_or_b32 exec_lo, exec_lo, s43
	v_mov_b32_e32 v77, 0
	ds_read_b128 v[77:80], v77 offset:496
	s_waitcnt lgkmcnt(0)
	v_mul_f64 v[82:83], v[3:4], v[79:80]
	v_mul_f64 v[79:80], v[1:2], v[79:80]
	v_fma_f64 v[1:2], v[1:2], v[77:78], -v[82:83]
	v_fma_f64 v[3:4], v[3:4], v[77:78], v[79:80]
	buffer_store_dword v2, off, s[0:3], 0 offset:500
	buffer_store_dword v1, off, s[0:3], 0 offset:496
	;; [unrolled: 1-line block ×4, first 2 shown]
.LBB98_27:
	s_or_b32 exec_lo, exec_lo, s8
	v_mov_b32_e32 v4, s11
	v_cmp_lt_u32_e64 s5, 30, v0
	s_clause 0x3
	buffer_load_dword v1, v4, s[0:3], 0 offen
	buffer_load_dword v2, v4, s[0:3], 0 offen offset:4
	buffer_load_dword v3, v4, s[0:3], 0 offen offset:8
	;; [unrolled: 1-line block ×3, first 2 shown]
	s_waitcnt vmcnt(0)
	ds_write_b128 v76, v[1:4]
	s_waitcnt lgkmcnt(0)
	s_waitcnt_vscnt null, 0x0
	s_barrier
	buffer_gl0_inv
	s_and_saveexec_b32 s8, s5
	s_cbranch_execz .LBB98_35
; %bb.28:
	ds_read_b128 v[1:4], v76
	s_andn2_b32 vcc_lo, exec_lo, s42
	s_cbranch_vccnz .LBB98_30
; %bb.29:
	s_clause 0x3
	buffer_load_dword v77, v75, s[0:3], 0 offen offset:8
	buffer_load_dword v78, v75, s[0:3], 0 offen offset:12
	buffer_load_dword v79, v75, s[0:3], 0 offen
	buffer_load_dword v80, v75, s[0:3], 0 offen offset:4
	s_waitcnt vmcnt(2) lgkmcnt(0)
	v_mul_f64 v[82:83], v[3:4], v[77:78]
	v_mul_f64 v[77:78], v[1:2], v[77:78]
	s_waitcnt vmcnt(0)
	v_fma_f64 v[1:2], v[1:2], v[79:80], -v[82:83]
	v_fma_f64 v[3:4], v[3:4], v[79:80], v[77:78]
.LBB98_30:
	s_and_saveexec_b32 s43, s4
	s_cbranch_execz .LBB98_34
; %bb.31:
	v_subrev_nc_u32_e32 v77, 31, v0
	s_movk_i32 s44, 0x420
	s_mov_b32 s4, 0
	s_mov_b32 s45, s10
	.p2align	6
.LBB98_32:                              ; =>This Inner Loop Header: Depth=1
	v_mov_b32_e32 v80, s45
	v_add_nc_u32_e32 v77, -1, v77
	s_add_i32 s45, s45, 16
	s_clause 0x3
	buffer_load_dword v78, v80, s[0:3], 0 offen offset:8
	buffer_load_dword v79, v80, s[0:3], 0 offen offset:12
	buffer_load_dword v86, v80, s[0:3], 0 offen
	buffer_load_dword v87, v80, s[0:3], 0 offen offset:4
	v_mov_b32_e32 v80, s44
	v_cmp_eq_u32_e32 vcc_lo, 0, v77
	s_add_i32 s44, s44, 16
	ds_read_b128 v[82:85], v80
	s_or_b32 s4, vcc_lo, s4
	s_waitcnt vmcnt(2) lgkmcnt(0)
	v_mul_f64 v[88:89], v[84:85], v[78:79]
	v_mul_f64 v[78:79], v[82:83], v[78:79]
	s_waitcnt vmcnt(0)
	v_fma_f64 v[82:83], v[82:83], v[86:87], -v[88:89]
	v_fma_f64 v[78:79], v[84:85], v[86:87], v[78:79]
	v_add_f64 v[1:2], v[1:2], v[82:83]
	v_add_f64 v[3:4], v[3:4], v[78:79]
	s_andn2_b32 exec_lo, exec_lo, s4
	s_cbranch_execnz .LBB98_32
; %bb.33:
	s_or_b32 exec_lo, exec_lo, s4
.LBB98_34:
	s_or_b32 exec_lo, exec_lo, s43
	v_mov_b32_e32 v77, 0
	ds_read_b128 v[77:80], v77 offset:480
	s_waitcnt lgkmcnt(0)
	v_mul_f64 v[82:83], v[3:4], v[79:80]
	v_mul_f64 v[79:80], v[1:2], v[79:80]
	v_fma_f64 v[1:2], v[1:2], v[77:78], -v[82:83]
	v_fma_f64 v[3:4], v[3:4], v[77:78], v[79:80]
	buffer_store_dword v2, off, s[0:3], 0 offset:484
	buffer_store_dword v1, off, s[0:3], 0 offset:480
	;; [unrolled: 1-line block ×4, first 2 shown]
.LBB98_35:
	s_or_b32 exec_lo, exec_lo, s8
	v_mov_b32_e32 v4, s12
	v_cmp_lt_u32_e64 s4, 29, v0
	s_clause 0x3
	buffer_load_dword v1, v4, s[0:3], 0 offen
	buffer_load_dword v2, v4, s[0:3], 0 offen offset:4
	buffer_load_dword v3, v4, s[0:3], 0 offen offset:8
	;; [unrolled: 1-line block ×3, first 2 shown]
	s_waitcnt vmcnt(0)
	ds_write_b128 v76, v[1:4]
	s_waitcnt lgkmcnt(0)
	s_waitcnt_vscnt null, 0x0
	s_barrier
	buffer_gl0_inv
	s_and_saveexec_b32 s8, s4
	s_cbranch_execz .LBB98_43
; %bb.36:
	ds_read_b128 v[1:4], v76
	s_andn2_b32 vcc_lo, exec_lo, s42
	s_cbranch_vccnz .LBB98_38
; %bb.37:
	s_clause 0x3
	buffer_load_dword v77, v75, s[0:3], 0 offen offset:8
	buffer_load_dword v78, v75, s[0:3], 0 offen offset:12
	buffer_load_dword v79, v75, s[0:3], 0 offen
	buffer_load_dword v80, v75, s[0:3], 0 offen offset:4
	s_waitcnt vmcnt(2) lgkmcnt(0)
	v_mul_f64 v[82:83], v[3:4], v[77:78]
	v_mul_f64 v[77:78], v[1:2], v[77:78]
	s_waitcnt vmcnt(0)
	v_fma_f64 v[1:2], v[1:2], v[79:80], -v[82:83]
	v_fma_f64 v[3:4], v[3:4], v[79:80], v[77:78]
.LBB98_38:
	s_and_saveexec_b32 s43, s5
	s_cbranch_execz .LBB98_42
; %bb.39:
	v_subrev_nc_u32_e32 v77, 30, v0
	s_movk_i32 s44, 0x410
	s_mov_b32 s5, 0
	s_mov_b32 s45, s11
	.p2align	6
.LBB98_40:                              ; =>This Inner Loop Header: Depth=1
	v_mov_b32_e32 v80, s45
	v_add_nc_u32_e32 v77, -1, v77
	s_add_i32 s45, s45, 16
	s_clause 0x3
	buffer_load_dword v78, v80, s[0:3], 0 offen offset:8
	buffer_load_dword v79, v80, s[0:3], 0 offen offset:12
	buffer_load_dword v86, v80, s[0:3], 0 offen
	buffer_load_dword v87, v80, s[0:3], 0 offen offset:4
	v_mov_b32_e32 v80, s44
	v_cmp_eq_u32_e32 vcc_lo, 0, v77
	s_add_i32 s44, s44, 16
	ds_read_b128 v[82:85], v80
	s_or_b32 s5, vcc_lo, s5
	s_waitcnt vmcnt(2) lgkmcnt(0)
	v_mul_f64 v[88:89], v[84:85], v[78:79]
	v_mul_f64 v[78:79], v[82:83], v[78:79]
	s_waitcnt vmcnt(0)
	v_fma_f64 v[82:83], v[82:83], v[86:87], -v[88:89]
	v_fma_f64 v[78:79], v[84:85], v[86:87], v[78:79]
	v_add_f64 v[1:2], v[1:2], v[82:83]
	v_add_f64 v[3:4], v[3:4], v[78:79]
	s_andn2_b32 exec_lo, exec_lo, s5
	s_cbranch_execnz .LBB98_40
; %bb.41:
	s_or_b32 exec_lo, exec_lo, s5
.LBB98_42:
	s_or_b32 exec_lo, exec_lo, s43
	v_mov_b32_e32 v77, 0
	ds_read_b128 v[77:80], v77 offset:464
	s_waitcnt lgkmcnt(0)
	v_mul_f64 v[82:83], v[3:4], v[79:80]
	v_mul_f64 v[79:80], v[1:2], v[79:80]
	v_fma_f64 v[1:2], v[1:2], v[77:78], -v[82:83]
	v_fma_f64 v[3:4], v[3:4], v[77:78], v[79:80]
	buffer_store_dword v2, off, s[0:3], 0 offset:468
	buffer_store_dword v1, off, s[0:3], 0 offset:464
	buffer_store_dword v4, off, s[0:3], 0 offset:476
	buffer_store_dword v3, off, s[0:3], 0 offset:472
.LBB98_43:
	s_or_b32 exec_lo, exec_lo, s8
	v_mov_b32_e32 v4, s13
	v_cmp_lt_u32_e64 s5, 28, v0
	s_clause 0x3
	buffer_load_dword v1, v4, s[0:3], 0 offen
	buffer_load_dword v2, v4, s[0:3], 0 offen offset:4
	buffer_load_dword v3, v4, s[0:3], 0 offen offset:8
	;; [unrolled: 1-line block ×3, first 2 shown]
	s_waitcnt vmcnt(0)
	ds_write_b128 v76, v[1:4]
	s_waitcnt lgkmcnt(0)
	s_waitcnt_vscnt null, 0x0
	s_barrier
	buffer_gl0_inv
	s_and_saveexec_b32 s8, s5
	s_cbranch_execz .LBB98_51
; %bb.44:
	ds_read_b128 v[1:4], v76
	s_andn2_b32 vcc_lo, exec_lo, s42
	s_cbranch_vccnz .LBB98_46
; %bb.45:
	s_clause 0x3
	buffer_load_dword v77, v75, s[0:3], 0 offen offset:8
	buffer_load_dword v78, v75, s[0:3], 0 offen offset:12
	buffer_load_dword v79, v75, s[0:3], 0 offen
	buffer_load_dword v80, v75, s[0:3], 0 offen offset:4
	s_waitcnt vmcnt(2) lgkmcnt(0)
	v_mul_f64 v[82:83], v[3:4], v[77:78]
	v_mul_f64 v[77:78], v[1:2], v[77:78]
	s_waitcnt vmcnt(0)
	v_fma_f64 v[1:2], v[1:2], v[79:80], -v[82:83]
	v_fma_f64 v[3:4], v[3:4], v[79:80], v[77:78]
.LBB98_46:
	s_and_saveexec_b32 s43, s4
	s_cbranch_execz .LBB98_50
; %bb.47:
	v_subrev_nc_u32_e32 v77, 29, v0
	s_movk_i32 s44, 0x400
	s_mov_b32 s4, 0
	s_mov_b32 s45, s12
	.p2align	6
.LBB98_48:                              ; =>This Inner Loop Header: Depth=1
	v_mov_b32_e32 v80, s45
	v_add_nc_u32_e32 v77, -1, v77
	s_add_i32 s45, s45, 16
	s_clause 0x3
	buffer_load_dword v78, v80, s[0:3], 0 offen offset:8
	buffer_load_dword v79, v80, s[0:3], 0 offen offset:12
	buffer_load_dword v86, v80, s[0:3], 0 offen
	buffer_load_dword v87, v80, s[0:3], 0 offen offset:4
	v_mov_b32_e32 v80, s44
	v_cmp_eq_u32_e32 vcc_lo, 0, v77
	s_add_i32 s44, s44, 16
	ds_read_b128 v[82:85], v80
	s_or_b32 s4, vcc_lo, s4
	s_waitcnt vmcnt(2) lgkmcnt(0)
	v_mul_f64 v[88:89], v[84:85], v[78:79]
	v_mul_f64 v[78:79], v[82:83], v[78:79]
	s_waitcnt vmcnt(0)
	v_fma_f64 v[82:83], v[82:83], v[86:87], -v[88:89]
	v_fma_f64 v[78:79], v[84:85], v[86:87], v[78:79]
	v_add_f64 v[1:2], v[1:2], v[82:83]
	v_add_f64 v[3:4], v[3:4], v[78:79]
	s_andn2_b32 exec_lo, exec_lo, s4
	s_cbranch_execnz .LBB98_48
; %bb.49:
	s_or_b32 exec_lo, exec_lo, s4
.LBB98_50:
	s_or_b32 exec_lo, exec_lo, s43
	v_mov_b32_e32 v77, 0
	ds_read_b128 v[77:80], v77 offset:448
	s_waitcnt lgkmcnt(0)
	v_mul_f64 v[82:83], v[3:4], v[79:80]
	v_mul_f64 v[79:80], v[1:2], v[79:80]
	v_fma_f64 v[1:2], v[1:2], v[77:78], -v[82:83]
	v_fma_f64 v[3:4], v[3:4], v[77:78], v[79:80]
	buffer_store_dword v2, off, s[0:3], 0 offset:452
	buffer_store_dword v1, off, s[0:3], 0 offset:448
	;; [unrolled: 1-line block ×4, first 2 shown]
.LBB98_51:
	s_or_b32 exec_lo, exec_lo, s8
	v_mov_b32_e32 v4, s14
	v_cmp_lt_u32_e64 s4, 27, v0
	s_clause 0x3
	buffer_load_dword v1, v4, s[0:3], 0 offen
	buffer_load_dword v2, v4, s[0:3], 0 offen offset:4
	buffer_load_dword v3, v4, s[0:3], 0 offen offset:8
	;; [unrolled: 1-line block ×3, first 2 shown]
	s_waitcnt vmcnt(0)
	ds_write_b128 v76, v[1:4]
	s_waitcnt lgkmcnt(0)
	s_waitcnt_vscnt null, 0x0
	s_barrier
	buffer_gl0_inv
	s_and_saveexec_b32 s8, s4
	s_cbranch_execz .LBB98_59
; %bb.52:
	ds_read_b128 v[1:4], v76
	s_andn2_b32 vcc_lo, exec_lo, s42
	s_cbranch_vccnz .LBB98_54
; %bb.53:
	s_clause 0x3
	buffer_load_dword v77, v75, s[0:3], 0 offen offset:8
	buffer_load_dword v78, v75, s[0:3], 0 offen offset:12
	buffer_load_dword v79, v75, s[0:3], 0 offen
	buffer_load_dword v80, v75, s[0:3], 0 offen offset:4
	s_waitcnt vmcnt(2) lgkmcnt(0)
	v_mul_f64 v[82:83], v[3:4], v[77:78]
	v_mul_f64 v[77:78], v[1:2], v[77:78]
	s_waitcnt vmcnt(0)
	v_fma_f64 v[1:2], v[1:2], v[79:80], -v[82:83]
	v_fma_f64 v[3:4], v[3:4], v[79:80], v[77:78]
.LBB98_54:
	s_and_saveexec_b32 s43, s5
	s_cbranch_execz .LBB98_58
; %bb.55:
	v_subrev_nc_u32_e32 v77, 28, v0
	s_movk_i32 s44, 0x3f0
	s_mov_b32 s5, 0
	s_mov_b32 s45, s13
	.p2align	6
.LBB98_56:                              ; =>This Inner Loop Header: Depth=1
	v_mov_b32_e32 v80, s45
	v_add_nc_u32_e32 v77, -1, v77
	s_add_i32 s45, s45, 16
	s_clause 0x3
	buffer_load_dword v78, v80, s[0:3], 0 offen offset:8
	buffer_load_dword v79, v80, s[0:3], 0 offen offset:12
	buffer_load_dword v86, v80, s[0:3], 0 offen
	buffer_load_dword v87, v80, s[0:3], 0 offen offset:4
	v_mov_b32_e32 v80, s44
	v_cmp_eq_u32_e32 vcc_lo, 0, v77
	s_add_i32 s44, s44, 16
	ds_read_b128 v[82:85], v80
	s_or_b32 s5, vcc_lo, s5
	s_waitcnt vmcnt(2) lgkmcnt(0)
	v_mul_f64 v[88:89], v[84:85], v[78:79]
	v_mul_f64 v[78:79], v[82:83], v[78:79]
	s_waitcnt vmcnt(0)
	v_fma_f64 v[82:83], v[82:83], v[86:87], -v[88:89]
	v_fma_f64 v[78:79], v[84:85], v[86:87], v[78:79]
	v_add_f64 v[1:2], v[1:2], v[82:83]
	v_add_f64 v[3:4], v[3:4], v[78:79]
	s_andn2_b32 exec_lo, exec_lo, s5
	s_cbranch_execnz .LBB98_56
; %bb.57:
	s_or_b32 exec_lo, exec_lo, s5
.LBB98_58:
	s_or_b32 exec_lo, exec_lo, s43
	v_mov_b32_e32 v77, 0
	ds_read_b128 v[77:80], v77 offset:432
	s_waitcnt lgkmcnt(0)
	v_mul_f64 v[82:83], v[3:4], v[79:80]
	v_mul_f64 v[79:80], v[1:2], v[79:80]
	v_fma_f64 v[1:2], v[1:2], v[77:78], -v[82:83]
	v_fma_f64 v[3:4], v[3:4], v[77:78], v[79:80]
	buffer_store_dword v2, off, s[0:3], 0 offset:436
	buffer_store_dword v1, off, s[0:3], 0 offset:432
	;; [unrolled: 1-line block ×4, first 2 shown]
.LBB98_59:
	s_or_b32 exec_lo, exec_lo, s8
	v_mov_b32_e32 v4, s15
	v_cmp_lt_u32_e64 s5, 26, v0
	s_clause 0x3
	buffer_load_dword v1, v4, s[0:3], 0 offen
	buffer_load_dword v2, v4, s[0:3], 0 offen offset:4
	buffer_load_dword v3, v4, s[0:3], 0 offen offset:8
	;; [unrolled: 1-line block ×3, first 2 shown]
	s_waitcnt vmcnt(0)
	ds_write_b128 v76, v[1:4]
	s_waitcnt lgkmcnt(0)
	s_waitcnt_vscnt null, 0x0
	s_barrier
	buffer_gl0_inv
	s_and_saveexec_b32 s8, s5
	s_cbranch_execz .LBB98_67
; %bb.60:
	ds_read_b128 v[1:4], v76
	s_andn2_b32 vcc_lo, exec_lo, s42
	s_cbranch_vccnz .LBB98_62
; %bb.61:
	s_clause 0x3
	buffer_load_dword v77, v75, s[0:3], 0 offen offset:8
	buffer_load_dword v78, v75, s[0:3], 0 offen offset:12
	buffer_load_dword v79, v75, s[0:3], 0 offen
	buffer_load_dword v80, v75, s[0:3], 0 offen offset:4
	s_waitcnt vmcnt(2) lgkmcnt(0)
	v_mul_f64 v[82:83], v[3:4], v[77:78]
	v_mul_f64 v[77:78], v[1:2], v[77:78]
	s_waitcnt vmcnt(0)
	v_fma_f64 v[1:2], v[1:2], v[79:80], -v[82:83]
	v_fma_f64 v[3:4], v[3:4], v[79:80], v[77:78]
.LBB98_62:
	s_and_saveexec_b32 s43, s4
	s_cbranch_execz .LBB98_66
; %bb.63:
	v_subrev_nc_u32_e32 v77, 27, v0
	s_movk_i32 s44, 0x3e0
	s_mov_b32 s4, 0
	s_mov_b32 s45, s14
	.p2align	6
.LBB98_64:                              ; =>This Inner Loop Header: Depth=1
	v_mov_b32_e32 v80, s45
	v_add_nc_u32_e32 v77, -1, v77
	s_add_i32 s45, s45, 16
	s_clause 0x3
	buffer_load_dword v78, v80, s[0:3], 0 offen offset:8
	buffer_load_dword v79, v80, s[0:3], 0 offen offset:12
	buffer_load_dword v86, v80, s[0:3], 0 offen
	buffer_load_dword v87, v80, s[0:3], 0 offen offset:4
	v_mov_b32_e32 v80, s44
	v_cmp_eq_u32_e32 vcc_lo, 0, v77
	s_add_i32 s44, s44, 16
	ds_read_b128 v[82:85], v80
	s_or_b32 s4, vcc_lo, s4
	s_waitcnt vmcnt(2) lgkmcnt(0)
	v_mul_f64 v[88:89], v[84:85], v[78:79]
	v_mul_f64 v[78:79], v[82:83], v[78:79]
	s_waitcnt vmcnt(0)
	v_fma_f64 v[82:83], v[82:83], v[86:87], -v[88:89]
	v_fma_f64 v[78:79], v[84:85], v[86:87], v[78:79]
	v_add_f64 v[1:2], v[1:2], v[82:83]
	v_add_f64 v[3:4], v[3:4], v[78:79]
	s_andn2_b32 exec_lo, exec_lo, s4
	s_cbranch_execnz .LBB98_64
; %bb.65:
	s_or_b32 exec_lo, exec_lo, s4
.LBB98_66:
	s_or_b32 exec_lo, exec_lo, s43
	v_mov_b32_e32 v77, 0
	ds_read_b128 v[77:80], v77 offset:416
	s_waitcnt lgkmcnt(0)
	v_mul_f64 v[82:83], v[3:4], v[79:80]
	v_mul_f64 v[79:80], v[1:2], v[79:80]
	v_fma_f64 v[1:2], v[1:2], v[77:78], -v[82:83]
	v_fma_f64 v[3:4], v[3:4], v[77:78], v[79:80]
	buffer_store_dword v2, off, s[0:3], 0 offset:420
	buffer_store_dword v1, off, s[0:3], 0 offset:416
	;; [unrolled: 1-line block ×4, first 2 shown]
.LBB98_67:
	s_or_b32 exec_lo, exec_lo, s8
	v_mov_b32_e32 v4, s16
	v_cmp_lt_u32_e64 s4, 25, v0
	s_clause 0x3
	buffer_load_dword v1, v4, s[0:3], 0 offen
	buffer_load_dword v2, v4, s[0:3], 0 offen offset:4
	buffer_load_dword v3, v4, s[0:3], 0 offen offset:8
	;; [unrolled: 1-line block ×3, first 2 shown]
	s_waitcnt vmcnt(0)
	ds_write_b128 v76, v[1:4]
	s_waitcnt lgkmcnt(0)
	s_waitcnt_vscnt null, 0x0
	s_barrier
	buffer_gl0_inv
	s_and_saveexec_b32 s8, s4
	s_cbranch_execz .LBB98_75
; %bb.68:
	ds_read_b128 v[1:4], v76
	s_andn2_b32 vcc_lo, exec_lo, s42
	s_cbranch_vccnz .LBB98_70
; %bb.69:
	s_clause 0x3
	buffer_load_dword v77, v75, s[0:3], 0 offen offset:8
	buffer_load_dword v78, v75, s[0:3], 0 offen offset:12
	buffer_load_dword v79, v75, s[0:3], 0 offen
	buffer_load_dword v80, v75, s[0:3], 0 offen offset:4
	s_waitcnt vmcnt(2) lgkmcnt(0)
	v_mul_f64 v[82:83], v[3:4], v[77:78]
	v_mul_f64 v[77:78], v[1:2], v[77:78]
	s_waitcnt vmcnt(0)
	v_fma_f64 v[1:2], v[1:2], v[79:80], -v[82:83]
	v_fma_f64 v[3:4], v[3:4], v[79:80], v[77:78]
.LBB98_70:
	s_and_saveexec_b32 s43, s5
	s_cbranch_execz .LBB98_74
; %bb.71:
	v_subrev_nc_u32_e32 v77, 26, v0
	s_movk_i32 s44, 0x3d0
	s_mov_b32 s5, 0
	s_mov_b32 s45, s15
	.p2align	6
.LBB98_72:                              ; =>This Inner Loop Header: Depth=1
	v_mov_b32_e32 v80, s45
	v_add_nc_u32_e32 v77, -1, v77
	s_add_i32 s45, s45, 16
	s_clause 0x3
	buffer_load_dword v78, v80, s[0:3], 0 offen offset:8
	buffer_load_dword v79, v80, s[0:3], 0 offen offset:12
	buffer_load_dword v86, v80, s[0:3], 0 offen
	buffer_load_dword v87, v80, s[0:3], 0 offen offset:4
	v_mov_b32_e32 v80, s44
	v_cmp_eq_u32_e32 vcc_lo, 0, v77
	s_add_i32 s44, s44, 16
	ds_read_b128 v[82:85], v80
	s_or_b32 s5, vcc_lo, s5
	s_waitcnt vmcnt(2) lgkmcnt(0)
	v_mul_f64 v[88:89], v[84:85], v[78:79]
	v_mul_f64 v[78:79], v[82:83], v[78:79]
	s_waitcnt vmcnt(0)
	v_fma_f64 v[82:83], v[82:83], v[86:87], -v[88:89]
	v_fma_f64 v[78:79], v[84:85], v[86:87], v[78:79]
	v_add_f64 v[1:2], v[1:2], v[82:83]
	v_add_f64 v[3:4], v[3:4], v[78:79]
	s_andn2_b32 exec_lo, exec_lo, s5
	s_cbranch_execnz .LBB98_72
; %bb.73:
	s_or_b32 exec_lo, exec_lo, s5
.LBB98_74:
	s_or_b32 exec_lo, exec_lo, s43
	v_mov_b32_e32 v77, 0
	ds_read_b128 v[77:80], v77 offset:400
	s_waitcnt lgkmcnt(0)
	v_mul_f64 v[82:83], v[3:4], v[79:80]
	v_mul_f64 v[79:80], v[1:2], v[79:80]
	v_fma_f64 v[1:2], v[1:2], v[77:78], -v[82:83]
	v_fma_f64 v[3:4], v[3:4], v[77:78], v[79:80]
	buffer_store_dword v2, off, s[0:3], 0 offset:404
	buffer_store_dword v1, off, s[0:3], 0 offset:400
	buffer_store_dword v4, off, s[0:3], 0 offset:412
	buffer_store_dword v3, off, s[0:3], 0 offset:408
.LBB98_75:
	s_or_b32 exec_lo, exec_lo, s8
	v_mov_b32_e32 v4, s17
	v_cmp_lt_u32_e64 s5, 24, v0
	s_clause 0x3
	buffer_load_dword v1, v4, s[0:3], 0 offen
	buffer_load_dword v2, v4, s[0:3], 0 offen offset:4
	buffer_load_dword v3, v4, s[0:3], 0 offen offset:8
	;; [unrolled: 1-line block ×3, first 2 shown]
	s_waitcnt vmcnt(0)
	ds_write_b128 v76, v[1:4]
	s_waitcnt lgkmcnt(0)
	s_waitcnt_vscnt null, 0x0
	s_barrier
	buffer_gl0_inv
	s_and_saveexec_b32 s8, s5
	s_cbranch_execz .LBB98_83
; %bb.76:
	ds_read_b128 v[1:4], v76
	s_andn2_b32 vcc_lo, exec_lo, s42
	s_cbranch_vccnz .LBB98_78
; %bb.77:
	s_clause 0x3
	buffer_load_dword v77, v75, s[0:3], 0 offen offset:8
	buffer_load_dword v78, v75, s[0:3], 0 offen offset:12
	buffer_load_dword v79, v75, s[0:3], 0 offen
	buffer_load_dword v80, v75, s[0:3], 0 offen offset:4
	s_waitcnt vmcnt(2) lgkmcnt(0)
	v_mul_f64 v[82:83], v[3:4], v[77:78]
	v_mul_f64 v[77:78], v[1:2], v[77:78]
	s_waitcnt vmcnt(0)
	v_fma_f64 v[1:2], v[1:2], v[79:80], -v[82:83]
	v_fma_f64 v[3:4], v[3:4], v[79:80], v[77:78]
.LBB98_78:
	s_and_saveexec_b32 s43, s4
	s_cbranch_execz .LBB98_82
; %bb.79:
	v_subrev_nc_u32_e32 v77, 25, v0
	s_movk_i32 s44, 0x3c0
	s_mov_b32 s4, 0
	s_mov_b32 s45, s16
	.p2align	6
.LBB98_80:                              ; =>This Inner Loop Header: Depth=1
	v_mov_b32_e32 v80, s45
	v_add_nc_u32_e32 v77, -1, v77
	s_add_i32 s45, s45, 16
	s_clause 0x3
	buffer_load_dword v78, v80, s[0:3], 0 offen offset:8
	buffer_load_dword v79, v80, s[0:3], 0 offen offset:12
	buffer_load_dword v86, v80, s[0:3], 0 offen
	buffer_load_dword v87, v80, s[0:3], 0 offen offset:4
	v_mov_b32_e32 v80, s44
	v_cmp_eq_u32_e32 vcc_lo, 0, v77
	s_add_i32 s44, s44, 16
	ds_read_b128 v[82:85], v80
	s_or_b32 s4, vcc_lo, s4
	s_waitcnt vmcnt(2) lgkmcnt(0)
	v_mul_f64 v[88:89], v[84:85], v[78:79]
	v_mul_f64 v[78:79], v[82:83], v[78:79]
	s_waitcnt vmcnt(0)
	v_fma_f64 v[82:83], v[82:83], v[86:87], -v[88:89]
	v_fma_f64 v[78:79], v[84:85], v[86:87], v[78:79]
	v_add_f64 v[1:2], v[1:2], v[82:83]
	v_add_f64 v[3:4], v[3:4], v[78:79]
	s_andn2_b32 exec_lo, exec_lo, s4
	s_cbranch_execnz .LBB98_80
; %bb.81:
	s_or_b32 exec_lo, exec_lo, s4
.LBB98_82:
	s_or_b32 exec_lo, exec_lo, s43
	v_mov_b32_e32 v77, 0
	ds_read_b128 v[77:80], v77 offset:384
	s_waitcnt lgkmcnt(0)
	v_mul_f64 v[82:83], v[3:4], v[79:80]
	v_mul_f64 v[79:80], v[1:2], v[79:80]
	v_fma_f64 v[1:2], v[1:2], v[77:78], -v[82:83]
	v_fma_f64 v[3:4], v[3:4], v[77:78], v[79:80]
	buffer_store_dword v2, off, s[0:3], 0 offset:388
	buffer_store_dword v1, off, s[0:3], 0 offset:384
	;; [unrolled: 1-line block ×4, first 2 shown]
.LBB98_83:
	s_or_b32 exec_lo, exec_lo, s8
	v_mov_b32_e32 v4, s18
	v_cmp_lt_u32_e64 s4, 23, v0
	s_clause 0x3
	buffer_load_dword v1, v4, s[0:3], 0 offen
	buffer_load_dword v2, v4, s[0:3], 0 offen offset:4
	buffer_load_dword v3, v4, s[0:3], 0 offen offset:8
	;; [unrolled: 1-line block ×3, first 2 shown]
	s_waitcnt vmcnt(0)
	ds_write_b128 v76, v[1:4]
	s_waitcnt lgkmcnt(0)
	s_waitcnt_vscnt null, 0x0
	s_barrier
	buffer_gl0_inv
	s_and_saveexec_b32 s8, s4
	s_cbranch_execz .LBB98_91
; %bb.84:
	ds_read_b128 v[1:4], v76
	s_andn2_b32 vcc_lo, exec_lo, s42
	s_cbranch_vccnz .LBB98_86
; %bb.85:
	s_clause 0x3
	buffer_load_dword v77, v75, s[0:3], 0 offen offset:8
	buffer_load_dword v78, v75, s[0:3], 0 offen offset:12
	buffer_load_dword v79, v75, s[0:3], 0 offen
	buffer_load_dword v80, v75, s[0:3], 0 offen offset:4
	s_waitcnt vmcnt(2) lgkmcnt(0)
	v_mul_f64 v[82:83], v[3:4], v[77:78]
	v_mul_f64 v[77:78], v[1:2], v[77:78]
	s_waitcnt vmcnt(0)
	v_fma_f64 v[1:2], v[1:2], v[79:80], -v[82:83]
	v_fma_f64 v[3:4], v[3:4], v[79:80], v[77:78]
.LBB98_86:
	s_and_saveexec_b32 s43, s5
	s_cbranch_execz .LBB98_90
; %bb.87:
	v_subrev_nc_u32_e32 v77, 24, v0
	s_movk_i32 s44, 0x3b0
	s_mov_b32 s5, 0
	s_mov_b32 s45, s17
	.p2align	6
.LBB98_88:                              ; =>This Inner Loop Header: Depth=1
	v_mov_b32_e32 v80, s45
	v_add_nc_u32_e32 v77, -1, v77
	s_add_i32 s45, s45, 16
	s_clause 0x3
	buffer_load_dword v78, v80, s[0:3], 0 offen offset:8
	buffer_load_dword v79, v80, s[0:3], 0 offen offset:12
	buffer_load_dword v86, v80, s[0:3], 0 offen
	buffer_load_dword v87, v80, s[0:3], 0 offen offset:4
	v_mov_b32_e32 v80, s44
	v_cmp_eq_u32_e32 vcc_lo, 0, v77
	s_add_i32 s44, s44, 16
	ds_read_b128 v[82:85], v80
	s_or_b32 s5, vcc_lo, s5
	s_waitcnt vmcnt(2) lgkmcnt(0)
	v_mul_f64 v[88:89], v[84:85], v[78:79]
	v_mul_f64 v[78:79], v[82:83], v[78:79]
	s_waitcnt vmcnt(0)
	v_fma_f64 v[82:83], v[82:83], v[86:87], -v[88:89]
	v_fma_f64 v[78:79], v[84:85], v[86:87], v[78:79]
	v_add_f64 v[1:2], v[1:2], v[82:83]
	v_add_f64 v[3:4], v[3:4], v[78:79]
	s_andn2_b32 exec_lo, exec_lo, s5
	s_cbranch_execnz .LBB98_88
; %bb.89:
	s_or_b32 exec_lo, exec_lo, s5
.LBB98_90:
	s_or_b32 exec_lo, exec_lo, s43
	v_mov_b32_e32 v77, 0
	ds_read_b128 v[77:80], v77 offset:368
	s_waitcnt lgkmcnt(0)
	v_mul_f64 v[82:83], v[3:4], v[79:80]
	v_mul_f64 v[79:80], v[1:2], v[79:80]
	v_fma_f64 v[1:2], v[1:2], v[77:78], -v[82:83]
	v_fma_f64 v[3:4], v[3:4], v[77:78], v[79:80]
	buffer_store_dword v2, off, s[0:3], 0 offset:372
	buffer_store_dword v1, off, s[0:3], 0 offset:368
	;; [unrolled: 1-line block ×4, first 2 shown]
.LBB98_91:
	s_or_b32 exec_lo, exec_lo, s8
	v_mov_b32_e32 v4, s19
	v_cmp_lt_u32_e64 s5, 22, v0
	s_clause 0x3
	buffer_load_dword v1, v4, s[0:3], 0 offen
	buffer_load_dword v2, v4, s[0:3], 0 offen offset:4
	buffer_load_dword v3, v4, s[0:3], 0 offen offset:8
	;; [unrolled: 1-line block ×3, first 2 shown]
	s_waitcnt vmcnt(0)
	ds_write_b128 v76, v[1:4]
	s_waitcnt lgkmcnt(0)
	s_waitcnt_vscnt null, 0x0
	s_barrier
	buffer_gl0_inv
	s_and_saveexec_b32 s8, s5
	s_cbranch_execz .LBB98_99
; %bb.92:
	ds_read_b128 v[1:4], v76
	s_andn2_b32 vcc_lo, exec_lo, s42
	s_cbranch_vccnz .LBB98_94
; %bb.93:
	s_clause 0x3
	buffer_load_dword v77, v75, s[0:3], 0 offen offset:8
	buffer_load_dword v78, v75, s[0:3], 0 offen offset:12
	buffer_load_dword v79, v75, s[0:3], 0 offen
	buffer_load_dword v80, v75, s[0:3], 0 offen offset:4
	s_waitcnt vmcnt(2) lgkmcnt(0)
	v_mul_f64 v[82:83], v[3:4], v[77:78]
	v_mul_f64 v[77:78], v[1:2], v[77:78]
	s_waitcnt vmcnt(0)
	v_fma_f64 v[1:2], v[1:2], v[79:80], -v[82:83]
	v_fma_f64 v[3:4], v[3:4], v[79:80], v[77:78]
.LBB98_94:
	s_and_saveexec_b32 s43, s4
	s_cbranch_execz .LBB98_98
; %bb.95:
	v_subrev_nc_u32_e32 v77, 23, v0
	s_movk_i32 s44, 0x3a0
	s_mov_b32 s4, 0
	s_mov_b32 s45, s18
	.p2align	6
.LBB98_96:                              ; =>This Inner Loop Header: Depth=1
	v_mov_b32_e32 v80, s45
	v_add_nc_u32_e32 v77, -1, v77
	s_add_i32 s45, s45, 16
	s_clause 0x3
	buffer_load_dword v78, v80, s[0:3], 0 offen offset:8
	buffer_load_dword v79, v80, s[0:3], 0 offen offset:12
	buffer_load_dword v86, v80, s[0:3], 0 offen
	buffer_load_dword v87, v80, s[0:3], 0 offen offset:4
	v_mov_b32_e32 v80, s44
	v_cmp_eq_u32_e32 vcc_lo, 0, v77
	s_add_i32 s44, s44, 16
	ds_read_b128 v[82:85], v80
	s_or_b32 s4, vcc_lo, s4
	s_waitcnt vmcnt(2) lgkmcnt(0)
	v_mul_f64 v[88:89], v[84:85], v[78:79]
	v_mul_f64 v[78:79], v[82:83], v[78:79]
	s_waitcnt vmcnt(0)
	v_fma_f64 v[82:83], v[82:83], v[86:87], -v[88:89]
	v_fma_f64 v[78:79], v[84:85], v[86:87], v[78:79]
	v_add_f64 v[1:2], v[1:2], v[82:83]
	v_add_f64 v[3:4], v[3:4], v[78:79]
	s_andn2_b32 exec_lo, exec_lo, s4
	s_cbranch_execnz .LBB98_96
; %bb.97:
	s_or_b32 exec_lo, exec_lo, s4
.LBB98_98:
	s_or_b32 exec_lo, exec_lo, s43
	v_mov_b32_e32 v77, 0
	ds_read_b128 v[77:80], v77 offset:352
	s_waitcnt lgkmcnt(0)
	v_mul_f64 v[82:83], v[3:4], v[79:80]
	v_mul_f64 v[79:80], v[1:2], v[79:80]
	v_fma_f64 v[1:2], v[1:2], v[77:78], -v[82:83]
	v_fma_f64 v[3:4], v[3:4], v[77:78], v[79:80]
	buffer_store_dword v2, off, s[0:3], 0 offset:356
	buffer_store_dword v1, off, s[0:3], 0 offset:352
	;; [unrolled: 1-line block ×4, first 2 shown]
.LBB98_99:
	s_or_b32 exec_lo, exec_lo, s8
	v_mov_b32_e32 v4, s20
	v_cmp_lt_u32_e64 s4, 21, v0
	s_clause 0x3
	buffer_load_dword v1, v4, s[0:3], 0 offen
	buffer_load_dword v2, v4, s[0:3], 0 offen offset:4
	buffer_load_dword v3, v4, s[0:3], 0 offen offset:8
	;; [unrolled: 1-line block ×3, first 2 shown]
	s_waitcnt vmcnt(0)
	ds_write_b128 v76, v[1:4]
	s_waitcnt lgkmcnt(0)
	s_waitcnt_vscnt null, 0x0
	s_barrier
	buffer_gl0_inv
	s_and_saveexec_b32 s8, s4
	s_cbranch_execz .LBB98_107
; %bb.100:
	ds_read_b128 v[1:4], v76
	s_andn2_b32 vcc_lo, exec_lo, s42
	s_cbranch_vccnz .LBB98_102
; %bb.101:
	s_clause 0x3
	buffer_load_dword v77, v75, s[0:3], 0 offen offset:8
	buffer_load_dword v78, v75, s[0:3], 0 offen offset:12
	buffer_load_dword v79, v75, s[0:3], 0 offen
	buffer_load_dword v80, v75, s[0:3], 0 offen offset:4
	s_waitcnt vmcnt(2) lgkmcnt(0)
	v_mul_f64 v[82:83], v[3:4], v[77:78]
	v_mul_f64 v[77:78], v[1:2], v[77:78]
	s_waitcnt vmcnt(0)
	v_fma_f64 v[1:2], v[1:2], v[79:80], -v[82:83]
	v_fma_f64 v[3:4], v[3:4], v[79:80], v[77:78]
.LBB98_102:
	s_and_saveexec_b32 s43, s5
	s_cbranch_execz .LBB98_106
; %bb.103:
	v_subrev_nc_u32_e32 v77, 22, v0
	s_movk_i32 s44, 0x390
	s_mov_b32 s5, 0
	s_mov_b32 s45, s19
	.p2align	6
.LBB98_104:                             ; =>This Inner Loop Header: Depth=1
	v_mov_b32_e32 v80, s45
	v_add_nc_u32_e32 v77, -1, v77
	s_add_i32 s45, s45, 16
	s_clause 0x3
	buffer_load_dword v78, v80, s[0:3], 0 offen offset:8
	buffer_load_dword v79, v80, s[0:3], 0 offen offset:12
	buffer_load_dword v86, v80, s[0:3], 0 offen
	buffer_load_dword v87, v80, s[0:3], 0 offen offset:4
	v_mov_b32_e32 v80, s44
	v_cmp_eq_u32_e32 vcc_lo, 0, v77
	s_add_i32 s44, s44, 16
	ds_read_b128 v[82:85], v80
	s_or_b32 s5, vcc_lo, s5
	s_waitcnt vmcnt(2) lgkmcnt(0)
	v_mul_f64 v[88:89], v[84:85], v[78:79]
	v_mul_f64 v[78:79], v[82:83], v[78:79]
	s_waitcnt vmcnt(0)
	v_fma_f64 v[82:83], v[82:83], v[86:87], -v[88:89]
	v_fma_f64 v[78:79], v[84:85], v[86:87], v[78:79]
	v_add_f64 v[1:2], v[1:2], v[82:83]
	v_add_f64 v[3:4], v[3:4], v[78:79]
	s_andn2_b32 exec_lo, exec_lo, s5
	s_cbranch_execnz .LBB98_104
; %bb.105:
	s_or_b32 exec_lo, exec_lo, s5
.LBB98_106:
	s_or_b32 exec_lo, exec_lo, s43
	v_mov_b32_e32 v77, 0
	ds_read_b128 v[77:80], v77 offset:336
	s_waitcnt lgkmcnt(0)
	v_mul_f64 v[82:83], v[3:4], v[79:80]
	v_mul_f64 v[79:80], v[1:2], v[79:80]
	v_fma_f64 v[1:2], v[1:2], v[77:78], -v[82:83]
	v_fma_f64 v[3:4], v[3:4], v[77:78], v[79:80]
	buffer_store_dword v2, off, s[0:3], 0 offset:340
	buffer_store_dword v1, off, s[0:3], 0 offset:336
	;; [unrolled: 1-line block ×4, first 2 shown]
.LBB98_107:
	s_or_b32 exec_lo, exec_lo, s8
	v_mov_b32_e32 v4, s21
	v_cmp_lt_u32_e64 s5, 20, v0
	s_clause 0x3
	buffer_load_dword v1, v4, s[0:3], 0 offen
	buffer_load_dword v2, v4, s[0:3], 0 offen offset:4
	buffer_load_dword v3, v4, s[0:3], 0 offen offset:8
	;; [unrolled: 1-line block ×3, first 2 shown]
	s_waitcnt vmcnt(0)
	ds_write_b128 v76, v[1:4]
	s_waitcnt lgkmcnt(0)
	s_waitcnt_vscnt null, 0x0
	s_barrier
	buffer_gl0_inv
	s_and_saveexec_b32 s8, s5
	s_cbranch_execz .LBB98_115
; %bb.108:
	ds_read_b128 v[1:4], v76
	s_andn2_b32 vcc_lo, exec_lo, s42
	s_cbranch_vccnz .LBB98_110
; %bb.109:
	s_clause 0x3
	buffer_load_dword v77, v75, s[0:3], 0 offen offset:8
	buffer_load_dword v78, v75, s[0:3], 0 offen offset:12
	buffer_load_dword v79, v75, s[0:3], 0 offen
	buffer_load_dword v80, v75, s[0:3], 0 offen offset:4
	s_waitcnt vmcnt(2) lgkmcnt(0)
	v_mul_f64 v[82:83], v[3:4], v[77:78]
	v_mul_f64 v[77:78], v[1:2], v[77:78]
	s_waitcnt vmcnt(0)
	v_fma_f64 v[1:2], v[1:2], v[79:80], -v[82:83]
	v_fma_f64 v[3:4], v[3:4], v[79:80], v[77:78]
.LBB98_110:
	s_and_saveexec_b32 s43, s4
	s_cbranch_execz .LBB98_114
; %bb.111:
	v_subrev_nc_u32_e32 v77, 21, v0
	s_movk_i32 s44, 0x380
	s_mov_b32 s4, 0
	s_mov_b32 s45, s20
	.p2align	6
.LBB98_112:                             ; =>This Inner Loop Header: Depth=1
	v_mov_b32_e32 v80, s45
	v_add_nc_u32_e32 v77, -1, v77
	s_add_i32 s45, s45, 16
	s_clause 0x3
	buffer_load_dword v78, v80, s[0:3], 0 offen offset:8
	buffer_load_dword v79, v80, s[0:3], 0 offen offset:12
	buffer_load_dword v86, v80, s[0:3], 0 offen
	buffer_load_dword v87, v80, s[0:3], 0 offen offset:4
	v_mov_b32_e32 v80, s44
	v_cmp_eq_u32_e32 vcc_lo, 0, v77
	s_add_i32 s44, s44, 16
	ds_read_b128 v[82:85], v80
	s_or_b32 s4, vcc_lo, s4
	s_waitcnt vmcnt(2) lgkmcnt(0)
	v_mul_f64 v[88:89], v[84:85], v[78:79]
	v_mul_f64 v[78:79], v[82:83], v[78:79]
	s_waitcnt vmcnt(0)
	v_fma_f64 v[82:83], v[82:83], v[86:87], -v[88:89]
	v_fma_f64 v[78:79], v[84:85], v[86:87], v[78:79]
	v_add_f64 v[1:2], v[1:2], v[82:83]
	v_add_f64 v[3:4], v[3:4], v[78:79]
	s_andn2_b32 exec_lo, exec_lo, s4
	s_cbranch_execnz .LBB98_112
; %bb.113:
	s_or_b32 exec_lo, exec_lo, s4
.LBB98_114:
	s_or_b32 exec_lo, exec_lo, s43
	v_mov_b32_e32 v77, 0
	ds_read_b128 v[77:80], v77 offset:320
	s_waitcnt lgkmcnt(0)
	v_mul_f64 v[82:83], v[3:4], v[79:80]
	v_mul_f64 v[79:80], v[1:2], v[79:80]
	v_fma_f64 v[1:2], v[1:2], v[77:78], -v[82:83]
	v_fma_f64 v[3:4], v[3:4], v[77:78], v[79:80]
	buffer_store_dword v2, off, s[0:3], 0 offset:324
	buffer_store_dword v1, off, s[0:3], 0 offset:320
	;; [unrolled: 1-line block ×4, first 2 shown]
.LBB98_115:
	s_or_b32 exec_lo, exec_lo, s8
	v_mov_b32_e32 v4, s22
	v_cmp_lt_u32_e64 s4, 19, v0
	s_clause 0x3
	buffer_load_dword v1, v4, s[0:3], 0 offen
	buffer_load_dword v2, v4, s[0:3], 0 offen offset:4
	buffer_load_dword v3, v4, s[0:3], 0 offen offset:8
	;; [unrolled: 1-line block ×3, first 2 shown]
	s_waitcnt vmcnt(0)
	ds_write_b128 v76, v[1:4]
	s_waitcnt lgkmcnt(0)
	s_waitcnt_vscnt null, 0x0
	s_barrier
	buffer_gl0_inv
	s_and_saveexec_b32 s8, s4
	s_cbranch_execz .LBB98_123
; %bb.116:
	ds_read_b128 v[1:4], v76
	s_andn2_b32 vcc_lo, exec_lo, s42
	s_cbranch_vccnz .LBB98_118
; %bb.117:
	s_clause 0x3
	buffer_load_dword v77, v75, s[0:3], 0 offen offset:8
	buffer_load_dword v78, v75, s[0:3], 0 offen offset:12
	buffer_load_dword v79, v75, s[0:3], 0 offen
	buffer_load_dword v80, v75, s[0:3], 0 offen offset:4
	s_waitcnt vmcnt(2) lgkmcnt(0)
	v_mul_f64 v[82:83], v[3:4], v[77:78]
	v_mul_f64 v[77:78], v[1:2], v[77:78]
	s_waitcnt vmcnt(0)
	v_fma_f64 v[1:2], v[1:2], v[79:80], -v[82:83]
	v_fma_f64 v[3:4], v[3:4], v[79:80], v[77:78]
.LBB98_118:
	s_and_saveexec_b32 s43, s5
	s_cbranch_execz .LBB98_122
; %bb.119:
	v_subrev_nc_u32_e32 v77, 20, v0
	s_movk_i32 s44, 0x370
	s_mov_b32 s5, 0
	s_mov_b32 s45, s21
	.p2align	6
.LBB98_120:                             ; =>This Inner Loop Header: Depth=1
	v_mov_b32_e32 v80, s45
	v_add_nc_u32_e32 v77, -1, v77
	s_add_i32 s45, s45, 16
	s_clause 0x3
	buffer_load_dword v78, v80, s[0:3], 0 offen offset:8
	buffer_load_dword v79, v80, s[0:3], 0 offen offset:12
	buffer_load_dword v86, v80, s[0:3], 0 offen
	buffer_load_dword v87, v80, s[0:3], 0 offen offset:4
	v_mov_b32_e32 v80, s44
	v_cmp_eq_u32_e32 vcc_lo, 0, v77
	s_add_i32 s44, s44, 16
	ds_read_b128 v[82:85], v80
	s_or_b32 s5, vcc_lo, s5
	s_waitcnt vmcnt(2) lgkmcnt(0)
	v_mul_f64 v[88:89], v[84:85], v[78:79]
	v_mul_f64 v[78:79], v[82:83], v[78:79]
	s_waitcnt vmcnt(0)
	v_fma_f64 v[82:83], v[82:83], v[86:87], -v[88:89]
	v_fma_f64 v[78:79], v[84:85], v[86:87], v[78:79]
	v_add_f64 v[1:2], v[1:2], v[82:83]
	v_add_f64 v[3:4], v[3:4], v[78:79]
	s_andn2_b32 exec_lo, exec_lo, s5
	s_cbranch_execnz .LBB98_120
; %bb.121:
	s_or_b32 exec_lo, exec_lo, s5
.LBB98_122:
	s_or_b32 exec_lo, exec_lo, s43
	v_mov_b32_e32 v77, 0
	ds_read_b128 v[77:80], v77 offset:304
	s_waitcnt lgkmcnt(0)
	v_mul_f64 v[82:83], v[3:4], v[79:80]
	v_mul_f64 v[79:80], v[1:2], v[79:80]
	v_fma_f64 v[1:2], v[1:2], v[77:78], -v[82:83]
	v_fma_f64 v[3:4], v[3:4], v[77:78], v[79:80]
	buffer_store_dword v2, off, s[0:3], 0 offset:308
	buffer_store_dword v1, off, s[0:3], 0 offset:304
	;; [unrolled: 1-line block ×4, first 2 shown]
.LBB98_123:
	s_or_b32 exec_lo, exec_lo, s8
	v_mov_b32_e32 v4, s23
	v_cmp_lt_u32_e64 s5, 18, v0
	s_clause 0x3
	buffer_load_dword v1, v4, s[0:3], 0 offen
	buffer_load_dword v2, v4, s[0:3], 0 offen offset:4
	buffer_load_dword v3, v4, s[0:3], 0 offen offset:8
	;; [unrolled: 1-line block ×3, first 2 shown]
	s_waitcnt vmcnt(0)
	ds_write_b128 v76, v[1:4]
	s_waitcnt lgkmcnt(0)
	s_waitcnt_vscnt null, 0x0
	s_barrier
	buffer_gl0_inv
	s_and_saveexec_b32 s8, s5
	s_cbranch_execz .LBB98_131
; %bb.124:
	ds_read_b128 v[1:4], v76
	s_andn2_b32 vcc_lo, exec_lo, s42
	s_cbranch_vccnz .LBB98_126
; %bb.125:
	s_clause 0x3
	buffer_load_dword v77, v75, s[0:3], 0 offen offset:8
	buffer_load_dword v78, v75, s[0:3], 0 offen offset:12
	buffer_load_dword v79, v75, s[0:3], 0 offen
	buffer_load_dword v80, v75, s[0:3], 0 offen offset:4
	s_waitcnt vmcnt(2) lgkmcnt(0)
	v_mul_f64 v[82:83], v[3:4], v[77:78]
	v_mul_f64 v[77:78], v[1:2], v[77:78]
	s_waitcnt vmcnt(0)
	v_fma_f64 v[1:2], v[1:2], v[79:80], -v[82:83]
	v_fma_f64 v[3:4], v[3:4], v[79:80], v[77:78]
.LBB98_126:
	s_and_saveexec_b32 s43, s4
	s_cbranch_execz .LBB98_130
; %bb.127:
	v_subrev_nc_u32_e32 v77, 19, v0
	s_movk_i32 s44, 0x360
	s_mov_b32 s4, 0
	s_mov_b32 s45, s22
	.p2align	6
.LBB98_128:                             ; =>This Inner Loop Header: Depth=1
	v_mov_b32_e32 v80, s45
	v_add_nc_u32_e32 v77, -1, v77
	s_add_i32 s45, s45, 16
	s_clause 0x3
	buffer_load_dword v78, v80, s[0:3], 0 offen offset:8
	buffer_load_dword v79, v80, s[0:3], 0 offen offset:12
	buffer_load_dword v86, v80, s[0:3], 0 offen
	buffer_load_dword v87, v80, s[0:3], 0 offen offset:4
	v_mov_b32_e32 v80, s44
	v_cmp_eq_u32_e32 vcc_lo, 0, v77
	s_add_i32 s44, s44, 16
	ds_read_b128 v[82:85], v80
	s_or_b32 s4, vcc_lo, s4
	s_waitcnt vmcnt(2) lgkmcnt(0)
	v_mul_f64 v[88:89], v[84:85], v[78:79]
	v_mul_f64 v[78:79], v[82:83], v[78:79]
	s_waitcnt vmcnt(0)
	v_fma_f64 v[82:83], v[82:83], v[86:87], -v[88:89]
	v_fma_f64 v[78:79], v[84:85], v[86:87], v[78:79]
	v_add_f64 v[1:2], v[1:2], v[82:83]
	v_add_f64 v[3:4], v[3:4], v[78:79]
	s_andn2_b32 exec_lo, exec_lo, s4
	s_cbranch_execnz .LBB98_128
; %bb.129:
	s_or_b32 exec_lo, exec_lo, s4
.LBB98_130:
	s_or_b32 exec_lo, exec_lo, s43
	v_mov_b32_e32 v77, 0
	ds_read_b128 v[77:80], v77 offset:288
	s_waitcnt lgkmcnt(0)
	v_mul_f64 v[82:83], v[3:4], v[79:80]
	v_mul_f64 v[79:80], v[1:2], v[79:80]
	v_fma_f64 v[1:2], v[1:2], v[77:78], -v[82:83]
	v_fma_f64 v[3:4], v[3:4], v[77:78], v[79:80]
	buffer_store_dword v2, off, s[0:3], 0 offset:292
	buffer_store_dword v1, off, s[0:3], 0 offset:288
	;; [unrolled: 1-line block ×4, first 2 shown]
.LBB98_131:
	s_or_b32 exec_lo, exec_lo, s8
	v_mov_b32_e32 v4, s24
	v_cmp_lt_u32_e64 s4, 17, v0
	s_clause 0x3
	buffer_load_dword v1, v4, s[0:3], 0 offen
	buffer_load_dword v2, v4, s[0:3], 0 offen offset:4
	buffer_load_dword v3, v4, s[0:3], 0 offen offset:8
	;; [unrolled: 1-line block ×3, first 2 shown]
	s_waitcnt vmcnt(0)
	ds_write_b128 v76, v[1:4]
	s_waitcnt lgkmcnt(0)
	s_waitcnt_vscnt null, 0x0
	s_barrier
	buffer_gl0_inv
	s_and_saveexec_b32 s8, s4
	s_cbranch_execz .LBB98_139
; %bb.132:
	ds_read_b128 v[1:4], v76
	s_andn2_b32 vcc_lo, exec_lo, s42
	s_cbranch_vccnz .LBB98_134
; %bb.133:
	s_clause 0x3
	buffer_load_dword v77, v75, s[0:3], 0 offen offset:8
	buffer_load_dword v78, v75, s[0:3], 0 offen offset:12
	buffer_load_dword v79, v75, s[0:3], 0 offen
	buffer_load_dword v80, v75, s[0:3], 0 offen offset:4
	s_waitcnt vmcnt(2) lgkmcnt(0)
	v_mul_f64 v[82:83], v[3:4], v[77:78]
	v_mul_f64 v[77:78], v[1:2], v[77:78]
	s_waitcnt vmcnt(0)
	v_fma_f64 v[1:2], v[1:2], v[79:80], -v[82:83]
	v_fma_f64 v[3:4], v[3:4], v[79:80], v[77:78]
.LBB98_134:
	s_and_saveexec_b32 s43, s5
	s_cbranch_execz .LBB98_138
; %bb.135:
	v_subrev_nc_u32_e32 v77, 18, v0
	s_movk_i32 s44, 0x350
	s_mov_b32 s5, 0
	s_mov_b32 s45, s23
	.p2align	6
.LBB98_136:                             ; =>This Inner Loop Header: Depth=1
	v_mov_b32_e32 v80, s45
	v_add_nc_u32_e32 v77, -1, v77
	s_add_i32 s45, s45, 16
	s_clause 0x3
	buffer_load_dword v78, v80, s[0:3], 0 offen offset:8
	buffer_load_dword v79, v80, s[0:3], 0 offen offset:12
	buffer_load_dword v86, v80, s[0:3], 0 offen
	buffer_load_dword v87, v80, s[0:3], 0 offen offset:4
	v_mov_b32_e32 v80, s44
	v_cmp_eq_u32_e32 vcc_lo, 0, v77
	s_add_i32 s44, s44, 16
	ds_read_b128 v[82:85], v80
	s_or_b32 s5, vcc_lo, s5
	s_waitcnt vmcnt(2) lgkmcnt(0)
	v_mul_f64 v[88:89], v[84:85], v[78:79]
	v_mul_f64 v[78:79], v[82:83], v[78:79]
	s_waitcnt vmcnt(0)
	v_fma_f64 v[82:83], v[82:83], v[86:87], -v[88:89]
	v_fma_f64 v[78:79], v[84:85], v[86:87], v[78:79]
	v_add_f64 v[1:2], v[1:2], v[82:83]
	v_add_f64 v[3:4], v[3:4], v[78:79]
	s_andn2_b32 exec_lo, exec_lo, s5
	s_cbranch_execnz .LBB98_136
; %bb.137:
	s_or_b32 exec_lo, exec_lo, s5
.LBB98_138:
	s_or_b32 exec_lo, exec_lo, s43
	v_mov_b32_e32 v77, 0
	ds_read_b128 v[77:80], v77 offset:272
	s_waitcnt lgkmcnt(0)
	v_mul_f64 v[82:83], v[3:4], v[79:80]
	v_mul_f64 v[79:80], v[1:2], v[79:80]
	v_fma_f64 v[1:2], v[1:2], v[77:78], -v[82:83]
	v_fma_f64 v[3:4], v[3:4], v[77:78], v[79:80]
	buffer_store_dword v2, off, s[0:3], 0 offset:276
	buffer_store_dword v1, off, s[0:3], 0 offset:272
	;; [unrolled: 1-line block ×4, first 2 shown]
.LBB98_139:
	s_or_b32 exec_lo, exec_lo, s8
	v_mov_b32_e32 v4, s25
	v_cmp_lt_u32_e64 s5, 16, v0
	s_clause 0x3
	buffer_load_dword v1, v4, s[0:3], 0 offen
	buffer_load_dword v2, v4, s[0:3], 0 offen offset:4
	buffer_load_dword v3, v4, s[0:3], 0 offen offset:8
	;; [unrolled: 1-line block ×3, first 2 shown]
	s_waitcnt vmcnt(0)
	ds_write_b128 v76, v[1:4]
	s_waitcnt lgkmcnt(0)
	s_waitcnt_vscnt null, 0x0
	s_barrier
	buffer_gl0_inv
	s_and_saveexec_b32 s8, s5
	s_cbranch_execz .LBB98_147
; %bb.140:
	ds_read_b128 v[1:4], v76
	s_andn2_b32 vcc_lo, exec_lo, s42
	s_cbranch_vccnz .LBB98_142
; %bb.141:
	s_clause 0x3
	buffer_load_dword v77, v75, s[0:3], 0 offen offset:8
	buffer_load_dword v78, v75, s[0:3], 0 offen offset:12
	buffer_load_dword v79, v75, s[0:3], 0 offen
	buffer_load_dword v80, v75, s[0:3], 0 offen offset:4
	s_waitcnt vmcnt(2) lgkmcnt(0)
	v_mul_f64 v[82:83], v[3:4], v[77:78]
	v_mul_f64 v[77:78], v[1:2], v[77:78]
	s_waitcnt vmcnt(0)
	v_fma_f64 v[1:2], v[1:2], v[79:80], -v[82:83]
	v_fma_f64 v[3:4], v[3:4], v[79:80], v[77:78]
.LBB98_142:
	s_and_saveexec_b32 s43, s4
	s_cbranch_execz .LBB98_146
; %bb.143:
	v_subrev_nc_u32_e32 v77, 17, v0
	s_movk_i32 s44, 0x340
	s_mov_b32 s4, 0
	s_mov_b32 s45, s24
	.p2align	6
.LBB98_144:                             ; =>This Inner Loop Header: Depth=1
	v_mov_b32_e32 v80, s45
	v_add_nc_u32_e32 v77, -1, v77
	s_add_i32 s45, s45, 16
	s_clause 0x3
	buffer_load_dword v78, v80, s[0:3], 0 offen offset:8
	buffer_load_dword v79, v80, s[0:3], 0 offen offset:12
	buffer_load_dword v86, v80, s[0:3], 0 offen
	buffer_load_dword v87, v80, s[0:3], 0 offen offset:4
	v_mov_b32_e32 v80, s44
	v_cmp_eq_u32_e32 vcc_lo, 0, v77
	s_add_i32 s44, s44, 16
	ds_read_b128 v[82:85], v80
	s_or_b32 s4, vcc_lo, s4
	s_waitcnt vmcnt(2) lgkmcnt(0)
	v_mul_f64 v[88:89], v[84:85], v[78:79]
	v_mul_f64 v[78:79], v[82:83], v[78:79]
	s_waitcnt vmcnt(0)
	v_fma_f64 v[82:83], v[82:83], v[86:87], -v[88:89]
	v_fma_f64 v[78:79], v[84:85], v[86:87], v[78:79]
	v_add_f64 v[1:2], v[1:2], v[82:83]
	v_add_f64 v[3:4], v[3:4], v[78:79]
	s_andn2_b32 exec_lo, exec_lo, s4
	s_cbranch_execnz .LBB98_144
; %bb.145:
	s_or_b32 exec_lo, exec_lo, s4
.LBB98_146:
	s_or_b32 exec_lo, exec_lo, s43
	v_mov_b32_e32 v77, 0
	ds_read_b128 v[77:80], v77 offset:256
	s_waitcnt lgkmcnt(0)
	v_mul_f64 v[82:83], v[3:4], v[79:80]
	v_mul_f64 v[79:80], v[1:2], v[79:80]
	v_fma_f64 v[1:2], v[1:2], v[77:78], -v[82:83]
	v_fma_f64 v[3:4], v[3:4], v[77:78], v[79:80]
	buffer_store_dword v2, off, s[0:3], 0 offset:260
	buffer_store_dword v1, off, s[0:3], 0 offset:256
	;; [unrolled: 1-line block ×4, first 2 shown]
.LBB98_147:
	s_or_b32 exec_lo, exec_lo, s8
	v_mov_b32_e32 v4, s26
	v_cmp_lt_u32_e64 s4, 15, v0
	s_clause 0x3
	buffer_load_dword v1, v4, s[0:3], 0 offen
	buffer_load_dword v2, v4, s[0:3], 0 offen offset:4
	buffer_load_dword v3, v4, s[0:3], 0 offen offset:8
	;; [unrolled: 1-line block ×3, first 2 shown]
	s_waitcnt vmcnt(0)
	ds_write_b128 v76, v[1:4]
	s_waitcnt lgkmcnt(0)
	s_waitcnt_vscnt null, 0x0
	s_barrier
	buffer_gl0_inv
	s_and_saveexec_b32 s8, s4
	s_cbranch_execz .LBB98_155
; %bb.148:
	ds_read_b128 v[1:4], v76
	s_andn2_b32 vcc_lo, exec_lo, s42
	s_cbranch_vccnz .LBB98_150
; %bb.149:
	s_clause 0x3
	buffer_load_dword v77, v75, s[0:3], 0 offen offset:8
	buffer_load_dword v78, v75, s[0:3], 0 offen offset:12
	buffer_load_dword v79, v75, s[0:3], 0 offen
	buffer_load_dword v80, v75, s[0:3], 0 offen offset:4
	s_waitcnt vmcnt(2) lgkmcnt(0)
	v_mul_f64 v[82:83], v[3:4], v[77:78]
	v_mul_f64 v[77:78], v[1:2], v[77:78]
	s_waitcnt vmcnt(0)
	v_fma_f64 v[1:2], v[1:2], v[79:80], -v[82:83]
	v_fma_f64 v[3:4], v[3:4], v[79:80], v[77:78]
.LBB98_150:
	s_and_saveexec_b32 s43, s5
	s_cbranch_execz .LBB98_154
; %bb.151:
	v_add_nc_u32_e32 v77, -16, v0
	s_movk_i32 s44, 0x330
	s_mov_b32 s5, 0
	s_mov_b32 s45, s25
	.p2align	6
.LBB98_152:                             ; =>This Inner Loop Header: Depth=1
	v_mov_b32_e32 v80, s45
	v_add_nc_u32_e32 v77, -1, v77
	s_add_i32 s45, s45, 16
	s_clause 0x3
	buffer_load_dword v78, v80, s[0:3], 0 offen offset:8
	buffer_load_dword v79, v80, s[0:3], 0 offen offset:12
	buffer_load_dword v86, v80, s[0:3], 0 offen
	buffer_load_dword v87, v80, s[0:3], 0 offen offset:4
	v_mov_b32_e32 v80, s44
	v_cmp_eq_u32_e32 vcc_lo, 0, v77
	s_add_i32 s44, s44, 16
	ds_read_b128 v[82:85], v80
	s_or_b32 s5, vcc_lo, s5
	s_waitcnt vmcnt(2) lgkmcnt(0)
	v_mul_f64 v[88:89], v[84:85], v[78:79]
	v_mul_f64 v[78:79], v[82:83], v[78:79]
	s_waitcnt vmcnt(0)
	v_fma_f64 v[82:83], v[82:83], v[86:87], -v[88:89]
	v_fma_f64 v[78:79], v[84:85], v[86:87], v[78:79]
	v_add_f64 v[1:2], v[1:2], v[82:83]
	v_add_f64 v[3:4], v[3:4], v[78:79]
	s_andn2_b32 exec_lo, exec_lo, s5
	s_cbranch_execnz .LBB98_152
; %bb.153:
	s_or_b32 exec_lo, exec_lo, s5
.LBB98_154:
	s_or_b32 exec_lo, exec_lo, s43
	v_mov_b32_e32 v77, 0
	ds_read_b128 v[77:80], v77 offset:240
	s_waitcnt lgkmcnt(0)
	v_mul_f64 v[82:83], v[3:4], v[79:80]
	v_mul_f64 v[79:80], v[1:2], v[79:80]
	v_fma_f64 v[1:2], v[1:2], v[77:78], -v[82:83]
	v_fma_f64 v[3:4], v[3:4], v[77:78], v[79:80]
	buffer_store_dword v2, off, s[0:3], 0 offset:244
	buffer_store_dword v1, off, s[0:3], 0 offset:240
	;; [unrolled: 1-line block ×4, first 2 shown]
.LBB98_155:
	s_or_b32 exec_lo, exec_lo, s8
	v_mov_b32_e32 v4, s27
	v_cmp_lt_u32_e64 s5, 14, v0
	s_clause 0x3
	buffer_load_dword v1, v4, s[0:3], 0 offen
	buffer_load_dword v2, v4, s[0:3], 0 offen offset:4
	buffer_load_dword v3, v4, s[0:3], 0 offen offset:8
	;; [unrolled: 1-line block ×3, first 2 shown]
	s_waitcnt vmcnt(0)
	ds_write_b128 v76, v[1:4]
	s_waitcnt lgkmcnt(0)
	s_waitcnt_vscnt null, 0x0
	s_barrier
	buffer_gl0_inv
	s_and_saveexec_b32 s8, s5
	s_cbranch_execz .LBB98_163
; %bb.156:
	ds_read_b128 v[1:4], v76
	s_andn2_b32 vcc_lo, exec_lo, s42
	s_cbranch_vccnz .LBB98_158
; %bb.157:
	s_clause 0x3
	buffer_load_dword v77, v75, s[0:3], 0 offen offset:8
	buffer_load_dword v78, v75, s[0:3], 0 offen offset:12
	buffer_load_dword v79, v75, s[0:3], 0 offen
	buffer_load_dword v80, v75, s[0:3], 0 offen offset:4
	s_waitcnt vmcnt(2) lgkmcnt(0)
	v_mul_f64 v[82:83], v[3:4], v[77:78]
	v_mul_f64 v[77:78], v[1:2], v[77:78]
	s_waitcnt vmcnt(0)
	v_fma_f64 v[1:2], v[1:2], v[79:80], -v[82:83]
	v_fma_f64 v[3:4], v[3:4], v[79:80], v[77:78]
.LBB98_158:
	s_and_saveexec_b32 s43, s4
	s_cbranch_execz .LBB98_162
; %bb.159:
	v_add_nc_u32_e32 v77, -15, v0
	s_movk_i32 s44, 0x320
	s_mov_b32 s4, 0
	s_mov_b32 s45, s26
	.p2align	6
.LBB98_160:                             ; =>This Inner Loop Header: Depth=1
	v_mov_b32_e32 v80, s45
	v_add_nc_u32_e32 v77, -1, v77
	s_add_i32 s45, s45, 16
	s_clause 0x3
	buffer_load_dword v78, v80, s[0:3], 0 offen offset:8
	buffer_load_dword v79, v80, s[0:3], 0 offen offset:12
	buffer_load_dword v86, v80, s[0:3], 0 offen
	buffer_load_dword v87, v80, s[0:3], 0 offen offset:4
	v_mov_b32_e32 v80, s44
	v_cmp_eq_u32_e32 vcc_lo, 0, v77
	s_add_i32 s44, s44, 16
	ds_read_b128 v[82:85], v80
	s_or_b32 s4, vcc_lo, s4
	s_waitcnt vmcnt(2) lgkmcnt(0)
	v_mul_f64 v[88:89], v[84:85], v[78:79]
	v_mul_f64 v[78:79], v[82:83], v[78:79]
	s_waitcnt vmcnt(0)
	v_fma_f64 v[82:83], v[82:83], v[86:87], -v[88:89]
	v_fma_f64 v[78:79], v[84:85], v[86:87], v[78:79]
	v_add_f64 v[1:2], v[1:2], v[82:83]
	v_add_f64 v[3:4], v[3:4], v[78:79]
	s_andn2_b32 exec_lo, exec_lo, s4
	s_cbranch_execnz .LBB98_160
; %bb.161:
	s_or_b32 exec_lo, exec_lo, s4
.LBB98_162:
	s_or_b32 exec_lo, exec_lo, s43
	v_mov_b32_e32 v77, 0
	ds_read_b128 v[77:80], v77 offset:224
	s_waitcnt lgkmcnt(0)
	v_mul_f64 v[82:83], v[3:4], v[79:80]
	v_mul_f64 v[79:80], v[1:2], v[79:80]
	v_fma_f64 v[1:2], v[1:2], v[77:78], -v[82:83]
	v_fma_f64 v[3:4], v[3:4], v[77:78], v[79:80]
	buffer_store_dword v2, off, s[0:3], 0 offset:228
	buffer_store_dword v1, off, s[0:3], 0 offset:224
	;; [unrolled: 1-line block ×4, first 2 shown]
.LBB98_163:
	s_or_b32 exec_lo, exec_lo, s8
	v_mov_b32_e32 v4, s28
	v_cmp_lt_u32_e64 s4, 13, v0
	s_clause 0x3
	buffer_load_dword v1, v4, s[0:3], 0 offen
	buffer_load_dword v2, v4, s[0:3], 0 offen offset:4
	buffer_load_dword v3, v4, s[0:3], 0 offen offset:8
	;; [unrolled: 1-line block ×3, first 2 shown]
	s_waitcnt vmcnt(0)
	ds_write_b128 v76, v[1:4]
	s_waitcnt lgkmcnt(0)
	s_waitcnt_vscnt null, 0x0
	s_barrier
	buffer_gl0_inv
	s_and_saveexec_b32 s8, s4
	s_cbranch_execz .LBB98_171
; %bb.164:
	ds_read_b128 v[1:4], v76
	s_andn2_b32 vcc_lo, exec_lo, s42
	s_cbranch_vccnz .LBB98_166
; %bb.165:
	s_clause 0x3
	buffer_load_dword v77, v75, s[0:3], 0 offen offset:8
	buffer_load_dword v78, v75, s[0:3], 0 offen offset:12
	buffer_load_dword v79, v75, s[0:3], 0 offen
	buffer_load_dword v80, v75, s[0:3], 0 offen offset:4
	s_waitcnt vmcnt(2) lgkmcnt(0)
	v_mul_f64 v[82:83], v[3:4], v[77:78]
	v_mul_f64 v[77:78], v[1:2], v[77:78]
	s_waitcnt vmcnt(0)
	v_fma_f64 v[1:2], v[1:2], v[79:80], -v[82:83]
	v_fma_f64 v[3:4], v[3:4], v[79:80], v[77:78]
.LBB98_166:
	s_and_saveexec_b32 s43, s5
	s_cbranch_execz .LBB98_170
; %bb.167:
	v_add_nc_u32_e32 v77, -14, v0
	s_movk_i32 s44, 0x310
	s_mov_b32 s5, 0
	s_mov_b32 s45, s27
	.p2align	6
.LBB98_168:                             ; =>This Inner Loop Header: Depth=1
	v_mov_b32_e32 v80, s45
	v_add_nc_u32_e32 v77, -1, v77
	s_add_i32 s45, s45, 16
	s_clause 0x3
	buffer_load_dword v78, v80, s[0:3], 0 offen offset:8
	buffer_load_dword v79, v80, s[0:3], 0 offen offset:12
	buffer_load_dword v86, v80, s[0:3], 0 offen
	buffer_load_dword v87, v80, s[0:3], 0 offen offset:4
	v_mov_b32_e32 v80, s44
	v_cmp_eq_u32_e32 vcc_lo, 0, v77
	s_add_i32 s44, s44, 16
	ds_read_b128 v[82:85], v80
	s_or_b32 s5, vcc_lo, s5
	s_waitcnt vmcnt(2) lgkmcnt(0)
	v_mul_f64 v[88:89], v[84:85], v[78:79]
	v_mul_f64 v[78:79], v[82:83], v[78:79]
	s_waitcnt vmcnt(0)
	v_fma_f64 v[82:83], v[82:83], v[86:87], -v[88:89]
	v_fma_f64 v[78:79], v[84:85], v[86:87], v[78:79]
	v_add_f64 v[1:2], v[1:2], v[82:83]
	v_add_f64 v[3:4], v[3:4], v[78:79]
	s_andn2_b32 exec_lo, exec_lo, s5
	s_cbranch_execnz .LBB98_168
; %bb.169:
	s_or_b32 exec_lo, exec_lo, s5
.LBB98_170:
	s_or_b32 exec_lo, exec_lo, s43
	v_mov_b32_e32 v77, 0
	ds_read_b128 v[77:80], v77 offset:208
	s_waitcnt lgkmcnt(0)
	v_mul_f64 v[82:83], v[3:4], v[79:80]
	v_mul_f64 v[79:80], v[1:2], v[79:80]
	v_fma_f64 v[1:2], v[1:2], v[77:78], -v[82:83]
	v_fma_f64 v[3:4], v[3:4], v[77:78], v[79:80]
	buffer_store_dword v2, off, s[0:3], 0 offset:212
	buffer_store_dword v1, off, s[0:3], 0 offset:208
	;; [unrolled: 1-line block ×4, first 2 shown]
.LBB98_171:
	s_or_b32 exec_lo, exec_lo, s8
	v_mov_b32_e32 v4, s29
	v_cmp_lt_u32_e64 s5, 12, v0
	s_clause 0x3
	buffer_load_dword v1, v4, s[0:3], 0 offen
	buffer_load_dword v2, v4, s[0:3], 0 offen offset:4
	buffer_load_dword v3, v4, s[0:3], 0 offen offset:8
	;; [unrolled: 1-line block ×3, first 2 shown]
	s_waitcnt vmcnt(0)
	ds_write_b128 v76, v[1:4]
	s_waitcnt lgkmcnt(0)
	s_waitcnt_vscnt null, 0x0
	s_barrier
	buffer_gl0_inv
	s_and_saveexec_b32 s8, s5
	s_cbranch_execz .LBB98_179
; %bb.172:
	ds_read_b128 v[1:4], v76
	s_andn2_b32 vcc_lo, exec_lo, s42
	s_cbranch_vccnz .LBB98_174
; %bb.173:
	s_clause 0x3
	buffer_load_dword v77, v75, s[0:3], 0 offen offset:8
	buffer_load_dword v78, v75, s[0:3], 0 offen offset:12
	buffer_load_dword v79, v75, s[0:3], 0 offen
	buffer_load_dword v80, v75, s[0:3], 0 offen offset:4
	s_waitcnt vmcnt(2) lgkmcnt(0)
	v_mul_f64 v[82:83], v[3:4], v[77:78]
	v_mul_f64 v[77:78], v[1:2], v[77:78]
	s_waitcnt vmcnt(0)
	v_fma_f64 v[1:2], v[1:2], v[79:80], -v[82:83]
	v_fma_f64 v[3:4], v[3:4], v[79:80], v[77:78]
.LBB98_174:
	s_and_saveexec_b32 s43, s4
	s_cbranch_execz .LBB98_178
; %bb.175:
	v_add_nc_u32_e32 v77, -13, v0
	s_movk_i32 s44, 0x300
	s_mov_b32 s4, 0
	s_mov_b32 s45, s28
	.p2align	6
.LBB98_176:                             ; =>This Inner Loop Header: Depth=1
	v_mov_b32_e32 v80, s45
	v_add_nc_u32_e32 v77, -1, v77
	s_add_i32 s45, s45, 16
	s_clause 0x3
	buffer_load_dword v78, v80, s[0:3], 0 offen offset:8
	buffer_load_dword v79, v80, s[0:3], 0 offen offset:12
	buffer_load_dword v86, v80, s[0:3], 0 offen
	buffer_load_dword v87, v80, s[0:3], 0 offen offset:4
	v_mov_b32_e32 v80, s44
	v_cmp_eq_u32_e32 vcc_lo, 0, v77
	s_add_i32 s44, s44, 16
	ds_read_b128 v[82:85], v80
	s_or_b32 s4, vcc_lo, s4
	s_waitcnt vmcnt(2) lgkmcnt(0)
	v_mul_f64 v[88:89], v[84:85], v[78:79]
	v_mul_f64 v[78:79], v[82:83], v[78:79]
	s_waitcnt vmcnt(0)
	v_fma_f64 v[82:83], v[82:83], v[86:87], -v[88:89]
	v_fma_f64 v[78:79], v[84:85], v[86:87], v[78:79]
	v_add_f64 v[1:2], v[1:2], v[82:83]
	v_add_f64 v[3:4], v[3:4], v[78:79]
	s_andn2_b32 exec_lo, exec_lo, s4
	s_cbranch_execnz .LBB98_176
; %bb.177:
	s_or_b32 exec_lo, exec_lo, s4
.LBB98_178:
	s_or_b32 exec_lo, exec_lo, s43
	v_mov_b32_e32 v77, 0
	ds_read_b128 v[77:80], v77 offset:192
	s_waitcnt lgkmcnt(0)
	v_mul_f64 v[82:83], v[3:4], v[79:80]
	v_mul_f64 v[79:80], v[1:2], v[79:80]
	v_fma_f64 v[1:2], v[1:2], v[77:78], -v[82:83]
	v_fma_f64 v[3:4], v[3:4], v[77:78], v[79:80]
	buffer_store_dword v2, off, s[0:3], 0 offset:196
	buffer_store_dword v1, off, s[0:3], 0 offset:192
	;; [unrolled: 1-line block ×4, first 2 shown]
.LBB98_179:
	s_or_b32 exec_lo, exec_lo, s8
	v_mov_b32_e32 v4, s30
	v_cmp_lt_u32_e64 s4, 11, v0
	s_clause 0x3
	buffer_load_dword v1, v4, s[0:3], 0 offen
	buffer_load_dword v2, v4, s[0:3], 0 offen offset:4
	buffer_load_dword v3, v4, s[0:3], 0 offen offset:8
	buffer_load_dword v4, v4, s[0:3], 0 offen offset:12
	s_waitcnt vmcnt(0)
	ds_write_b128 v76, v[1:4]
	s_waitcnt lgkmcnt(0)
	s_waitcnt_vscnt null, 0x0
	s_barrier
	buffer_gl0_inv
	s_and_saveexec_b32 s8, s4
	s_cbranch_execz .LBB98_187
; %bb.180:
	ds_read_b128 v[1:4], v76
	s_andn2_b32 vcc_lo, exec_lo, s42
	s_cbranch_vccnz .LBB98_182
; %bb.181:
	s_clause 0x3
	buffer_load_dword v77, v75, s[0:3], 0 offen offset:8
	buffer_load_dword v78, v75, s[0:3], 0 offen offset:12
	buffer_load_dword v79, v75, s[0:3], 0 offen
	buffer_load_dword v80, v75, s[0:3], 0 offen offset:4
	s_waitcnt vmcnt(2) lgkmcnt(0)
	v_mul_f64 v[82:83], v[3:4], v[77:78]
	v_mul_f64 v[77:78], v[1:2], v[77:78]
	s_waitcnt vmcnt(0)
	v_fma_f64 v[1:2], v[1:2], v[79:80], -v[82:83]
	v_fma_f64 v[3:4], v[3:4], v[79:80], v[77:78]
.LBB98_182:
	s_and_saveexec_b32 s43, s5
	s_cbranch_execz .LBB98_186
; %bb.183:
	v_add_nc_u32_e32 v77, -12, v0
	s_movk_i32 s44, 0x2f0
	s_mov_b32 s5, 0
	s_mov_b32 s45, s29
	.p2align	6
.LBB98_184:                             ; =>This Inner Loop Header: Depth=1
	v_mov_b32_e32 v80, s45
	v_add_nc_u32_e32 v77, -1, v77
	s_add_i32 s45, s45, 16
	s_clause 0x3
	buffer_load_dword v78, v80, s[0:3], 0 offen offset:8
	buffer_load_dword v79, v80, s[0:3], 0 offen offset:12
	buffer_load_dword v86, v80, s[0:3], 0 offen
	buffer_load_dword v87, v80, s[0:3], 0 offen offset:4
	v_mov_b32_e32 v80, s44
	v_cmp_eq_u32_e32 vcc_lo, 0, v77
	s_add_i32 s44, s44, 16
	ds_read_b128 v[82:85], v80
	s_or_b32 s5, vcc_lo, s5
	s_waitcnt vmcnt(2) lgkmcnt(0)
	v_mul_f64 v[88:89], v[84:85], v[78:79]
	v_mul_f64 v[78:79], v[82:83], v[78:79]
	s_waitcnt vmcnt(0)
	v_fma_f64 v[82:83], v[82:83], v[86:87], -v[88:89]
	v_fma_f64 v[78:79], v[84:85], v[86:87], v[78:79]
	v_add_f64 v[1:2], v[1:2], v[82:83]
	v_add_f64 v[3:4], v[3:4], v[78:79]
	s_andn2_b32 exec_lo, exec_lo, s5
	s_cbranch_execnz .LBB98_184
; %bb.185:
	s_or_b32 exec_lo, exec_lo, s5
.LBB98_186:
	s_or_b32 exec_lo, exec_lo, s43
	v_mov_b32_e32 v77, 0
	ds_read_b128 v[77:80], v77 offset:176
	s_waitcnt lgkmcnt(0)
	v_mul_f64 v[82:83], v[3:4], v[79:80]
	v_mul_f64 v[79:80], v[1:2], v[79:80]
	v_fma_f64 v[1:2], v[1:2], v[77:78], -v[82:83]
	v_fma_f64 v[3:4], v[3:4], v[77:78], v[79:80]
	buffer_store_dword v2, off, s[0:3], 0 offset:180
	buffer_store_dword v1, off, s[0:3], 0 offset:176
	buffer_store_dword v4, off, s[0:3], 0 offset:188
	buffer_store_dword v3, off, s[0:3], 0 offset:184
.LBB98_187:
	s_or_b32 exec_lo, exec_lo, s8
	v_mov_b32_e32 v4, s31
	v_cmp_lt_u32_e64 s5, 10, v0
	s_clause 0x3
	buffer_load_dword v1, v4, s[0:3], 0 offen
	buffer_load_dword v2, v4, s[0:3], 0 offen offset:4
	buffer_load_dword v3, v4, s[0:3], 0 offen offset:8
	;; [unrolled: 1-line block ×3, first 2 shown]
	s_waitcnt vmcnt(0)
	ds_write_b128 v76, v[1:4]
	s_waitcnt lgkmcnt(0)
	s_waitcnt_vscnt null, 0x0
	s_barrier
	buffer_gl0_inv
	s_and_saveexec_b32 s8, s5
	s_cbranch_execz .LBB98_195
; %bb.188:
	ds_read_b128 v[1:4], v76
	s_andn2_b32 vcc_lo, exec_lo, s42
	s_cbranch_vccnz .LBB98_190
; %bb.189:
	s_clause 0x3
	buffer_load_dword v77, v75, s[0:3], 0 offen offset:8
	buffer_load_dword v78, v75, s[0:3], 0 offen offset:12
	buffer_load_dword v79, v75, s[0:3], 0 offen
	buffer_load_dword v80, v75, s[0:3], 0 offen offset:4
	s_waitcnt vmcnt(2) lgkmcnt(0)
	v_mul_f64 v[82:83], v[3:4], v[77:78]
	v_mul_f64 v[77:78], v[1:2], v[77:78]
	s_waitcnt vmcnt(0)
	v_fma_f64 v[1:2], v[1:2], v[79:80], -v[82:83]
	v_fma_f64 v[3:4], v[3:4], v[79:80], v[77:78]
.LBB98_190:
	s_and_saveexec_b32 s43, s4
	s_cbranch_execz .LBB98_194
; %bb.191:
	v_add_nc_u32_e32 v77, -11, v0
	s_movk_i32 s44, 0x2e0
	s_mov_b32 s4, 0
	s_mov_b32 s45, s30
	.p2align	6
.LBB98_192:                             ; =>This Inner Loop Header: Depth=1
	v_mov_b32_e32 v80, s45
	v_add_nc_u32_e32 v77, -1, v77
	s_add_i32 s45, s45, 16
	s_clause 0x3
	buffer_load_dword v78, v80, s[0:3], 0 offen offset:8
	buffer_load_dword v79, v80, s[0:3], 0 offen offset:12
	buffer_load_dword v86, v80, s[0:3], 0 offen
	buffer_load_dword v87, v80, s[0:3], 0 offen offset:4
	v_mov_b32_e32 v80, s44
	v_cmp_eq_u32_e32 vcc_lo, 0, v77
	s_add_i32 s44, s44, 16
	ds_read_b128 v[82:85], v80
	s_or_b32 s4, vcc_lo, s4
	s_waitcnt vmcnt(2) lgkmcnt(0)
	v_mul_f64 v[88:89], v[84:85], v[78:79]
	v_mul_f64 v[78:79], v[82:83], v[78:79]
	s_waitcnt vmcnt(0)
	v_fma_f64 v[82:83], v[82:83], v[86:87], -v[88:89]
	v_fma_f64 v[78:79], v[84:85], v[86:87], v[78:79]
	v_add_f64 v[1:2], v[1:2], v[82:83]
	v_add_f64 v[3:4], v[3:4], v[78:79]
	s_andn2_b32 exec_lo, exec_lo, s4
	s_cbranch_execnz .LBB98_192
; %bb.193:
	s_or_b32 exec_lo, exec_lo, s4
.LBB98_194:
	s_or_b32 exec_lo, exec_lo, s43
	v_mov_b32_e32 v77, 0
	ds_read_b128 v[77:80], v77 offset:160
	s_waitcnt lgkmcnt(0)
	v_mul_f64 v[82:83], v[3:4], v[79:80]
	v_mul_f64 v[79:80], v[1:2], v[79:80]
	v_fma_f64 v[1:2], v[1:2], v[77:78], -v[82:83]
	v_fma_f64 v[3:4], v[3:4], v[77:78], v[79:80]
	buffer_store_dword v2, off, s[0:3], 0 offset:164
	buffer_store_dword v1, off, s[0:3], 0 offset:160
	;; [unrolled: 1-line block ×4, first 2 shown]
.LBB98_195:
	s_or_b32 exec_lo, exec_lo, s8
	v_mov_b32_e32 v4, s33
	v_cmp_lt_u32_e64 s4, 9, v0
	s_clause 0x3
	buffer_load_dword v1, v4, s[0:3], 0 offen
	buffer_load_dword v2, v4, s[0:3], 0 offen offset:4
	buffer_load_dword v3, v4, s[0:3], 0 offen offset:8
	buffer_load_dword v4, v4, s[0:3], 0 offen offset:12
	s_waitcnt vmcnt(0)
	ds_write_b128 v76, v[1:4]
	s_waitcnt lgkmcnt(0)
	s_waitcnt_vscnt null, 0x0
	s_barrier
	buffer_gl0_inv
	s_and_saveexec_b32 s8, s4
	s_cbranch_execz .LBB98_203
; %bb.196:
	ds_read_b128 v[1:4], v76
	s_andn2_b32 vcc_lo, exec_lo, s42
	s_cbranch_vccnz .LBB98_198
; %bb.197:
	s_clause 0x3
	buffer_load_dword v77, v75, s[0:3], 0 offen offset:8
	buffer_load_dword v78, v75, s[0:3], 0 offen offset:12
	buffer_load_dword v79, v75, s[0:3], 0 offen
	buffer_load_dword v80, v75, s[0:3], 0 offen offset:4
	s_waitcnt vmcnt(2) lgkmcnt(0)
	v_mul_f64 v[82:83], v[3:4], v[77:78]
	v_mul_f64 v[77:78], v[1:2], v[77:78]
	s_waitcnt vmcnt(0)
	v_fma_f64 v[1:2], v[1:2], v[79:80], -v[82:83]
	v_fma_f64 v[3:4], v[3:4], v[79:80], v[77:78]
.LBB98_198:
	s_and_saveexec_b32 s43, s5
	s_cbranch_execz .LBB98_202
; %bb.199:
	v_add_nc_u32_e32 v77, -10, v0
	s_movk_i32 s44, 0x2d0
	s_mov_b32 s5, 0
	s_mov_b32 s45, s31
	.p2align	6
.LBB98_200:                             ; =>This Inner Loop Header: Depth=1
	v_mov_b32_e32 v80, s45
	v_add_nc_u32_e32 v77, -1, v77
	s_add_i32 s45, s45, 16
	s_clause 0x3
	buffer_load_dword v78, v80, s[0:3], 0 offen offset:8
	buffer_load_dword v79, v80, s[0:3], 0 offen offset:12
	buffer_load_dword v86, v80, s[0:3], 0 offen
	buffer_load_dword v87, v80, s[0:3], 0 offen offset:4
	v_mov_b32_e32 v80, s44
	v_cmp_eq_u32_e32 vcc_lo, 0, v77
	s_add_i32 s44, s44, 16
	ds_read_b128 v[82:85], v80
	s_or_b32 s5, vcc_lo, s5
	s_waitcnt vmcnt(2) lgkmcnt(0)
	v_mul_f64 v[88:89], v[84:85], v[78:79]
	v_mul_f64 v[78:79], v[82:83], v[78:79]
	s_waitcnt vmcnt(0)
	v_fma_f64 v[82:83], v[82:83], v[86:87], -v[88:89]
	v_fma_f64 v[78:79], v[84:85], v[86:87], v[78:79]
	v_add_f64 v[1:2], v[1:2], v[82:83]
	v_add_f64 v[3:4], v[3:4], v[78:79]
	s_andn2_b32 exec_lo, exec_lo, s5
	s_cbranch_execnz .LBB98_200
; %bb.201:
	s_or_b32 exec_lo, exec_lo, s5
.LBB98_202:
	s_or_b32 exec_lo, exec_lo, s43
	v_mov_b32_e32 v77, 0
	ds_read_b128 v[77:80], v77 offset:144
	s_waitcnt lgkmcnt(0)
	v_mul_f64 v[82:83], v[3:4], v[79:80]
	v_mul_f64 v[79:80], v[1:2], v[79:80]
	v_fma_f64 v[1:2], v[1:2], v[77:78], -v[82:83]
	v_fma_f64 v[3:4], v[3:4], v[77:78], v[79:80]
	buffer_store_dword v2, off, s[0:3], 0 offset:148
	buffer_store_dword v1, off, s[0:3], 0 offset:144
	;; [unrolled: 1-line block ×4, first 2 shown]
.LBB98_203:
	s_or_b32 exec_lo, exec_lo, s8
	v_mov_b32_e32 v4, s34
	v_cmp_lt_u32_e64 s5, 8, v0
	s_clause 0x3
	buffer_load_dword v1, v4, s[0:3], 0 offen
	buffer_load_dword v2, v4, s[0:3], 0 offen offset:4
	buffer_load_dword v3, v4, s[0:3], 0 offen offset:8
	;; [unrolled: 1-line block ×3, first 2 shown]
	s_waitcnt vmcnt(0)
	ds_write_b128 v76, v[1:4]
	s_waitcnt lgkmcnt(0)
	s_waitcnt_vscnt null, 0x0
	s_barrier
	buffer_gl0_inv
	s_and_saveexec_b32 s8, s5
	s_cbranch_execz .LBB98_211
; %bb.204:
	ds_read_b128 v[1:4], v76
	s_andn2_b32 vcc_lo, exec_lo, s42
	s_cbranch_vccnz .LBB98_206
; %bb.205:
	s_clause 0x3
	buffer_load_dword v77, v75, s[0:3], 0 offen offset:8
	buffer_load_dword v78, v75, s[0:3], 0 offen offset:12
	buffer_load_dword v79, v75, s[0:3], 0 offen
	buffer_load_dword v80, v75, s[0:3], 0 offen offset:4
	s_waitcnt vmcnt(2) lgkmcnt(0)
	v_mul_f64 v[82:83], v[3:4], v[77:78]
	v_mul_f64 v[77:78], v[1:2], v[77:78]
	s_waitcnt vmcnt(0)
	v_fma_f64 v[1:2], v[1:2], v[79:80], -v[82:83]
	v_fma_f64 v[3:4], v[3:4], v[79:80], v[77:78]
.LBB98_206:
	s_and_saveexec_b32 s43, s4
	s_cbranch_execz .LBB98_210
; %bb.207:
	v_add_nc_u32_e32 v77, -9, v0
	s_movk_i32 s44, 0x2c0
	s_mov_b32 s4, 0
	s_mov_b32 s45, s33
	.p2align	6
.LBB98_208:                             ; =>This Inner Loop Header: Depth=1
	v_mov_b32_e32 v80, s45
	v_add_nc_u32_e32 v77, -1, v77
	s_add_i32 s45, s45, 16
	s_clause 0x3
	buffer_load_dword v78, v80, s[0:3], 0 offen offset:8
	buffer_load_dword v79, v80, s[0:3], 0 offen offset:12
	buffer_load_dword v86, v80, s[0:3], 0 offen
	buffer_load_dword v87, v80, s[0:3], 0 offen offset:4
	v_mov_b32_e32 v80, s44
	v_cmp_eq_u32_e32 vcc_lo, 0, v77
	s_add_i32 s44, s44, 16
	ds_read_b128 v[82:85], v80
	s_or_b32 s4, vcc_lo, s4
	s_waitcnt vmcnt(2) lgkmcnt(0)
	v_mul_f64 v[88:89], v[84:85], v[78:79]
	v_mul_f64 v[78:79], v[82:83], v[78:79]
	s_waitcnt vmcnt(0)
	v_fma_f64 v[82:83], v[82:83], v[86:87], -v[88:89]
	v_fma_f64 v[78:79], v[84:85], v[86:87], v[78:79]
	v_add_f64 v[1:2], v[1:2], v[82:83]
	v_add_f64 v[3:4], v[3:4], v[78:79]
	s_andn2_b32 exec_lo, exec_lo, s4
	s_cbranch_execnz .LBB98_208
; %bb.209:
	s_or_b32 exec_lo, exec_lo, s4
.LBB98_210:
	s_or_b32 exec_lo, exec_lo, s43
	v_mov_b32_e32 v77, 0
	ds_read_b128 v[77:80], v77 offset:128
	s_waitcnt lgkmcnt(0)
	v_mul_f64 v[82:83], v[3:4], v[79:80]
	v_mul_f64 v[79:80], v[1:2], v[79:80]
	v_fma_f64 v[1:2], v[1:2], v[77:78], -v[82:83]
	v_fma_f64 v[3:4], v[3:4], v[77:78], v[79:80]
	buffer_store_dword v2, off, s[0:3], 0 offset:132
	buffer_store_dword v1, off, s[0:3], 0 offset:128
	;; [unrolled: 1-line block ×4, first 2 shown]
.LBB98_211:
	s_or_b32 exec_lo, exec_lo, s8
	v_mov_b32_e32 v4, s35
	v_cmp_lt_u32_e64 s4, 7, v0
	s_clause 0x3
	buffer_load_dword v1, v4, s[0:3], 0 offen
	buffer_load_dword v2, v4, s[0:3], 0 offen offset:4
	buffer_load_dword v3, v4, s[0:3], 0 offen offset:8
	;; [unrolled: 1-line block ×3, first 2 shown]
	s_waitcnt vmcnt(0)
	ds_write_b128 v76, v[1:4]
	s_waitcnt lgkmcnt(0)
	s_waitcnt_vscnt null, 0x0
	s_barrier
	buffer_gl0_inv
	s_and_saveexec_b32 s8, s4
	s_cbranch_execz .LBB98_219
; %bb.212:
	ds_read_b128 v[1:4], v76
	s_andn2_b32 vcc_lo, exec_lo, s42
	s_cbranch_vccnz .LBB98_214
; %bb.213:
	s_clause 0x3
	buffer_load_dword v77, v75, s[0:3], 0 offen offset:8
	buffer_load_dword v78, v75, s[0:3], 0 offen offset:12
	buffer_load_dword v79, v75, s[0:3], 0 offen
	buffer_load_dword v80, v75, s[0:3], 0 offen offset:4
	s_waitcnt vmcnt(2) lgkmcnt(0)
	v_mul_f64 v[82:83], v[3:4], v[77:78]
	v_mul_f64 v[77:78], v[1:2], v[77:78]
	s_waitcnt vmcnt(0)
	v_fma_f64 v[1:2], v[1:2], v[79:80], -v[82:83]
	v_fma_f64 v[3:4], v[3:4], v[79:80], v[77:78]
.LBB98_214:
	s_and_saveexec_b32 s43, s5
	s_cbranch_execz .LBB98_218
; %bb.215:
	v_add_nc_u32_e32 v77, -8, v0
	s_movk_i32 s44, 0x2b0
	s_mov_b32 s5, 0
	s_mov_b32 s45, s34
	.p2align	6
.LBB98_216:                             ; =>This Inner Loop Header: Depth=1
	v_mov_b32_e32 v80, s45
	v_add_nc_u32_e32 v77, -1, v77
	s_add_i32 s45, s45, 16
	s_clause 0x3
	buffer_load_dword v78, v80, s[0:3], 0 offen offset:8
	buffer_load_dword v79, v80, s[0:3], 0 offen offset:12
	buffer_load_dword v86, v80, s[0:3], 0 offen
	buffer_load_dword v87, v80, s[0:3], 0 offen offset:4
	v_mov_b32_e32 v80, s44
	v_cmp_eq_u32_e32 vcc_lo, 0, v77
	s_add_i32 s44, s44, 16
	ds_read_b128 v[82:85], v80
	s_or_b32 s5, vcc_lo, s5
	s_waitcnt vmcnt(2) lgkmcnt(0)
	v_mul_f64 v[88:89], v[84:85], v[78:79]
	v_mul_f64 v[78:79], v[82:83], v[78:79]
	s_waitcnt vmcnt(0)
	v_fma_f64 v[82:83], v[82:83], v[86:87], -v[88:89]
	v_fma_f64 v[78:79], v[84:85], v[86:87], v[78:79]
	v_add_f64 v[1:2], v[1:2], v[82:83]
	v_add_f64 v[3:4], v[3:4], v[78:79]
	s_andn2_b32 exec_lo, exec_lo, s5
	s_cbranch_execnz .LBB98_216
; %bb.217:
	s_or_b32 exec_lo, exec_lo, s5
.LBB98_218:
	s_or_b32 exec_lo, exec_lo, s43
	v_mov_b32_e32 v77, 0
	ds_read_b128 v[77:80], v77 offset:112
	s_waitcnt lgkmcnt(0)
	v_mul_f64 v[82:83], v[3:4], v[79:80]
	v_mul_f64 v[79:80], v[1:2], v[79:80]
	v_fma_f64 v[1:2], v[1:2], v[77:78], -v[82:83]
	v_fma_f64 v[3:4], v[3:4], v[77:78], v[79:80]
	buffer_store_dword v2, off, s[0:3], 0 offset:116
	buffer_store_dword v1, off, s[0:3], 0 offset:112
	buffer_store_dword v4, off, s[0:3], 0 offset:124
	buffer_store_dword v3, off, s[0:3], 0 offset:120
.LBB98_219:
	s_or_b32 exec_lo, exec_lo, s8
	v_mov_b32_e32 v4, s36
	v_cmp_lt_u32_e64 s5, 6, v0
	s_clause 0x3
	buffer_load_dword v1, v4, s[0:3], 0 offen
	buffer_load_dword v2, v4, s[0:3], 0 offen offset:4
	buffer_load_dword v3, v4, s[0:3], 0 offen offset:8
	;; [unrolled: 1-line block ×3, first 2 shown]
	s_waitcnt vmcnt(0)
	ds_write_b128 v76, v[1:4]
	s_waitcnt lgkmcnt(0)
	s_waitcnt_vscnt null, 0x0
	s_barrier
	buffer_gl0_inv
	s_and_saveexec_b32 s8, s5
	s_cbranch_execz .LBB98_227
; %bb.220:
	ds_read_b128 v[1:4], v76
	s_andn2_b32 vcc_lo, exec_lo, s42
	s_cbranch_vccnz .LBB98_222
; %bb.221:
	s_clause 0x3
	buffer_load_dword v77, v75, s[0:3], 0 offen offset:8
	buffer_load_dword v78, v75, s[0:3], 0 offen offset:12
	buffer_load_dword v79, v75, s[0:3], 0 offen
	buffer_load_dword v80, v75, s[0:3], 0 offen offset:4
	s_waitcnt vmcnt(2) lgkmcnt(0)
	v_mul_f64 v[82:83], v[3:4], v[77:78]
	v_mul_f64 v[77:78], v[1:2], v[77:78]
	s_waitcnt vmcnt(0)
	v_fma_f64 v[1:2], v[1:2], v[79:80], -v[82:83]
	v_fma_f64 v[3:4], v[3:4], v[79:80], v[77:78]
.LBB98_222:
	s_and_saveexec_b32 s43, s4
	s_cbranch_execz .LBB98_226
; %bb.223:
	v_add_nc_u32_e32 v77, -7, v0
	s_movk_i32 s44, 0x2a0
	s_mov_b32 s4, 0
	s_mov_b32 s45, s35
	.p2align	6
.LBB98_224:                             ; =>This Inner Loop Header: Depth=1
	v_mov_b32_e32 v80, s45
	v_add_nc_u32_e32 v77, -1, v77
	s_add_i32 s45, s45, 16
	s_clause 0x3
	buffer_load_dword v78, v80, s[0:3], 0 offen offset:8
	buffer_load_dword v79, v80, s[0:3], 0 offen offset:12
	buffer_load_dword v86, v80, s[0:3], 0 offen
	buffer_load_dword v87, v80, s[0:3], 0 offen offset:4
	v_mov_b32_e32 v80, s44
	v_cmp_eq_u32_e32 vcc_lo, 0, v77
	s_add_i32 s44, s44, 16
	ds_read_b128 v[82:85], v80
	s_or_b32 s4, vcc_lo, s4
	s_waitcnt vmcnt(2) lgkmcnt(0)
	v_mul_f64 v[88:89], v[84:85], v[78:79]
	v_mul_f64 v[78:79], v[82:83], v[78:79]
	s_waitcnt vmcnt(0)
	v_fma_f64 v[82:83], v[82:83], v[86:87], -v[88:89]
	v_fma_f64 v[78:79], v[84:85], v[86:87], v[78:79]
	v_add_f64 v[1:2], v[1:2], v[82:83]
	v_add_f64 v[3:4], v[3:4], v[78:79]
	s_andn2_b32 exec_lo, exec_lo, s4
	s_cbranch_execnz .LBB98_224
; %bb.225:
	s_or_b32 exec_lo, exec_lo, s4
.LBB98_226:
	s_or_b32 exec_lo, exec_lo, s43
	v_mov_b32_e32 v77, 0
	ds_read_b128 v[77:80], v77 offset:96
	s_waitcnt lgkmcnt(0)
	v_mul_f64 v[82:83], v[3:4], v[79:80]
	v_mul_f64 v[79:80], v[1:2], v[79:80]
	v_fma_f64 v[1:2], v[1:2], v[77:78], -v[82:83]
	v_fma_f64 v[3:4], v[3:4], v[77:78], v[79:80]
	buffer_store_dword v2, off, s[0:3], 0 offset:100
	buffer_store_dword v1, off, s[0:3], 0 offset:96
	;; [unrolled: 1-line block ×4, first 2 shown]
.LBB98_227:
	s_or_b32 exec_lo, exec_lo, s8
	v_mov_b32_e32 v4, s37
	v_cmp_lt_u32_e64 s4, 5, v0
	s_clause 0x3
	buffer_load_dword v1, v4, s[0:3], 0 offen
	buffer_load_dword v2, v4, s[0:3], 0 offen offset:4
	buffer_load_dword v3, v4, s[0:3], 0 offen offset:8
	;; [unrolled: 1-line block ×3, first 2 shown]
	s_waitcnt vmcnt(0)
	ds_write_b128 v76, v[1:4]
	s_waitcnt lgkmcnt(0)
	s_waitcnt_vscnt null, 0x0
	s_barrier
	buffer_gl0_inv
	s_and_saveexec_b32 s8, s4
	s_cbranch_execz .LBB98_235
; %bb.228:
	ds_read_b128 v[1:4], v76
	s_andn2_b32 vcc_lo, exec_lo, s42
	s_cbranch_vccnz .LBB98_230
; %bb.229:
	s_clause 0x3
	buffer_load_dword v77, v75, s[0:3], 0 offen offset:8
	buffer_load_dword v78, v75, s[0:3], 0 offen offset:12
	buffer_load_dword v79, v75, s[0:3], 0 offen
	buffer_load_dword v80, v75, s[0:3], 0 offen offset:4
	s_waitcnt vmcnt(2) lgkmcnt(0)
	v_mul_f64 v[82:83], v[3:4], v[77:78]
	v_mul_f64 v[77:78], v[1:2], v[77:78]
	s_waitcnt vmcnt(0)
	v_fma_f64 v[1:2], v[1:2], v[79:80], -v[82:83]
	v_fma_f64 v[3:4], v[3:4], v[79:80], v[77:78]
.LBB98_230:
	s_and_saveexec_b32 s43, s5
	s_cbranch_execz .LBB98_234
; %bb.231:
	v_add_nc_u32_e32 v77, -6, v0
	s_movk_i32 s44, 0x290
	s_mov_b32 s5, 0
	s_mov_b32 s45, s36
	.p2align	6
.LBB98_232:                             ; =>This Inner Loop Header: Depth=1
	v_mov_b32_e32 v80, s45
	v_add_nc_u32_e32 v77, -1, v77
	s_add_i32 s45, s45, 16
	s_clause 0x3
	buffer_load_dword v78, v80, s[0:3], 0 offen offset:8
	buffer_load_dword v79, v80, s[0:3], 0 offen offset:12
	buffer_load_dword v86, v80, s[0:3], 0 offen
	buffer_load_dword v87, v80, s[0:3], 0 offen offset:4
	v_mov_b32_e32 v80, s44
	v_cmp_eq_u32_e32 vcc_lo, 0, v77
	s_add_i32 s44, s44, 16
	ds_read_b128 v[82:85], v80
	s_or_b32 s5, vcc_lo, s5
	s_waitcnt vmcnt(2) lgkmcnt(0)
	v_mul_f64 v[88:89], v[84:85], v[78:79]
	v_mul_f64 v[78:79], v[82:83], v[78:79]
	s_waitcnt vmcnt(0)
	v_fma_f64 v[82:83], v[82:83], v[86:87], -v[88:89]
	v_fma_f64 v[78:79], v[84:85], v[86:87], v[78:79]
	v_add_f64 v[1:2], v[1:2], v[82:83]
	v_add_f64 v[3:4], v[3:4], v[78:79]
	s_andn2_b32 exec_lo, exec_lo, s5
	s_cbranch_execnz .LBB98_232
; %bb.233:
	s_or_b32 exec_lo, exec_lo, s5
.LBB98_234:
	s_or_b32 exec_lo, exec_lo, s43
	v_mov_b32_e32 v77, 0
	ds_read_b128 v[77:80], v77 offset:80
	s_waitcnt lgkmcnt(0)
	v_mul_f64 v[82:83], v[3:4], v[79:80]
	v_mul_f64 v[79:80], v[1:2], v[79:80]
	v_fma_f64 v[1:2], v[1:2], v[77:78], -v[82:83]
	v_fma_f64 v[3:4], v[3:4], v[77:78], v[79:80]
	buffer_store_dword v2, off, s[0:3], 0 offset:84
	buffer_store_dword v1, off, s[0:3], 0 offset:80
	;; [unrolled: 1-line block ×4, first 2 shown]
.LBB98_235:
	s_or_b32 exec_lo, exec_lo, s8
	v_mov_b32_e32 v4, s38
	v_cmp_lt_u32_e64 s5, 4, v0
	s_clause 0x3
	buffer_load_dword v1, v4, s[0:3], 0 offen
	buffer_load_dword v2, v4, s[0:3], 0 offen offset:4
	buffer_load_dword v3, v4, s[0:3], 0 offen offset:8
	;; [unrolled: 1-line block ×3, first 2 shown]
	s_waitcnt vmcnt(0)
	ds_write_b128 v76, v[1:4]
	s_waitcnt lgkmcnt(0)
	s_waitcnt_vscnt null, 0x0
	s_barrier
	buffer_gl0_inv
	s_and_saveexec_b32 s8, s5
	s_cbranch_execz .LBB98_243
; %bb.236:
	ds_read_b128 v[1:4], v76
	s_andn2_b32 vcc_lo, exec_lo, s42
	s_cbranch_vccnz .LBB98_238
; %bb.237:
	s_clause 0x3
	buffer_load_dword v77, v75, s[0:3], 0 offen offset:8
	buffer_load_dword v78, v75, s[0:3], 0 offen offset:12
	buffer_load_dword v79, v75, s[0:3], 0 offen
	buffer_load_dword v80, v75, s[0:3], 0 offen offset:4
	s_waitcnt vmcnt(2) lgkmcnt(0)
	v_mul_f64 v[82:83], v[3:4], v[77:78]
	v_mul_f64 v[77:78], v[1:2], v[77:78]
	s_waitcnt vmcnt(0)
	v_fma_f64 v[1:2], v[1:2], v[79:80], -v[82:83]
	v_fma_f64 v[3:4], v[3:4], v[79:80], v[77:78]
.LBB98_238:
	s_and_saveexec_b32 s43, s4
	s_cbranch_execz .LBB98_242
; %bb.239:
	v_add_nc_u32_e32 v77, -5, v0
	s_movk_i32 s44, 0x280
	s_mov_b32 s4, 0
	s_mov_b32 s45, s37
	.p2align	6
.LBB98_240:                             ; =>This Inner Loop Header: Depth=1
	v_mov_b32_e32 v80, s45
	v_add_nc_u32_e32 v77, -1, v77
	s_add_i32 s45, s45, 16
	s_clause 0x3
	buffer_load_dword v78, v80, s[0:3], 0 offen offset:8
	buffer_load_dword v79, v80, s[0:3], 0 offen offset:12
	buffer_load_dword v86, v80, s[0:3], 0 offen
	buffer_load_dword v87, v80, s[0:3], 0 offen offset:4
	v_mov_b32_e32 v80, s44
	v_cmp_eq_u32_e32 vcc_lo, 0, v77
	s_add_i32 s44, s44, 16
	ds_read_b128 v[82:85], v80
	s_or_b32 s4, vcc_lo, s4
	s_waitcnt vmcnt(2) lgkmcnt(0)
	v_mul_f64 v[88:89], v[84:85], v[78:79]
	v_mul_f64 v[78:79], v[82:83], v[78:79]
	s_waitcnt vmcnt(0)
	v_fma_f64 v[82:83], v[82:83], v[86:87], -v[88:89]
	v_fma_f64 v[78:79], v[84:85], v[86:87], v[78:79]
	v_add_f64 v[1:2], v[1:2], v[82:83]
	v_add_f64 v[3:4], v[3:4], v[78:79]
	s_andn2_b32 exec_lo, exec_lo, s4
	s_cbranch_execnz .LBB98_240
; %bb.241:
	s_or_b32 exec_lo, exec_lo, s4
.LBB98_242:
	s_or_b32 exec_lo, exec_lo, s43
	v_mov_b32_e32 v77, 0
	ds_read_b128 v[77:80], v77 offset:64
	s_waitcnt lgkmcnt(0)
	v_mul_f64 v[82:83], v[3:4], v[79:80]
	v_mul_f64 v[79:80], v[1:2], v[79:80]
	v_fma_f64 v[1:2], v[1:2], v[77:78], -v[82:83]
	v_fma_f64 v[3:4], v[3:4], v[77:78], v[79:80]
	buffer_store_dword v2, off, s[0:3], 0 offset:68
	buffer_store_dword v1, off, s[0:3], 0 offset:64
	;; [unrolled: 1-line block ×4, first 2 shown]
.LBB98_243:
	s_or_b32 exec_lo, exec_lo, s8
	v_mov_b32_e32 v4, s39
	v_cmp_lt_u32_e64 s4, 3, v0
	s_clause 0x3
	buffer_load_dword v1, v4, s[0:3], 0 offen
	buffer_load_dword v2, v4, s[0:3], 0 offen offset:4
	buffer_load_dword v3, v4, s[0:3], 0 offen offset:8
	;; [unrolled: 1-line block ×3, first 2 shown]
	s_waitcnt vmcnt(0)
	ds_write_b128 v76, v[1:4]
	s_waitcnt lgkmcnt(0)
	s_waitcnt_vscnt null, 0x0
	s_barrier
	buffer_gl0_inv
	s_and_saveexec_b32 s8, s4
	s_cbranch_execz .LBB98_251
; %bb.244:
	ds_read_b128 v[1:4], v76
	s_andn2_b32 vcc_lo, exec_lo, s42
	s_cbranch_vccnz .LBB98_246
; %bb.245:
	s_clause 0x3
	buffer_load_dword v77, v75, s[0:3], 0 offen offset:8
	buffer_load_dword v78, v75, s[0:3], 0 offen offset:12
	buffer_load_dword v79, v75, s[0:3], 0 offen
	buffer_load_dword v80, v75, s[0:3], 0 offen offset:4
	s_waitcnt vmcnt(2) lgkmcnt(0)
	v_mul_f64 v[82:83], v[3:4], v[77:78]
	v_mul_f64 v[77:78], v[1:2], v[77:78]
	s_waitcnt vmcnt(0)
	v_fma_f64 v[1:2], v[1:2], v[79:80], -v[82:83]
	v_fma_f64 v[3:4], v[3:4], v[79:80], v[77:78]
.LBB98_246:
	s_and_saveexec_b32 s43, s5
	s_cbranch_execz .LBB98_250
; %bb.247:
	v_add_nc_u32_e32 v77, -4, v0
	s_movk_i32 s44, 0x270
	s_mov_b32 s5, 0
	s_mov_b32 s45, s38
	.p2align	6
.LBB98_248:                             ; =>This Inner Loop Header: Depth=1
	v_mov_b32_e32 v80, s45
	v_add_nc_u32_e32 v77, -1, v77
	s_add_i32 s45, s45, 16
	s_clause 0x3
	buffer_load_dword v78, v80, s[0:3], 0 offen offset:8
	buffer_load_dword v79, v80, s[0:3], 0 offen offset:12
	buffer_load_dword v86, v80, s[0:3], 0 offen
	buffer_load_dword v87, v80, s[0:3], 0 offen offset:4
	v_mov_b32_e32 v80, s44
	v_cmp_eq_u32_e32 vcc_lo, 0, v77
	s_add_i32 s44, s44, 16
	ds_read_b128 v[82:85], v80
	s_or_b32 s5, vcc_lo, s5
	s_waitcnt vmcnt(2) lgkmcnt(0)
	v_mul_f64 v[88:89], v[84:85], v[78:79]
	v_mul_f64 v[78:79], v[82:83], v[78:79]
	s_waitcnt vmcnt(0)
	v_fma_f64 v[82:83], v[82:83], v[86:87], -v[88:89]
	v_fma_f64 v[78:79], v[84:85], v[86:87], v[78:79]
	v_add_f64 v[1:2], v[1:2], v[82:83]
	v_add_f64 v[3:4], v[3:4], v[78:79]
	s_andn2_b32 exec_lo, exec_lo, s5
	s_cbranch_execnz .LBB98_248
; %bb.249:
	s_or_b32 exec_lo, exec_lo, s5
.LBB98_250:
	s_or_b32 exec_lo, exec_lo, s43
	v_mov_b32_e32 v77, 0
	ds_read_b128 v[77:80], v77 offset:48
	s_waitcnt lgkmcnt(0)
	v_mul_f64 v[82:83], v[3:4], v[79:80]
	v_mul_f64 v[79:80], v[1:2], v[79:80]
	v_fma_f64 v[1:2], v[1:2], v[77:78], -v[82:83]
	v_fma_f64 v[3:4], v[3:4], v[77:78], v[79:80]
	buffer_store_dword v2, off, s[0:3], 0 offset:52
	buffer_store_dword v1, off, s[0:3], 0 offset:48
	;; [unrolled: 1-line block ×4, first 2 shown]
.LBB98_251:
	s_or_b32 exec_lo, exec_lo, s8
	v_mov_b32_e32 v4, s40
	v_cmp_lt_u32_e64 s5, 2, v0
	s_clause 0x3
	buffer_load_dword v1, v4, s[0:3], 0 offen
	buffer_load_dword v2, v4, s[0:3], 0 offen offset:4
	buffer_load_dword v3, v4, s[0:3], 0 offen offset:8
	;; [unrolled: 1-line block ×3, first 2 shown]
	s_waitcnt vmcnt(0)
	ds_write_b128 v76, v[1:4]
	s_waitcnt lgkmcnt(0)
	s_waitcnt_vscnt null, 0x0
	s_barrier
	buffer_gl0_inv
	s_and_saveexec_b32 s8, s5
	s_cbranch_execz .LBB98_259
; %bb.252:
	ds_read_b128 v[1:4], v76
	s_andn2_b32 vcc_lo, exec_lo, s42
	s_cbranch_vccnz .LBB98_254
; %bb.253:
	s_clause 0x3
	buffer_load_dword v77, v75, s[0:3], 0 offen offset:8
	buffer_load_dword v78, v75, s[0:3], 0 offen offset:12
	buffer_load_dword v79, v75, s[0:3], 0 offen
	buffer_load_dword v80, v75, s[0:3], 0 offen offset:4
	s_waitcnt vmcnt(2) lgkmcnt(0)
	v_mul_f64 v[82:83], v[3:4], v[77:78]
	v_mul_f64 v[77:78], v[1:2], v[77:78]
	s_waitcnt vmcnt(0)
	v_fma_f64 v[1:2], v[1:2], v[79:80], -v[82:83]
	v_fma_f64 v[3:4], v[3:4], v[79:80], v[77:78]
.LBB98_254:
	s_and_saveexec_b32 s43, s4
	s_cbranch_execz .LBB98_258
; %bb.255:
	v_add_nc_u32_e32 v77, -3, v0
	s_movk_i32 s44, 0x260
	s_mov_b32 s4, 0
	s_mov_b32 s45, s39
	.p2align	6
.LBB98_256:                             ; =>This Inner Loop Header: Depth=1
	v_mov_b32_e32 v80, s45
	v_add_nc_u32_e32 v77, -1, v77
	s_add_i32 s45, s45, 16
	s_clause 0x3
	buffer_load_dword v78, v80, s[0:3], 0 offen offset:8
	buffer_load_dword v79, v80, s[0:3], 0 offen offset:12
	buffer_load_dword v86, v80, s[0:3], 0 offen
	buffer_load_dword v87, v80, s[0:3], 0 offen offset:4
	v_mov_b32_e32 v80, s44
	v_cmp_eq_u32_e32 vcc_lo, 0, v77
	s_add_i32 s44, s44, 16
	ds_read_b128 v[82:85], v80
	s_or_b32 s4, vcc_lo, s4
	s_waitcnt vmcnt(2) lgkmcnt(0)
	v_mul_f64 v[88:89], v[84:85], v[78:79]
	v_mul_f64 v[78:79], v[82:83], v[78:79]
	s_waitcnt vmcnt(0)
	v_fma_f64 v[82:83], v[82:83], v[86:87], -v[88:89]
	v_fma_f64 v[78:79], v[84:85], v[86:87], v[78:79]
	v_add_f64 v[1:2], v[1:2], v[82:83]
	v_add_f64 v[3:4], v[3:4], v[78:79]
	s_andn2_b32 exec_lo, exec_lo, s4
	s_cbranch_execnz .LBB98_256
; %bb.257:
	s_or_b32 exec_lo, exec_lo, s4
.LBB98_258:
	s_or_b32 exec_lo, exec_lo, s43
	v_mov_b32_e32 v77, 0
	ds_read_b128 v[77:80], v77 offset:32
	s_waitcnt lgkmcnt(0)
	v_mul_f64 v[82:83], v[3:4], v[79:80]
	v_mul_f64 v[79:80], v[1:2], v[79:80]
	v_fma_f64 v[1:2], v[1:2], v[77:78], -v[82:83]
	v_fma_f64 v[3:4], v[3:4], v[77:78], v[79:80]
	buffer_store_dword v2, off, s[0:3], 0 offset:36
	buffer_store_dword v1, off, s[0:3], 0 offset:32
	;; [unrolled: 1-line block ×4, first 2 shown]
.LBB98_259:
	s_or_b32 exec_lo, exec_lo, s8
	v_mov_b32_e32 v4, s41
	v_cmp_lt_u32_e64 s4, 1, v0
	s_clause 0x3
	buffer_load_dword v1, v4, s[0:3], 0 offen
	buffer_load_dword v2, v4, s[0:3], 0 offen offset:4
	buffer_load_dword v3, v4, s[0:3], 0 offen offset:8
	buffer_load_dword v4, v4, s[0:3], 0 offen offset:12
	s_waitcnt vmcnt(0)
	ds_write_b128 v76, v[1:4]
	s_waitcnt lgkmcnt(0)
	s_waitcnt_vscnt null, 0x0
	s_barrier
	buffer_gl0_inv
	s_and_saveexec_b32 s8, s4
	s_cbranch_execz .LBB98_267
; %bb.260:
	ds_read_b128 v[1:4], v76
	s_andn2_b32 vcc_lo, exec_lo, s42
	s_cbranch_vccnz .LBB98_262
; %bb.261:
	s_clause 0x3
	buffer_load_dword v77, v75, s[0:3], 0 offen offset:8
	buffer_load_dword v78, v75, s[0:3], 0 offen offset:12
	buffer_load_dword v79, v75, s[0:3], 0 offen
	buffer_load_dword v80, v75, s[0:3], 0 offen offset:4
	s_waitcnt vmcnt(2) lgkmcnt(0)
	v_mul_f64 v[82:83], v[3:4], v[77:78]
	v_mul_f64 v[77:78], v[1:2], v[77:78]
	s_waitcnt vmcnt(0)
	v_fma_f64 v[1:2], v[1:2], v[79:80], -v[82:83]
	v_fma_f64 v[3:4], v[3:4], v[79:80], v[77:78]
.LBB98_262:
	s_and_saveexec_b32 s43, s5
	s_cbranch_execz .LBB98_266
; %bb.263:
	v_add_nc_u32_e32 v77, -2, v0
	s_movk_i32 s44, 0x250
	s_mov_b32 s5, 0
	s_mov_b32 s45, s40
	.p2align	6
.LBB98_264:                             ; =>This Inner Loop Header: Depth=1
	v_mov_b32_e32 v80, s45
	v_add_nc_u32_e32 v77, -1, v77
	s_add_i32 s45, s45, 16
	s_clause 0x3
	buffer_load_dword v78, v80, s[0:3], 0 offen offset:8
	buffer_load_dword v79, v80, s[0:3], 0 offen offset:12
	buffer_load_dword v86, v80, s[0:3], 0 offen
	buffer_load_dword v87, v80, s[0:3], 0 offen offset:4
	v_mov_b32_e32 v80, s44
	v_cmp_eq_u32_e32 vcc_lo, 0, v77
	s_add_i32 s44, s44, 16
	ds_read_b128 v[82:85], v80
	s_or_b32 s5, vcc_lo, s5
	s_waitcnt vmcnt(2) lgkmcnt(0)
	v_mul_f64 v[88:89], v[84:85], v[78:79]
	v_mul_f64 v[78:79], v[82:83], v[78:79]
	s_waitcnt vmcnt(0)
	v_fma_f64 v[82:83], v[82:83], v[86:87], -v[88:89]
	v_fma_f64 v[78:79], v[84:85], v[86:87], v[78:79]
	v_add_f64 v[1:2], v[1:2], v[82:83]
	v_add_f64 v[3:4], v[3:4], v[78:79]
	s_andn2_b32 exec_lo, exec_lo, s5
	s_cbranch_execnz .LBB98_264
; %bb.265:
	s_or_b32 exec_lo, exec_lo, s5
.LBB98_266:
	s_or_b32 exec_lo, exec_lo, s43
	v_mov_b32_e32 v77, 0
	ds_read_b128 v[77:80], v77 offset:16
	s_waitcnt lgkmcnt(0)
	v_mul_f64 v[82:83], v[3:4], v[79:80]
	v_mul_f64 v[79:80], v[1:2], v[79:80]
	v_fma_f64 v[1:2], v[1:2], v[77:78], -v[82:83]
	v_fma_f64 v[3:4], v[3:4], v[77:78], v[79:80]
	buffer_store_dword v2, off, s[0:3], 0 offset:20
	buffer_store_dword v1, off, s[0:3], 0 offset:16
	;; [unrolled: 1-line block ×4, first 2 shown]
.LBB98_267:
	s_or_b32 exec_lo, exec_lo, s8
	s_clause 0x3
	buffer_load_dword v1, off, s[0:3], 0
	buffer_load_dword v2, off, s[0:3], 0 offset:4
	buffer_load_dword v3, off, s[0:3], 0 offset:8
	;; [unrolled: 1-line block ×3, first 2 shown]
	s_mov_b32 s8, 0
	s_mov_b32 s5, 0
	s_mov_b32 s43, exec_lo
                                        ; implicit-def: $sgpr44
	s_waitcnt vmcnt(0)
	ds_write_b128 v76, v[1:4]
	s_waitcnt lgkmcnt(0)
	s_waitcnt_vscnt null, 0x0
	s_barrier
	buffer_gl0_inv
                                        ; implicit-def: $vgpr1_vgpr2
	v_cmpx_ne_u32_e32 0, v0
	s_cbranch_execz .LBB98_275
; %bb.268:
	ds_read_b128 v[1:4], v76
	s_andn2_b32 vcc_lo, exec_lo, s42
	s_cbranch_vccnz .LBB98_270
; %bb.269:
	s_clause 0x3
	buffer_load_dword v77, v75, s[0:3], 0 offen offset:8
	buffer_load_dword v78, v75, s[0:3], 0 offen offset:12
	buffer_load_dword v79, v75, s[0:3], 0 offen
	buffer_load_dword v80, v75, s[0:3], 0 offen offset:4
	s_waitcnt vmcnt(2) lgkmcnt(0)
	v_mul_f64 v[82:83], v[3:4], v[77:78]
	v_mul_f64 v[77:78], v[1:2], v[77:78]
	s_waitcnt vmcnt(0)
	v_fma_f64 v[1:2], v[1:2], v[79:80], -v[82:83]
	v_fma_f64 v[3:4], v[3:4], v[79:80], v[77:78]
.LBB98_270:
	s_and_saveexec_b32 s5, s4
	s_cbranch_execz .LBB98_274
; %bb.271:
	v_add_nc_u32_e32 v77, -1, v0
	s_movk_i32 s44, 0x240
	s_mov_b32 s4, 0
	s_mov_b32 s45, s41
	.p2align	6
.LBB98_272:                             ; =>This Inner Loop Header: Depth=1
	v_mov_b32_e32 v80, s45
	v_add_nc_u32_e32 v77, -1, v77
	s_add_i32 s45, s45, 16
	s_clause 0x3
	buffer_load_dword v78, v80, s[0:3], 0 offen offset:8
	buffer_load_dword v79, v80, s[0:3], 0 offen offset:12
	buffer_load_dword v86, v80, s[0:3], 0 offen
	buffer_load_dword v87, v80, s[0:3], 0 offen offset:4
	v_mov_b32_e32 v80, s44
	v_cmp_eq_u32_e32 vcc_lo, 0, v77
	s_add_i32 s44, s44, 16
	ds_read_b128 v[82:85], v80
	s_or_b32 s4, vcc_lo, s4
	s_waitcnt vmcnt(2) lgkmcnt(0)
	v_mul_f64 v[88:89], v[84:85], v[78:79]
	v_mul_f64 v[78:79], v[82:83], v[78:79]
	s_waitcnt vmcnt(0)
	v_fma_f64 v[82:83], v[82:83], v[86:87], -v[88:89]
	v_fma_f64 v[78:79], v[84:85], v[86:87], v[78:79]
	v_add_f64 v[1:2], v[1:2], v[82:83]
	v_add_f64 v[3:4], v[3:4], v[78:79]
	s_andn2_b32 exec_lo, exec_lo, s4
	s_cbranch_execnz .LBB98_272
; %bb.273:
	s_or_b32 exec_lo, exec_lo, s4
.LBB98_274:
	s_or_b32 exec_lo, exec_lo, s5
	v_mov_b32_e32 v77, 0
	s_mov_b32 s5, exec_lo
	s_or_b32 s44, 0, 8
	ds_read_b128 v[77:80], v77
	s_waitcnt lgkmcnt(0)
	v_mul_f64 v[82:83], v[3:4], v[79:80]
	v_mul_f64 v[79:80], v[1:2], v[79:80]
	v_fma_f64 v[82:83], v[1:2], v[77:78], -v[82:83]
	v_fma_f64 v[1:2], v[3:4], v[77:78], v[79:80]
	buffer_store_dword v83, off, s[0:3], 0 offset:4
	buffer_store_dword v82, off, s[0:3], 0
.LBB98_275:
	s_or_b32 exec_lo, exec_lo, s43
	s_and_b32 vcc_lo, exec_lo, s8
	s_cbranch_vccnz .LBB98_277
	s_branch .LBB98_544
.LBB98_276:
	s_mov_b32 s5, 0
                                        ; implicit-def: $vgpr1_vgpr2
                                        ; implicit-def: $sgpr44
	s_cbranch_execz .LBB98_544
.LBB98_277:
	v_mov_b32_e32 v4, s41
	v_cmp_eq_u32_e64 s4, 0, v0
	v_cndmask_b32_e64 v77, 0, 1, s42
	s_clause 0x3
	buffer_load_dword v1, v4, s[0:3], 0 offen
	buffer_load_dword v2, v4, s[0:3], 0 offen offset:4
	buffer_load_dword v3, v4, s[0:3], 0 offen offset:8
	;; [unrolled: 1-line block ×3, first 2 shown]
	s_waitcnt vmcnt(0)
	ds_write_b128 v76, v[1:4]
	s_waitcnt lgkmcnt(0)
	s_waitcnt_vscnt null, 0x0
	s_barrier
	buffer_gl0_inv
	s_and_saveexec_b32 s8, s4
	s_cbranch_execz .LBB98_281
; %bb.278:
	ds_read_b128 v[1:4], v76
	s_andn2_b32 vcc_lo, exec_lo, s42
	s_cbranch_vccnz .LBB98_280
; %bb.279:
	s_clause 0x3
	buffer_load_dword v78, v75, s[0:3], 0 offen offset:8
	buffer_load_dword v79, v75, s[0:3], 0 offen offset:12
	buffer_load_dword v82, v75, s[0:3], 0 offen
	buffer_load_dword v83, v75, s[0:3], 0 offen offset:4
	s_waitcnt vmcnt(2) lgkmcnt(0)
	v_mul_f64 v[84:85], v[3:4], v[78:79]
	v_mul_f64 v[78:79], v[1:2], v[78:79]
	s_waitcnt vmcnt(0)
	v_fma_f64 v[1:2], v[1:2], v[82:83], -v[84:85]
	v_fma_f64 v[3:4], v[3:4], v[82:83], v[78:79]
.LBB98_280:
	v_mov_b32_e32 v78, 0
	ds_read_b128 v[82:85], v78 offset:16
	s_waitcnt lgkmcnt(0)
	v_mul_f64 v[78:79], v[3:4], v[84:85]
	v_mul_f64 v[84:85], v[1:2], v[84:85]
	v_fma_f64 v[1:2], v[1:2], v[82:83], -v[78:79]
	v_fma_f64 v[3:4], v[3:4], v[82:83], v[84:85]
	buffer_store_dword v2, off, s[0:3], 0 offset:20
	buffer_store_dword v1, off, s[0:3], 0 offset:16
	;; [unrolled: 1-line block ×4, first 2 shown]
.LBB98_281:
	s_or_b32 exec_lo, exec_lo, s8
	v_mov_b32_e32 v4, s40
	s_mov_b32 s8, exec_lo
	s_clause 0x3
	buffer_load_dword v1, v4, s[0:3], 0 offen
	buffer_load_dword v2, v4, s[0:3], 0 offen offset:4
	buffer_load_dword v3, v4, s[0:3], 0 offen offset:8
	;; [unrolled: 1-line block ×3, first 2 shown]
	s_waitcnt vmcnt(0)
	ds_write_b128 v76, v[1:4]
	s_waitcnt lgkmcnt(0)
	s_waitcnt_vscnt null, 0x0
	s_barrier
	buffer_gl0_inv
	v_cmpx_gt_u32_e32 2, v0
	s_cbranch_execz .LBB98_287
; %bb.282:
	ds_read_b128 v[1:4], v76
	v_cmp_ne_u32_e32 vcc_lo, 1, v77
	s_cbranch_vccnz .LBB98_284
; %bb.283:
	s_clause 0x3
	buffer_load_dword v78, v75, s[0:3], 0 offen offset:8
	buffer_load_dword v79, v75, s[0:3], 0 offen offset:12
	buffer_load_dword v82, v75, s[0:3], 0 offen
	buffer_load_dword v83, v75, s[0:3], 0 offen offset:4
	s_waitcnt vmcnt(2) lgkmcnt(0)
	v_mul_f64 v[84:85], v[3:4], v[78:79]
	v_mul_f64 v[78:79], v[1:2], v[78:79]
	s_waitcnt vmcnt(0)
	v_fma_f64 v[1:2], v[1:2], v[82:83], -v[84:85]
	v_fma_f64 v[3:4], v[3:4], v[82:83], v[78:79]
.LBB98_284:
	s_and_saveexec_b32 s42, s4
	s_cbranch_execz .LBB98_286
; %bb.285:
	s_clause 0x3
	buffer_load_dword v78, off, s[0:3], 0 offset:24
	buffer_load_dword v79, off, s[0:3], 0 offset:28
	;; [unrolled: 1-line block ×4, first 2 shown]
	v_mov_b32_e32 v80, 0
	ds_read_b128 v[82:85], v80 offset:576
	s_waitcnt vmcnt(2) lgkmcnt(0)
	v_mul_f64 v[88:89], v[84:85], v[78:79]
	v_mul_f64 v[78:79], v[82:83], v[78:79]
	s_waitcnt vmcnt(0)
	v_fma_f64 v[82:83], v[82:83], v[86:87], -v[88:89]
	v_fma_f64 v[78:79], v[84:85], v[86:87], v[78:79]
	v_add_f64 v[1:2], v[1:2], v[82:83]
	v_add_f64 v[3:4], v[3:4], v[78:79]
.LBB98_286:
	s_or_b32 exec_lo, exec_lo, s42
	v_mov_b32_e32 v78, 0
	ds_read_b128 v[82:85], v78 offset:32
	s_waitcnt lgkmcnt(0)
	v_mul_f64 v[78:79], v[3:4], v[84:85]
	v_mul_f64 v[84:85], v[1:2], v[84:85]
	v_fma_f64 v[1:2], v[1:2], v[82:83], -v[78:79]
	v_fma_f64 v[3:4], v[3:4], v[82:83], v[84:85]
	buffer_store_dword v2, off, s[0:3], 0 offset:36
	buffer_store_dword v1, off, s[0:3], 0 offset:32
	;; [unrolled: 1-line block ×4, first 2 shown]
.LBB98_287:
	s_or_b32 exec_lo, exec_lo, s8
	v_mov_b32_e32 v4, s39
	s_mov_b32 s8, exec_lo
	s_clause 0x3
	buffer_load_dword v1, v4, s[0:3], 0 offen
	buffer_load_dword v2, v4, s[0:3], 0 offen offset:4
	buffer_load_dword v3, v4, s[0:3], 0 offen offset:8
	;; [unrolled: 1-line block ×3, first 2 shown]
	s_waitcnt vmcnt(0)
	ds_write_b128 v76, v[1:4]
	s_waitcnt lgkmcnt(0)
	s_waitcnt_vscnt null, 0x0
	s_barrier
	buffer_gl0_inv
	v_cmpx_gt_u32_e32 3, v0
	s_cbranch_execz .LBB98_295
; %bb.288:
	ds_read_b128 v[1:4], v76
	v_cmp_ne_u32_e32 vcc_lo, 1, v77
	s_cbranch_vccnz .LBB98_290
; %bb.289:
	s_clause 0x3
	buffer_load_dword v78, v75, s[0:3], 0 offen offset:8
	buffer_load_dword v79, v75, s[0:3], 0 offen offset:12
	buffer_load_dword v82, v75, s[0:3], 0 offen
	buffer_load_dword v83, v75, s[0:3], 0 offen offset:4
	s_waitcnt vmcnt(2) lgkmcnt(0)
	v_mul_f64 v[84:85], v[3:4], v[78:79]
	v_mul_f64 v[78:79], v[1:2], v[78:79]
	s_waitcnt vmcnt(0)
	v_fma_f64 v[1:2], v[1:2], v[82:83], -v[84:85]
	v_fma_f64 v[3:4], v[3:4], v[82:83], v[78:79]
.LBB98_290:
	s_mov_b32 s42, exec_lo
	v_cmpx_ne_u32_e32 2, v0
	s_cbranch_execz .LBB98_294
; %bb.291:
	s_clause 0x3
	buffer_load_dword v78, v75, s[0:3], 0 offen offset:24
	buffer_load_dword v79, v75, s[0:3], 0 offen offset:28
	;; [unrolled: 1-line block ×4, first 2 shown]
	ds_read_b128 v[82:85], v76 offset:16
	s_waitcnt vmcnt(2) lgkmcnt(0)
	v_mul_f64 v[88:89], v[84:85], v[78:79]
	v_mul_f64 v[78:79], v[82:83], v[78:79]
	s_waitcnt vmcnt(0)
	v_fma_f64 v[82:83], v[82:83], v[86:87], -v[88:89]
	v_fma_f64 v[78:79], v[84:85], v[86:87], v[78:79]
	v_add_f64 v[1:2], v[1:2], v[82:83]
	v_add_f64 v[3:4], v[3:4], v[78:79]
	s_and_saveexec_b32 s43, s4
	s_cbranch_execz .LBB98_293
; %bb.292:
	s_clause 0x3
	buffer_load_dword v78, off, s[0:3], 0 offset:40
	buffer_load_dword v79, off, s[0:3], 0 offset:44
	;; [unrolled: 1-line block ×4, first 2 shown]
	v_mov_b32_e32 v80, 0
	ds_read_b128 v[82:85], v80 offset:592
	s_waitcnt vmcnt(2) lgkmcnt(0)
	v_mul_f64 v[88:89], v[82:83], v[78:79]
	v_mul_f64 v[78:79], v[84:85], v[78:79]
	s_waitcnt vmcnt(0)
	v_fma_f64 v[84:85], v[84:85], v[86:87], v[88:89]
	v_fma_f64 v[78:79], v[82:83], v[86:87], -v[78:79]
	v_add_f64 v[3:4], v[3:4], v[84:85]
	v_add_f64 v[1:2], v[1:2], v[78:79]
.LBB98_293:
	s_or_b32 exec_lo, exec_lo, s43
.LBB98_294:
	s_or_b32 exec_lo, exec_lo, s42
	v_mov_b32_e32 v78, 0
	ds_read_b128 v[82:85], v78 offset:48
	s_waitcnt lgkmcnt(0)
	v_mul_f64 v[78:79], v[3:4], v[84:85]
	v_mul_f64 v[84:85], v[1:2], v[84:85]
	v_fma_f64 v[1:2], v[1:2], v[82:83], -v[78:79]
	v_fma_f64 v[3:4], v[3:4], v[82:83], v[84:85]
	buffer_store_dword v2, off, s[0:3], 0 offset:52
	buffer_store_dword v1, off, s[0:3], 0 offset:48
	;; [unrolled: 1-line block ×4, first 2 shown]
.LBB98_295:
	s_or_b32 exec_lo, exec_lo, s8
	v_mov_b32_e32 v4, s38
	s_mov_b32 s4, exec_lo
	s_clause 0x3
	buffer_load_dword v1, v4, s[0:3], 0 offen
	buffer_load_dword v2, v4, s[0:3], 0 offen offset:4
	buffer_load_dword v3, v4, s[0:3], 0 offen offset:8
	;; [unrolled: 1-line block ×3, first 2 shown]
	s_waitcnt vmcnt(0)
	ds_write_b128 v76, v[1:4]
	s_waitcnt lgkmcnt(0)
	s_waitcnt_vscnt null, 0x0
	s_barrier
	buffer_gl0_inv
	v_cmpx_gt_u32_e32 4, v0
	s_cbranch_execz .LBB98_303
; %bb.296:
	ds_read_b128 v[1:4], v76
	v_cmp_ne_u32_e32 vcc_lo, 1, v77
	s_cbranch_vccnz .LBB98_298
; %bb.297:
	s_clause 0x3
	buffer_load_dword v78, v75, s[0:3], 0 offen offset:8
	buffer_load_dword v79, v75, s[0:3], 0 offen offset:12
	buffer_load_dword v82, v75, s[0:3], 0 offen
	buffer_load_dword v83, v75, s[0:3], 0 offen offset:4
	s_waitcnt vmcnt(2) lgkmcnt(0)
	v_mul_f64 v[84:85], v[3:4], v[78:79]
	v_mul_f64 v[78:79], v[1:2], v[78:79]
	s_waitcnt vmcnt(0)
	v_fma_f64 v[1:2], v[1:2], v[82:83], -v[84:85]
	v_fma_f64 v[3:4], v[3:4], v[82:83], v[78:79]
.LBB98_298:
	s_mov_b32 s8, exec_lo
	v_cmpx_ne_u32_e32 3, v0
	s_cbranch_execz .LBB98_302
; %bb.299:
	v_add_nc_u32_e32 v78, 0x240, v81
	v_add3_u32 v79, 0, v81, 16
	v_mov_b32_e32 v80, v0
	s_mov_b32 s42, 0
	.p2align	6
.LBB98_300:                             ; =>This Inner Loop Header: Depth=1
	s_clause 0x3
	buffer_load_dword v86, v79, s[0:3], 0 offen offset:8
	buffer_load_dword v87, v79, s[0:3], 0 offen offset:12
	buffer_load_dword v88, v79, s[0:3], 0 offen
	buffer_load_dword v89, v79, s[0:3], 0 offen offset:4
	ds_read_b128 v[82:85], v78
	v_add_nc_u32_e32 v80, 1, v80
	v_add_nc_u32_e32 v78, 16, v78
	;; [unrolled: 1-line block ×3, first 2 shown]
	v_cmp_lt_u32_e32 vcc_lo, 2, v80
	s_or_b32 s42, vcc_lo, s42
	s_waitcnt vmcnt(2) lgkmcnt(0)
	v_mul_f64 v[90:91], v[84:85], v[86:87]
	v_mul_f64 v[86:87], v[82:83], v[86:87]
	s_waitcnt vmcnt(0)
	v_fma_f64 v[82:83], v[82:83], v[88:89], -v[90:91]
	v_fma_f64 v[84:85], v[84:85], v[88:89], v[86:87]
	v_add_f64 v[1:2], v[1:2], v[82:83]
	v_add_f64 v[3:4], v[3:4], v[84:85]
	s_andn2_b32 exec_lo, exec_lo, s42
	s_cbranch_execnz .LBB98_300
; %bb.301:
	s_or_b32 exec_lo, exec_lo, s42
.LBB98_302:
	s_or_b32 exec_lo, exec_lo, s8
	v_mov_b32_e32 v78, 0
	ds_read_b128 v[82:85], v78 offset:64
	s_waitcnt lgkmcnt(0)
	v_mul_f64 v[78:79], v[3:4], v[84:85]
	v_mul_f64 v[84:85], v[1:2], v[84:85]
	v_fma_f64 v[1:2], v[1:2], v[82:83], -v[78:79]
	v_fma_f64 v[3:4], v[3:4], v[82:83], v[84:85]
	buffer_store_dword v2, off, s[0:3], 0 offset:68
	buffer_store_dword v1, off, s[0:3], 0 offset:64
	;; [unrolled: 1-line block ×4, first 2 shown]
.LBB98_303:
	s_or_b32 exec_lo, exec_lo, s4
	v_mov_b32_e32 v4, s37
	s_mov_b32 s4, exec_lo
	s_clause 0x3
	buffer_load_dword v1, v4, s[0:3], 0 offen
	buffer_load_dword v2, v4, s[0:3], 0 offen offset:4
	buffer_load_dword v3, v4, s[0:3], 0 offen offset:8
	;; [unrolled: 1-line block ×3, first 2 shown]
	s_waitcnt vmcnt(0)
	ds_write_b128 v76, v[1:4]
	s_waitcnt lgkmcnt(0)
	s_waitcnt_vscnt null, 0x0
	s_barrier
	buffer_gl0_inv
	v_cmpx_gt_u32_e32 5, v0
	s_cbranch_execz .LBB98_311
; %bb.304:
	ds_read_b128 v[1:4], v76
	v_cmp_ne_u32_e32 vcc_lo, 1, v77
	s_cbranch_vccnz .LBB98_306
; %bb.305:
	s_clause 0x3
	buffer_load_dword v78, v75, s[0:3], 0 offen offset:8
	buffer_load_dword v79, v75, s[0:3], 0 offen offset:12
	buffer_load_dword v82, v75, s[0:3], 0 offen
	buffer_load_dword v83, v75, s[0:3], 0 offen offset:4
	s_waitcnt vmcnt(2) lgkmcnt(0)
	v_mul_f64 v[84:85], v[3:4], v[78:79]
	v_mul_f64 v[78:79], v[1:2], v[78:79]
	s_waitcnt vmcnt(0)
	v_fma_f64 v[1:2], v[1:2], v[82:83], -v[84:85]
	v_fma_f64 v[3:4], v[3:4], v[82:83], v[78:79]
.LBB98_306:
	s_mov_b32 s8, exec_lo
	v_cmpx_ne_u32_e32 4, v0
	s_cbranch_execz .LBB98_310
; %bb.307:
	v_add_nc_u32_e32 v78, 0x240, v81
	v_add3_u32 v79, 0, v81, 16
	v_mov_b32_e32 v80, v0
	s_mov_b32 s42, 0
	.p2align	6
.LBB98_308:                             ; =>This Inner Loop Header: Depth=1
	s_clause 0x3
	buffer_load_dword v86, v79, s[0:3], 0 offen offset:8
	buffer_load_dword v87, v79, s[0:3], 0 offen offset:12
	buffer_load_dword v88, v79, s[0:3], 0 offen
	buffer_load_dword v89, v79, s[0:3], 0 offen offset:4
	ds_read_b128 v[82:85], v78
	v_add_nc_u32_e32 v80, 1, v80
	v_add_nc_u32_e32 v78, 16, v78
	;; [unrolled: 1-line block ×3, first 2 shown]
	v_cmp_lt_u32_e32 vcc_lo, 3, v80
	s_or_b32 s42, vcc_lo, s42
	s_waitcnt vmcnt(2) lgkmcnt(0)
	v_mul_f64 v[90:91], v[84:85], v[86:87]
	v_mul_f64 v[86:87], v[82:83], v[86:87]
	s_waitcnt vmcnt(0)
	v_fma_f64 v[82:83], v[82:83], v[88:89], -v[90:91]
	v_fma_f64 v[84:85], v[84:85], v[88:89], v[86:87]
	v_add_f64 v[1:2], v[1:2], v[82:83]
	v_add_f64 v[3:4], v[3:4], v[84:85]
	s_andn2_b32 exec_lo, exec_lo, s42
	s_cbranch_execnz .LBB98_308
; %bb.309:
	s_or_b32 exec_lo, exec_lo, s42
.LBB98_310:
	s_or_b32 exec_lo, exec_lo, s8
	v_mov_b32_e32 v78, 0
	ds_read_b128 v[82:85], v78 offset:80
	s_waitcnt lgkmcnt(0)
	v_mul_f64 v[78:79], v[3:4], v[84:85]
	v_mul_f64 v[84:85], v[1:2], v[84:85]
	v_fma_f64 v[1:2], v[1:2], v[82:83], -v[78:79]
	v_fma_f64 v[3:4], v[3:4], v[82:83], v[84:85]
	buffer_store_dword v2, off, s[0:3], 0 offset:84
	buffer_store_dword v1, off, s[0:3], 0 offset:80
	;; [unrolled: 1-line block ×4, first 2 shown]
.LBB98_311:
	s_or_b32 exec_lo, exec_lo, s4
	v_mov_b32_e32 v4, s36
	s_mov_b32 s4, exec_lo
	s_clause 0x3
	buffer_load_dword v1, v4, s[0:3], 0 offen
	buffer_load_dword v2, v4, s[0:3], 0 offen offset:4
	buffer_load_dword v3, v4, s[0:3], 0 offen offset:8
	;; [unrolled: 1-line block ×3, first 2 shown]
	s_waitcnt vmcnt(0)
	ds_write_b128 v76, v[1:4]
	s_waitcnt lgkmcnt(0)
	s_waitcnt_vscnt null, 0x0
	s_barrier
	buffer_gl0_inv
	v_cmpx_gt_u32_e32 6, v0
	s_cbranch_execz .LBB98_319
; %bb.312:
	ds_read_b128 v[1:4], v76
	v_cmp_ne_u32_e32 vcc_lo, 1, v77
	s_cbranch_vccnz .LBB98_314
; %bb.313:
	s_clause 0x3
	buffer_load_dword v78, v75, s[0:3], 0 offen offset:8
	buffer_load_dword v79, v75, s[0:3], 0 offen offset:12
	buffer_load_dword v82, v75, s[0:3], 0 offen
	buffer_load_dword v83, v75, s[0:3], 0 offen offset:4
	s_waitcnt vmcnt(2) lgkmcnt(0)
	v_mul_f64 v[84:85], v[3:4], v[78:79]
	v_mul_f64 v[78:79], v[1:2], v[78:79]
	s_waitcnt vmcnt(0)
	v_fma_f64 v[1:2], v[1:2], v[82:83], -v[84:85]
	v_fma_f64 v[3:4], v[3:4], v[82:83], v[78:79]
.LBB98_314:
	s_mov_b32 s8, exec_lo
	v_cmpx_ne_u32_e32 5, v0
	s_cbranch_execz .LBB98_318
; %bb.315:
	v_add_nc_u32_e32 v78, 0x240, v81
	v_add3_u32 v79, 0, v81, 16
	v_mov_b32_e32 v80, v0
	s_mov_b32 s42, 0
	.p2align	6
.LBB98_316:                             ; =>This Inner Loop Header: Depth=1
	s_clause 0x3
	buffer_load_dword v86, v79, s[0:3], 0 offen offset:8
	buffer_load_dword v87, v79, s[0:3], 0 offen offset:12
	buffer_load_dword v88, v79, s[0:3], 0 offen
	buffer_load_dword v89, v79, s[0:3], 0 offen offset:4
	ds_read_b128 v[82:85], v78
	v_add_nc_u32_e32 v80, 1, v80
	v_add_nc_u32_e32 v78, 16, v78
	;; [unrolled: 1-line block ×3, first 2 shown]
	v_cmp_lt_u32_e32 vcc_lo, 4, v80
	s_or_b32 s42, vcc_lo, s42
	s_waitcnt vmcnt(2) lgkmcnt(0)
	v_mul_f64 v[90:91], v[84:85], v[86:87]
	v_mul_f64 v[86:87], v[82:83], v[86:87]
	s_waitcnt vmcnt(0)
	v_fma_f64 v[82:83], v[82:83], v[88:89], -v[90:91]
	v_fma_f64 v[84:85], v[84:85], v[88:89], v[86:87]
	v_add_f64 v[1:2], v[1:2], v[82:83]
	v_add_f64 v[3:4], v[3:4], v[84:85]
	s_andn2_b32 exec_lo, exec_lo, s42
	s_cbranch_execnz .LBB98_316
; %bb.317:
	s_or_b32 exec_lo, exec_lo, s42
.LBB98_318:
	s_or_b32 exec_lo, exec_lo, s8
	v_mov_b32_e32 v78, 0
	ds_read_b128 v[82:85], v78 offset:96
	s_waitcnt lgkmcnt(0)
	v_mul_f64 v[78:79], v[3:4], v[84:85]
	v_mul_f64 v[84:85], v[1:2], v[84:85]
	v_fma_f64 v[1:2], v[1:2], v[82:83], -v[78:79]
	v_fma_f64 v[3:4], v[3:4], v[82:83], v[84:85]
	buffer_store_dword v2, off, s[0:3], 0 offset:100
	buffer_store_dword v1, off, s[0:3], 0 offset:96
	;; [unrolled: 1-line block ×4, first 2 shown]
.LBB98_319:
	s_or_b32 exec_lo, exec_lo, s4
	v_mov_b32_e32 v4, s35
	s_mov_b32 s4, exec_lo
	s_clause 0x3
	buffer_load_dword v1, v4, s[0:3], 0 offen
	buffer_load_dword v2, v4, s[0:3], 0 offen offset:4
	buffer_load_dword v3, v4, s[0:3], 0 offen offset:8
	;; [unrolled: 1-line block ×3, first 2 shown]
	s_waitcnt vmcnt(0)
	ds_write_b128 v76, v[1:4]
	s_waitcnt lgkmcnt(0)
	s_waitcnt_vscnt null, 0x0
	s_barrier
	buffer_gl0_inv
	v_cmpx_gt_u32_e32 7, v0
	s_cbranch_execz .LBB98_327
; %bb.320:
	ds_read_b128 v[1:4], v76
	v_cmp_ne_u32_e32 vcc_lo, 1, v77
	s_cbranch_vccnz .LBB98_322
; %bb.321:
	s_clause 0x3
	buffer_load_dword v78, v75, s[0:3], 0 offen offset:8
	buffer_load_dword v79, v75, s[0:3], 0 offen offset:12
	buffer_load_dword v82, v75, s[0:3], 0 offen
	buffer_load_dword v83, v75, s[0:3], 0 offen offset:4
	s_waitcnt vmcnt(2) lgkmcnt(0)
	v_mul_f64 v[84:85], v[3:4], v[78:79]
	v_mul_f64 v[78:79], v[1:2], v[78:79]
	s_waitcnt vmcnt(0)
	v_fma_f64 v[1:2], v[1:2], v[82:83], -v[84:85]
	v_fma_f64 v[3:4], v[3:4], v[82:83], v[78:79]
.LBB98_322:
	s_mov_b32 s8, exec_lo
	v_cmpx_ne_u32_e32 6, v0
	s_cbranch_execz .LBB98_326
; %bb.323:
	v_add_nc_u32_e32 v78, 0x240, v81
	v_add3_u32 v79, 0, v81, 16
	v_mov_b32_e32 v80, v0
	s_mov_b32 s42, 0
	.p2align	6
.LBB98_324:                             ; =>This Inner Loop Header: Depth=1
	s_clause 0x3
	buffer_load_dword v86, v79, s[0:3], 0 offen offset:8
	buffer_load_dword v87, v79, s[0:3], 0 offen offset:12
	buffer_load_dword v88, v79, s[0:3], 0 offen
	buffer_load_dword v89, v79, s[0:3], 0 offen offset:4
	ds_read_b128 v[82:85], v78
	v_add_nc_u32_e32 v80, 1, v80
	v_add_nc_u32_e32 v78, 16, v78
	;; [unrolled: 1-line block ×3, first 2 shown]
	v_cmp_lt_u32_e32 vcc_lo, 5, v80
	s_or_b32 s42, vcc_lo, s42
	s_waitcnt vmcnt(2) lgkmcnt(0)
	v_mul_f64 v[90:91], v[84:85], v[86:87]
	v_mul_f64 v[86:87], v[82:83], v[86:87]
	s_waitcnt vmcnt(0)
	v_fma_f64 v[82:83], v[82:83], v[88:89], -v[90:91]
	v_fma_f64 v[84:85], v[84:85], v[88:89], v[86:87]
	v_add_f64 v[1:2], v[1:2], v[82:83]
	v_add_f64 v[3:4], v[3:4], v[84:85]
	s_andn2_b32 exec_lo, exec_lo, s42
	s_cbranch_execnz .LBB98_324
; %bb.325:
	s_or_b32 exec_lo, exec_lo, s42
.LBB98_326:
	s_or_b32 exec_lo, exec_lo, s8
	v_mov_b32_e32 v78, 0
	ds_read_b128 v[82:85], v78 offset:112
	s_waitcnt lgkmcnt(0)
	v_mul_f64 v[78:79], v[3:4], v[84:85]
	v_mul_f64 v[84:85], v[1:2], v[84:85]
	v_fma_f64 v[1:2], v[1:2], v[82:83], -v[78:79]
	v_fma_f64 v[3:4], v[3:4], v[82:83], v[84:85]
	buffer_store_dword v2, off, s[0:3], 0 offset:116
	buffer_store_dword v1, off, s[0:3], 0 offset:112
	;; [unrolled: 1-line block ×4, first 2 shown]
.LBB98_327:
	s_or_b32 exec_lo, exec_lo, s4
	v_mov_b32_e32 v4, s34
	s_mov_b32 s4, exec_lo
	s_clause 0x3
	buffer_load_dword v1, v4, s[0:3], 0 offen
	buffer_load_dword v2, v4, s[0:3], 0 offen offset:4
	buffer_load_dword v3, v4, s[0:3], 0 offen offset:8
	buffer_load_dword v4, v4, s[0:3], 0 offen offset:12
	s_waitcnt vmcnt(0)
	ds_write_b128 v76, v[1:4]
	s_waitcnt lgkmcnt(0)
	s_waitcnt_vscnt null, 0x0
	s_barrier
	buffer_gl0_inv
	v_cmpx_gt_u32_e32 8, v0
	s_cbranch_execz .LBB98_335
; %bb.328:
	ds_read_b128 v[1:4], v76
	v_cmp_ne_u32_e32 vcc_lo, 1, v77
	s_cbranch_vccnz .LBB98_330
; %bb.329:
	s_clause 0x3
	buffer_load_dword v78, v75, s[0:3], 0 offen offset:8
	buffer_load_dword v79, v75, s[0:3], 0 offen offset:12
	buffer_load_dword v82, v75, s[0:3], 0 offen
	buffer_load_dword v83, v75, s[0:3], 0 offen offset:4
	s_waitcnt vmcnt(2) lgkmcnt(0)
	v_mul_f64 v[84:85], v[3:4], v[78:79]
	v_mul_f64 v[78:79], v[1:2], v[78:79]
	s_waitcnt vmcnt(0)
	v_fma_f64 v[1:2], v[1:2], v[82:83], -v[84:85]
	v_fma_f64 v[3:4], v[3:4], v[82:83], v[78:79]
.LBB98_330:
	s_mov_b32 s8, exec_lo
	v_cmpx_ne_u32_e32 7, v0
	s_cbranch_execz .LBB98_334
; %bb.331:
	v_add_nc_u32_e32 v78, 0x240, v81
	v_add3_u32 v79, 0, v81, 16
	v_mov_b32_e32 v80, v0
	s_mov_b32 s42, 0
	.p2align	6
.LBB98_332:                             ; =>This Inner Loop Header: Depth=1
	s_clause 0x3
	buffer_load_dword v86, v79, s[0:3], 0 offen offset:8
	buffer_load_dword v87, v79, s[0:3], 0 offen offset:12
	buffer_load_dword v88, v79, s[0:3], 0 offen
	buffer_load_dword v89, v79, s[0:3], 0 offen offset:4
	ds_read_b128 v[82:85], v78
	v_add_nc_u32_e32 v80, 1, v80
	v_add_nc_u32_e32 v78, 16, v78
	;; [unrolled: 1-line block ×3, first 2 shown]
	v_cmp_lt_u32_e32 vcc_lo, 6, v80
	s_or_b32 s42, vcc_lo, s42
	s_waitcnt vmcnt(2) lgkmcnt(0)
	v_mul_f64 v[90:91], v[84:85], v[86:87]
	v_mul_f64 v[86:87], v[82:83], v[86:87]
	s_waitcnt vmcnt(0)
	v_fma_f64 v[82:83], v[82:83], v[88:89], -v[90:91]
	v_fma_f64 v[84:85], v[84:85], v[88:89], v[86:87]
	v_add_f64 v[1:2], v[1:2], v[82:83]
	v_add_f64 v[3:4], v[3:4], v[84:85]
	s_andn2_b32 exec_lo, exec_lo, s42
	s_cbranch_execnz .LBB98_332
; %bb.333:
	s_or_b32 exec_lo, exec_lo, s42
.LBB98_334:
	s_or_b32 exec_lo, exec_lo, s8
	v_mov_b32_e32 v78, 0
	ds_read_b128 v[82:85], v78 offset:128
	s_waitcnt lgkmcnt(0)
	v_mul_f64 v[78:79], v[3:4], v[84:85]
	v_mul_f64 v[84:85], v[1:2], v[84:85]
	v_fma_f64 v[1:2], v[1:2], v[82:83], -v[78:79]
	v_fma_f64 v[3:4], v[3:4], v[82:83], v[84:85]
	buffer_store_dword v2, off, s[0:3], 0 offset:132
	buffer_store_dword v1, off, s[0:3], 0 offset:128
	;; [unrolled: 1-line block ×4, first 2 shown]
.LBB98_335:
	s_or_b32 exec_lo, exec_lo, s4
	v_mov_b32_e32 v4, s33
	s_mov_b32 s4, exec_lo
	s_clause 0x3
	buffer_load_dword v1, v4, s[0:3], 0 offen
	buffer_load_dword v2, v4, s[0:3], 0 offen offset:4
	buffer_load_dword v3, v4, s[0:3], 0 offen offset:8
	;; [unrolled: 1-line block ×3, first 2 shown]
	s_waitcnt vmcnt(0)
	ds_write_b128 v76, v[1:4]
	s_waitcnt lgkmcnt(0)
	s_waitcnt_vscnt null, 0x0
	s_barrier
	buffer_gl0_inv
	v_cmpx_gt_u32_e32 9, v0
	s_cbranch_execz .LBB98_343
; %bb.336:
	ds_read_b128 v[1:4], v76
	v_cmp_ne_u32_e32 vcc_lo, 1, v77
	s_cbranch_vccnz .LBB98_338
; %bb.337:
	s_clause 0x3
	buffer_load_dword v78, v75, s[0:3], 0 offen offset:8
	buffer_load_dword v79, v75, s[0:3], 0 offen offset:12
	buffer_load_dword v82, v75, s[0:3], 0 offen
	buffer_load_dword v83, v75, s[0:3], 0 offen offset:4
	s_waitcnt vmcnt(2) lgkmcnt(0)
	v_mul_f64 v[84:85], v[3:4], v[78:79]
	v_mul_f64 v[78:79], v[1:2], v[78:79]
	s_waitcnt vmcnt(0)
	v_fma_f64 v[1:2], v[1:2], v[82:83], -v[84:85]
	v_fma_f64 v[3:4], v[3:4], v[82:83], v[78:79]
.LBB98_338:
	s_mov_b32 s8, exec_lo
	v_cmpx_ne_u32_e32 8, v0
	s_cbranch_execz .LBB98_342
; %bb.339:
	v_add_nc_u32_e32 v78, 0x240, v81
	v_add3_u32 v79, 0, v81, 16
	v_mov_b32_e32 v80, v0
	s_mov_b32 s42, 0
	.p2align	6
.LBB98_340:                             ; =>This Inner Loop Header: Depth=1
	s_clause 0x3
	buffer_load_dword v86, v79, s[0:3], 0 offen offset:8
	buffer_load_dword v87, v79, s[0:3], 0 offen offset:12
	buffer_load_dword v88, v79, s[0:3], 0 offen
	buffer_load_dword v89, v79, s[0:3], 0 offen offset:4
	ds_read_b128 v[82:85], v78
	v_add_nc_u32_e32 v80, 1, v80
	v_add_nc_u32_e32 v78, 16, v78
	;; [unrolled: 1-line block ×3, first 2 shown]
	v_cmp_lt_u32_e32 vcc_lo, 7, v80
	s_or_b32 s42, vcc_lo, s42
	s_waitcnt vmcnt(2) lgkmcnt(0)
	v_mul_f64 v[90:91], v[84:85], v[86:87]
	v_mul_f64 v[86:87], v[82:83], v[86:87]
	s_waitcnt vmcnt(0)
	v_fma_f64 v[82:83], v[82:83], v[88:89], -v[90:91]
	v_fma_f64 v[84:85], v[84:85], v[88:89], v[86:87]
	v_add_f64 v[1:2], v[1:2], v[82:83]
	v_add_f64 v[3:4], v[3:4], v[84:85]
	s_andn2_b32 exec_lo, exec_lo, s42
	s_cbranch_execnz .LBB98_340
; %bb.341:
	s_or_b32 exec_lo, exec_lo, s42
.LBB98_342:
	s_or_b32 exec_lo, exec_lo, s8
	v_mov_b32_e32 v78, 0
	ds_read_b128 v[82:85], v78 offset:144
	s_waitcnt lgkmcnt(0)
	v_mul_f64 v[78:79], v[3:4], v[84:85]
	v_mul_f64 v[84:85], v[1:2], v[84:85]
	v_fma_f64 v[1:2], v[1:2], v[82:83], -v[78:79]
	v_fma_f64 v[3:4], v[3:4], v[82:83], v[84:85]
	buffer_store_dword v2, off, s[0:3], 0 offset:148
	buffer_store_dword v1, off, s[0:3], 0 offset:144
	;; [unrolled: 1-line block ×4, first 2 shown]
.LBB98_343:
	s_or_b32 exec_lo, exec_lo, s4
	v_mov_b32_e32 v4, s31
	s_mov_b32 s4, exec_lo
	s_clause 0x3
	buffer_load_dword v1, v4, s[0:3], 0 offen
	buffer_load_dword v2, v4, s[0:3], 0 offen offset:4
	buffer_load_dword v3, v4, s[0:3], 0 offen offset:8
	;; [unrolled: 1-line block ×3, first 2 shown]
	s_waitcnt vmcnt(0)
	ds_write_b128 v76, v[1:4]
	s_waitcnt lgkmcnt(0)
	s_waitcnt_vscnt null, 0x0
	s_barrier
	buffer_gl0_inv
	v_cmpx_gt_u32_e32 10, v0
	s_cbranch_execz .LBB98_351
; %bb.344:
	ds_read_b128 v[1:4], v76
	v_cmp_ne_u32_e32 vcc_lo, 1, v77
	s_cbranch_vccnz .LBB98_346
; %bb.345:
	s_clause 0x3
	buffer_load_dword v78, v75, s[0:3], 0 offen offset:8
	buffer_load_dword v79, v75, s[0:3], 0 offen offset:12
	buffer_load_dword v82, v75, s[0:3], 0 offen
	buffer_load_dword v83, v75, s[0:3], 0 offen offset:4
	s_waitcnt vmcnt(2) lgkmcnt(0)
	v_mul_f64 v[84:85], v[3:4], v[78:79]
	v_mul_f64 v[78:79], v[1:2], v[78:79]
	s_waitcnt vmcnt(0)
	v_fma_f64 v[1:2], v[1:2], v[82:83], -v[84:85]
	v_fma_f64 v[3:4], v[3:4], v[82:83], v[78:79]
.LBB98_346:
	s_mov_b32 s8, exec_lo
	v_cmpx_ne_u32_e32 9, v0
	s_cbranch_execz .LBB98_350
; %bb.347:
	v_add_nc_u32_e32 v78, 0x240, v81
	v_add3_u32 v79, 0, v81, 16
	v_mov_b32_e32 v80, v0
	s_mov_b32 s42, 0
	.p2align	6
.LBB98_348:                             ; =>This Inner Loop Header: Depth=1
	s_clause 0x3
	buffer_load_dword v86, v79, s[0:3], 0 offen offset:8
	buffer_load_dword v87, v79, s[0:3], 0 offen offset:12
	buffer_load_dword v88, v79, s[0:3], 0 offen
	buffer_load_dword v89, v79, s[0:3], 0 offen offset:4
	ds_read_b128 v[82:85], v78
	v_add_nc_u32_e32 v80, 1, v80
	v_add_nc_u32_e32 v78, 16, v78
	;; [unrolled: 1-line block ×3, first 2 shown]
	v_cmp_lt_u32_e32 vcc_lo, 8, v80
	s_or_b32 s42, vcc_lo, s42
	s_waitcnt vmcnt(2) lgkmcnt(0)
	v_mul_f64 v[90:91], v[84:85], v[86:87]
	v_mul_f64 v[86:87], v[82:83], v[86:87]
	s_waitcnt vmcnt(0)
	v_fma_f64 v[82:83], v[82:83], v[88:89], -v[90:91]
	v_fma_f64 v[84:85], v[84:85], v[88:89], v[86:87]
	v_add_f64 v[1:2], v[1:2], v[82:83]
	v_add_f64 v[3:4], v[3:4], v[84:85]
	s_andn2_b32 exec_lo, exec_lo, s42
	s_cbranch_execnz .LBB98_348
; %bb.349:
	s_or_b32 exec_lo, exec_lo, s42
.LBB98_350:
	s_or_b32 exec_lo, exec_lo, s8
	v_mov_b32_e32 v78, 0
	ds_read_b128 v[82:85], v78 offset:160
	s_waitcnt lgkmcnt(0)
	v_mul_f64 v[78:79], v[3:4], v[84:85]
	v_mul_f64 v[84:85], v[1:2], v[84:85]
	v_fma_f64 v[1:2], v[1:2], v[82:83], -v[78:79]
	v_fma_f64 v[3:4], v[3:4], v[82:83], v[84:85]
	buffer_store_dword v2, off, s[0:3], 0 offset:164
	buffer_store_dword v1, off, s[0:3], 0 offset:160
	;; [unrolled: 1-line block ×4, first 2 shown]
.LBB98_351:
	s_or_b32 exec_lo, exec_lo, s4
	v_mov_b32_e32 v4, s30
	s_mov_b32 s4, exec_lo
	s_clause 0x3
	buffer_load_dword v1, v4, s[0:3], 0 offen
	buffer_load_dword v2, v4, s[0:3], 0 offen offset:4
	buffer_load_dword v3, v4, s[0:3], 0 offen offset:8
	;; [unrolled: 1-line block ×3, first 2 shown]
	s_waitcnt vmcnt(0)
	ds_write_b128 v76, v[1:4]
	s_waitcnt lgkmcnt(0)
	s_waitcnt_vscnt null, 0x0
	s_barrier
	buffer_gl0_inv
	v_cmpx_gt_u32_e32 11, v0
	s_cbranch_execz .LBB98_359
; %bb.352:
	ds_read_b128 v[1:4], v76
	v_cmp_ne_u32_e32 vcc_lo, 1, v77
	s_cbranch_vccnz .LBB98_354
; %bb.353:
	s_clause 0x3
	buffer_load_dword v78, v75, s[0:3], 0 offen offset:8
	buffer_load_dword v79, v75, s[0:3], 0 offen offset:12
	buffer_load_dword v82, v75, s[0:3], 0 offen
	buffer_load_dword v83, v75, s[0:3], 0 offen offset:4
	s_waitcnt vmcnt(2) lgkmcnt(0)
	v_mul_f64 v[84:85], v[3:4], v[78:79]
	v_mul_f64 v[78:79], v[1:2], v[78:79]
	s_waitcnt vmcnt(0)
	v_fma_f64 v[1:2], v[1:2], v[82:83], -v[84:85]
	v_fma_f64 v[3:4], v[3:4], v[82:83], v[78:79]
.LBB98_354:
	s_mov_b32 s8, exec_lo
	v_cmpx_ne_u32_e32 10, v0
	s_cbranch_execz .LBB98_358
; %bb.355:
	v_add_nc_u32_e32 v78, 0x240, v81
	v_add3_u32 v79, 0, v81, 16
	v_mov_b32_e32 v80, v0
	s_mov_b32 s42, 0
	.p2align	6
.LBB98_356:                             ; =>This Inner Loop Header: Depth=1
	s_clause 0x3
	buffer_load_dword v86, v79, s[0:3], 0 offen offset:8
	buffer_load_dword v87, v79, s[0:3], 0 offen offset:12
	buffer_load_dword v88, v79, s[0:3], 0 offen
	buffer_load_dword v89, v79, s[0:3], 0 offen offset:4
	ds_read_b128 v[82:85], v78
	v_add_nc_u32_e32 v80, 1, v80
	v_add_nc_u32_e32 v78, 16, v78
	;; [unrolled: 1-line block ×3, first 2 shown]
	v_cmp_lt_u32_e32 vcc_lo, 9, v80
	s_or_b32 s42, vcc_lo, s42
	s_waitcnt vmcnt(2) lgkmcnt(0)
	v_mul_f64 v[90:91], v[84:85], v[86:87]
	v_mul_f64 v[86:87], v[82:83], v[86:87]
	s_waitcnt vmcnt(0)
	v_fma_f64 v[82:83], v[82:83], v[88:89], -v[90:91]
	v_fma_f64 v[84:85], v[84:85], v[88:89], v[86:87]
	v_add_f64 v[1:2], v[1:2], v[82:83]
	v_add_f64 v[3:4], v[3:4], v[84:85]
	s_andn2_b32 exec_lo, exec_lo, s42
	s_cbranch_execnz .LBB98_356
; %bb.357:
	s_or_b32 exec_lo, exec_lo, s42
.LBB98_358:
	s_or_b32 exec_lo, exec_lo, s8
	v_mov_b32_e32 v78, 0
	ds_read_b128 v[82:85], v78 offset:176
	s_waitcnt lgkmcnt(0)
	v_mul_f64 v[78:79], v[3:4], v[84:85]
	v_mul_f64 v[84:85], v[1:2], v[84:85]
	v_fma_f64 v[1:2], v[1:2], v[82:83], -v[78:79]
	v_fma_f64 v[3:4], v[3:4], v[82:83], v[84:85]
	buffer_store_dword v2, off, s[0:3], 0 offset:180
	buffer_store_dword v1, off, s[0:3], 0 offset:176
	;; [unrolled: 1-line block ×4, first 2 shown]
.LBB98_359:
	s_or_b32 exec_lo, exec_lo, s4
	v_mov_b32_e32 v4, s29
	s_mov_b32 s4, exec_lo
	s_clause 0x3
	buffer_load_dword v1, v4, s[0:3], 0 offen
	buffer_load_dword v2, v4, s[0:3], 0 offen offset:4
	buffer_load_dword v3, v4, s[0:3], 0 offen offset:8
	;; [unrolled: 1-line block ×3, first 2 shown]
	s_waitcnt vmcnt(0)
	ds_write_b128 v76, v[1:4]
	s_waitcnt lgkmcnt(0)
	s_waitcnt_vscnt null, 0x0
	s_barrier
	buffer_gl0_inv
	v_cmpx_gt_u32_e32 12, v0
	s_cbranch_execz .LBB98_367
; %bb.360:
	ds_read_b128 v[1:4], v76
	v_cmp_ne_u32_e32 vcc_lo, 1, v77
	s_cbranch_vccnz .LBB98_362
; %bb.361:
	s_clause 0x3
	buffer_load_dword v78, v75, s[0:3], 0 offen offset:8
	buffer_load_dword v79, v75, s[0:3], 0 offen offset:12
	buffer_load_dword v82, v75, s[0:3], 0 offen
	buffer_load_dword v83, v75, s[0:3], 0 offen offset:4
	s_waitcnt vmcnt(2) lgkmcnt(0)
	v_mul_f64 v[84:85], v[3:4], v[78:79]
	v_mul_f64 v[78:79], v[1:2], v[78:79]
	s_waitcnt vmcnt(0)
	v_fma_f64 v[1:2], v[1:2], v[82:83], -v[84:85]
	v_fma_f64 v[3:4], v[3:4], v[82:83], v[78:79]
.LBB98_362:
	s_mov_b32 s8, exec_lo
	v_cmpx_ne_u32_e32 11, v0
	s_cbranch_execz .LBB98_366
; %bb.363:
	v_add_nc_u32_e32 v78, 0x240, v81
	v_add3_u32 v79, 0, v81, 16
	v_mov_b32_e32 v80, v0
	s_mov_b32 s42, 0
	.p2align	6
.LBB98_364:                             ; =>This Inner Loop Header: Depth=1
	s_clause 0x3
	buffer_load_dword v86, v79, s[0:3], 0 offen offset:8
	buffer_load_dword v87, v79, s[0:3], 0 offen offset:12
	buffer_load_dword v88, v79, s[0:3], 0 offen
	buffer_load_dword v89, v79, s[0:3], 0 offen offset:4
	ds_read_b128 v[82:85], v78
	v_add_nc_u32_e32 v80, 1, v80
	v_add_nc_u32_e32 v78, 16, v78
	;; [unrolled: 1-line block ×3, first 2 shown]
	v_cmp_lt_u32_e32 vcc_lo, 10, v80
	s_or_b32 s42, vcc_lo, s42
	s_waitcnt vmcnt(2) lgkmcnt(0)
	v_mul_f64 v[90:91], v[84:85], v[86:87]
	v_mul_f64 v[86:87], v[82:83], v[86:87]
	s_waitcnt vmcnt(0)
	v_fma_f64 v[82:83], v[82:83], v[88:89], -v[90:91]
	v_fma_f64 v[84:85], v[84:85], v[88:89], v[86:87]
	v_add_f64 v[1:2], v[1:2], v[82:83]
	v_add_f64 v[3:4], v[3:4], v[84:85]
	s_andn2_b32 exec_lo, exec_lo, s42
	s_cbranch_execnz .LBB98_364
; %bb.365:
	s_or_b32 exec_lo, exec_lo, s42
.LBB98_366:
	s_or_b32 exec_lo, exec_lo, s8
	v_mov_b32_e32 v78, 0
	ds_read_b128 v[82:85], v78 offset:192
	s_waitcnt lgkmcnt(0)
	v_mul_f64 v[78:79], v[3:4], v[84:85]
	v_mul_f64 v[84:85], v[1:2], v[84:85]
	v_fma_f64 v[1:2], v[1:2], v[82:83], -v[78:79]
	v_fma_f64 v[3:4], v[3:4], v[82:83], v[84:85]
	buffer_store_dword v2, off, s[0:3], 0 offset:196
	buffer_store_dword v1, off, s[0:3], 0 offset:192
	;; [unrolled: 1-line block ×4, first 2 shown]
.LBB98_367:
	s_or_b32 exec_lo, exec_lo, s4
	v_mov_b32_e32 v4, s28
	s_mov_b32 s4, exec_lo
	s_clause 0x3
	buffer_load_dword v1, v4, s[0:3], 0 offen
	buffer_load_dword v2, v4, s[0:3], 0 offen offset:4
	buffer_load_dword v3, v4, s[0:3], 0 offen offset:8
	;; [unrolled: 1-line block ×3, first 2 shown]
	s_waitcnt vmcnt(0)
	ds_write_b128 v76, v[1:4]
	s_waitcnt lgkmcnt(0)
	s_waitcnt_vscnt null, 0x0
	s_barrier
	buffer_gl0_inv
	v_cmpx_gt_u32_e32 13, v0
	s_cbranch_execz .LBB98_375
; %bb.368:
	ds_read_b128 v[1:4], v76
	v_cmp_ne_u32_e32 vcc_lo, 1, v77
	s_cbranch_vccnz .LBB98_370
; %bb.369:
	s_clause 0x3
	buffer_load_dword v78, v75, s[0:3], 0 offen offset:8
	buffer_load_dword v79, v75, s[0:3], 0 offen offset:12
	buffer_load_dword v82, v75, s[0:3], 0 offen
	buffer_load_dword v83, v75, s[0:3], 0 offen offset:4
	s_waitcnt vmcnt(2) lgkmcnt(0)
	v_mul_f64 v[84:85], v[3:4], v[78:79]
	v_mul_f64 v[78:79], v[1:2], v[78:79]
	s_waitcnt vmcnt(0)
	v_fma_f64 v[1:2], v[1:2], v[82:83], -v[84:85]
	v_fma_f64 v[3:4], v[3:4], v[82:83], v[78:79]
.LBB98_370:
	s_mov_b32 s8, exec_lo
	v_cmpx_ne_u32_e32 12, v0
	s_cbranch_execz .LBB98_374
; %bb.371:
	v_add_nc_u32_e32 v78, 0x240, v81
	v_add3_u32 v79, 0, v81, 16
	v_mov_b32_e32 v80, v0
	s_mov_b32 s42, 0
	.p2align	6
.LBB98_372:                             ; =>This Inner Loop Header: Depth=1
	s_clause 0x3
	buffer_load_dword v86, v79, s[0:3], 0 offen offset:8
	buffer_load_dword v87, v79, s[0:3], 0 offen offset:12
	buffer_load_dword v88, v79, s[0:3], 0 offen
	buffer_load_dword v89, v79, s[0:3], 0 offen offset:4
	ds_read_b128 v[82:85], v78
	v_add_nc_u32_e32 v80, 1, v80
	v_add_nc_u32_e32 v78, 16, v78
	;; [unrolled: 1-line block ×3, first 2 shown]
	v_cmp_lt_u32_e32 vcc_lo, 11, v80
	s_or_b32 s42, vcc_lo, s42
	s_waitcnt vmcnt(2) lgkmcnt(0)
	v_mul_f64 v[90:91], v[84:85], v[86:87]
	v_mul_f64 v[86:87], v[82:83], v[86:87]
	s_waitcnt vmcnt(0)
	v_fma_f64 v[82:83], v[82:83], v[88:89], -v[90:91]
	v_fma_f64 v[84:85], v[84:85], v[88:89], v[86:87]
	v_add_f64 v[1:2], v[1:2], v[82:83]
	v_add_f64 v[3:4], v[3:4], v[84:85]
	s_andn2_b32 exec_lo, exec_lo, s42
	s_cbranch_execnz .LBB98_372
; %bb.373:
	s_or_b32 exec_lo, exec_lo, s42
.LBB98_374:
	s_or_b32 exec_lo, exec_lo, s8
	v_mov_b32_e32 v78, 0
	ds_read_b128 v[82:85], v78 offset:208
	s_waitcnt lgkmcnt(0)
	v_mul_f64 v[78:79], v[3:4], v[84:85]
	v_mul_f64 v[84:85], v[1:2], v[84:85]
	v_fma_f64 v[1:2], v[1:2], v[82:83], -v[78:79]
	v_fma_f64 v[3:4], v[3:4], v[82:83], v[84:85]
	buffer_store_dword v2, off, s[0:3], 0 offset:212
	buffer_store_dword v1, off, s[0:3], 0 offset:208
	;; [unrolled: 1-line block ×4, first 2 shown]
.LBB98_375:
	s_or_b32 exec_lo, exec_lo, s4
	v_mov_b32_e32 v4, s27
	s_mov_b32 s4, exec_lo
	s_clause 0x3
	buffer_load_dword v1, v4, s[0:3], 0 offen
	buffer_load_dword v2, v4, s[0:3], 0 offen offset:4
	buffer_load_dword v3, v4, s[0:3], 0 offen offset:8
	;; [unrolled: 1-line block ×3, first 2 shown]
	s_waitcnt vmcnt(0)
	ds_write_b128 v76, v[1:4]
	s_waitcnt lgkmcnt(0)
	s_waitcnt_vscnt null, 0x0
	s_barrier
	buffer_gl0_inv
	v_cmpx_gt_u32_e32 14, v0
	s_cbranch_execz .LBB98_383
; %bb.376:
	ds_read_b128 v[1:4], v76
	v_cmp_ne_u32_e32 vcc_lo, 1, v77
	s_cbranch_vccnz .LBB98_378
; %bb.377:
	s_clause 0x3
	buffer_load_dword v78, v75, s[0:3], 0 offen offset:8
	buffer_load_dword v79, v75, s[0:3], 0 offen offset:12
	buffer_load_dword v82, v75, s[0:3], 0 offen
	buffer_load_dword v83, v75, s[0:3], 0 offen offset:4
	s_waitcnt vmcnt(2) lgkmcnt(0)
	v_mul_f64 v[84:85], v[3:4], v[78:79]
	v_mul_f64 v[78:79], v[1:2], v[78:79]
	s_waitcnt vmcnt(0)
	v_fma_f64 v[1:2], v[1:2], v[82:83], -v[84:85]
	v_fma_f64 v[3:4], v[3:4], v[82:83], v[78:79]
.LBB98_378:
	s_mov_b32 s8, exec_lo
	v_cmpx_ne_u32_e32 13, v0
	s_cbranch_execz .LBB98_382
; %bb.379:
	v_add_nc_u32_e32 v78, 0x240, v81
	v_add3_u32 v79, 0, v81, 16
	v_mov_b32_e32 v80, v0
	s_mov_b32 s42, 0
	.p2align	6
.LBB98_380:                             ; =>This Inner Loop Header: Depth=1
	s_clause 0x3
	buffer_load_dword v86, v79, s[0:3], 0 offen offset:8
	buffer_load_dword v87, v79, s[0:3], 0 offen offset:12
	buffer_load_dword v88, v79, s[0:3], 0 offen
	buffer_load_dword v89, v79, s[0:3], 0 offen offset:4
	ds_read_b128 v[82:85], v78
	v_add_nc_u32_e32 v80, 1, v80
	v_add_nc_u32_e32 v78, 16, v78
	;; [unrolled: 1-line block ×3, first 2 shown]
	v_cmp_lt_u32_e32 vcc_lo, 12, v80
	s_or_b32 s42, vcc_lo, s42
	s_waitcnt vmcnt(2) lgkmcnt(0)
	v_mul_f64 v[90:91], v[84:85], v[86:87]
	v_mul_f64 v[86:87], v[82:83], v[86:87]
	s_waitcnt vmcnt(0)
	v_fma_f64 v[82:83], v[82:83], v[88:89], -v[90:91]
	v_fma_f64 v[84:85], v[84:85], v[88:89], v[86:87]
	v_add_f64 v[1:2], v[1:2], v[82:83]
	v_add_f64 v[3:4], v[3:4], v[84:85]
	s_andn2_b32 exec_lo, exec_lo, s42
	s_cbranch_execnz .LBB98_380
; %bb.381:
	s_or_b32 exec_lo, exec_lo, s42
.LBB98_382:
	s_or_b32 exec_lo, exec_lo, s8
	v_mov_b32_e32 v78, 0
	ds_read_b128 v[82:85], v78 offset:224
	s_waitcnt lgkmcnt(0)
	v_mul_f64 v[78:79], v[3:4], v[84:85]
	v_mul_f64 v[84:85], v[1:2], v[84:85]
	v_fma_f64 v[1:2], v[1:2], v[82:83], -v[78:79]
	v_fma_f64 v[3:4], v[3:4], v[82:83], v[84:85]
	buffer_store_dword v2, off, s[0:3], 0 offset:228
	buffer_store_dword v1, off, s[0:3], 0 offset:224
	;; [unrolled: 1-line block ×4, first 2 shown]
.LBB98_383:
	s_or_b32 exec_lo, exec_lo, s4
	v_mov_b32_e32 v4, s26
	s_mov_b32 s4, exec_lo
	s_clause 0x3
	buffer_load_dword v1, v4, s[0:3], 0 offen
	buffer_load_dword v2, v4, s[0:3], 0 offen offset:4
	buffer_load_dword v3, v4, s[0:3], 0 offen offset:8
	;; [unrolled: 1-line block ×3, first 2 shown]
	s_waitcnt vmcnt(0)
	ds_write_b128 v76, v[1:4]
	s_waitcnt lgkmcnt(0)
	s_waitcnt_vscnt null, 0x0
	s_barrier
	buffer_gl0_inv
	v_cmpx_gt_u32_e32 15, v0
	s_cbranch_execz .LBB98_391
; %bb.384:
	ds_read_b128 v[1:4], v76
	v_cmp_ne_u32_e32 vcc_lo, 1, v77
	s_cbranch_vccnz .LBB98_386
; %bb.385:
	s_clause 0x3
	buffer_load_dword v78, v75, s[0:3], 0 offen offset:8
	buffer_load_dword v79, v75, s[0:3], 0 offen offset:12
	buffer_load_dword v82, v75, s[0:3], 0 offen
	buffer_load_dword v83, v75, s[0:3], 0 offen offset:4
	s_waitcnt vmcnt(2) lgkmcnt(0)
	v_mul_f64 v[84:85], v[3:4], v[78:79]
	v_mul_f64 v[78:79], v[1:2], v[78:79]
	s_waitcnt vmcnt(0)
	v_fma_f64 v[1:2], v[1:2], v[82:83], -v[84:85]
	v_fma_f64 v[3:4], v[3:4], v[82:83], v[78:79]
.LBB98_386:
	s_mov_b32 s8, exec_lo
	v_cmpx_ne_u32_e32 14, v0
	s_cbranch_execz .LBB98_390
; %bb.387:
	v_add_nc_u32_e32 v78, 0x240, v81
	v_add3_u32 v79, 0, v81, 16
	v_mov_b32_e32 v80, v0
	s_mov_b32 s42, 0
	.p2align	6
.LBB98_388:                             ; =>This Inner Loop Header: Depth=1
	s_clause 0x3
	buffer_load_dword v86, v79, s[0:3], 0 offen offset:8
	buffer_load_dword v87, v79, s[0:3], 0 offen offset:12
	buffer_load_dword v88, v79, s[0:3], 0 offen
	buffer_load_dword v89, v79, s[0:3], 0 offen offset:4
	ds_read_b128 v[82:85], v78
	v_add_nc_u32_e32 v80, 1, v80
	v_add_nc_u32_e32 v78, 16, v78
	;; [unrolled: 1-line block ×3, first 2 shown]
	v_cmp_lt_u32_e32 vcc_lo, 13, v80
	s_or_b32 s42, vcc_lo, s42
	s_waitcnt vmcnt(2) lgkmcnt(0)
	v_mul_f64 v[90:91], v[84:85], v[86:87]
	v_mul_f64 v[86:87], v[82:83], v[86:87]
	s_waitcnt vmcnt(0)
	v_fma_f64 v[82:83], v[82:83], v[88:89], -v[90:91]
	v_fma_f64 v[84:85], v[84:85], v[88:89], v[86:87]
	v_add_f64 v[1:2], v[1:2], v[82:83]
	v_add_f64 v[3:4], v[3:4], v[84:85]
	s_andn2_b32 exec_lo, exec_lo, s42
	s_cbranch_execnz .LBB98_388
; %bb.389:
	s_or_b32 exec_lo, exec_lo, s42
.LBB98_390:
	s_or_b32 exec_lo, exec_lo, s8
	v_mov_b32_e32 v78, 0
	ds_read_b128 v[82:85], v78 offset:240
	s_waitcnt lgkmcnt(0)
	v_mul_f64 v[78:79], v[3:4], v[84:85]
	v_mul_f64 v[84:85], v[1:2], v[84:85]
	v_fma_f64 v[1:2], v[1:2], v[82:83], -v[78:79]
	v_fma_f64 v[3:4], v[3:4], v[82:83], v[84:85]
	buffer_store_dword v2, off, s[0:3], 0 offset:244
	buffer_store_dword v1, off, s[0:3], 0 offset:240
	;; [unrolled: 1-line block ×4, first 2 shown]
.LBB98_391:
	s_or_b32 exec_lo, exec_lo, s4
	v_mov_b32_e32 v4, s25
	s_mov_b32 s4, exec_lo
	s_clause 0x3
	buffer_load_dword v1, v4, s[0:3], 0 offen
	buffer_load_dword v2, v4, s[0:3], 0 offen offset:4
	buffer_load_dword v3, v4, s[0:3], 0 offen offset:8
	;; [unrolled: 1-line block ×3, first 2 shown]
	s_waitcnt vmcnt(0)
	ds_write_b128 v76, v[1:4]
	s_waitcnt lgkmcnt(0)
	s_waitcnt_vscnt null, 0x0
	s_barrier
	buffer_gl0_inv
	v_cmpx_gt_u32_e32 16, v0
	s_cbranch_execz .LBB98_399
; %bb.392:
	ds_read_b128 v[1:4], v76
	v_cmp_ne_u32_e32 vcc_lo, 1, v77
	s_cbranch_vccnz .LBB98_394
; %bb.393:
	s_clause 0x3
	buffer_load_dword v78, v75, s[0:3], 0 offen offset:8
	buffer_load_dword v79, v75, s[0:3], 0 offen offset:12
	buffer_load_dword v82, v75, s[0:3], 0 offen
	buffer_load_dword v83, v75, s[0:3], 0 offen offset:4
	s_waitcnt vmcnt(2) lgkmcnt(0)
	v_mul_f64 v[84:85], v[3:4], v[78:79]
	v_mul_f64 v[78:79], v[1:2], v[78:79]
	s_waitcnt vmcnt(0)
	v_fma_f64 v[1:2], v[1:2], v[82:83], -v[84:85]
	v_fma_f64 v[3:4], v[3:4], v[82:83], v[78:79]
.LBB98_394:
	s_mov_b32 s8, exec_lo
	v_cmpx_ne_u32_e32 15, v0
	s_cbranch_execz .LBB98_398
; %bb.395:
	v_add_nc_u32_e32 v78, 0x240, v81
	v_add3_u32 v79, 0, v81, 16
	v_mov_b32_e32 v80, v0
	s_mov_b32 s42, 0
	.p2align	6
.LBB98_396:                             ; =>This Inner Loop Header: Depth=1
	s_clause 0x3
	buffer_load_dword v86, v79, s[0:3], 0 offen offset:8
	buffer_load_dword v87, v79, s[0:3], 0 offen offset:12
	buffer_load_dword v88, v79, s[0:3], 0 offen
	buffer_load_dword v89, v79, s[0:3], 0 offen offset:4
	ds_read_b128 v[82:85], v78
	v_add_nc_u32_e32 v80, 1, v80
	v_add_nc_u32_e32 v78, 16, v78
	;; [unrolled: 1-line block ×3, first 2 shown]
	v_cmp_lt_u32_e32 vcc_lo, 14, v80
	s_or_b32 s42, vcc_lo, s42
	s_waitcnt vmcnt(2) lgkmcnt(0)
	v_mul_f64 v[90:91], v[84:85], v[86:87]
	v_mul_f64 v[86:87], v[82:83], v[86:87]
	s_waitcnt vmcnt(0)
	v_fma_f64 v[82:83], v[82:83], v[88:89], -v[90:91]
	v_fma_f64 v[84:85], v[84:85], v[88:89], v[86:87]
	v_add_f64 v[1:2], v[1:2], v[82:83]
	v_add_f64 v[3:4], v[3:4], v[84:85]
	s_andn2_b32 exec_lo, exec_lo, s42
	s_cbranch_execnz .LBB98_396
; %bb.397:
	s_or_b32 exec_lo, exec_lo, s42
.LBB98_398:
	s_or_b32 exec_lo, exec_lo, s8
	v_mov_b32_e32 v78, 0
	ds_read_b128 v[82:85], v78 offset:256
	s_waitcnt lgkmcnt(0)
	v_mul_f64 v[78:79], v[3:4], v[84:85]
	v_mul_f64 v[84:85], v[1:2], v[84:85]
	v_fma_f64 v[1:2], v[1:2], v[82:83], -v[78:79]
	v_fma_f64 v[3:4], v[3:4], v[82:83], v[84:85]
	buffer_store_dword v2, off, s[0:3], 0 offset:260
	buffer_store_dword v1, off, s[0:3], 0 offset:256
	;; [unrolled: 1-line block ×4, first 2 shown]
.LBB98_399:
	s_or_b32 exec_lo, exec_lo, s4
	v_mov_b32_e32 v4, s24
	s_mov_b32 s4, exec_lo
	s_clause 0x3
	buffer_load_dword v1, v4, s[0:3], 0 offen
	buffer_load_dword v2, v4, s[0:3], 0 offen offset:4
	buffer_load_dword v3, v4, s[0:3], 0 offen offset:8
	;; [unrolled: 1-line block ×3, first 2 shown]
	s_waitcnt vmcnt(0)
	ds_write_b128 v76, v[1:4]
	s_waitcnt lgkmcnt(0)
	s_waitcnt_vscnt null, 0x0
	s_barrier
	buffer_gl0_inv
	v_cmpx_gt_u32_e32 17, v0
	s_cbranch_execz .LBB98_407
; %bb.400:
	ds_read_b128 v[1:4], v76
	v_cmp_ne_u32_e32 vcc_lo, 1, v77
	s_cbranch_vccnz .LBB98_402
; %bb.401:
	s_clause 0x3
	buffer_load_dword v78, v75, s[0:3], 0 offen offset:8
	buffer_load_dword v79, v75, s[0:3], 0 offen offset:12
	buffer_load_dword v82, v75, s[0:3], 0 offen
	buffer_load_dword v83, v75, s[0:3], 0 offen offset:4
	s_waitcnt vmcnt(2) lgkmcnt(0)
	v_mul_f64 v[84:85], v[3:4], v[78:79]
	v_mul_f64 v[78:79], v[1:2], v[78:79]
	s_waitcnt vmcnt(0)
	v_fma_f64 v[1:2], v[1:2], v[82:83], -v[84:85]
	v_fma_f64 v[3:4], v[3:4], v[82:83], v[78:79]
.LBB98_402:
	s_mov_b32 s8, exec_lo
	v_cmpx_ne_u32_e32 16, v0
	s_cbranch_execz .LBB98_406
; %bb.403:
	v_add_nc_u32_e32 v78, 0x240, v81
	v_add3_u32 v79, 0, v81, 16
	v_mov_b32_e32 v80, v0
	s_mov_b32 s42, 0
	.p2align	6
.LBB98_404:                             ; =>This Inner Loop Header: Depth=1
	s_clause 0x3
	buffer_load_dword v86, v79, s[0:3], 0 offen offset:8
	buffer_load_dword v87, v79, s[0:3], 0 offen offset:12
	buffer_load_dword v88, v79, s[0:3], 0 offen
	buffer_load_dword v89, v79, s[0:3], 0 offen offset:4
	ds_read_b128 v[82:85], v78
	v_add_nc_u32_e32 v80, 1, v80
	v_add_nc_u32_e32 v78, 16, v78
	;; [unrolled: 1-line block ×3, first 2 shown]
	v_cmp_lt_u32_e32 vcc_lo, 15, v80
	s_or_b32 s42, vcc_lo, s42
	s_waitcnt vmcnt(2) lgkmcnt(0)
	v_mul_f64 v[90:91], v[84:85], v[86:87]
	v_mul_f64 v[86:87], v[82:83], v[86:87]
	s_waitcnt vmcnt(0)
	v_fma_f64 v[82:83], v[82:83], v[88:89], -v[90:91]
	v_fma_f64 v[84:85], v[84:85], v[88:89], v[86:87]
	v_add_f64 v[1:2], v[1:2], v[82:83]
	v_add_f64 v[3:4], v[3:4], v[84:85]
	s_andn2_b32 exec_lo, exec_lo, s42
	s_cbranch_execnz .LBB98_404
; %bb.405:
	s_or_b32 exec_lo, exec_lo, s42
.LBB98_406:
	s_or_b32 exec_lo, exec_lo, s8
	v_mov_b32_e32 v78, 0
	ds_read_b128 v[82:85], v78 offset:272
	s_waitcnt lgkmcnt(0)
	v_mul_f64 v[78:79], v[3:4], v[84:85]
	v_mul_f64 v[84:85], v[1:2], v[84:85]
	v_fma_f64 v[1:2], v[1:2], v[82:83], -v[78:79]
	v_fma_f64 v[3:4], v[3:4], v[82:83], v[84:85]
	buffer_store_dword v2, off, s[0:3], 0 offset:276
	buffer_store_dword v1, off, s[0:3], 0 offset:272
	;; [unrolled: 1-line block ×4, first 2 shown]
.LBB98_407:
	s_or_b32 exec_lo, exec_lo, s4
	v_mov_b32_e32 v4, s23
	s_mov_b32 s4, exec_lo
	s_clause 0x3
	buffer_load_dword v1, v4, s[0:3], 0 offen
	buffer_load_dword v2, v4, s[0:3], 0 offen offset:4
	buffer_load_dword v3, v4, s[0:3], 0 offen offset:8
	;; [unrolled: 1-line block ×3, first 2 shown]
	s_waitcnt vmcnt(0)
	ds_write_b128 v76, v[1:4]
	s_waitcnt lgkmcnt(0)
	s_waitcnt_vscnt null, 0x0
	s_barrier
	buffer_gl0_inv
	v_cmpx_gt_u32_e32 18, v0
	s_cbranch_execz .LBB98_415
; %bb.408:
	ds_read_b128 v[1:4], v76
	v_cmp_ne_u32_e32 vcc_lo, 1, v77
	s_cbranch_vccnz .LBB98_410
; %bb.409:
	s_clause 0x3
	buffer_load_dword v78, v75, s[0:3], 0 offen offset:8
	buffer_load_dword v79, v75, s[0:3], 0 offen offset:12
	buffer_load_dword v82, v75, s[0:3], 0 offen
	buffer_load_dword v83, v75, s[0:3], 0 offen offset:4
	s_waitcnt vmcnt(2) lgkmcnt(0)
	v_mul_f64 v[84:85], v[3:4], v[78:79]
	v_mul_f64 v[78:79], v[1:2], v[78:79]
	s_waitcnt vmcnt(0)
	v_fma_f64 v[1:2], v[1:2], v[82:83], -v[84:85]
	v_fma_f64 v[3:4], v[3:4], v[82:83], v[78:79]
.LBB98_410:
	s_mov_b32 s8, exec_lo
	v_cmpx_ne_u32_e32 17, v0
	s_cbranch_execz .LBB98_414
; %bb.411:
	v_add_nc_u32_e32 v78, 0x240, v81
	v_add3_u32 v79, 0, v81, 16
	v_mov_b32_e32 v80, v0
	s_mov_b32 s42, 0
	.p2align	6
.LBB98_412:                             ; =>This Inner Loop Header: Depth=1
	s_clause 0x3
	buffer_load_dword v86, v79, s[0:3], 0 offen offset:8
	buffer_load_dword v87, v79, s[0:3], 0 offen offset:12
	buffer_load_dword v88, v79, s[0:3], 0 offen
	buffer_load_dword v89, v79, s[0:3], 0 offen offset:4
	ds_read_b128 v[82:85], v78
	v_add_nc_u32_e32 v80, 1, v80
	v_add_nc_u32_e32 v78, 16, v78
	;; [unrolled: 1-line block ×3, first 2 shown]
	v_cmp_lt_u32_e32 vcc_lo, 16, v80
	s_or_b32 s42, vcc_lo, s42
	s_waitcnt vmcnt(2) lgkmcnt(0)
	v_mul_f64 v[90:91], v[84:85], v[86:87]
	v_mul_f64 v[86:87], v[82:83], v[86:87]
	s_waitcnt vmcnt(0)
	v_fma_f64 v[82:83], v[82:83], v[88:89], -v[90:91]
	v_fma_f64 v[84:85], v[84:85], v[88:89], v[86:87]
	v_add_f64 v[1:2], v[1:2], v[82:83]
	v_add_f64 v[3:4], v[3:4], v[84:85]
	s_andn2_b32 exec_lo, exec_lo, s42
	s_cbranch_execnz .LBB98_412
; %bb.413:
	s_or_b32 exec_lo, exec_lo, s42
.LBB98_414:
	s_or_b32 exec_lo, exec_lo, s8
	v_mov_b32_e32 v78, 0
	ds_read_b128 v[82:85], v78 offset:288
	s_waitcnt lgkmcnt(0)
	v_mul_f64 v[78:79], v[3:4], v[84:85]
	v_mul_f64 v[84:85], v[1:2], v[84:85]
	v_fma_f64 v[1:2], v[1:2], v[82:83], -v[78:79]
	v_fma_f64 v[3:4], v[3:4], v[82:83], v[84:85]
	buffer_store_dword v2, off, s[0:3], 0 offset:292
	buffer_store_dword v1, off, s[0:3], 0 offset:288
	;; [unrolled: 1-line block ×4, first 2 shown]
.LBB98_415:
	s_or_b32 exec_lo, exec_lo, s4
	v_mov_b32_e32 v4, s22
	s_mov_b32 s4, exec_lo
	s_clause 0x3
	buffer_load_dword v1, v4, s[0:3], 0 offen
	buffer_load_dword v2, v4, s[0:3], 0 offen offset:4
	buffer_load_dword v3, v4, s[0:3], 0 offen offset:8
	;; [unrolled: 1-line block ×3, first 2 shown]
	s_waitcnt vmcnt(0)
	ds_write_b128 v76, v[1:4]
	s_waitcnt lgkmcnt(0)
	s_waitcnt_vscnt null, 0x0
	s_barrier
	buffer_gl0_inv
	v_cmpx_gt_u32_e32 19, v0
	s_cbranch_execz .LBB98_423
; %bb.416:
	ds_read_b128 v[1:4], v76
	v_cmp_ne_u32_e32 vcc_lo, 1, v77
	s_cbranch_vccnz .LBB98_418
; %bb.417:
	s_clause 0x3
	buffer_load_dword v78, v75, s[0:3], 0 offen offset:8
	buffer_load_dword v79, v75, s[0:3], 0 offen offset:12
	buffer_load_dword v82, v75, s[0:3], 0 offen
	buffer_load_dword v83, v75, s[0:3], 0 offen offset:4
	s_waitcnt vmcnt(2) lgkmcnt(0)
	v_mul_f64 v[84:85], v[3:4], v[78:79]
	v_mul_f64 v[78:79], v[1:2], v[78:79]
	s_waitcnt vmcnt(0)
	v_fma_f64 v[1:2], v[1:2], v[82:83], -v[84:85]
	v_fma_f64 v[3:4], v[3:4], v[82:83], v[78:79]
.LBB98_418:
	s_mov_b32 s8, exec_lo
	v_cmpx_ne_u32_e32 18, v0
	s_cbranch_execz .LBB98_422
; %bb.419:
	v_add_nc_u32_e32 v78, 0x240, v81
	v_add3_u32 v79, 0, v81, 16
	v_mov_b32_e32 v80, v0
	s_mov_b32 s42, 0
	.p2align	6
.LBB98_420:                             ; =>This Inner Loop Header: Depth=1
	s_clause 0x3
	buffer_load_dword v86, v79, s[0:3], 0 offen offset:8
	buffer_load_dword v87, v79, s[0:3], 0 offen offset:12
	buffer_load_dword v88, v79, s[0:3], 0 offen
	buffer_load_dword v89, v79, s[0:3], 0 offen offset:4
	ds_read_b128 v[82:85], v78
	v_add_nc_u32_e32 v80, 1, v80
	v_add_nc_u32_e32 v78, 16, v78
	;; [unrolled: 1-line block ×3, first 2 shown]
	v_cmp_lt_u32_e32 vcc_lo, 17, v80
	s_or_b32 s42, vcc_lo, s42
	s_waitcnt vmcnt(2) lgkmcnt(0)
	v_mul_f64 v[90:91], v[84:85], v[86:87]
	v_mul_f64 v[86:87], v[82:83], v[86:87]
	s_waitcnt vmcnt(0)
	v_fma_f64 v[82:83], v[82:83], v[88:89], -v[90:91]
	v_fma_f64 v[84:85], v[84:85], v[88:89], v[86:87]
	v_add_f64 v[1:2], v[1:2], v[82:83]
	v_add_f64 v[3:4], v[3:4], v[84:85]
	s_andn2_b32 exec_lo, exec_lo, s42
	s_cbranch_execnz .LBB98_420
; %bb.421:
	s_or_b32 exec_lo, exec_lo, s42
.LBB98_422:
	s_or_b32 exec_lo, exec_lo, s8
	v_mov_b32_e32 v78, 0
	ds_read_b128 v[82:85], v78 offset:304
	s_waitcnt lgkmcnt(0)
	v_mul_f64 v[78:79], v[3:4], v[84:85]
	v_mul_f64 v[84:85], v[1:2], v[84:85]
	v_fma_f64 v[1:2], v[1:2], v[82:83], -v[78:79]
	v_fma_f64 v[3:4], v[3:4], v[82:83], v[84:85]
	buffer_store_dword v2, off, s[0:3], 0 offset:308
	buffer_store_dword v1, off, s[0:3], 0 offset:304
	;; [unrolled: 1-line block ×4, first 2 shown]
.LBB98_423:
	s_or_b32 exec_lo, exec_lo, s4
	v_mov_b32_e32 v4, s21
	s_mov_b32 s4, exec_lo
	s_clause 0x3
	buffer_load_dword v1, v4, s[0:3], 0 offen
	buffer_load_dword v2, v4, s[0:3], 0 offen offset:4
	buffer_load_dword v3, v4, s[0:3], 0 offen offset:8
	;; [unrolled: 1-line block ×3, first 2 shown]
	s_waitcnt vmcnt(0)
	ds_write_b128 v76, v[1:4]
	s_waitcnt lgkmcnt(0)
	s_waitcnt_vscnt null, 0x0
	s_barrier
	buffer_gl0_inv
	v_cmpx_gt_u32_e32 20, v0
	s_cbranch_execz .LBB98_431
; %bb.424:
	ds_read_b128 v[1:4], v76
	v_cmp_ne_u32_e32 vcc_lo, 1, v77
	s_cbranch_vccnz .LBB98_426
; %bb.425:
	s_clause 0x3
	buffer_load_dword v78, v75, s[0:3], 0 offen offset:8
	buffer_load_dword v79, v75, s[0:3], 0 offen offset:12
	buffer_load_dword v82, v75, s[0:3], 0 offen
	buffer_load_dword v83, v75, s[0:3], 0 offen offset:4
	s_waitcnt vmcnt(2) lgkmcnt(0)
	v_mul_f64 v[84:85], v[3:4], v[78:79]
	v_mul_f64 v[78:79], v[1:2], v[78:79]
	s_waitcnt vmcnt(0)
	v_fma_f64 v[1:2], v[1:2], v[82:83], -v[84:85]
	v_fma_f64 v[3:4], v[3:4], v[82:83], v[78:79]
.LBB98_426:
	s_mov_b32 s8, exec_lo
	v_cmpx_ne_u32_e32 19, v0
	s_cbranch_execz .LBB98_430
; %bb.427:
	v_add_nc_u32_e32 v78, 0x240, v81
	v_add3_u32 v79, 0, v81, 16
	v_mov_b32_e32 v80, v0
	s_mov_b32 s42, 0
	.p2align	6
.LBB98_428:                             ; =>This Inner Loop Header: Depth=1
	s_clause 0x3
	buffer_load_dword v86, v79, s[0:3], 0 offen offset:8
	buffer_load_dword v87, v79, s[0:3], 0 offen offset:12
	buffer_load_dword v88, v79, s[0:3], 0 offen
	buffer_load_dword v89, v79, s[0:3], 0 offen offset:4
	ds_read_b128 v[82:85], v78
	v_add_nc_u32_e32 v80, 1, v80
	v_add_nc_u32_e32 v78, 16, v78
	;; [unrolled: 1-line block ×3, first 2 shown]
	v_cmp_lt_u32_e32 vcc_lo, 18, v80
	s_or_b32 s42, vcc_lo, s42
	s_waitcnt vmcnt(2) lgkmcnt(0)
	v_mul_f64 v[90:91], v[84:85], v[86:87]
	v_mul_f64 v[86:87], v[82:83], v[86:87]
	s_waitcnt vmcnt(0)
	v_fma_f64 v[82:83], v[82:83], v[88:89], -v[90:91]
	v_fma_f64 v[84:85], v[84:85], v[88:89], v[86:87]
	v_add_f64 v[1:2], v[1:2], v[82:83]
	v_add_f64 v[3:4], v[3:4], v[84:85]
	s_andn2_b32 exec_lo, exec_lo, s42
	s_cbranch_execnz .LBB98_428
; %bb.429:
	s_or_b32 exec_lo, exec_lo, s42
.LBB98_430:
	s_or_b32 exec_lo, exec_lo, s8
	v_mov_b32_e32 v78, 0
	ds_read_b128 v[82:85], v78 offset:320
	s_waitcnt lgkmcnt(0)
	v_mul_f64 v[78:79], v[3:4], v[84:85]
	v_mul_f64 v[84:85], v[1:2], v[84:85]
	v_fma_f64 v[1:2], v[1:2], v[82:83], -v[78:79]
	v_fma_f64 v[3:4], v[3:4], v[82:83], v[84:85]
	buffer_store_dword v2, off, s[0:3], 0 offset:324
	buffer_store_dword v1, off, s[0:3], 0 offset:320
	;; [unrolled: 1-line block ×4, first 2 shown]
.LBB98_431:
	s_or_b32 exec_lo, exec_lo, s4
	v_mov_b32_e32 v4, s20
	s_mov_b32 s4, exec_lo
	s_clause 0x3
	buffer_load_dword v1, v4, s[0:3], 0 offen
	buffer_load_dword v2, v4, s[0:3], 0 offen offset:4
	buffer_load_dword v3, v4, s[0:3], 0 offen offset:8
	;; [unrolled: 1-line block ×3, first 2 shown]
	s_waitcnt vmcnt(0)
	ds_write_b128 v76, v[1:4]
	s_waitcnt lgkmcnt(0)
	s_waitcnt_vscnt null, 0x0
	s_barrier
	buffer_gl0_inv
	v_cmpx_gt_u32_e32 21, v0
	s_cbranch_execz .LBB98_439
; %bb.432:
	ds_read_b128 v[1:4], v76
	v_cmp_ne_u32_e32 vcc_lo, 1, v77
	s_cbranch_vccnz .LBB98_434
; %bb.433:
	s_clause 0x3
	buffer_load_dword v78, v75, s[0:3], 0 offen offset:8
	buffer_load_dword v79, v75, s[0:3], 0 offen offset:12
	buffer_load_dword v82, v75, s[0:3], 0 offen
	buffer_load_dword v83, v75, s[0:3], 0 offen offset:4
	s_waitcnt vmcnt(2) lgkmcnt(0)
	v_mul_f64 v[84:85], v[3:4], v[78:79]
	v_mul_f64 v[78:79], v[1:2], v[78:79]
	s_waitcnt vmcnt(0)
	v_fma_f64 v[1:2], v[1:2], v[82:83], -v[84:85]
	v_fma_f64 v[3:4], v[3:4], v[82:83], v[78:79]
.LBB98_434:
	s_mov_b32 s8, exec_lo
	v_cmpx_ne_u32_e32 20, v0
	s_cbranch_execz .LBB98_438
; %bb.435:
	v_add_nc_u32_e32 v78, 0x240, v81
	v_add3_u32 v79, 0, v81, 16
	v_mov_b32_e32 v80, v0
	s_mov_b32 s42, 0
	.p2align	6
.LBB98_436:                             ; =>This Inner Loop Header: Depth=1
	s_clause 0x3
	buffer_load_dword v86, v79, s[0:3], 0 offen offset:8
	buffer_load_dword v87, v79, s[0:3], 0 offen offset:12
	buffer_load_dword v88, v79, s[0:3], 0 offen
	buffer_load_dword v89, v79, s[0:3], 0 offen offset:4
	ds_read_b128 v[82:85], v78
	v_add_nc_u32_e32 v80, 1, v80
	v_add_nc_u32_e32 v78, 16, v78
	;; [unrolled: 1-line block ×3, first 2 shown]
	v_cmp_lt_u32_e32 vcc_lo, 19, v80
	s_or_b32 s42, vcc_lo, s42
	s_waitcnt vmcnt(2) lgkmcnt(0)
	v_mul_f64 v[90:91], v[84:85], v[86:87]
	v_mul_f64 v[86:87], v[82:83], v[86:87]
	s_waitcnt vmcnt(0)
	v_fma_f64 v[82:83], v[82:83], v[88:89], -v[90:91]
	v_fma_f64 v[84:85], v[84:85], v[88:89], v[86:87]
	v_add_f64 v[1:2], v[1:2], v[82:83]
	v_add_f64 v[3:4], v[3:4], v[84:85]
	s_andn2_b32 exec_lo, exec_lo, s42
	s_cbranch_execnz .LBB98_436
; %bb.437:
	s_or_b32 exec_lo, exec_lo, s42
.LBB98_438:
	s_or_b32 exec_lo, exec_lo, s8
	v_mov_b32_e32 v78, 0
	ds_read_b128 v[82:85], v78 offset:336
	s_waitcnt lgkmcnt(0)
	v_mul_f64 v[78:79], v[3:4], v[84:85]
	v_mul_f64 v[84:85], v[1:2], v[84:85]
	v_fma_f64 v[1:2], v[1:2], v[82:83], -v[78:79]
	v_fma_f64 v[3:4], v[3:4], v[82:83], v[84:85]
	buffer_store_dword v2, off, s[0:3], 0 offset:340
	buffer_store_dword v1, off, s[0:3], 0 offset:336
	;; [unrolled: 1-line block ×4, first 2 shown]
.LBB98_439:
	s_or_b32 exec_lo, exec_lo, s4
	v_mov_b32_e32 v4, s19
	s_mov_b32 s4, exec_lo
	s_clause 0x3
	buffer_load_dword v1, v4, s[0:3], 0 offen
	buffer_load_dword v2, v4, s[0:3], 0 offen offset:4
	buffer_load_dword v3, v4, s[0:3], 0 offen offset:8
	;; [unrolled: 1-line block ×3, first 2 shown]
	s_waitcnt vmcnt(0)
	ds_write_b128 v76, v[1:4]
	s_waitcnt lgkmcnt(0)
	s_waitcnt_vscnt null, 0x0
	s_barrier
	buffer_gl0_inv
	v_cmpx_gt_u32_e32 22, v0
	s_cbranch_execz .LBB98_447
; %bb.440:
	ds_read_b128 v[1:4], v76
	v_cmp_ne_u32_e32 vcc_lo, 1, v77
	s_cbranch_vccnz .LBB98_442
; %bb.441:
	s_clause 0x3
	buffer_load_dword v78, v75, s[0:3], 0 offen offset:8
	buffer_load_dword v79, v75, s[0:3], 0 offen offset:12
	buffer_load_dword v82, v75, s[0:3], 0 offen
	buffer_load_dword v83, v75, s[0:3], 0 offen offset:4
	s_waitcnt vmcnt(2) lgkmcnt(0)
	v_mul_f64 v[84:85], v[3:4], v[78:79]
	v_mul_f64 v[78:79], v[1:2], v[78:79]
	s_waitcnt vmcnt(0)
	v_fma_f64 v[1:2], v[1:2], v[82:83], -v[84:85]
	v_fma_f64 v[3:4], v[3:4], v[82:83], v[78:79]
.LBB98_442:
	s_mov_b32 s8, exec_lo
	v_cmpx_ne_u32_e32 21, v0
	s_cbranch_execz .LBB98_446
; %bb.443:
	v_add_nc_u32_e32 v78, 0x240, v81
	v_add3_u32 v79, 0, v81, 16
	v_mov_b32_e32 v80, v0
	s_mov_b32 s42, 0
	.p2align	6
.LBB98_444:                             ; =>This Inner Loop Header: Depth=1
	s_clause 0x3
	buffer_load_dword v86, v79, s[0:3], 0 offen offset:8
	buffer_load_dword v87, v79, s[0:3], 0 offen offset:12
	buffer_load_dword v88, v79, s[0:3], 0 offen
	buffer_load_dword v89, v79, s[0:3], 0 offen offset:4
	ds_read_b128 v[82:85], v78
	v_add_nc_u32_e32 v80, 1, v80
	v_add_nc_u32_e32 v78, 16, v78
	;; [unrolled: 1-line block ×3, first 2 shown]
	v_cmp_lt_u32_e32 vcc_lo, 20, v80
	s_or_b32 s42, vcc_lo, s42
	s_waitcnt vmcnt(2) lgkmcnt(0)
	v_mul_f64 v[90:91], v[84:85], v[86:87]
	v_mul_f64 v[86:87], v[82:83], v[86:87]
	s_waitcnt vmcnt(0)
	v_fma_f64 v[82:83], v[82:83], v[88:89], -v[90:91]
	v_fma_f64 v[84:85], v[84:85], v[88:89], v[86:87]
	v_add_f64 v[1:2], v[1:2], v[82:83]
	v_add_f64 v[3:4], v[3:4], v[84:85]
	s_andn2_b32 exec_lo, exec_lo, s42
	s_cbranch_execnz .LBB98_444
; %bb.445:
	s_or_b32 exec_lo, exec_lo, s42
.LBB98_446:
	s_or_b32 exec_lo, exec_lo, s8
	v_mov_b32_e32 v78, 0
	ds_read_b128 v[82:85], v78 offset:352
	s_waitcnt lgkmcnt(0)
	v_mul_f64 v[78:79], v[3:4], v[84:85]
	v_mul_f64 v[84:85], v[1:2], v[84:85]
	v_fma_f64 v[1:2], v[1:2], v[82:83], -v[78:79]
	v_fma_f64 v[3:4], v[3:4], v[82:83], v[84:85]
	buffer_store_dword v2, off, s[0:3], 0 offset:356
	buffer_store_dword v1, off, s[0:3], 0 offset:352
	;; [unrolled: 1-line block ×4, first 2 shown]
.LBB98_447:
	s_or_b32 exec_lo, exec_lo, s4
	v_mov_b32_e32 v4, s18
	s_mov_b32 s4, exec_lo
	s_clause 0x3
	buffer_load_dword v1, v4, s[0:3], 0 offen
	buffer_load_dword v2, v4, s[0:3], 0 offen offset:4
	buffer_load_dword v3, v4, s[0:3], 0 offen offset:8
	;; [unrolled: 1-line block ×3, first 2 shown]
	s_waitcnt vmcnt(0)
	ds_write_b128 v76, v[1:4]
	s_waitcnt lgkmcnt(0)
	s_waitcnt_vscnt null, 0x0
	s_barrier
	buffer_gl0_inv
	v_cmpx_gt_u32_e32 23, v0
	s_cbranch_execz .LBB98_455
; %bb.448:
	ds_read_b128 v[1:4], v76
	v_cmp_ne_u32_e32 vcc_lo, 1, v77
	s_cbranch_vccnz .LBB98_450
; %bb.449:
	s_clause 0x3
	buffer_load_dword v78, v75, s[0:3], 0 offen offset:8
	buffer_load_dword v79, v75, s[0:3], 0 offen offset:12
	buffer_load_dword v82, v75, s[0:3], 0 offen
	buffer_load_dword v83, v75, s[0:3], 0 offen offset:4
	s_waitcnt vmcnt(2) lgkmcnt(0)
	v_mul_f64 v[84:85], v[3:4], v[78:79]
	v_mul_f64 v[78:79], v[1:2], v[78:79]
	s_waitcnt vmcnt(0)
	v_fma_f64 v[1:2], v[1:2], v[82:83], -v[84:85]
	v_fma_f64 v[3:4], v[3:4], v[82:83], v[78:79]
.LBB98_450:
	s_mov_b32 s8, exec_lo
	v_cmpx_ne_u32_e32 22, v0
	s_cbranch_execz .LBB98_454
; %bb.451:
	v_add_nc_u32_e32 v78, 0x240, v81
	v_add3_u32 v79, 0, v81, 16
	v_mov_b32_e32 v80, v0
	s_mov_b32 s42, 0
	.p2align	6
.LBB98_452:                             ; =>This Inner Loop Header: Depth=1
	s_clause 0x3
	buffer_load_dword v86, v79, s[0:3], 0 offen offset:8
	buffer_load_dword v87, v79, s[0:3], 0 offen offset:12
	buffer_load_dword v88, v79, s[0:3], 0 offen
	buffer_load_dword v89, v79, s[0:3], 0 offen offset:4
	ds_read_b128 v[82:85], v78
	v_add_nc_u32_e32 v80, 1, v80
	v_add_nc_u32_e32 v78, 16, v78
	;; [unrolled: 1-line block ×3, first 2 shown]
	v_cmp_lt_u32_e32 vcc_lo, 21, v80
	s_or_b32 s42, vcc_lo, s42
	s_waitcnt vmcnt(2) lgkmcnt(0)
	v_mul_f64 v[90:91], v[84:85], v[86:87]
	v_mul_f64 v[86:87], v[82:83], v[86:87]
	s_waitcnt vmcnt(0)
	v_fma_f64 v[82:83], v[82:83], v[88:89], -v[90:91]
	v_fma_f64 v[84:85], v[84:85], v[88:89], v[86:87]
	v_add_f64 v[1:2], v[1:2], v[82:83]
	v_add_f64 v[3:4], v[3:4], v[84:85]
	s_andn2_b32 exec_lo, exec_lo, s42
	s_cbranch_execnz .LBB98_452
; %bb.453:
	s_or_b32 exec_lo, exec_lo, s42
.LBB98_454:
	s_or_b32 exec_lo, exec_lo, s8
	v_mov_b32_e32 v78, 0
	ds_read_b128 v[82:85], v78 offset:368
	s_waitcnt lgkmcnt(0)
	v_mul_f64 v[78:79], v[3:4], v[84:85]
	v_mul_f64 v[84:85], v[1:2], v[84:85]
	v_fma_f64 v[1:2], v[1:2], v[82:83], -v[78:79]
	v_fma_f64 v[3:4], v[3:4], v[82:83], v[84:85]
	buffer_store_dword v2, off, s[0:3], 0 offset:372
	buffer_store_dword v1, off, s[0:3], 0 offset:368
	;; [unrolled: 1-line block ×4, first 2 shown]
.LBB98_455:
	s_or_b32 exec_lo, exec_lo, s4
	v_mov_b32_e32 v4, s17
	s_mov_b32 s4, exec_lo
	s_clause 0x3
	buffer_load_dword v1, v4, s[0:3], 0 offen
	buffer_load_dword v2, v4, s[0:3], 0 offen offset:4
	buffer_load_dword v3, v4, s[0:3], 0 offen offset:8
	;; [unrolled: 1-line block ×3, first 2 shown]
	s_waitcnt vmcnt(0)
	ds_write_b128 v76, v[1:4]
	s_waitcnt lgkmcnt(0)
	s_waitcnt_vscnt null, 0x0
	s_barrier
	buffer_gl0_inv
	v_cmpx_gt_u32_e32 24, v0
	s_cbranch_execz .LBB98_463
; %bb.456:
	ds_read_b128 v[1:4], v76
	v_cmp_ne_u32_e32 vcc_lo, 1, v77
	s_cbranch_vccnz .LBB98_458
; %bb.457:
	s_clause 0x3
	buffer_load_dword v78, v75, s[0:3], 0 offen offset:8
	buffer_load_dword v79, v75, s[0:3], 0 offen offset:12
	buffer_load_dword v82, v75, s[0:3], 0 offen
	buffer_load_dword v83, v75, s[0:3], 0 offen offset:4
	s_waitcnt vmcnt(2) lgkmcnt(0)
	v_mul_f64 v[84:85], v[3:4], v[78:79]
	v_mul_f64 v[78:79], v[1:2], v[78:79]
	s_waitcnt vmcnt(0)
	v_fma_f64 v[1:2], v[1:2], v[82:83], -v[84:85]
	v_fma_f64 v[3:4], v[3:4], v[82:83], v[78:79]
.LBB98_458:
	s_mov_b32 s8, exec_lo
	v_cmpx_ne_u32_e32 23, v0
	s_cbranch_execz .LBB98_462
; %bb.459:
	v_add_nc_u32_e32 v78, 0x240, v81
	v_add3_u32 v79, 0, v81, 16
	v_mov_b32_e32 v80, v0
	s_mov_b32 s42, 0
	.p2align	6
.LBB98_460:                             ; =>This Inner Loop Header: Depth=1
	s_clause 0x3
	buffer_load_dword v86, v79, s[0:3], 0 offen offset:8
	buffer_load_dword v87, v79, s[0:3], 0 offen offset:12
	buffer_load_dword v88, v79, s[0:3], 0 offen
	buffer_load_dword v89, v79, s[0:3], 0 offen offset:4
	ds_read_b128 v[82:85], v78
	v_add_nc_u32_e32 v80, 1, v80
	v_add_nc_u32_e32 v78, 16, v78
	;; [unrolled: 1-line block ×3, first 2 shown]
	v_cmp_lt_u32_e32 vcc_lo, 22, v80
	s_or_b32 s42, vcc_lo, s42
	s_waitcnt vmcnt(2) lgkmcnt(0)
	v_mul_f64 v[90:91], v[84:85], v[86:87]
	v_mul_f64 v[86:87], v[82:83], v[86:87]
	s_waitcnt vmcnt(0)
	v_fma_f64 v[82:83], v[82:83], v[88:89], -v[90:91]
	v_fma_f64 v[84:85], v[84:85], v[88:89], v[86:87]
	v_add_f64 v[1:2], v[1:2], v[82:83]
	v_add_f64 v[3:4], v[3:4], v[84:85]
	s_andn2_b32 exec_lo, exec_lo, s42
	s_cbranch_execnz .LBB98_460
; %bb.461:
	s_or_b32 exec_lo, exec_lo, s42
.LBB98_462:
	s_or_b32 exec_lo, exec_lo, s8
	v_mov_b32_e32 v78, 0
	ds_read_b128 v[82:85], v78 offset:384
	s_waitcnt lgkmcnt(0)
	v_mul_f64 v[78:79], v[3:4], v[84:85]
	v_mul_f64 v[84:85], v[1:2], v[84:85]
	v_fma_f64 v[1:2], v[1:2], v[82:83], -v[78:79]
	v_fma_f64 v[3:4], v[3:4], v[82:83], v[84:85]
	buffer_store_dword v2, off, s[0:3], 0 offset:388
	buffer_store_dword v1, off, s[0:3], 0 offset:384
	;; [unrolled: 1-line block ×4, first 2 shown]
.LBB98_463:
	s_or_b32 exec_lo, exec_lo, s4
	v_mov_b32_e32 v4, s16
	s_mov_b32 s4, exec_lo
	s_clause 0x3
	buffer_load_dword v1, v4, s[0:3], 0 offen
	buffer_load_dword v2, v4, s[0:3], 0 offen offset:4
	buffer_load_dword v3, v4, s[0:3], 0 offen offset:8
	;; [unrolled: 1-line block ×3, first 2 shown]
	s_waitcnt vmcnt(0)
	ds_write_b128 v76, v[1:4]
	s_waitcnt lgkmcnt(0)
	s_waitcnt_vscnt null, 0x0
	s_barrier
	buffer_gl0_inv
	v_cmpx_gt_u32_e32 25, v0
	s_cbranch_execz .LBB98_471
; %bb.464:
	ds_read_b128 v[1:4], v76
	v_cmp_ne_u32_e32 vcc_lo, 1, v77
	s_cbranch_vccnz .LBB98_466
; %bb.465:
	s_clause 0x3
	buffer_load_dword v78, v75, s[0:3], 0 offen offset:8
	buffer_load_dword v79, v75, s[0:3], 0 offen offset:12
	buffer_load_dword v82, v75, s[0:3], 0 offen
	buffer_load_dword v83, v75, s[0:3], 0 offen offset:4
	s_waitcnt vmcnt(2) lgkmcnt(0)
	v_mul_f64 v[84:85], v[3:4], v[78:79]
	v_mul_f64 v[78:79], v[1:2], v[78:79]
	s_waitcnt vmcnt(0)
	v_fma_f64 v[1:2], v[1:2], v[82:83], -v[84:85]
	v_fma_f64 v[3:4], v[3:4], v[82:83], v[78:79]
.LBB98_466:
	s_mov_b32 s8, exec_lo
	v_cmpx_ne_u32_e32 24, v0
	s_cbranch_execz .LBB98_470
; %bb.467:
	v_add_nc_u32_e32 v78, 0x240, v81
	v_add3_u32 v79, 0, v81, 16
	v_mov_b32_e32 v80, v0
	s_mov_b32 s42, 0
	.p2align	6
.LBB98_468:                             ; =>This Inner Loop Header: Depth=1
	s_clause 0x3
	buffer_load_dword v86, v79, s[0:3], 0 offen offset:8
	buffer_load_dword v87, v79, s[0:3], 0 offen offset:12
	buffer_load_dword v88, v79, s[0:3], 0 offen
	buffer_load_dword v89, v79, s[0:3], 0 offen offset:4
	ds_read_b128 v[82:85], v78
	v_add_nc_u32_e32 v80, 1, v80
	v_add_nc_u32_e32 v78, 16, v78
	;; [unrolled: 1-line block ×3, first 2 shown]
	v_cmp_lt_u32_e32 vcc_lo, 23, v80
	s_or_b32 s42, vcc_lo, s42
	s_waitcnt vmcnt(2) lgkmcnt(0)
	v_mul_f64 v[90:91], v[84:85], v[86:87]
	v_mul_f64 v[86:87], v[82:83], v[86:87]
	s_waitcnt vmcnt(0)
	v_fma_f64 v[82:83], v[82:83], v[88:89], -v[90:91]
	v_fma_f64 v[84:85], v[84:85], v[88:89], v[86:87]
	v_add_f64 v[1:2], v[1:2], v[82:83]
	v_add_f64 v[3:4], v[3:4], v[84:85]
	s_andn2_b32 exec_lo, exec_lo, s42
	s_cbranch_execnz .LBB98_468
; %bb.469:
	s_or_b32 exec_lo, exec_lo, s42
.LBB98_470:
	s_or_b32 exec_lo, exec_lo, s8
	v_mov_b32_e32 v78, 0
	ds_read_b128 v[82:85], v78 offset:400
	s_waitcnt lgkmcnt(0)
	v_mul_f64 v[78:79], v[3:4], v[84:85]
	v_mul_f64 v[84:85], v[1:2], v[84:85]
	v_fma_f64 v[1:2], v[1:2], v[82:83], -v[78:79]
	v_fma_f64 v[3:4], v[3:4], v[82:83], v[84:85]
	buffer_store_dword v2, off, s[0:3], 0 offset:404
	buffer_store_dword v1, off, s[0:3], 0 offset:400
	buffer_store_dword v4, off, s[0:3], 0 offset:412
	buffer_store_dword v3, off, s[0:3], 0 offset:408
.LBB98_471:
	s_or_b32 exec_lo, exec_lo, s4
	v_mov_b32_e32 v4, s15
	s_mov_b32 s4, exec_lo
	s_clause 0x3
	buffer_load_dword v1, v4, s[0:3], 0 offen
	buffer_load_dword v2, v4, s[0:3], 0 offen offset:4
	buffer_load_dword v3, v4, s[0:3], 0 offen offset:8
	;; [unrolled: 1-line block ×3, first 2 shown]
	s_waitcnt vmcnt(0)
	ds_write_b128 v76, v[1:4]
	s_waitcnt lgkmcnt(0)
	s_waitcnt_vscnt null, 0x0
	s_barrier
	buffer_gl0_inv
	v_cmpx_gt_u32_e32 26, v0
	s_cbranch_execz .LBB98_479
; %bb.472:
	ds_read_b128 v[1:4], v76
	v_cmp_ne_u32_e32 vcc_lo, 1, v77
	s_cbranch_vccnz .LBB98_474
; %bb.473:
	s_clause 0x3
	buffer_load_dword v78, v75, s[0:3], 0 offen offset:8
	buffer_load_dword v79, v75, s[0:3], 0 offen offset:12
	buffer_load_dword v82, v75, s[0:3], 0 offen
	buffer_load_dword v83, v75, s[0:3], 0 offen offset:4
	s_waitcnt vmcnt(2) lgkmcnt(0)
	v_mul_f64 v[84:85], v[3:4], v[78:79]
	v_mul_f64 v[78:79], v[1:2], v[78:79]
	s_waitcnt vmcnt(0)
	v_fma_f64 v[1:2], v[1:2], v[82:83], -v[84:85]
	v_fma_f64 v[3:4], v[3:4], v[82:83], v[78:79]
.LBB98_474:
	s_mov_b32 s8, exec_lo
	v_cmpx_ne_u32_e32 25, v0
	s_cbranch_execz .LBB98_478
; %bb.475:
	v_add_nc_u32_e32 v78, 0x240, v81
	v_add3_u32 v79, 0, v81, 16
	v_mov_b32_e32 v80, v0
	s_mov_b32 s42, 0
	.p2align	6
.LBB98_476:                             ; =>This Inner Loop Header: Depth=1
	s_clause 0x3
	buffer_load_dword v86, v79, s[0:3], 0 offen offset:8
	buffer_load_dword v87, v79, s[0:3], 0 offen offset:12
	buffer_load_dword v88, v79, s[0:3], 0 offen
	buffer_load_dword v89, v79, s[0:3], 0 offen offset:4
	ds_read_b128 v[82:85], v78
	v_add_nc_u32_e32 v80, 1, v80
	v_add_nc_u32_e32 v78, 16, v78
	;; [unrolled: 1-line block ×3, first 2 shown]
	v_cmp_lt_u32_e32 vcc_lo, 24, v80
	s_or_b32 s42, vcc_lo, s42
	s_waitcnt vmcnt(2) lgkmcnt(0)
	v_mul_f64 v[90:91], v[84:85], v[86:87]
	v_mul_f64 v[86:87], v[82:83], v[86:87]
	s_waitcnt vmcnt(0)
	v_fma_f64 v[82:83], v[82:83], v[88:89], -v[90:91]
	v_fma_f64 v[84:85], v[84:85], v[88:89], v[86:87]
	v_add_f64 v[1:2], v[1:2], v[82:83]
	v_add_f64 v[3:4], v[3:4], v[84:85]
	s_andn2_b32 exec_lo, exec_lo, s42
	s_cbranch_execnz .LBB98_476
; %bb.477:
	s_or_b32 exec_lo, exec_lo, s42
.LBB98_478:
	s_or_b32 exec_lo, exec_lo, s8
	v_mov_b32_e32 v78, 0
	ds_read_b128 v[82:85], v78 offset:416
	s_waitcnt lgkmcnt(0)
	v_mul_f64 v[78:79], v[3:4], v[84:85]
	v_mul_f64 v[84:85], v[1:2], v[84:85]
	v_fma_f64 v[1:2], v[1:2], v[82:83], -v[78:79]
	v_fma_f64 v[3:4], v[3:4], v[82:83], v[84:85]
	buffer_store_dword v2, off, s[0:3], 0 offset:420
	buffer_store_dword v1, off, s[0:3], 0 offset:416
	;; [unrolled: 1-line block ×4, first 2 shown]
.LBB98_479:
	s_or_b32 exec_lo, exec_lo, s4
	v_mov_b32_e32 v4, s14
	s_mov_b32 s4, exec_lo
	s_clause 0x3
	buffer_load_dword v1, v4, s[0:3], 0 offen
	buffer_load_dword v2, v4, s[0:3], 0 offen offset:4
	buffer_load_dword v3, v4, s[0:3], 0 offen offset:8
	;; [unrolled: 1-line block ×3, first 2 shown]
	s_waitcnt vmcnt(0)
	ds_write_b128 v76, v[1:4]
	s_waitcnt lgkmcnt(0)
	s_waitcnt_vscnt null, 0x0
	s_barrier
	buffer_gl0_inv
	v_cmpx_gt_u32_e32 27, v0
	s_cbranch_execz .LBB98_487
; %bb.480:
	ds_read_b128 v[1:4], v76
	v_cmp_ne_u32_e32 vcc_lo, 1, v77
	s_cbranch_vccnz .LBB98_482
; %bb.481:
	s_clause 0x3
	buffer_load_dword v78, v75, s[0:3], 0 offen offset:8
	buffer_load_dword v79, v75, s[0:3], 0 offen offset:12
	buffer_load_dword v82, v75, s[0:3], 0 offen
	buffer_load_dword v83, v75, s[0:3], 0 offen offset:4
	s_waitcnt vmcnt(2) lgkmcnt(0)
	v_mul_f64 v[84:85], v[3:4], v[78:79]
	v_mul_f64 v[78:79], v[1:2], v[78:79]
	s_waitcnt vmcnt(0)
	v_fma_f64 v[1:2], v[1:2], v[82:83], -v[84:85]
	v_fma_f64 v[3:4], v[3:4], v[82:83], v[78:79]
.LBB98_482:
	s_mov_b32 s8, exec_lo
	v_cmpx_ne_u32_e32 26, v0
	s_cbranch_execz .LBB98_486
; %bb.483:
	v_add_nc_u32_e32 v78, 0x240, v81
	v_add3_u32 v79, 0, v81, 16
	v_mov_b32_e32 v80, v0
	s_mov_b32 s42, 0
	.p2align	6
.LBB98_484:                             ; =>This Inner Loop Header: Depth=1
	s_clause 0x3
	buffer_load_dword v86, v79, s[0:3], 0 offen offset:8
	buffer_load_dword v87, v79, s[0:3], 0 offen offset:12
	buffer_load_dword v88, v79, s[0:3], 0 offen
	buffer_load_dword v89, v79, s[0:3], 0 offen offset:4
	ds_read_b128 v[82:85], v78
	v_add_nc_u32_e32 v80, 1, v80
	v_add_nc_u32_e32 v78, 16, v78
	v_add_nc_u32_e32 v79, 16, v79
	v_cmp_lt_u32_e32 vcc_lo, 25, v80
	s_or_b32 s42, vcc_lo, s42
	s_waitcnt vmcnt(2) lgkmcnt(0)
	v_mul_f64 v[90:91], v[84:85], v[86:87]
	v_mul_f64 v[86:87], v[82:83], v[86:87]
	s_waitcnt vmcnt(0)
	v_fma_f64 v[82:83], v[82:83], v[88:89], -v[90:91]
	v_fma_f64 v[84:85], v[84:85], v[88:89], v[86:87]
	v_add_f64 v[1:2], v[1:2], v[82:83]
	v_add_f64 v[3:4], v[3:4], v[84:85]
	s_andn2_b32 exec_lo, exec_lo, s42
	s_cbranch_execnz .LBB98_484
; %bb.485:
	s_or_b32 exec_lo, exec_lo, s42
.LBB98_486:
	s_or_b32 exec_lo, exec_lo, s8
	v_mov_b32_e32 v78, 0
	ds_read_b128 v[82:85], v78 offset:432
	s_waitcnt lgkmcnt(0)
	v_mul_f64 v[78:79], v[3:4], v[84:85]
	v_mul_f64 v[84:85], v[1:2], v[84:85]
	v_fma_f64 v[1:2], v[1:2], v[82:83], -v[78:79]
	v_fma_f64 v[3:4], v[3:4], v[82:83], v[84:85]
	buffer_store_dword v2, off, s[0:3], 0 offset:436
	buffer_store_dword v1, off, s[0:3], 0 offset:432
	;; [unrolled: 1-line block ×4, first 2 shown]
.LBB98_487:
	s_or_b32 exec_lo, exec_lo, s4
	v_mov_b32_e32 v4, s13
	s_mov_b32 s4, exec_lo
	s_clause 0x3
	buffer_load_dword v1, v4, s[0:3], 0 offen
	buffer_load_dword v2, v4, s[0:3], 0 offen offset:4
	buffer_load_dword v3, v4, s[0:3], 0 offen offset:8
	buffer_load_dword v4, v4, s[0:3], 0 offen offset:12
	s_waitcnt vmcnt(0)
	ds_write_b128 v76, v[1:4]
	s_waitcnt lgkmcnt(0)
	s_waitcnt_vscnt null, 0x0
	s_barrier
	buffer_gl0_inv
	v_cmpx_gt_u32_e32 28, v0
	s_cbranch_execz .LBB98_495
; %bb.488:
	ds_read_b128 v[1:4], v76
	v_cmp_ne_u32_e32 vcc_lo, 1, v77
	s_cbranch_vccnz .LBB98_490
; %bb.489:
	s_clause 0x3
	buffer_load_dword v78, v75, s[0:3], 0 offen offset:8
	buffer_load_dword v79, v75, s[0:3], 0 offen offset:12
	buffer_load_dword v82, v75, s[0:3], 0 offen
	buffer_load_dword v83, v75, s[0:3], 0 offen offset:4
	s_waitcnt vmcnt(2) lgkmcnt(0)
	v_mul_f64 v[84:85], v[3:4], v[78:79]
	v_mul_f64 v[78:79], v[1:2], v[78:79]
	s_waitcnt vmcnt(0)
	v_fma_f64 v[1:2], v[1:2], v[82:83], -v[84:85]
	v_fma_f64 v[3:4], v[3:4], v[82:83], v[78:79]
.LBB98_490:
	s_mov_b32 s8, exec_lo
	v_cmpx_ne_u32_e32 27, v0
	s_cbranch_execz .LBB98_494
; %bb.491:
	v_add_nc_u32_e32 v78, 0x240, v81
	v_add3_u32 v79, 0, v81, 16
	v_mov_b32_e32 v80, v0
	s_mov_b32 s42, 0
	.p2align	6
.LBB98_492:                             ; =>This Inner Loop Header: Depth=1
	s_clause 0x3
	buffer_load_dword v86, v79, s[0:3], 0 offen offset:8
	buffer_load_dword v87, v79, s[0:3], 0 offen offset:12
	buffer_load_dword v88, v79, s[0:3], 0 offen
	buffer_load_dword v89, v79, s[0:3], 0 offen offset:4
	ds_read_b128 v[82:85], v78
	v_add_nc_u32_e32 v80, 1, v80
	v_add_nc_u32_e32 v78, 16, v78
	;; [unrolled: 1-line block ×3, first 2 shown]
	v_cmp_lt_u32_e32 vcc_lo, 26, v80
	s_or_b32 s42, vcc_lo, s42
	s_waitcnt vmcnt(2) lgkmcnt(0)
	v_mul_f64 v[90:91], v[84:85], v[86:87]
	v_mul_f64 v[86:87], v[82:83], v[86:87]
	s_waitcnt vmcnt(0)
	v_fma_f64 v[82:83], v[82:83], v[88:89], -v[90:91]
	v_fma_f64 v[84:85], v[84:85], v[88:89], v[86:87]
	v_add_f64 v[1:2], v[1:2], v[82:83]
	v_add_f64 v[3:4], v[3:4], v[84:85]
	s_andn2_b32 exec_lo, exec_lo, s42
	s_cbranch_execnz .LBB98_492
; %bb.493:
	s_or_b32 exec_lo, exec_lo, s42
.LBB98_494:
	s_or_b32 exec_lo, exec_lo, s8
	v_mov_b32_e32 v78, 0
	ds_read_b128 v[82:85], v78 offset:448
	s_waitcnt lgkmcnt(0)
	v_mul_f64 v[78:79], v[3:4], v[84:85]
	v_mul_f64 v[84:85], v[1:2], v[84:85]
	v_fma_f64 v[1:2], v[1:2], v[82:83], -v[78:79]
	v_fma_f64 v[3:4], v[3:4], v[82:83], v[84:85]
	buffer_store_dword v2, off, s[0:3], 0 offset:452
	buffer_store_dword v1, off, s[0:3], 0 offset:448
	;; [unrolled: 1-line block ×4, first 2 shown]
.LBB98_495:
	s_or_b32 exec_lo, exec_lo, s4
	v_mov_b32_e32 v4, s12
	s_mov_b32 s4, exec_lo
	s_clause 0x3
	buffer_load_dword v1, v4, s[0:3], 0 offen
	buffer_load_dword v2, v4, s[0:3], 0 offen offset:4
	buffer_load_dword v3, v4, s[0:3], 0 offen offset:8
	;; [unrolled: 1-line block ×3, first 2 shown]
	s_waitcnt vmcnt(0)
	ds_write_b128 v76, v[1:4]
	s_waitcnt lgkmcnt(0)
	s_waitcnt_vscnt null, 0x0
	s_barrier
	buffer_gl0_inv
	v_cmpx_gt_u32_e32 29, v0
	s_cbranch_execz .LBB98_503
; %bb.496:
	ds_read_b128 v[1:4], v76
	v_cmp_ne_u32_e32 vcc_lo, 1, v77
	s_cbranch_vccnz .LBB98_498
; %bb.497:
	s_clause 0x3
	buffer_load_dword v78, v75, s[0:3], 0 offen offset:8
	buffer_load_dword v79, v75, s[0:3], 0 offen offset:12
	buffer_load_dword v82, v75, s[0:3], 0 offen
	buffer_load_dword v83, v75, s[0:3], 0 offen offset:4
	s_waitcnt vmcnt(2) lgkmcnt(0)
	v_mul_f64 v[84:85], v[3:4], v[78:79]
	v_mul_f64 v[78:79], v[1:2], v[78:79]
	s_waitcnt vmcnt(0)
	v_fma_f64 v[1:2], v[1:2], v[82:83], -v[84:85]
	v_fma_f64 v[3:4], v[3:4], v[82:83], v[78:79]
.LBB98_498:
	s_mov_b32 s8, exec_lo
	v_cmpx_ne_u32_e32 28, v0
	s_cbranch_execz .LBB98_502
; %bb.499:
	v_add_nc_u32_e32 v78, 0x240, v81
	v_add3_u32 v79, 0, v81, 16
	v_mov_b32_e32 v80, v0
	s_mov_b32 s42, 0
	.p2align	6
.LBB98_500:                             ; =>This Inner Loop Header: Depth=1
	s_clause 0x3
	buffer_load_dword v86, v79, s[0:3], 0 offen offset:8
	buffer_load_dword v87, v79, s[0:3], 0 offen offset:12
	buffer_load_dword v88, v79, s[0:3], 0 offen
	buffer_load_dword v89, v79, s[0:3], 0 offen offset:4
	ds_read_b128 v[82:85], v78
	v_add_nc_u32_e32 v80, 1, v80
	v_add_nc_u32_e32 v78, 16, v78
	;; [unrolled: 1-line block ×3, first 2 shown]
	v_cmp_lt_u32_e32 vcc_lo, 27, v80
	s_or_b32 s42, vcc_lo, s42
	s_waitcnt vmcnt(2) lgkmcnt(0)
	v_mul_f64 v[90:91], v[84:85], v[86:87]
	v_mul_f64 v[86:87], v[82:83], v[86:87]
	s_waitcnt vmcnt(0)
	v_fma_f64 v[82:83], v[82:83], v[88:89], -v[90:91]
	v_fma_f64 v[84:85], v[84:85], v[88:89], v[86:87]
	v_add_f64 v[1:2], v[1:2], v[82:83]
	v_add_f64 v[3:4], v[3:4], v[84:85]
	s_andn2_b32 exec_lo, exec_lo, s42
	s_cbranch_execnz .LBB98_500
; %bb.501:
	s_or_b32 exec_lo, exec_lo, s42
.LBB98_502:
	s_or_b32 exec_lo, exec_lo, s8
	v_mov_b32_e32 v78, 0
	ds_read_b128 v[82:85], v78 offset:464
	s_waitcnt lgkmcnt(0)
	v_mul_f64 v[78:79], v[3:4], v[84:85]
	v_mul_f64 v[84:85], v[1:2], v[84:85]
	v_fma_f64 v[1:2], v[1:2], v[82:83], -v[78:79]
	v_fma_f64 v[3:4], v[3:4], v[82:83], v[84:85]
	buffer_store_dword v2, off, s[0:3], 0 offset:468
	buffer_store_dword v1, off, s[0:3], 0 offset:464
	;; [unrolled: 1-line block ×4, first 2 shown]
.LBB98_503:
	s_or_b32 exec_lo, exec_lo, s4
	v_mov_b32_e32 v4, s11
	s_mov_b32 s4, exec_lo
	s_clause 0x3
	buffer_load_dword v1, v4, s[0:3], 0 offen
	buffer_load_dword v2, v4, s[0:3], 0 offen offset:4
	buffer_load_dword v3, v4, s[0:3], 0 offen offset:8
	;; [unrolled: 1-line block ×3, first 2 shown]
	s_waitcnt vmcnt(0)
	ds_write_b128 v76, v[1:4]
	s_waitcnt lgkmcnt(0)
	s_waitcnt_vscnt null, 0x0
	s_barrier
	buffer_gl0_inv
	v_cmpx_gt_u32_e32 30, v0
	s_cbranch_execz .LBB98_511
; %bb.504:
	ds_read_b128 v[1:4], v76
	v_cmp_ne_u32_e32 vcc_lo, 1, v77
	s_cbranch_vccnz .LBB98_506
; %bb.505:
	s_clause 0x3
	buffer_load_dword v78, v75, s[0:3], 0 offen offset:8
	buffer_load_dword v79, v75, s[0:3], 0 offen offset:12
	buffer_load_dword v82, v75, s[0:3], 0 offen
	buffer_load_dword v83, v75, s[0:3], 0 offen offset:4
	s_waitcnt vmcnt(2) lgkmcnt(0)
	v_mul_f64 v[84:85], v[3:4], v[78:79]
	v_mul_f64 v[78:79], v[1:2], v[78:79]
	s_waitcnt vmcnt(0)
	v_fma_f64 v[1:2], v[1:2], v[82:83], -v[84:85]
	v_fma_f64 v[3:4], v[3:4], v[82:83], v[78:79]
.LBB98_506:
	s_mov_b32 s8, exec_lo
	v_cmpx_ne_u32_e32 29, v0
	s_cbranch_execz .LBB98_510
; %bb.507:
	v_add_nc_u32_e32 v78, 0x240, v81
	v_add3_u32 v79, 0, v81, 16
	v_mov_b32_e32 v80, v0
	s_mov_b32 s42, 0
	.p2align	6
.LBB98_508:                             ; =>This Inner Loop Header: Depth=1
	s_clause 0x3
	buffer_load_dword v86, v79, s[0:3], 0 offen offset:8
	buffer_load_dword v87, v79, s[0:3], 0 offen offset:12
	buffer_load_dword v88, v79, s[0:3], 0 offen
	buffer_load_dword v89, v79, s[0:3], 0 offen offset:4
	ds_read_b128 v[82:85], v78
	v_add_nc_u32_e32 v80, 1, v80
	v_add_nc_u32_e32 v78, 16, v78
	;; [unrolled: 1-line block ×3, first 2 shown]
	v_cmp_lt_u32_e32 vcc_lo, 28, v80
	s_or_b32 s42, vcc_lo, s42
	s_waitcnt vmcnt(2) lgkmcnt(0)
	v_mul_f64 v[90:91], v[84:85], v[86:87]
	v_mul_f64 v[86:87], v[82:83], v[86:87]
	s_waitcnt vmcnt(0)
	v_fma_f64 v[82:83], v[82:83], v[88:89], -v[90:91]
	v_fma_f64 v[84:85], v[84:85], v[88:89], v[86:87]
	v_add_f64 v[1:2], v[1:2], v[82:83]
	v_add_f64 v[3:4], v[3:4], v[84:85]
	s_andn2_b32 exec_lo, exec_lo, s42
	s_cbranch_execnz .LBB98_508
; %bb.509:
	s_or_b32 exec_lo, exec_lo, s42
.LBB98_510:
	s_or_b32 exec_lo, exec_lo, s8
	v_mov_b32_e32 v78, 0
	ds_read_b128 v[82:85], v78 offset:480
	s_waitcnt lgkmcnt(0)
	v_mul_f64 v[78:79], v[3:4], v[84:85]
	v_mul_f64 v[84:85], v[1:2], v[84:85]
	v_fma_f64 v[1:2], v[1:2], v[82:83], -v[78:79]
	v_fma_f64 v[3:4], v[3:4], v[82:83], v[84:85]
	buffer_store_dword v2, off, s[0:3], 0 offset:484
	buffer_store_dword v1, off, s[0:3], 0 offset:480
	;; [unrolled: 1-line block ×4, first 2 shown]
.LBB98_511:
	s_or_b32 exec_lo, exec_lo, s4
	v_mov_b32_e32 v4, s10
	s_mov_b32 s4, exec_lo
	s_clause 0x3
	buffer_load_dword v1, v4, s[0:3], 0 offen
	buffer_load_dword v2, v4, s[0:3], 0 offen offset:4
	buffer_load_dword v3, v4, s[0:3], 0 offen offset:8
	;; [unrolled: 1-line block ×3, first 2 shown]
	s_waitcnt vmcnt(0)
	ds_write_b128 v76, v[1:4]
	s_waitcnt lgkmcnt(0)
	s_waitcnt_vscnt null, 0x0
	s_barrier
	buffer_gl0_inv
	v_cmpx_gt_u32_e32 31, v0
	s_cbranch_execz .LBB98_519
; %bb.512:
	ds_read_b128 v[1:4], v76
	v_cmp_ne_u32_e32 vcc_lo, 1, v77
	s_cbranch_vccnz .LBB98_514
; %bb.513:
	s_clause 0x3
	buffer_load_dword v78, v75, s[0:3], 0 offen offset:8
	buffer_load_dword v79, v75, s[0:3], 0 offen offset:12
	buffer_load_dword v82, v75, s[0:3], 0 offen
	buffer_load_dword v83, v75, s[0:3], 0 offen offset:4
	s_waitcnt vmcnt(2) lgkmcnt(0)
	v_mul_f64 v[84:85], v[3:4], v[78:79]
	v_mul_f64 v[78:79], v[1:2], v[78:79]
	s_waitcnt vmcnt(0)
	v_fma_f64 v[1:2], v[1:2], v[82:83], -v[84:85]
	v_fma_f64 v[3:4], v[3:4], v[82:83], v[78:79]
.LBB98_514:
	s_mov_b32 s8, exec_lo
	v_cmpx_ne_u32_e32 30, v0
	s_cbranch_execz .LBB98_518
; %bb.515:
	v_add_nc_u32_e32 v78, 0x240, v81
	v_add3_u32 v79, 0, v81, 16
	v_mov_b32_e32 v80, v0
	s_mov_b32 s42, 0
	.p2align	6
.LBB98_516:                             ; =>This Inner Loop Header: Depth=1
	s_clause 0x3
	buffer_load_dword v86, v79, s[0:3], 0 offen offset:8
	buffer_load_dword v87, v79, s[0:3], 0 offen offset:12
	buffer_load_dword v88, v79, s[0:3], 0 offen
	buffer_load_dword v89, v79, s[0:3], 0 offen offset:4
	ds_read_b128 v[82:85], v78
	v_add_nc_u32_e32 v80, 1, v80
	v_add_nc_u32_e32 v78, 16, v78
	;; [unrolled: 1-line block ×3, first 2 shown]
	v_cmp_lt_u32_e32 vcc_lo, 29, v80
	s_or_b32 s42, vcc_lo, s42
	s_waitcnt vmcnt(2) lgkmcnt(0)
	v_mul_f64 v[90:91], v[84:85], v[86:87]
	v_mul_f64 v[86:87], v[82:83], v[86:87]
	s_waitcnt vmcnt(0)
	v_fma_f64 v[82:83], v[82:83], v[88:89], -v[90:91]
	v_fma_f64 v[84:85], v[84:85], v[88:89], v[86:87]
	v_add_f64 v[1:2], v[1:2], v[82:83]
	v_add_f64 v[3:4], v[3:4], v[84:85]
	s_andn2_b32 exec_lo, exec_lo, s42
	s_cbranch_execnz .LBB98_516
; %bb.517:
	s_or_b32 exec_lo, exec_lo, s42
.LBB98_518:
	s_or_b32 exec_lo, exec_lo, s8
	v_mov_b32_e32 v78, 0
	ds_read_b128 v[82:85], v78 offset:496
	s_waitcnt lgkmcnt(0)
	v_mul_f64 v[78:79], v[3:4], v[84:85]
	v_mul_f64 v[84:85], v[1:2], v[84:85]
	v_fma_f64 v[1:2], v[1:2], v[82:83], -v[78:79]
	v_fma_f64 v[3:4], v[3:4], v[82:83], v[84:85]
	buffer_store_dword v2, off, s[0:3], 0 offset:500
	buffer_store_dword v1, off, s[0:3], 0 offset:496
	buffer_store_dword v4, off, s[0:3], 0 offset:508
	buffer_store_dword v3, off, s[0:3], 0 offset:504
.LBB98_519:
	s_or_b32 exec_lo, exec_lo, s4
	v_mov_b32_e32 v4, s9
	s_mov_b32 s4, exec_lo
	s_clause 0x3
	buffer_load_dword v1, v4, s[0:3], 0 offen
	buffer_load_dword v2, v4, s[0:3], 0 offen offset:4
	buffer_load_dword v3, v4, s[0:3], 0 offen offset:8
	buffer_load_dword v4, v4, s[0:3], 0 offen offset:12
	s_waitcnt vmcnt(0)
	ds_write_b128 v76, v[1:4]
	s_waitcnt lgkmcnt(0)
	s_waitcnt_vscnt null, 0x0
	s_barrier
	buffer_gl0_inv
	v_cmpx_gt_u32_e32 32, v0
	s_cbranch_execz .LBB98_527
; %bb.520:
	ds_read_b128 v[1:4], v76
	v_cmp_ne_u32_e32 vcc_lo, 1, v77
	s_cbranch_vccnz .LBB98_522
; %bb.521:
	s_clause 0x3
	buffer_load_dword v78, v75, s[0:3], 0 offen offset:8
	buffer_load_dword v79, v75, s[0:3], 0 offen offset:12
	buffer_load_dword v82, v75, s[0:3], 0 offen
	buffer_load_dword v83, v75, s[0:3], 0 offen offset:4
	s_waitcnt vmcnt(2) lgkmcnt(0)
	v_mul_f64 v[84:85], v[3:4], v[78:79]
	v_mul_f64 v[78:79], v[1:2], v[78:79]
	s_waitcnt vmcnt(0)
	v_fma_f64 v[1:2], v[1:2], v[82:83], -v[84:85]
	v_fma_f64 v[3:4], v[3:4], v[82:83], v[78:79]
.LBB98_522:
	s_mov_b32 s8, exec_lo
	v_cmpx_ne_u32_e32 31, v0
	s_cbranch_execz .LBB98_526
; %bb.523:
	v_add_nc_u32_e32 v78, 0x240, v81
	v_add3_u32 v79, 0, v81, 16
	v_mov_b32_e32 v80, v0
	s_mov_b32 s42, 0
	.p2align	6
.LBB98_524:                             ; =>This Inner Loop Header: Depth=1
	s_clause 0x3
	buffer_load_dword v86, v79, s[0:3], 0 offen offset:8
	buffer_load_dword v87, v79, s[0:3], 0 offen offset:12
	buffer_load_dword v88, v79, s[0:3], 0 offen
	buffer_load_dword v89, v79, s[0:3], 0 offen offset:4
	ds_read_b128 v[82:85], v78
	v_add_nc_u32_e32 v80, 1, v80
	v_add_nc_u32_e32 v78, 16, v78
	;; [unrolled: 1-line block ×3, first 2 shown]
	v_cmp_lt_u32_e32 vcc_lo, 30, v80
	s_or_b32 s42, vcc_lo, s42
	s_waitcnt vmcnt(2) lgkmcnt(0)
	v_mul_f64 v[90:91], v[84:85], v[86:87]
	v_mul_f64 v[86:87], v[82:83], v[86:87]
	s_waitcnt vmcnt(0)
	v_fma_f64 v[82:83], v[82:83], v[88:89], -v[90:91]
	v_fma_f64 v[84:85], v[84:85], v[88:89], v[86:87]
	v_add_f64 v[1:2], v[1:2], v[82:83]
	v_add_f64 v[3:4], v[3:4], v[84:85]
	s_andn2_b32 exec_lo, exec_lo, s42
	s_cbranch_execnz .LBB98_524
; %bb.525:
	s_or_b32 exec_lo, exec_lo, s42
.LBB98_526:
	s_or_b32 exec_lo, exec_lo, s8
	v_mov_b32_e32 v78, 0
	ds_read_b128 v[82:85], v78 offset:512
	s_waitcnt lgkmcnt(0)
	v_mul_f64 v[78:79], v[3:4], v[84:85]
	v_mul_f64 v[84:85], v[1:2], v[84:85]
	v_fma_f64 v[1:2], v[1:2], v[82:83], -v[78:79]
	v_fma_f64 v[3:4], v[3:4], v[82:83], v[84:85]
	buffer_store_dword v2, off, s[0:3], 0 offset:516
	buffer_store_dword v1, off, s[0:3], 0 offset:512
	;; [unrolled: 1-line block ×4, first 2 shown]
.LBB98_527:
	s_or_b32 exec_lo, exec_lo, s4
	v_mov_b32_e32 v4, s7
	v_cmp_gt_u32_e64 s4, 33, v0
	s_clause 0x3
	buffer_load_dword v1, v4, s[0:3], 0 offen
	buffer_load_dword v2, v4, s[0:3], 0 offen offset:4
	buffer_load_dword v3, v4, s[0:3], 0 offen offset:8
	;; [unrolled: 1-line block ×3, first 2 shown]
	s_waitcnt vmcnt(0)
	ds_write_b128 v76, v[1:4]
	s_waitcnt lgkmcnt(0)
	s_waitcnt_vscnt null, 0x0
	s_barrier
	buffer_gl0_inv
	s_and_saveexec_b32 s8, s4
	s_cbranch_execz .LBB98_535
; %bb.528:
	ds_read_b128 v[1:4], v76
	v_cmp_ne_u32_e32 vcc_lo, 1, v77
	s_cbranch_vccnz .LBB98_530
; %bb.529:
	s_clause 0x3
	buffer_load_dword v78, v75, s[0:3], 0 offen offset:8
	buffer_load_dword v79, v75, s[0:3], 0 offen offset:12
	buffer_load_dword v82, v75, s[0:3], 0 offen
	buffer_load_dword v83, v75, s[0:3], 0 offen offset:4
	s_waitcnt vmcnt(2) lgkmcnt(0)
	v_mul_f64 v[84:85], v[3:4], v[78:79]
	v_mul_f64 v[78:79], v[1:2], v[78:79]
	s_waitcnt vmcnt(0)
	v_fma_f64 v[1:2], v[1:2], v[82:83], -v[84:85]
	v_fma_f64 v[3:4], v[3:4], v[82:83], v[78:79]
.LBB98_530:
	s_mov_b32 s42, exec_lo
	v_cmpx_ne_u32_e32 32, v0
	s_cbranch_execz .LBB98_534
; %bb.531:
	v_add_nc_u32_e32 v78, 0x240, v81
	v_add3_u32 v79, 0, v81, 16
	v_mov_b32_e32 v80, v0
	s_mov_b32 s43, 0
	.p2align	6
.LBB98_532:                             ; =>This Inner Loop Header: Depth=1
	s_clause 0x3
	buffer_load_dword v86, v79, s[0:3], 0 offen offset:8
	buffer_load_dword v87, v79, s[0:3], 0 offen offset:12
	buffer_load_dword v88, v79, s[0:3], 0 offen
	buffer_load_dword v89, v79, s[0:3], 0 offen offset:4
	ds_read_b128 v[82:85], v78
	v_add_nc_u32_e32 v80, 1, v80
	v_add_nc_u32_e32 v78, 16, v78
	;; [unrolled: 1-line block ×3, first 2 shown]
	v_cmp_lt_u32_e32 vcc_lo, 31, v80
	s_or_b32 s43, vcc_lo, s43
	s_waitcnt vmcnt(2) lgkmcnt(0)
	v_mul_f64 v[90:91], v[84:85], v[86:87]
	v_mul_f64 v[86:87], v[82:83], v[86:87]
	s_waitcnt vmcnt(0)
	v_fma_f64 v[82:83], v[82:83], v[88:89], -v[90:91]
	v_fma_f64 v[84:85], v[84:85], v[88:89], v[86:87]
	v_add_f64 v[1:2], v[1:2], v[82:83]
	v_add_f64 v[3:4], v[3:4], v[84:85]
	s_andn2_b32 exec_lo, exec_lo, s43
	s_cbranch_execnz .LBB98_532
; %bb.533:
	s_or_b32 exec_lo, exec_lo, s43
.LBB98_534:
	s_or_b32 exec_lo, exec_lo, s42
	v_mov_b32_e32 v78, 0
	ds_read_b128 v[82:85], v78 offset:528
	s_waitcnt lgkmcnt(0)
	v_mul_f64 v[78:79], v[3:4], v[84:85]
	v_mul_f64 v[84:85], v[1:2], v[84:85]
	v_fma_f64 v[1:2], v[1:2], v[82:83], -v[78:79]
	v_fma_f64 v[3:4], v[3:4], v[82:83], v[84:85]
	buffer_store_dword v2, off, s[0:3], 0 offset:532
	buffer_store_dword v1, off, s[0:3], 0 offset:528
	;; [unrolled: 1-line block ×4, first 2 shown]
.LBB98_535:
	s_or_b32 exec_lo, exec_lo, s8
	v_mov_b32_e32 v4, s6
	s_mov_b32 s8, exec_lo
                                        ; implicit-def: $sgpr44
	s_clause 0x3
	buffer_load_dword v1, v4, s[0:3], 0 offen
	buffer_load_dword v2, v4, s[0:3], 0 offen offset:4
	buffer_load_dword v3, v4, s[0:3], 0 offen offset:8
	;; [unrolled: 1-line block ×3, first 2 shown]
	s_waitcnt vmcnt(0)
	ds_write_b128 v76, v[1:4]
	s_waitcnt lgkmcnt(0)
	s_waitcnt_vscnt null, 0x0
	s_barrier
	buffer_gl0_inv
                                        ; implicit-def: $vgpr1_vgpr2
	v_cmpx_ne_u32_e32 34, v0
	s_cbranch_execz .LBB98_543
; %bb.536:
	ds_read_b128 v[1:4], v76
	v_cmp_ne_u32_e32 vcc_lo, 1, v77
	s_cbranch_vccnz .LBB98_538
; %bb.537:
	s_clause 0x3
	buffer_load_dword v76, v75, s[0:3], 0 offen offset:8
	buffer_load_dword v77, v75, s[0:3], 0 offen offset:12
	buffer_load_dword v78, v75, s[0:3], 0 offen
	buffer_load_dword v79, v75, s[0:3], 0 offen offset:4
	s_waitcnt vmcnt(2) lgkmcnt(0)
	v_mul_f64 v[82:83], v[3:4], v[76:77]
	v_mul_f64 v[75:76], v[1:2], v[76:77]
	s_waitcnt vmcnt(0)
	v_fma_f64 v[1:2], v[1:2], v[78:79], -v[82:83]
	v_fma_f64 v[3:4], v[3:4], v[78:79], v[75:76]
.LBB98_538:
	s_and_saveexec_b32 s42, s4
	s_cbranch_execz .LBB98_542
; %bb.539:
	v_add_nc_u32_e32 v75, 0x240, v81
	v_add3_u32 v76, 0, v81, 16
	s_mov_b32 s4, 0
	.p2align	6
.LBB98_540:                             ; =>This Inner Loop Header: Depth=1
	s_clause 0x3
	buffer_load_dword v81, v76, s[0:3], 0 offen offset:8
	buffer_load_dword v82, v76, s[0:3], 0 offen offset:12
	buffer_load_dword v83, v76, s[0:3], 0 offen
	buffer_load_dword v84, v76, s[0:3], 0 offen offset:4
	ds_read_b128 v[77:80], v75
	v_add_nc_u32_e32 v0, 1, v0
	v_add_nc_u32_e32 v75, 16, v75
	;; [unrolled: 1-line block ×3, first 2 shown]
	v_cmp_lt_u32_e32 vcc_lo, 32, v0
	s_or_b32 s4, vcc_lo, s4
	s_waitcnt vmcnt(2) lgkmcnt(0)
	v_mul_f64 v[85:86], v[79:80], v[81:82]
	v_mul_f64 v[81:82], v[77:78], v[81:82]
	s_waitcnt vmcnt(0)
	v_fma_f64 v[77:78], v[77:78], v[83:84], -v[85:86]
	v_fma_f64 v[79:80], v[79:80], v[83:84], v[81:82]
	v_add_f64 v[1:2], v[1:2], v[77:78]
	v_add_f64 v[3:4], v[3:4], v[79:80]
	s_andn2_b32 exec_lo, exec_lo, s4
	s_cbranch_execnz .LBB98_540
; %bb.541:
	s_or_b32 exec_lo, exec_lo, s4
.LBB98_542:
	s_or_b32 exec_lo, exec_lo, s42
	v_mov_b32_e32 v0, 0
	s_movk_i32 s44, 0x228
	s_or_b32 s5, s5, exec_lo
	ds_read_b128 v[75:78], v0 offset:544
	s_waitcnt lgkmcnt(0)
	v_mul_f64 v[79:80], v[3:4], v[77:78]
	v_mul_f64 v[77:78], v[1:2], v[77:78]
	v_fma_f64 v[79:80], v[1:2], v[75:76], -v[79:80]
	v_fma_f64 v[1:2], v[3:4], v[75:76], v[77:78]
	buffer_store_dword v80, off, s[0:3], 0 offset:548
	buffer_store_dword v79, off, s[0:3], 0 offset:544
.LBB98_543:
	s_or_b32 exec_lo, exec_lo, s8
.LBB98_544:
	s_and_saveexec_b32 s4, s5
	s_cbranch_execz .LBB98_546
; %bb.545:
	v_mov_b32_e32 v0, s44
	buffer_store_dword v2, v0, s[0:3], 0 offen offset:4
	buffer_store_dword v1, v0, s[0:3], 0 offen
.LBB98_546:
	s_or_b32 exec_lo, exec_lo, s4
	s_clause 0x3
	buffer_load_dword v0, off, s[0:3], 0
	buffer_load_dword v1, off, s[0:3], 0 offset:4
	buffer_load_dword v2, off, s[0:3], 0 offset:8
	;; [unrolled: 1-line block ×3, first 2 shown]
	v_mov_b32_e32 v4, s41
	s_waitcnt vmcnt(0)
	flat_store_dwordx4 v[5:6], v[0:3]
	s_clause 0x3
	buffer_load_dword v0, v4, s[0:3], 0 offen
	buffer_load_dword v1, v4, s[0:3], 0 offen offset:4
	buffer_load_dword v2, v4, s[0:3], 0 offen offset:8
	buffer_load_dword v3, v4, s[0:3], 0 offen offset:12
	v_mov_b32_e32 v4, s40
	s_waitcnt vmcnt(0)
	flat_store_dwordx4 v[59:60], v[0:3]
	s_clause 0x3
	buffer_load_dword v0, v4, s[0:3], 0 offen
	buffer_load_dword v1, v4, s[0:3], 0 offen offset:4
	buffer_load_dword v2, v4, s[0:3], 0 offen offset:8
	buffer_load_dword v3, v4, s[0:3], 0 offen offset:12
	;; [unrolled: 8-line block ×34, first 2 shown]
	s_waitcnt vmcnt(0)
	flat_store_dwordx4 v[73:74], v[0:3]
.LBB98_547:
	s_endpgm
	.section	.rodata,"a",@progbits
	.p2align	6, 0x0
	.amdhsa_kernel _ZN9rocsolver6v33100L18trti2_kernel_smallILi35E19rocblas_complex_numIdEPKPS3_EEv13rocblas_fill_17rocblas_diagonal_T1_iil
		.amdhsa_group_segment_fixed_size 1120
		.amdhsa_private_segment_fixed_size 576
		.amdhsa_kernarg_size 32
		.amdhsa_user_sgpr_count 6
		.amdhsa_user_sgpr_private_segment_buffer 1
		.amdhsa_user_sgpr_dispatch_ptr 0
		.amdhsa_user_sgpr_queue_ptr 0
		.amdhsa_user_sgpr_kernarg_segment_ptr 1
		.amdhsa_user_sgpr_dispatch_id 0
		.amdhsa_user_sgpr_flat_scratch_init 0
		.amdhsa_user_sgpr_private_segment_size 0
		.amdhsa_wavefront_size32 1
		.amdhsa_uses_dynamic_stack 0
		.amdhsa_system_sgpr_private_segment_wavefront_offset 1
		.amdhsa_system_sgpr_workgroup_id_x 1
		.amdhsa_system_sgpr_workgroup_id_y 0
		.amdhsa_system_sgpr_workgroup_id_z 0
		.amdhsa_system_sgpr_workgroup_info 0
		.amdhsa_system_vgpr_workitem_id 0
		.amdhsa_next_free_vgpr 92
		.amdhsa_next_free_sgpr 57
		.amdhsa_reserve_vcc 1
		.amdhsa_reserve_flat_scratch 0
		.amdhsa_float_round_mode_32 0
		.amdhsa_float_round_mode_16_64 0
		.amdhsa_float_denorm_mode_32 3
		.amdhsa_float_denorm_mode_16_64 3
		.amdhsa_dx10_clamp 1
		.amdhsa_ieee_mode 1
		.amdhsa_fp16_overflow 0
		.amdhsa_workgroup_processor_mode 1
		.amdhsa_memory_ordered 1
		.amdhsa_forward_progress 1
		.amdhsa_shared_vgpr_count 0
		.amdhsa_exception_fp_ieee_invalid_op 0
		.amdhsa_exception_fp_denorm_src 0
		.amdhsa_exception_fp_ieee_div_zero 0
		.amdhsa_exception_fp_ieee_overflow 0
		.amdhsa_exception_fp_ieee_underflow 0
		.amdhsa_exception_fp_ieee_inexact 0
		.amdhsa_exception_int_div_zero 0
	.end_amdhsa_kernel
	.section	.text._ZN9rocsolver6v33100L18trti2_kernel_smallILi35E19rocblas_complex_numIdEPKPS3_EEv13rocblas_fill_17rocblas_diagonal_T1_iil,"axG",@progbits,_ZN9rocsolver6v33100L18trti2_kernel_smallILi35E19rocblas_complex_numIdEPKPS3_EEv13rocblas_fill_17rocblas_diagonal_T1_iil,comdat
.Lfunc_end98:
	.size	_ZN9rocsolver6v33100L18trti2_kernel_smallILi35E19rocblas_complex_numIdEPKPS3_EEv13rocblas_fill_17rocblas_diagonal_T1_iil, .Lfunc_end98-_ZN9rocsolver6v33100L18trti2_kernel_smallILi35E19rocblas_complex_numIdEPKPS3_EEv13rocblas_fill_17rocblas_diagonal_T1_iil
                                        ; -- End function
	.set _ZN9rocsolver6v33100L18trti2_kernel_smallILi35E19rocblas_complex_numIdEPKPS3_EEv13rocblas_fill_17rocblas_diagonal_T1_iil.num_vgpr, 92
	.set _ZN9rocsolver6v33100L18trti2_kernel_smallILi35E19rocblas_complex_numIdEPKPS3_EEv13rocblas_fill_17rocblas_diagonal_T1_iil.num_agpr, 0
	.set _ZN9rocsolver6v33100L18trti2_kernel_smallILi35E19rocblas_complex_numIdEPKPS3_EEv13rocblas_fill_17rocblas_diagonal_T1_iil.numbered_sgpr, 57
	.set _ZN9rocsolver6v33100L18trti2_kernel_smallILi35E19rocblas_complex_numIdEPKPS3_EEv13rocblas_fill_17rocblas_diagonal_T1_iil.num_named_barrier, 0
	.set _ZN9rocsolver6v33100L18trti2_kernel_smallILi35E19rocblas_complex_numIdEPKPS3_EEv13rocblas_fill_17rocblas_diagonal_T1_iil.private_seg_size, 576
	.set _ZN9rocsolver6v33100L18trti2_kernel_smallILi35E19rocblas_complex_numIdEPKPS3_EEv13rocblas_fill_17rocblas_diagonal_T1_iil.uses_vcc, 1
	.set _ZN9rocsolver6v33100L18trti2_kernel_smallILi35E19rocblas_complex_numIdEPKPS3_EEv13rocblas_fill_17rocblas_diagonal_T1_iil.uses_flat_scratch, 0
	.set _ZN9rocsolver6v33100L18trti2_kernel_smallILi35E19rocblas_complex_numIdEPKPS3_EEv13rocblas_fill_17rocblas_diagonal_T1_iil.has_dyn_sized_stack, 0
	.set _ZN9rocsolver6v33100L18trti2_kernel_smallILi35E19rocblas_complex_numIdEPKPS3_EEv13rocblas_fill_17rocblas_diagonal_T1_iil.has_recursion, 0
	.set _ZN9rocsolver6v33100L18trti2_kernel_smallILi35E19rocblas_complex_numIdEPKPS3_EEv13rocblas_fill_17rocblas_diagonal_T1_iil.has_indirect_call, 0
	.section	.AMDGPU.csdata,"",@progbits
; Kernel info:
; codeLenInByte = 35472
; TotalNumSgprs: 59
; NumVgprs: 92
; ScratchSize: 576
; MemoryBound: 0
; FloatMode: 240
; IeeeMode: 1
; LDSByteSize: 1120 bytes/workgroup (compile time only)
; SGPRBlocks: 0
; VGPRBlocks: 11
; NumSGPRsForWavesPerEU: 59
; NumVGPRsForWavesPerEU: 92
; Occupancy: 10
; WaveLimiterHint : 1
; COMPUTE_PGM_RSRC2:SCRATCH_EN: 1
; COMPUTE_PGM_RSRC2:USER_SGPR: 6
; COMPUTE_PGM_RSRC2:TRAP_HANDLER: 0
; COMPUTE_PGM_RSRC2:TGID_X_EN: 1
; COMPUTE_PGM_RSRC2:TGID_Y_EN: 0
; COMPUTE_PGM_RSRC2:TGID_Z_EN: 0
; COMPUTE_PGM_RSRC2:TIDIG_COMP_CNT: 0
	.section	.text._ZN9rocsolver6v33100L18trti2_kernel_smallILi36E19rocblas_complex_numIdEPKPS3_EEv13rocblas_fill_17rocblas_diagonal_T1_iil,"axG",@progbits,_ZN9rocsolver6v33100L18trti2_kernel_smallILi36E19rocblas_complex_numIdEPKPS3_EEv13rocblas_fill_17rocblas_diagonal_T1_iil,comdat
	.globl	_ZN9rocsolver6v33100L18trti2_kernel_smallILi36E19rocblas_complex_numIdEPKPS3_EEv13rocblas_fill_17rocblas_diagonal_T1_iil ; -- Begin function _ZN9rocsolver6v33100L18trti2_kernel_smallILi36E19rocblas_complex_numIdEPKPS3_EEv13rocblas_fill_17rocblas_diagonal_T1_iil
	.p2align	8
	.type	_ZN9rocsolver6v33100L18trti2_kernel_smallILi36E19rocblas_complex_numIdEPKPS3_EEv13rocblas_fill_17rocblas_diagonal_T1_iil,@function
_ZN9rocsolver6v33100L18trti2_kernel_smallILi36E19rocblas_complex_numIdEPKPS3_EEv13rocblas_fill_17rocblas_diagonal_T1_iil: ; @_ZN9rocsolver6v33100L18trti2_kernel_smallILi36E19rocblas_complex_numIdEPKPS3_EEv13rocblas_fill_17rocblas_diagonal_T1_iil
; %bb.0:
	s_add_u32 s0, s0, s7
	s_addc_u32 s1, s1, 0
	s_mov_b32 s7, exec_lo
	v_cmpx_gt_u32_e32 36, v0
	s_cbranch_execz .LBB99_563
; %bb.1:
	s_clause 0x1
	s_load_dwordx2 s[12:13], s[4:5], 0x10
	s_load_dwordx4 s[8:11], s[4:5], 0x0
	s_ashr_i32 s7, s6, 31
	v_lshlrev_b32_e32 v83, 4, v0
	s_lshl_b64 s[4:5], s[6:7], 3
	s_movk_i32 s14, 0xd0
	s_movk_i32 s15, 0xe0
	s_movk_i32 s16, 0xf0
	s_movk_i32 s17, 0x100
	s_movk_i32 s18, 0x110
	s_movk_i32 s19, 0x120
	s_movk_i32 s20, 0x130
	s_movk_i32 s21, 0x140
	s_movk_i32 s22, 0x150
	s_movk_i32 s45, 0x160
	s_movk_i32 s46, 0x170
	s_movk_i32 s47, 0x180
	s_movk_i32 s48, 0x190
	s_movk_i32 s49, 0x1a0
	s_movk_i32 s50, 0x1b0
	s_waitcnt lgkmcnt(0)
	s_ashr_i32 s7, s12, 31
	s_add_u32 s4, s10, s4
	s_addc_u32 s5, s11, s5
	s_mov_b32 s6, s12
	s_load_dwordx2 s[4:5], s[4:5], 0x0
	s_lshl_b64 s[6:7], s[6:7], 4
	v_add3_u32 v7, s13, s13, v0
	s_movk_i32 s10, 0x90
	s_movk_i32 s11, 0xa0
	;; [unrolled: 1-line block ×4, first 2 shown]
	v_ashrrev_i32_e32 v8, 31, v7
	s_movk_i32 s52, 0x1d0
	s_movk_i32 s53, 0x1e0
	;; [unrolled: 1-line block ×4, first 2 shown]
	v_lshlrev_b64 v[8:9], 4, v[7:8]
	v_add_nc_u32_e32 v7, s13, v7
	s_movk_i32 s56, 0x210
	s_movk_i32 s57, 0x220
	;; [unrolled: 1-line block ×3, first 2 shown]
	s_waitcnt lgkmcnt(0)
	s_add_u32 s6, s4, s6
	s_addc_u32 s7, s5, s7
	v_add_co_u32 v5, s4, s6, v83
	v_add_co_ci_u32_e64 v6, null, s7, 0, s4
	s_mov_b32 s4, s13
	s_ashr_i32 s5, s13, 31
	s_lshl_b64 s[4:5], s[4:5], 4
	flat_load_dwordx4 v[1:4], v[5:6]
	v_add_co_u32 v59, vcc_lo, v5, s4
	v_add_co_ci_u32_e64 v60, null, s5, v6, vcc_lo
	v_add_co_u32 v57, vcc_lo, s6, v8
	v_add_co_ci_u32_e64 v58, null, s7, v9, vcc_lo
	v_ashrrev_i32_e32 v8, 31, v7
	s_cmpk_lg_i32 s9, 0x84
	s_movk_i32 s4, 0x50
	s_movk_i32 s5, 0x60
	s_cselect_b32 s44, -1, 0
	v_lshlrev_b64 v[8:9], 4, v[7:8]
	v_add_nc_u32_e32 v7, s13, v7
	s_cmpk_eq_i32 s9, 0x84
	s_waitcnt vmcnt(0) lgkmcnt(0)
	buffer_store_dword v4, off, s[0:3], 0 offset:12
	buffer_store_dword v3, off, s[0:3], 0 offset:8
	;; [unrolled: 1-line block ×3, first 2 shown]
	buffer_store_dword v1, off, s[0:3], 0
	flat_load_dwordx4 v[1:4], v[59:60]
	v_add_co_u32 v55, vcc_lo, s6, v8
	v_add_co_ci_u32_e64 v56, null, s7, v9, vcc_lo
	v_ashrrev_i32_e32 v8, 31, v7
	s_waitcnt vmcnt(0) lgkmcnt(0)
	buffer_store_dword v4, off, s[0:3], 0 offset:28
	buffer_store_dword v3, off, s[0:3], 0 offset:24
	;; [unrolled: 1-line block ×4, first 2 shown]
	flat_load_dwordx4 v[1:4], v[57:58]
	v_lshlrev_b64 v[8:9], 4, v[7:8]
	v_add_nc_u32_e32 v7, s13, v7
	s_waitcnt vmcnt(0) lgkmcnt(0)
	buffer_store_dword v4, off, s[0:3], 0 offset:44
	buffer_store_dword v3, off, s[0:3], 0 offset:40
	;; [unrolled: 1-line block ×4, first 2 shown]
	flat_load_dwordx4 v[1:4], v[55:56]
	v_add_co_u32 v53, vcc_lo, s6, v8
	v_add_co_ci_u32_e64 v54, null, s7, v9, vcc_lo
	v_ashrrev_i32_e32 v8, 31, v7
	s_waitcnt vmcnt(0) lgkmcnt(0)
	buffer_store_dword v4, off, s[0:3], 0 offset:60
	buffer_store_dword v3, off, s[0:3], 0 offset:56
	;; [unrolled: 1-line block ×4, first 2 shown]
	flat_load_dwordx4 v[1:4], v[53:54]
	v_lshlrev_b64 v[8:9], 4, v[7:8]
	v_add_nc_u32_e32 v7, s13, v7
	s_waitcnt vmcnt(0) lgkmcnt(0)
	buffer_store_dword v4, off, s[0:3], 0 offset:76
	buffer_store_dword v3, off, s[0:3], 0 offset:72
	;; [unrolled: 1-line block ×4, first 2 shown]
	v_add_co_u32 v49, vcc_lo, s6, v8
	v_add_co_ci_u32_e64 v50, null, s7, v9, vcc_lo
	v_ashrrev_i32_e32 v8, 31, v7
	flat_load_dwordx4 v[1:4], v[49:50]
	s_waitcnt vmcnt(0) lgkmcnt(0)
	buffer_store_dword v4, off, s[0:3], 0 offset:92
	buffer_store_dword v3, off, s[0:3], 0 offset:88
	buffer_store_dword v2, off, s[0:3], 0 offset:84
	buffer_store_dword v1, off, s[0:3], 0 offset:80
	v_lshlrev_b64 v[8:9], 4, v[7:8]
	v_add_nc_u32_e32 v7, s13, v7
	v_add_co_u32 v47, vcc_lo, s6, v8
	v_add_co_ci_u32_e64 v48, null, s7, v9, vcc_lo
	v_ashrrev_i32_e32 v8, 31, v7
	flat_load_dwordx4 v[1:4], v[47:48]
	s_waitcnt vmcnt(0) lgkmcnt(0)
	buffer_store_dword v4, off, s[0:3], 0 offset:108
	buffer_store_dword v3, off, s[0:3], 0 offset:104
	buffer_store_dword v2, off, s[0:3], 0 offset:100
	buffer_store_dword v1, off, s[0:3], 0 offset:96
	v_lshlrev_b64 v[8:9], 4, v[7:8]
	v_add_nc_u32_e32 v7, s13, v7
	;; [unrolled: 11-line block ×18, first 2 shown]
	v_add_co_u32 v11, vcc_lo, s6, v8
	v_add_co_ci_u32_e64 v12, null, s7, v9, vcc_lo
	v_ashrrev_i32_e32 v8, 31, v7
	v_add_nc_u32_e32 v33, s13, v7
	flat_load_dwordx4 v[1:4], v[11:12]
	s_waitcnt vmcnt(0) lgkmcnt(0)
	buffer_store_dword v4, off, s[0:3], 0 offset:380
	buffer_store_dword v3, off, s[0:3], 0 offset:376
	;; [unrolled: 1-line block ×4, first 2 shown]
	v_lshlrev_b64 v[9:10], 4, v[7:8]
	v_ashrrev_i32_e32 v34, 31, v33
	v_add_nc_u32_e32 v51, s13, v33
	v_add_co_u32 v9, vcc_lo, s6, v9
	v_add_co_ci_u32_e64 v10, null, s7, v10, vcc_lo
	v_lshlrev_b64 v[7:8], 4, v[33:34]
	v_ashrrev_i32_e32 v52, 31, v51
	v_add_nc_u32_e32 v61, s13, v51
	flat_load_dwordx4 v[1:4], v[9:10]
	s_waitcnt vmcnt(0) lgkmcnt(0)
	buffer_store_dword v4, off, s[0:3], 0 offset:396
	buffer_store_dword v3, off, s[0:3], 0 offset:392
	buffer_store_dword v2, off, s[0:3], 0 offset:388
	buffer_store_dword v1, off, s[0:3], 0 offset:384
	v_add_co_u32 v7, vcc_lo, s6, v7
	v_add_co_ci_u32_e64 v8, null, s7, v8, vcc_lo
	v_lshlrev_b64 v[33:34], 4, v[51:52]
	v_ashrrev_i32_e32 v62, 31, v61
	v_add_nc_u32_e32 v63, s13, v61
	flat_load_dwordx4 v[1:4], v[7:8]
	s_waitcnt vmcnt(0) lgkmcnt(0)
	buffer_store_dword v4, off, s[0:3], 0 offset:412
	buffer_store_dword v3, off, s[0:3], 0 offset:408
	buffer_store_dword v2, off, s[0:3], 0 offset:404
	buffer_store_dword v1, off, s[0:3], 0 offset:400
	;; [unrolled: 11-line block ×8, first 2 shown]
	v_add_co_u32 v69, vcc_lo, s6, v69
	v_add_co_ci_u32_e64 v70, null, s7, v70, vcc_lo
	v_lshlrev_b64 v[71:72], 4, v[73:74]
	v_ashrrev_i32_e32 v76, 31, v75
	flat_load_dwordx4 v[1:4], v[69:70]
	s_waitcnt vmcnt(0) lgkmcnt(0)
	buffer_store_dword v4, off, s[0:3], 0 offset:524
	buffer_store_dword v3, off, s[0:3], 0 offset:520
	;; [unrolled: 1-line block ×4, first 2 shown]
	v_add_co_u32 v71, vcc_lo, s6, v71
	v_add_co_ci_u32_e64 v72, null, s7, v72, vcc_lo
	v_lshlrev_b64 v[73:74], 4, v[75:76]
	v_add_nc_u32_e32 v75, s13, v75
	s_movk_i32 s13, 0xc0
	flat_load_dwordx4 v[1:4], v[71:72]
	s_waitcnt vmcnt(0) lgkmcnt(0)
	buffer_store_dword v4, off, s[0:3], 0 offset:540
	buffer_store_dword v3, off, s[0:3], 0 offset:536
	;; [unrolled: 1-line block ×4, first 2 shown]
	v_add_co_u32 v73, vcc_lo, s6, v73
	v_add_co_ci_u32_e64 v74, null, s7, v74, vcc_lo
	v_ashrrev_i32_e32 v76, 31, v75
	flat_load_dwordx4 v[1:4], v[73:74]
	s_waitcnt vmcnt(0) lgkmcnt(0)
	buffer_store_dword v4, off, s[0:3], 0 offset:556
	buffer_store_dword v3, off, s[0:3], 0 offset:552
	buffer_store_dword v2, off, s[0:3], 0 offset:548
	buffer_store_dword v1, off, s[0:3], 0 offset:544
	v_lshlrev_b64 v[75:76], 4, v[75:76]
	v_add_co_u32 v75, vcc_lo, s6, v75
	v_add_co_ci_u32_e64 v76, null, s7, v76, vcc_lo
	s_movk_i32 s6, 0x70
	s_movk_i32 s7, 0x80
	flat_load_dwordx4 v[1:4], v[75:76]
	s_waitcnt vmcnt(0) lgkmcnt(0)
	buffer_store_dword v4, off, s[0:3], 0 offset:572
	buffer_store_dword v3, off, s[0:3], 0 offset:568
	;; [unrolled: 1-line block ×4, first 2 shown]
	s_cbranch_scc1 .LBB99_7
; %bb.2:
	v_lshl_add_u32 v84, v0, 4, 0
                                        ; implicit-def: $vgpr79_vgpr80
                                        ; implicit-def: $vgpr3_vgpr4
	s_clause 0x3
	buffer_load_dword v77, v84, s[0:3], 0 offen
	buffer_load_dword v78, v84, s[0:3], 0 offen offset:4
	buffer_load_dword v81, v84, s[0:3], 0 offen offset:8
	;; [unrolled: 1-line block ×3, first 2 shown]
	s_waitcnt vmcnt(0)
	v_cmp_ngt_f64_e64 s9, |v[77:78]|, |v[81:82]|
	s_and_saveexec_b32 s23, s9
	s_xor_b32 s9, exec_lo, s23
	s_cbranch_execz .LBB99_4
; %bb.3:
	v_div_scale_f64 v[1:2], null, v[81:82], v[81:82], v[77:78]
	v_div_scale_f64 v[85:86], vcc_lo, v[77:78], v[81:82], v[77:78]
	v_rcp_f64_e32 v[3:4], v[1:2]
	v_fma_f64 v[79:80], -v[1:2], v[3:4], 1.0
	v_fma_f64 v[3:4], v[3:4], v[79:80], v[3:4]
	v_fma_f64 v[79:80], -v[1:2], v[3:4], 1.0
	v_fma_f64 v[3:4], v[3:4], v[79:80], v[3:4]
	v_mul_f64 v[79:80], v[85:86], v[3:4]
	v_fma_f64 v[1:2], -v[1:2], v[79:80], v[85:86]
	v_div_fmas_f64 v[1:2], v[1:2], v[3:4], v[79:80]
	v_div_fixup_f64 v[1:2], v[1:2], v[81:82], v[77:78]
	v_fma_f64 v[3:4], v[77:78], v[1:2], v[81:82]
	v_div_scale_f64 v[77:78], null, v[3:4], v[3:4], 1.0
	v_div_scale_f64 v[85:86], vcc_lo, 1.0, v[3:4], 1.0
	v_rcp_f64_e32 v[79:80], v[77:78]
	v_fma_f64 v[81:82], -v[77:78], v[79:80], 1.0
	v_fma_f64 v[79:80], v[79:80], v[81:82], v[79:80]
	v_fma_f64 v[81:82], -v[77:78], v[79:80], 1.0
	v_fma_f64 v[79:80], v[79:80], v[81:82], v[79:80]
	v_mul_f64 v[81:82], v[85:86], v[79:80]
	v_fma_f64 v[77:78], -v[77:78], v[81:82], v[85:86]
	v_div_fmas_f64 v[77:78], v[77:78], v[79:80], v[81:82]
                                        ; implicit-def: $vgpr81_vgpr82
	v_div_fixup_f64 v[3:4], v[77:78], v[3:4], 1.0
                                        ; implicit-def: $vgpr77_vgpr78
	v_mul_f64 v[79:80], v[1:2], v[3:4]
	v_xor_b32_e32 v4, 0x80000000, v4
	v_xor_b32_e32 v2, 0x80000000, v80
	v_mov_b32_e32 v1, v79
.LBB99_4:
	s_andn2_saveexec_b32 s9, s9
	s_cbranch_execz .LBB99_6
; %bb.5:
	v_div_scale_f64 v[1:2], null, v[77:78], v[77:78], v[81:82]
	v_div_scale_f64 v[85:86], vcc_lo, v[81:82], v[77:78], v[81:82]
	v_rcp_f64_e32 v[3:4], v[1:2]
	v_fma_f64 v[79:80], -v[1:2], v[3:4], 1.0
	v_fma_f64 v[3:4], v[3:4], v[79:80], v[3:4]
	v_fma_f64 v[79:80], -v[1:2], v[3:4], 1.0
	v_fma_f64 v[3:4], v[3:4], v[79:80], v[3:4]
	v_mul_f64 v[79:80], v[85:86], v[3:4]
	v_fma_f64 v[1:2], -v[1:2], v[79:80], v[85:86]
	v_div_fmas_f64 v[1:2], v[1:2], v[3:4], v[79:80]
	v_div_fixup_f64 v[1:2], v[1:2], v[77:78], v[81:82]
	v_fma_f64 v[3:4], v[81:82], v[1:2], v[77:78]
	v_div_scale_f64 v[77:78], null, v[3:4], v[3:4], 1.0
	v_rcp_f64_e32 v[79:80], v[77:78]
	v_fma_f64 v[81:82], -v[77:78], v[79:80], 1.0
	v_fma_f64 v[79:80], v[79:80], v[81:82], v[79:80]
	v_fma_f64 v[81:82], -v[77:78], v[79:80], 1.0
	v_fma_f64 v[79:80], v[79:80], v[81:82], v[79:80]
	v_div_scale_f64 v[81:82], vcc_lo, 1.0, v[3:4], 1.0
	v_mul_f64 v[85:86], v[81:82], v[79:80]
	v_fma_f64 v[77:78], -v[77:78], v[85:86], v[81:82]
	v_div_fmas_f64 v[77:78], v[77:78], v[79:80], v[85:86]
	v_div_fixup_f64 v[79:80], v[77:78], v[3:4], 1.0
	v_mul_f64 v[3:4], v[1:2], -v[79:80]
	v_xor_b32_e32 v2, 0x80000000, v80
	v_mov_b32_e32 v1, v79
.LBB99_6:
	s_or_b32 exec_lo, exec_lo, s9
	buffer_store_dword v4, v84, s[0:3], 0 offen offset:12
	v_xor_b32_e32 v4, 0x80000000, v4
	buffer_store_dword v80, v84, s[0:3], 0 offen offset:4
	buffer_store_dword v79, v84, s[0:3], 0 offen
	buffer_store_dword v3, v84, s[0:3], 0 offen offset:8
	s_branch .LBB99_8
.LBB99_7:
	v_mov_b32_e32 v1, 0
	v_mov_b32_e32 v3, 0
	;; [unrolled: 1-line block ×4, first 2 shown]
.LBB99_8:
	v_add_nc_u32_e32 v78, 0x240, v83
	v_mov_b32_e32 v77, v83
	s_mov_b32 s43, 16
	s_mov_b32 s42, 32
	;; [unrolled: 1-line block ×34, first 2 shown]
	s_cmpk_eq_i32 s8, 0x79
	ds_write_b128 v83, v[1:4]
	s_cbranch_scc1 .LBB99_284
; %bb.9:
	v_mov_b32_e32 v4, s9
	v_cmp_eq_u32_e64 s4, 35, v0
	s_clause 0x3
	buffer_load_dword v1, v4, s[0:3], 0 offen
	buffer_load_dword v2, v4, s[0:3], 0 offen offset:4
	buffer_load_dword v3, v4, s[0:3], 0 offen offset:8
	;; [unrolled: 1-line block ×3, first 2 shown]
	s_waitcnt vmcnt(0)
	ds_write_b128 v78, v[1:4]
	s_waitcnt lgkmcnt(0)
	s_waitcnt_vscnt null, 0x0
	s_barrier
	buffer_gl0_inv
	s_and_saveexec_b32 s5, s4
	s_cbranch_execz .LBB99_13
; %bb.10:
	ds_read_b128 v[1:4], v78
	s_andn2_b32 vcc_lo, exec_lo, s44
	s_cbranch_vccnz .LBB99_12
; %bb.11:
	s_clause 0x3
	buffer_load_dword v79, v77, s[0:3], 0 offen offset:8
	buffer_load_dword v80, v77, s[0:3], 0 offen offset:12
	buffer_load_dword v81, v77, s[0:3], 0 offen
	buffer_load_dword v82, v77, s[0:3], 0 offen offset:4
	s_waitcnt vmcnt(2) lgkmcnt(0)
	v_mul_f64 v[84:85], v[3:4], v[79:80]
	v_mul_f64 v[79:80], v[1:2], v[79:80]
	s_waitcnt vmcnt(0)
	v_fma_f64 v[1:2], v[1:2], v[81:82], -v[84:85]
	v_fma_f64 v[3:4], v[3:4], v[81:82], v[79:80]
.LBB99_12:
	v_mov_b32_e32 v79, 0
	ds_read_b128 v[79:82], v79 offset:544
	s_waitcnt lgkmcnt(0)
	v_mul_f64 v[84:85], v[3:4], v[81:82]
	v_mul_f64 v[81:82], v[1:2], v[81:82]
	v_fma_f64 v[1:2], v[1:2], v[79:80], -v[84:85]
	v_fma_f64 v[3:4], v[3:4], v[79:80], v[81:82]
	buffer_store_dword v2, off, s[0:3], 0 offset:548
	buffer_store_dword v1, off, s[0:3], 0 offset:544
	;; [unrolled: 1-line block ×4, first 2 shown]
.LBB99_13:
	s_or_b32 exec_lo, exec_lo, s5
	v_mov_b32_e32 v4, s10
	v_cmp_lt_u32_e64 s5, 33, v0
	s_clause 0x3
	buffer_load_dword v1, v4, s[0:3], 0 offen
	buffer_load_dword v2, v4, s[0:3], 0 offen offset:4
	buffer_load_dword v3, v4, s[0:3], 0 offen offset:8
	;; [unrolled: 1-line block ×3, first 2 shown]
	s_waitcnt vmcnt(0)
	ds_write_b128 v78, v[1:4]
	s_waitcnt lgkmcnt(0)
	s_waitcnt_vscnt null, 0x0
	s_barrier
	buffer_gl0_inv
	s_and_saveexec_b32 s6, s5
	s_cbranch_execz .LBB99_19
; %bb.14:
	ds_read_b128 v[1:4], v78
	s_andn2_b32 vcc_lo, exec_lo, s44
	s_cbranch_vccnz .LBB99_16
; %bb.15:
	s_clause 0x3
	buffer_load_dword v79, v77, s[0:3], 0 offen offset:8
	buffer_load_dword v80, v77, s[0:3], 0 offen offset:12
	buffer_load_dword v81, v77, s[0:3], 0 offen
	buffer_load_dword v82, v77, s[0:3], 0 offen offset:4
	s_waitcnt vmcnt(2) lgkmcnt(0)
	v_mul_f64 v[84:85], v[3:4], v[79:80]
	v_mul_f64 v[79:80], v[1:2], v[79:80]
	s_waitcnt vmcnt(0)
	v_fma_f64 v[1:2], v[1:2], v[81:82], -v[84:85]
	v_fma_f64 v[3:4], v[3:4], v[81:82], v[79:80]
.LBB99_16:
	s_and_saveexec_b32 s8, s4
	s_cbranch_execz .LBB99_18
; %bb.17:
	s_clause 0x3
	buffer_load_dword v84, off, s[0:3], 0 offset:552
	buffer_load_dword v85, off, s[0:3], 0 offset:556
	;; [unrolled: 1-line block ×4, first 2 shown]
	v_mov_b32_e32 v79, 0
	ds_read_b128 v[79:82], v79 offset:1120
	s_waitcnt vmcnt(2) lgkmcnt(0)
	v_mul_f64 v[88:89], v[79:80], v[84:85]
	v_mul_f64 v[84:85], v[81:82], v[84:85]
	s_waitcnt vmcnt(0)
	v_fma_f64 v[81:82], v[81:82], v[86:87], v[88:89]
	v_fma_f64 v[79:80], v[79:80], v[86:87], -v[84:85]
	v_add_f64 v[3:4], v[3:4], v[81:82]
	v_add_f64 v[1:2], v[1:2], v[79:80]
.LBB99_18:
	s_or_b32 exec_lo, exec_lo, s8
	v_mov_b32_e32 v79, 0
	ds_read_b128 v[79:82], v79 offset:528
	s_waitcnt lgkmcnt(0)
	v_mul_f64 v[84:85], v[3:4], v[81:82]
	v_mul_f64 v[81:82], v[1:2], v[81:82]
	v_fma_f64 v[1:2], v[1:2], v[79:80], -v[84:85]
	v_fma_f64 v[3:4], v[3:4], v[79:80], v[81:82]
	buffer_store_dword v2, off, s[0:3], 0 offset:532
	buffer_store_dword v1, off, s[0:3], 0 offset:528
	;; [unrolled: 1-line block ×4, first 2 shown]
.LBB99_19:
	s_or_b32 exec_lo, exec_lo, s6
	v_mov_b32_e32 v4, s11
	v_cmp_lt_u32_e64 s4, 32, v0
	s_clause 0x3
	buffer_load_dword v1, v4, s[0:3], 0 offen
	buffer_load_dword v2, v4, s[0:3], 0 offen offset:4
	buffer_load_dword v3, v4, s[0:3], 0 offen offset:8
	;; [unrolled: 1-line block ×3, first 2 shown]
	s_waitcnt vmcnt(0)
	ds_write_b128 v78, v[1:4]
	s_waitcnt lgkmcnt(0)
	s_waitcnt_vscnt null, 0x0
	s_barrier
	buffer_gl0_inv
	s_and_saveexec_b32 s6, s4
	s_cbranch_execz .LBB99_27
; %bb.20:
	ds_read_b128 v[1:4], v78
	s_andn2_b32 vcc_lo, exec_lo, s44
	s_cbranch_vccnz .LBB99_22
; %bb.21:
	s_clause 0x3
	buffer_load_dword v79, v77, s[0:3], 0 offen offset:8
	buffer_load_dword v80, v77, s[0:3], 0 offen offset:12
	buffer_load_dword v81, v77, s[0:3], 0 offen
	buffer_load_dword v82, v77, s[0:3], 0 offen offset:4
	s_waitcnt vmcnt(2) lgkmcnt(0)
	v_mul_f64 v[84:85], v[3:4], v[79:80]
	v_mul_f64 v[79:80], v[1:2], v[79:80]
	s_waitcnt vmcnt(0)
	v_fma_f64 v[1:2], v[1:2], v[81:82], -v[84:85]
	v_fma_f64 v[3:4], v[3:4], v[81:82], v[79:80]
.LBB99_22:
	s_and_saveexec_b32 s8, s5
	s_cbranch_execz .LBB99_26
; %bb.23:
	v_subrev_nc_u32_e32 v79, 33, v0
	s_movk_i32 s45, 0x450
	s_mov_b32 s5, 0
	s_mov_b32 s46, s10
	.p2align	6
.LBB99_24:                              ; =>This Inner Loop Header: Depth=1
	v_mov_b32_e32 v82, s46
	v_add_nc_u32_e32 v79, -1, v79
	s_add_i32 s46, s46, 16
	s_clause 0x3
	buffer_load_dword v80, v82, s[0:3], 0 offen offset:8
	buffer_load_dword v81, v82, s[0:3], 0 offen offset:12
	buffer_load_dword v88, v82, s[0:3], 0 offen
	buffer_load_dword v89, v82, s[0:3], 0 offen offset:4
	v_mov_b32_e32 v82, s45
	v_cmp_eq_u32_e32 vcc_lo, 0, v79
	s_add_i32 s45, s45, 16
	ds_read_b128 v[84:87], v82
	s_or_b32 s5, vcc_lo, s5
	s_waitcnt vmcnt(2) lgkmcnt(0)
	v_mul_f64 v[90:91], v[86:87], v[80:81]
	v_mul_f64 v[80:81], v[84:85], v[80:81]
	s_waitcnt vmcnt(0)
	v_fma_f64 v[84:85], v[84:85], v[88:89], -v[90:91]
	v_fma_f64 v[80:81], v[86:87], v[88:89], v[80:81]
	v_add_f64 v[1:2], v[1:2], v[84:85]
	v_add_f64 v[3:4], v[3:4], v[80:81]
	s_andn2_b32 exec_lo, exec_lo, s5
	s_cbranch_execnz .LBB99_24
; %bb.25:
	s_or_b32 exec_lo, exec_lo, s5
.LBB99_26:
	s_or_b32 exec_lo, exec_lo, s8
	v_mov_b32_e32 v79, 0
	ds_read_b128 v[79:82], v79 offset:512
	s_waitcnt lgkmcnt(0)
	v_mul_f64 v[84:85], v[3:4], v[81:82]
	v_mul_f64 v[81:82], v[1:2], v[81:82]
	v_fma_f64 v[1:2], v[1:2], v[79:80], -v[84:85]
	v_fma_f64 v[3:4], v[3:4], v[79:80], v[81:82]
	buffer_store_dword v2, off, s[0:3], 0 offset:516
	buffer_store_dword v1, off, s[0:3], 0 offset:512
	;; [unrolled: 1-line block ×4, first 2 shown]
.LBB99_27:
	s_or_b32 exec_lo, exec_lo, s6
	v_mov_b32_e32 v4, s12
	v_cmp_lt_u32_e64 s5, 31, v0
	s_clause 0x3
	buffer_load_dword v1, v4, s[0:3], 0 offen
	buffer_load_dword v2, v4, s[0:3], 0 offen offset:4
	buffer_load_dword v3, v4, s[0:3], 0 offen offset:8
	;; [unrolled: 1-line block ×3, first 2 shown]
	s_waitcnt vmcnt(0)
	ds_write_b128 v78, v[1:4]
	s_waitcnt lgkmcnt(0)
	s_waitcnt_vscnt null, 0x0
	s_barrier
	buffer_gl0_inv
	s_and_saveexec_b32 s6, s5
	s_cbranch_execz .LBB99_35
; %bb.28:
	ds_read_b128 v[1:4], v78
	s_andn2_b32 vcc_lo, exec_lo, s44
	s_cbranch_vccnz .LBB99_30
; %bb.29:
	s_clause 0x3
	buffer_load_dword v79, v77, s[0:3], 0 offen offset:8
	buffer_load_dword v80, v77, s[0:3], 0 offen offset:12
	buffer_load_dword v81, v77, s[0:3], 0 offen
	buffer_load_dword v82, v77, s[0:3], 0 offen offset:4
	s_waitcnt vmcnt(2) lgkmcnt(0)
	v_mul_f64 v[84:85], v[3:4], v[79:80]
	v_mul_f64 v[79:80], v[1:2], v[79:80]
	s_waitcnt vmcnt(0)
	v_fma_f64 v[1:2], v[1:2], v[81:82], -v[84:85]
	v_fma_f64 v[3:4], v[3:4], v[81:82], v[79:80]
.LBB99_30:
	s_and_saveexec_b32 s8, s4
	s_cbranch_execz .LBB99_34
; %bb.31:
	v_subrev_nc_u32_e32 v79, 32, v0
	s_movk_i32 s45, 0x440
	s_mov_b32 s4, 0
	s_mov_b32 s46, s11
	.p2align	6
.LBB99_32:                              ; =>This Inner Loop Header: Depth=1
	v_mov_b32_e32 v82, s46
	v_add_nc_u32_e32 v79, -1, v79
	s_add_i32 s46, s46, 16
	s_clause 0x3
	buffer_load_dword v80, v82, s[0:3], 0 offen offset:8
	buffer_load_dword v81, v82, s[0:3], 0 offen offset:12
	buffer_load_dword v88, v82, s[0:3], 0 offen
	buffer_load_dword v89, v82, s[0:3], 0 offen offset:4
	v_mov_b32_e32 v82, s45
	v_cmp_eq_u32_e32 vcc_lo, 0, v79
	s_add_i32 s45, s45, 16
	ds_read_b128 v[84:87], v82
	s_or_b32 s4, vcc_lo, s4
	s_waitcnt vmcnt(2) lgkmcnt(0)
	v_mul_f64 v[90:91], v[86:87], v[80:81]
	v_mul_f64 v[80:81], v[84:85], v[80:81]
	s_waitcnt vmcnt(0)
	v_fma_f64 v[84:85], v[84:85], v[88:89], -v[90:91]
	v_fma_f64 v[80:81], v[86:87], v[88:89], v[80:81]
	v_add_f64 v[1:2], v[1:2], v[84:85]
	v_add_f64 v[3:4], v[3:4], v[80:81]
	s_andn2_b32 exec_lo, exec_lo, s4
	s_cbranch_execnz .LBB99_32
; %bb.33:
	s_or_b32 exec_lo, exec_lo, s4
.LBB99_34:
	s_or_b32 exec_lo, exec_lo, s8
	v_mov_b32_e32 v79, 0
	ds_read_b128 v[79:82], v79 offset:496
	s_waitcnt lgkmcnt(0)
	v_mul_f64 v[84:85], v[3:4], v[81:82]
	v_mul_f64 v[81:82], v[1:2], v[81:82]
	v_fma_f64 v[1:2], v[1:2], v[79:80], -v[84:85]
	v_fma_f64 v[3:4], v[3:4], v[79:80], v[81:82]
	buffer_store_dword v2, off, s[0:3], 0 offset:500
	buffer_store_dword v1, off, s[0:3], 0 offset:496
	;; [unrolled: 1-line block ×4, first 2 shown]
.LBB99_35:
	s_or_b32 exec_lo, exec_lo, s6
	v_mov_b32_e32 v4, s13
	v_cmp_lt_u32_e64 s4, 30, v0
	s_clause 0x3
	buffer_load_dword v1, v4, s[0:3], 0 offen
	buffer_load_dword v2, v4, s[0:3], 0 offen offset:4
	buffer_load_dword v3, v4, s[0:3], 0 offen offset:8
	;; [unrolled: 1-line block ×3, first 2 shown]
	s_waitcnt vmcnt(0)
	ds_write_b128 v78, v[1:4]
	s_waitcnt lgkmcnt(0)
	s_waitcnt_vscnt null, 0x0
	s_barrier
	buffer_gl0_inv
	s_and_saveexec_b32 s6, s4
	s_cbranch_execz .LBB99_43
; %bb.36:
	ds_read_b128 v[1:4], v78
	s_andn2_b32 vcc_lo, exec_lo, s44
	s_cbranch_vccnz .LBB99_38
; %bb.37:
	s_clause 0x3
	buffer_load_dword v79, v77, s[0:3], 0 offen offset:8
	buffer_load_dword v80, v77, s[0:3], 0 offen offset:12
	buffer_load_dword v81, v77, s[0:3], 0 offen
	buffer_load_dword v82, v77, s[0:3], 0 offen offset:4
	s_waitcnt vmcnt(2) lgkmcnt(0)
	v_mul_f64 v[84:85], v[3:4], v[79:80]
	v_mul_f64 v[79:80], v[1:2], v[79:80]
	s_waitcnt vmcnt(0)
	v_fma_f64 v[1:2], v[1:2], v[81:82], -v[84:85]
	v_fma_f64 v[3:4], v[3:4], v[81:82], v[79:80]
.LBB99_38:
	s_and_saveexec_b32 s8, s5
	s_cbranch_execz .LBB99_42
; %bb.39:
	v_subrev_nc_u32_e32 v79, 31, v0
	s_movk_i32 s45, 0x430
	s_mov_b32 s5, 0
	s_mov_b32 s46, s12
	.p2align	6
.LBB99_40:                              ; =>This Inner Loop Header: Depth=1
	v_mov_b32_e32 v82, s46
	v_add_nc_u32_e32 v79, -1, v79
	s_add_i32 s46, s46, 16
	s_clause 0x3
	buffer_load_dword v80, v82, s[0:3], 0 offen offset:8
	buffer_load_dword v81, v82, s[0:3], 0 offen offset:12
	buffer_load_dword v88, v82, s[0:3], 0 offen
	buffer_load_dword v89, v82, s[0:3], 0 offen offset:4
	v_mov_b32_e32 v82, s45
	v_cmp_eq_u32_e32 vcc_lo, 0, v79
	s_add_i32 s45, s45, 16
	ds_read_b128 v[84:87], v82
	s_or_b32 s5, vcc_lo, s5
	s_waitcnt vmcnt(2) lgkmcnt(0)
	v_mul_f64 v[90:91], v[86:87], v[80:81]
	v_mul_f64 v[80:81], v[84:85], v[80:81]
	s_waitcnt vmcnt(0)
	v_fma_f64 v[84:85], v[84:85], v[88:89], -v[90:91]
	v_fma_f64 v[80:81], v[86:87], v[88:89], v[80:81]
	v_add_f64 v[1:2], v[1:2], v[84:85]
	v_add_f64 v[3:4], v[3:4], v[80:81]
	s_andn2_b32 exec_lo, exec_lo, s5
	s_cbranch_execnz .LBB99_40
; %bb.41:
	s_or_b32 exec_lo, exec_lo, s5
.LBB99_42:
	s_or_b32 exec_lo, exec_lo, s8
	v_mov_b32_e32 v79, 0
	ds_read_b128 v[79:82], v79 offset:480
	s_waitcnt lgkmcnt(0)
	v_mul_f64 v[84:85], v[3:4], v[81:82]
	v_mul_f64 v[81:82], v[1:2], v[81:82]
	v_fma_f64 v[1:2], v[1:2], v[79:80], -v[84:85]
	v_fma_f64 v[3:4], v[3:4], v[79:80], v[81:82]
	buffer_store_dword v2, off, s[0:3], 0 offset:484
	buffer_store_dword v1, off, s[0:3], 0 offset:480
	;; [unrolled: 1-line block ×4, first 2 shown]
.LBB99_43:
	s_or_b32 exec_lo, exec_lo, s6
	v_mov_b32_e32 v4, s14
	v_cmp_lt_u32_e64 s5, 29, v0
	s_clause 0x3
	buffer_load_dword v1, v4, s[0:3], 0 offen
	buffer_load_dword v2, v4, s[0:3], 0 offen offset:4
	buffer_load_dword v3, v4, s[0:3], 0 offen offset:8
	;; [unrolled: 1-line block ×3, first 2 shown]
	s_waitcnt vmcnt(0)
	ds_write_b128 v78, v[1:4]
	s_waitcnt lgkmcnt(0)
	s_waitcnt_vscnt null, 0x0
	s_barrier
	buffer_gl0_inv
	s_and_saveexec_b32 s6, s5
	s_cbranch_execz .LBB99_51
; %bb.44:
	ds_read_b128 v[1:4], v78
	s_andn2_b32 vcc_lo, exec_lo, s44
	s_cbranch_vccnz .LBB99_46
; %bb.45:
	s_clause 0x3
	buffer_load_dword v79, v77, s[0:3], 0 offen offset:8
	buffer_load_dword v80, v77, s[0:3], 0 offen offset:12
	buffer_load_dword v81, v77, s[0:3], 0 offen
	buffer_load_dword v82, v77, s[0:3], 0 offen offset:4
	s_waitcnt vmcnt(2) lgkmcnt(0)
	v_mul_f64 v[84:85], v[3:4], v[79:80]
	v_mul_f64 v[79:80], v[1:2], v[79:80]
	s_waitcnt vmcnt(0)
	v_fma_f64 v[1:2], v[1:2], v[81:82], -v[84:85]
	v_fma_f64 v[3:4], v[3:4], v[81:82], v[79:80]
.LBB99_46:
	s_and_saveexec_b32 s8, s4
	s_cbranch_execz .LBB99_50
; %bb.47:
	v_subrev_nc_u32_e32 v79, 30, v0
	s_movk_i32 s45, 0x420
	s_mov_b32 s4, 0
	s_mov_b32 s46, s13
	.p2align	6
.LBB99_48:                              ; =>This Inner Loop Header: Depth=1
	v_mov_b32_e32 v82, s46
	v_add_nc_u32_e32 v79, -1, v79
	s_add_i32 s46, s46, 16
	s_clause 0x3
	buffer_load_dword v80, v82, s[0:3], 0 offen offset:8
	buffer_load_dword v81, v82, s[0:3], 0 offen offset:12
	buffer_load_dword v88, v82, s[0:3], 0 offen
	buffer_load_dword v89, v82, s[0:3], 0 offen offset:4
	v_mov_b32_e32 v82, s45
	v_cmp_eq_u32_e32 vcc_lo, 0, v79
	s_add_i32 s45, s45, 16
	ds_read_b128 v[84:87], v82
	s_or_b32 s4, vcc_lo, s4
	s_waitcnt vmcnt(2) lgkmcnt(0)
	v_mul_f64 v[90:91], v[86:87], v[80:81]
	v_mul_f64 v[80:81], v[84:85], v[80:81]
	s_waitcnt vmcnt(0)
	v_fma_f64 v[84:85], v[84:85], v[88:89], -v[90:91]
	v_fma_f64 v[80:81], v[86:87], v[88:89], v[80:81]
	v_add_f64 v[1:2], v[1:2], v[84:85]
	v_add_f64 v[3:4], v[3:4], v[80:81]
	s_andn2_b32 exec_lo, exec_lo, s4
	s_cbranch_execnz .LBB99_48
; %bb.49:
	s_or_b32 exec_lo, exec_lo, s4
.LBB99_50:
	s_or_b32 exec_lo, exec_lo, s8
	v_mov_b32_e32 v79, 0
	ds_read_b128 v[79:82], v79 offset:464
	s_waitcnt lgkmcnt(0)
	v_mul_f64 v[84:85], v[3:4], v[81:82]
	v_mul_f64 v[81:82], v[1:2], v[81:82]
	v_fma_f64 v[1:2], v[1:2], v[79:80], -v[84:85]
	v_fma_f64 v[3:4], v[3:4], v[79:80], v[81:82]
	buffer_store_dword v2, off, s[0:3], 0 offset:468
	buffer_store_dword v1, off, s[0:3], 0 offset:464
	;; [unrolled: 1-line block ×4, first 2 shown]
.LBB99_51:
	s_or_b32 exec_lo, exec_lo, s6
	v_mov_b32_e32 v4, s15
	v_cmp_lt_u32_e64 s4, 28, v0
	s_clause 0x3
	buffer_load_dword v1, v4, s[0:3], 0 offen
	buffer_load_dword v2, v4, s[0:3], 0 offen offset:4
	buffer_load_dword v3, v4, s[0:3], 0 offen offset:8
	;; [unrolled: 1-line block ×3, first 2 shown]
	s_waitcnt vmcnt(0)
	ds_write_b128 v78, v[1:4]
	s_waitcnt lgkmcnt(0)
	s_waitcnt_vscnt null, 0x0
	s_barrier
	buffer_gl0_inv
	s_and_saveexec_b32 s6, s4
	s_cbranch_execz .LBB99_59
; %bb.52:
	ds_read_b128 v[1:4], v78
	s_andn2_b32 vcc_lo, exec_lo, s44
	s_cbranch_vccnz .LBB99_54
; %bb.53:
	s_clause 0x3
	buffer_load_dword v79, v77, s[0:3], 0 offen offset:8
	buffer_load_dword v80, v77, s[0:3], 0 offen offset:12
	buffer_load_dword v81, v77, s[0:3], 0 offen
	buffer_load_dword v82, v77, s[0:3], 0 offen offset:4
	s_waitcnt vmcnt(2) lgkmcnt(0)
	v_mul_f64 v[84:85], v[3:4], v[79:80]
	v_mul_f64 v[79:80], v[1:2], v[79:80]
	s_waitcnt vmcnt(0)
	v_fma_f64 v[1:2], v[1:2], v[81:82], -v[84:85]
	v_fma_f64 v[3:4], v[3:4], v[81:82], v[79:80]
.LBB99_54:
	s_and_saveexec_b32 s8, s5
	s_cbranch_execz .LBB99_58
; %bb.55:
	v_subrev_nc_u32_e32 v79, 29, v0
	s_movk_i32 s45, 0x410
	s_mov_b32 s5, 0
	s_mov_b32 s46, s14
	.p2align	6
.LBB99_56:                              ; =>This Inner Loop Header: Depth=1
	v_mov_b32_e32 v82, s46
	v_add_nc_u32_e32 v79, -1, v79
	s_add_i32 s46, s46, 16
	s_clause 0x3
	buffer_load_dword v80, v82, s[0:3], 0 offen offset:8
	buffer_load_dword v81, v82, s[0:3], 0 offen offset:12
	buffer_load_dword v88, v82, s[0:3], 0 offen
	buffer_load_dword v89, v82, s[0:3], 0 offen offset:4
	v_mov_b32_e32 v82, s45
	v_cmp_eq_u32_e32 vcc_lo, 0, v79
	s_add_i32 s45, s45, 16
	ds_read_b128 v[84:87], v82
	s_or_b32 s5, vcc_lo, s5
	s_waitcnt vmcnt(2) lgkmcnt(0)
	v_mul_f64 v[90:91], v[86:87], v[80:81]
	v_mul_f64 v[80:81], v[84:85], v[80:81]
	s_waitcnt vmcnt(0)
	v_fma_f64 v[84:85], v[84:85], v[88:89], -v[90:91]
	v_fma_f64 v[80:81], v[86:87], v[88:89], v[80:81]
	v_add_f64 v[1:2], v[1:2], v[84:85]
	v_add_f64 v[3:4], v[3:4], v[80:81]
	s_andn2_b32 exec_lo, exec_lo, s5
	s_cbranch_execnz .LBB99_56
; %bb.57:
	s_or_b32 exec_lo, exec_lo, s5
.LBB99_58:
	s_or_b32 exec_lo, exec_lo, s8
	v_mov_b32_e32 v79, 0
	ds_read_b128 v[79:82], v79 offset:448
	s_waitcnt lgkmcnt(0)
	v_mul_f64 v[84:85], v[3:4], v[81:82]
	v_mul_f64 v[81:82], v[1:2], v[81:82]
	v_fma_f64 v[1:2], v[1:2], v[79:80], -v[84:85]
	v_fma_f64 v[3:4], v[3:4], v[79:80], v[81:82]
	buffer_store_dword v2, off, s[0:3], 0 offset:452
	buffer_store_dword v1, off, s[0:3], 0 offset:448
	;; [unrolled: 1-line block ×4, first 2 shown]
.LBB99_59:
	s_or_b32 exec_lo, exec_lo, s6
	v_mov_b32_e32 v4, s16
	v_cmp_lt_u32_e64 s5, 27, v0
	s_clause 0x3
	buffer_load_dword v1, v4, s[0:3], 0 offen
	buffer_load_dword v2, v4, s[0:3], 0 offen offset:4
	buffer_load_dword v3, v4, s[0:3], 0 offen offset:8
	;; [unrolled: 1-line block ×3, first 2 shown]
	s_waitcnt vmcnt(0)
	ds_write_b128 v78, v[1:4]
	s_waitcnt lgkmcnt(0)
	s_waitcnt_vscnt null, 0x0
	s_barrier
	buffer_gl0_inv
	s_and_saveexec_b32 s6, s5
	s_cbranch_execz .LBB99_67
; %bb.60:
	ds_read_b128 v[1:4], v78
	s_andn2_b32 vcc_lo, exec_lo, s44
	s_cbranch_vccnz .LBB99_62
; %bb.61:
	s_clause 0x3
	buffer_load_dword v79, v77, s[0:3], 0 offen offset:8
	buffer_load_dword v80, v77, s[0:3], 0 offen offset:12
	buffer_load_dword v81, v77, s[0:3], 0 offen
	buffer_load_dword v82, v77, s[0:3], 0 offen offset:4
	s_waitcnt vmcnt(2) lgkmcnt(0)
	v_mul_f64 v[84:85], v[3:4], v[79:80]
	v_mul_f64 v[79:80], v[1:2], v[79:80]
	s_waitcnt vmcnt(0)
	v_fma_f64 v[1:2], v[1:2], v[81:82], -v[84:85]
	v_fma_f64 v[3:4], v[3:4], v[81:82], v[79:80]
.LBB99_62:
	s_and_saveexec_b32 s8, s4
	s_cbranch_execz .LBB99_66
; %bb.63:
	v_subrev_nc_u32_e32 v79, 28, v0
	s_movk_i32 s45, 0x400
	s_mov_b32 s4, 0
	s_mov_b32 s46, s15
	.p2align	6
.LBB99_64:                              ; =>This Inner Loop Header: Depth=1
	v_mov_b32_e32 v82, s46
	v_add_nc_u32_e32 v79, -1, v79
	s_add_i32 s46, s46, 16
	s_clause 0x3
	buffer_load_dword v80, v82, s[0:3], 0 offen offset:8
	buffer_load_dword v81, v82, s[0:3], 0 offen offset:12
	buffer_load_dword v88, v82, s[0:3], 0 offen
	buffer_load_dword v89, v82, s[0:3], 0 offen offset:4
	v_mov_b32_e32 v82, s45
	v_cmp_eq_u32_e32 vcc_lo, 0, v79
	s_add_i32 s45, s45, 16
	ds_read_b128 v[84:87], v82
	s_or_b32 s4, vcc_lo, s4
	s_waitcnt vmcnt(2) lgkmcnt(0)
	v_mul_f64 v[90:91], v[86:87], v[80:81]
	v_mul_f64 v[80:81], v[84:85], v[80:81]
	s_waitcnt vmcnt(0)
	v_fma_f64 v[84:85], v[84:85], v[88:89], -v[90:91]
	v_fma_f64 v[80:81], v[86:87], v[88:89], v[80:81]
	v_add_f64 v[1:2], v[1:2], v[84:85]
	v_add_f64 v[3:4], v[3:4], v[80:81]
	s_andn2_b32 exec_lo, exec_lo, s4
	s_cbranch_execnz .LBB99_64
; %bb.65:
	s_or_b32 exec_lo, exec_lo, s4
.LBB99_66:
	s_or_b32 exec_lo, exec_lo, s8
	v_mov_b32_e32 v79, 0
	ds_read_b128 v[79:82], v79 offset:432
	s_waitcnt lgkmcnt(0)
	v_mul_f64 v[84:85], v[3:4], v[81:82]
	v_mul_f64 v[81:82], v[1:2], v[81:82]
	v_fma_f64 v[1:2], v[1:2], v[79:80], -v[84:85]
	v_fma_f64 v[3:4], v[3:4], v[79:80], v[81:82]
	buffer_store_dword v2, off, s[0:3], 0 offset:436
	buffer_store_dword v1, off, s[0:3], 0 offset:432
	;; [unrolled: 1-line block ×4, first 2 shown]
.LBB99_67:
	s_or_b32 exec_lo, exec_lo, s6
	v_mov_b32_e32 v4, s17
	v_cmp_lt_u32_e64 s4, 26, v0
	s_clause 0x3
	buffer_load_dword v1, v4, s[0:3], 0 offen
	buffer_load_dword v2, v4, s[0:3], 0 offen offset:4
	buffer_load_dword v3, v4, s[0:3], 0 offen offset:8
	;; [unrolled: 1-line block ×3, first 2 shown]
	s_waitcnt vmcnt(0)
	ds_write_b128 v78, v[1:4]
	s_waitcnt lgkmcnt(0)
	s_waitcnt_vscnt null, 0x0
	s_barrier
	buffer_gl0_inv
	s_and_saveexec_b32 s6, s4
	s_cbranch_execz .LBB99_75
; %bb.68:
	ds_read_b128 v[1:4], v78
	s_andn2_b32 vcc_lo, exec_lo, s44
	s_cbranch_vccnz .LBB99_70
; %bb.69:
	s_clause 0x3
	buffer_load_dword v79, v77, s[0:3], 0 offen offset:8
	buffer_load_dword v80, v77, s[0:3], 0 offen offset:12
	buffer_load_dword v81, v77, s[0:3], 0 offen
	buffer_load_dword v82, v77, s[0:3], 0 offen offset:4
	s_waitcnt vmcnt(2) lgkmcnt(0)
	v_mul_f64 v[84:85], v[3:4], v[79:80]
	v_mul_f64 v[79:80], v[1:2], v[79:80]
	s_waitcnt vmcnt(0)
	v_fma_f64 v[1:2], v[1:2], v[81:82], -v[84:85]
	v_fma_f64 v[3:4], v[3:4], v[81:82], v[79:80]
.LBB99_70:
	s_and_saveexec_b32 s8, s5
	s_cbranch_execz .LBB99_74
; %bb.71:
	v_subrev_nc_u32_e32 v79, 27, v0
	s_movk_i32 s45, 0x3f0
	s_mov_b32 s5, 0
	s_mov_b32 s46, s16
	.p2align	6
.LBB99_72:                              ; =>This Inner Loop Header: Depth=1
	v_mov_b32_e32 v82, s46
	v_add_nc_u32_e32 v79, -1, v79
	s_add_i32 s46, s46, 16
	s_clause 0x3
	buffer_load_dword v80, v82, s[0:3], 0 offen offset:8
	buffer_load_dword v81, v82, s[0:3], 0 offen offset:12
	buffer_load_dword v88, v82, s[0:3], 0 offen
	buffer_load_dword v89, v82, s[0:3], 0 offen offset:4
	v_mov_b32_e32 v82, s45
	v_cmp_eq_u32_e32 vcc_lo, 0, v79
	s_add_i32 s45, s45, 16
	ds_read_b128 v[84:87], v82
	s_or_b32 s5, vcc_lo, s5
	s_waitcnt vmcnt(2) lgkmcnt(0)
	v_mul_f64 v[90:91], v[86:87], v[80:81]
	v_mul_f64 v[80:81], v[84:85], v[80:81]
	s_waitcnt vmcnt(0)
	v_fma_f64 v[84:85], v[84:85], v[88:89], -v[90:91]
	v_fma_f64 v[80:81], v[86:87], v[88:89], v[80:81]
	v_add_f64 v[1:2], v[1:2], v[84:85]
	v_add_f64 v[3:4], v[3:4], v[80:81]
	s_andn2_b32 exec_lo, exec_lo, s5
	s_cbranch_execnz .LBB99_72
; %bb.73:
	s_or_b32 exec_lo, exec_lo, s5
.LBB99_74:
	s_or_b32 exec_lo, exec_lo, s8
	v_mov_b32_e32 v79, 0
	ds_read_b128 v[79:82], v79 offset:416
	s_waitcnt lgkmcnt(0)
	v_mul_f64 v[84:85], v[3:4], v[81:82]
	v_mul_f64 v[81:82], v[1:2], v[81:82]
	v_fma_f64 v[1:2], v[1:2], v[79:80], -v[84:85]
	v_fma_f64 v[3:4], v[3:4], v[79:80], v[81:82]
	buffer_store_dword v2, off, s[0:3], 0 offset:420
	buffer_store_dword v1, off, s[0:3], 0 offset:416
	;; [unrolled: 1-line block ×4, first 2 shown]
.LBB99_75:
	s_or_b32 exec_lo, exec_lo, s6
	v_mov_b32_e32 v4, s18
	v_cmp_lt_u32_e64 s5, 25, v0
	s_clause 0x3
	buffer_load_dword v1, v4, s[0:3], 0 offen
	buffer_load_dword v2, v4, s[0:3], 0 offen offset:4
	buffer_load_dword v3, v4, s[0:3], 0 offen offset:8
	;; [unrolled: 1-line block ×3, first 2 shown]
	s_waitcnt vmcnt(0)
	ds_write_b128 v78, v[1:4]
	s_waitcnt lgkmcnt(0)
	s_waitcnt_vscnt null, 0x0
	s_barrier
	buffer_gl0_inv
	s_and_saveexec_b32 s6, s5
	s_cbranch_execz .LBB99_83
; %bb.76:
	ds_read_b128 v[1:4], v78
	s_andn2_b32 vcc_lo, exec_lo, s44
	s_cbranch_vccnz .LBB99_78
; %bb.77:
	s_clause 0x3
	buffer_load_dword v79, v77, s[0:3], 0 offen offset:8
	buffer_load_dword v80, v77, s[0:3], 0 offen offset:12
	buffer_load_dword v81, v77, s[0:3], 0 offen
	buffer_load_dword v82, v77, s[0:3], 0 offen offset:4
	s_waitcnt vmcnt(2) lgkmcnt(0)
	v_mul_f64 v[84:85], v[3:4], v[79:80]
	v_mul_f64 v[79:80], v[1:2], v[79:80]
	s_waitcnt vmcnt(0)
	v_fma_f64 v[1:2], v[1:2], v[81:82], -v[84:85]
	v_fma_f64 v[3:4], v[3:4], v[81:82], v[79:80]
.LBB99_78:
	s_and_saveexec_b32 s8, s4
	s_cbranch_execz .LBB99_82
; %bb.79:
	v_subrev_nc_u32_e32 v79, 26, v0
	s_movk_i32 s45, 0x3e0
	s_mov_b32 s4, 0
	s_mov_b32 s46, s17
	.p2align	6
.LBB99_80:                              ; =>This Inner Loop Header: Depth=1
	v_mov_b32_e32 v82, s46
	v_add_nc_u32_e32 v79, -1, v79
	s_add_i32 s46, s46, 16
	s_clause 0x3
	buffer_load_dword v80, v82, s[0:3], 0 offen offset:8
	buffer_load_dword v81, v82, s[0:3], 0 offen offset:12
	buffer_load_dword v88, v82, s[0:3], 0 offen
	buffer_load_dword v89, v82, s[0:3], 0 offen offset:4
	v_mov_b32_e32 v82, s45
	v_cmp_eq_u32_e32 vcc_lo, 0, v79
	s_add_i32 s45, s45, 16
	ds_read_b128 v[84:87], v82
	s_or_b32 s4, vcc_lo, s4
	s_waitcnt vmcnt(2) lgkmcnt(0)
	v_mul_f64 v[90:91], v[86:87], v[80:81]
	v_mul_f64 v[80:81], v[84:85], v[80:81]
	s_waitcnt vmcnt(0)
	v_fma_f64 v[84:85], v[84:85], v[88:89], -v[90:91]
	v_fma_f64 v[80:81], v[86:87], v[88:89], v[80:81]
	v_add_f64 v[1:2], v[1:2], v[84:85]
	v_add_f64 v[3:4], v[3:4], v[80:81]
	s_andn2_b32 exec_lo, exec_lo, s4
	s_cbranch_execnz .LBB99_80
; %bb.81:
	s_or_b32 exec_lo, exec_lo, s4
.LBB99_82:
	s_or_b32 exec_lo, exec_lo, s8
	v_mov_b32_e32 v79, 0
	ds_read_b128 v[79:82], v79 offset:400
	s_waitcnt lgkmcnt(0)
	v_mul_f64 v[84:85], v[3:4], v[81:82]
	v_mul_f64 v[81:82], v[1:2], v[81:82]
	v_fma_f64 v[1:2], v[1:2], v[79:80], -v[84:85]
	v_fma_f64 v[3:4], v[3:4], v[79:80], v[81:82]
	buffer_store_dword v2, off, s[0:3], 0 offset:404
	buffer_store_dword v1, off, s[0:3], 0 offset:400
	;; [unrolled: 1-line block ×4, first 2 shown]
.LBB99_83:
	s_or_b32 exec_lo, exec_lo, s6
	v_mov_b32_e32 v4, s19
	v_cmp_lt_u32_e64 s4, 24, v0
	s_clause 0x3
	buffer_load_dword v1, v4, s[0:3], 0 offen
	buffer_load_dword v2, v4, s[0:3], 0 offen offset:4
	buffer_load_dword v3, v4, s[0:3], 0 offen offset:8
	;; [unrolled: 1-line block ×3, first 2 shown]
	s_waitcnt vmcnt(0)
	ds_write_b128 v78, v[1:4]
	s_waitcnt lgkmcnt(0)
	s_waitcnt_vscnt null, 0x0
	s_barrier
	buffer_gl0_inv
	s_and_saveexec_b32 s6, s4
	s_cbranch_execz .LBB99_91
; %bb.84:
	ds_read_b128 v[1:4], v78
	s_andn2_b32 vcc_lo, exec_lo, s44
	s_cbranch_vccnz .LBB99_86
; %bb.85:
	s_clause 0x3
	buffer_load_dword v79, v77, s[0:3], 0 offen offset:8
	buffer_load_dword v80, v77, s[0:3], 0 offen offset:12
	buffer_load_dword v81, v77, s[0:3], 0 offen
	buffer_load_dword v82, v77, s[0:3], 0 offen offset:4
	s_waitcnt vmcnt(2) lgkmcnt(0)
	v_mul_f64 v[84:85], v[3:4], v[79:80]
	v_mul_f64 v[79:80], v[1:2], v[79:80]
	s_waitcnt vmcnt(0)
	v_fma_f64 v[1:2], v[1:2], v[81:82], -v[84:85]
	v_fma_f64 v[3:4], v[3:4], v[81:82], v[79:80]
.LBB99_86:
	s_and_saveexec_b32 s8, s5
	s_cbranch_execz .LBB99_90
; %bb.87:
	v_subrev_nc_u32_e32 v79, 25, v0
	s_movk_i32 s45, 0x3d0
	s_mov_b32 s5, 0
	s_mov_b32 s46, s18
	.p2align	6
.LBB99_88:                              ; =>This Inner Loop Header: Depth=1
	v_mov_b32_e32 v82, s46
	v_add_nc_u32_e32 v79, -1, v79
	s_add_i32 s46, s46, 16
	s_clause 0x3
	buffer_load_dword v80, v82, s[0:3], 0 offen offset:8
	buffer_load_dword v81, v82, s[0:3], 0 offen offset:12
	buffer_load_dword v88, v82, s[0:3], 0 offen
	buffer_load_dword v89, v82, s[0:3], 0 offen offset:4
	v_mov_b32_e32 v82, s45
	v_cmp_eq_u32_e32 vcc_lo, 0, v79
	s_add_i32 s45, s45, 16
	ds_read_b128 v[84:87], v82
	s_or_b32 s5, vcc_lo, s5
	s_waitcnt vmcnt(2) lgkmcnt(0)
	v_mul_f64 v[90:91], v[86:87], v[80:81]
	v_mul_f64 v[80:81], v[84:85], v[80:81]
	s_waitcnt vmcnt(0)
	v_fma_f64 v[84:85], v[84:85], v[88:89], -v[90:91]
	v_fma_f64 v[80:81], v[86:87], v[88:89], v[80:81]
	v_add_f64 v[1:2], v[1:2], v[84:85]
	v_add_f64 v[3:4], v[3:4], v[80:81]
	s_andn2_b32 exec_lo, exec_lo, s5
	s_cbranch_execnz .LBB99_88
; %bb.89:
	s_or_b32 exec_lo, exec_lo, s5
.LBB99_90:
	s_or_b32 exec_lo, exec_lo, s8
	v_mov_b32_e32 v79, 0
	ds_read_b128 v[79:82], v79 offset:384
	s_waitcnt lgkmcnt(0)
	v_mul_f64 v[84:85], v[3:4], v[81:82]
	v_mul_f64 v[81:82], v[1:2], v[81:82]
	v_fma_f64 v[1:2], v[1:2], v[79:80], -v[84:85]
	v_fma_f64 v[3:4], v[3:4], v[79:80], v[81:82]
	buffer_store_dword v2, off, s[0:3], 0 offset:388
	buffer_store_dword v1, off, s[0:3], 0 offset:384
	;; [unrolled: 1-line block ×4, first 2 shown]
.LBB99_91:
	s_or_b32 exec_lo, exec_lo, s6
	v_mov_b32_e32 v4, s20
	v_cmp_lt_u32_e64 s5, 23, v0
	s_clause 0x3
	buffer_load_dword v1, v4, s[0:3], 0 offen
	buffer_load_dword v2, v4, s[0:3], 0 offen offset:4
	buffer_load_dword v3, v4, s[0:3], 0 offen offset:8
	buffer_load_dword v4, v4, s[0:3], 0 offen offset:12
	s_waitcnt vmcnt(0)
	ds_write_b128 v78, v[1:4]
	s_waitcnt lgkmcnt(0)
	s_waitcnt_vscnt null, 0x0
	s_barrier
	buffer_gl0_inv
	s_and_saveexec_b32 s6, s5
	s_cbranch_execz .LBB99_99
; %bb.92:
	ds_read_b128 v[1:4], v78
	s_andn2_b32 vcc_lo, exec_lo, s44
	s_cbranch_vccnz .LBB99_94
; %bb.93:
	s_clause 0x3
	buffer_load_dword v79, v77, s[0:3], 0 offen offset:8
	buffer_load_dword v80, v77, s[0:3], 0 offen offset:12
	buffer_load_dword v81, v77, s[0:3], 0 offen
	buffer_load_dword v82, v77, s[0:3], 0 offen offset:4
	s_waitcnt vmcnt(2) lgkmcnt(0)
	v_mul_f64 v[84:85], v[3:4], v[79:80]
	v_mul_f64 v[79:80], v[1:2], v[79:80]
	s_waitcnt vmcnt(0)
	v_fma_f64 v[1:2], v[1:2], v[81:82], -v[84:85]
	v_fma_f64 v[3:4], v[3:4], v[81:82], v[79:80]
.LBB99_94:
	s_and_saveexec_b32 s8, s4
	s_cbranch_execz .LBB99_98
; %bb.95:
	v_subrev_nc_u32_e32 v79, 24, v0
	s_movk_i32 s45, 0x3c0
	s_mov_b32 s4, 0
	s_mov_b32 s46, s19
	.p2align	6
.LBB99_96:                              ; =>This Inner Loop Header: Depth=1
	v_mov_b32_e32 v82, s46
	v_add_nc_u32_e32 v79, -1, v79
	s_add_i32 s46, s46, 16
	s_clause 0x3
	buffer_load_dword v80, v82, s[0:3], 0 offen offset:8
	buffer_load_dword v81, v82, s[0:3], 0 offen offset:12
	buffer_load_dword v88, v82, s[0:3], 0 offen
	buffer_load_dword v89, v82, s[0:3], 0 offen offset:4
	v_mov_b32_e32 v82, s45
	v_cmp_eq_u32_e32 vcc_lo, 0, v79
	s_add_i32 s45, s45, 16
	ds_read_b128 v[84:87], v82
	s_or_b32 s4, vcc_lo, s4
	s_waitcnt vmcnt(2) lgkmcnt(0)
	v_mul_f64 v[90:91], v[86:87], v[80:81]
	v_mul_f64 v[80:81], v[84:85], v[80:81]
	s_waitcnt vmcnt(0)
	v_fma_f64 v[84:85], v[84:85], v[88:89], -v[90:91]
	v_fma_f64 v[80:81], v[86:87], v[88:89], v[80:81]
	v_add_f64 v[1:2], v[1:2], v[84:85]
	v_add_f64 v[3:4], v[3:4], v[80:81]
	s_andn2_b32 exec_lo, exec_lo, s4
	s_cbranch_execnz .LBB99_96
; %bb.97:
	s_or_b32 exec_lo, exec_lo, s4
.LBB99_98:
	s_or_b32 exec_lo, exec_lo, s8
	v_mov_b32_e32 v79, 0
	ds_read_b128 v[79:82], v79 offset:368
	s_waitcnt lgkmcnt(0)
	v_mul_f64 v[84:85], v[3:4], v[81:82]
	v_mul_f64 v[81:82], v[1:2], v[81:82]
	v_fma_f64 v[1:2], v[1:2], v[79:80], -v[84:85]
	v_fma_f64 v[3:4], v[3:4], v[79:80], v[81:82]
	buffer_store_dword v2, off, s[0:3], 0 offset:372
	buffer_store_dword v1, off, s[0:3], 0 offset:368
	;; [unrolled: 1-line block ×4, first 2 shown]
.LBB99_99:
	s_or_b32 exec_lo, exec_lo, s6
	v_mov_b32_e32 v4, s21
	v_cmp_lt_u32_e64 s4, 22, v0
	s_clause 0x3
	buffer_load_dword v1, v4, s[0:3], 0 offen
	buffer_load_dword v2, v4, s[0:3], 0 offen offset:4
	buffer_load_dword v3, v4, s[0:3], 0 offen offset:8
	;; [unrolled: 1-line block ×3, first 2 shown]
	s_waitcnt vmcnt(0)
	ds_write_b128 v78, v[1:4]
	s_waitcnt lgkmcnt(0)
	s_waitcnt_vscnt null, 0x0
	s_barrier
	buffer_gl0_inv
	s_and_saveexec_b32 s6, s4
	s_cbranch_execz .LBB99_107
; %bb.100:
	ds_read_b128 v[1:4], v78
	s_andn2_b32 vcc_lo, exec_lo, s44
	s_cbranch_vccnz .LBB99_102
; %bb.101:
	s_clause 0x3
	buffer_load_dword v79, v77, s[0:3], 0 offen offset:8
	buffer_load_dword v80, v77, s[0:3], 0 offen offset:12
	buffer_load_dword v81, v77, s[0:3], 0 offen
	buffer_load_dword v82, v77, s[0:3], 0 offen offset:4
	s_waitcnt vmcnt(2) lgkmcnt(0)
	v_mul_f64 v[84:85], v[3:4], v[79:80]
	v_mul_f64 v[79:80], v[1:2], v[79:80]
	s_waitcnt vmcnt(0)
	v_fma_f64 v[1:2], v[1:2], v[81:82], -v[84:85]
	v_fma_f64 v[3:4], v[3:4], v[81:82], v[79:80]
.LBB99_102:
	s_and_saveexec_b32 s8, s5
	s_cbranch_execz .LBB99_106
; %bb.103:
	v_subrev_nc_u32_e32 v79, 23, v0
	s_movk_i32 s45, 0x3b0
	s_mov_b32 s5, 0
	s_mov_b32 s46, s20
	.p2align	6
.LBB99_104:                             ; =>This Inner Loop Header: Depth=1
	v_mov_b32_e32 v82, s46
	v_add_nc_u32_e32 v79, -1, v79
	s_add_i32 s46, s46, 16
	s_clause 0x3
	buffer_load_dword v80, v82, s[0:3], 0 offen offset:8
	buffer_load_dword v81, v82, s[0:3], 0 offen offset:12
	buffer_load_dword v88, v82, s[0:3], 0 offen
	buffer_load_dword v89, v82, s[0:3], 0 offen offset:4
	v_mov_b32_e32 v82, s45
	v_cmp_eq_u32_e32 vcc_lo, 0, v79
	s_add_i32 s45, s45, 16
	ds_read_b128 v[84:87], v82
	s_or_b32 s5, vcc_lo, s5
	s_waitcnt vmcnt(2) lgkmcnt(0)
	v_mul_f64 v[90:91], v[86:87], v[80:81]
	v_mul_f64 v[80:81], v[84:85], v[80:81]
	s_waitcnt vmcnt(0)
	v_fma_f64 v[84:85], v[84:85], v[88:89], -v[90:91]
	v_fma_f64 v[80:81], v[86:87], v[88:89], v[80:81]
	v_add_f64 v[1:2], v[1:2], v[84:85]
	v_add_f64 v[3:4], v[3:4], v[80:81]
	s_andn2_b32 exec_lo, exec_lo, s5
	s_cbranch_execnz .LBB99_104
; %bb.105:
	s_or_b32 exec_lo, exec_lo, s5
.LBB99_106:
	s_or_b32 exec_lo, exec_lo, s8
	v_mov_b32_e32 v79, 0
	ds_read_b128 v[79:82], v79 offset:352
	s_waitcnt lgkmcnt(0)
	v_mul_f64 v[84:85], v[3:4], v[81:82]
	v_mul_f64 v[81:82], v[1:2], v[81:82]
	v_fma_f64 v[1:2], v[1:2], v[79:80], -v[84:85]
	v_fma_f64 v[3:4], v[3:4], v[79:80], v[81:82]
	buffer_store_dword v2, off, s[0:3], 0 offset:356
	buffer_store_dword v1, off, s[0:3], 0 offset:352
	;; [unrolled: 1-line block ×4, first 2 shown]
.LBB99_107:
	s_or_b32 exec_lo, exec_lo, s6
	v_mov_b32_e32 v4, s22
	v_cmp_lt_u32_e64 s5, 21, v0
	s_clause 0x3
	buffer_load_dword v1, v4, s[0:3], 0 offen
	buffer_load_dword v2, v4, s[0:3], 0 offen offset:4
	buffer_load_dword v3, v4, s[0:3], 0 offen offset:8
	;; [unrolled: 1-line block ×3, first 2 shown]
	s_waitcnt vmcnt(0)
	ds_write_b128 v78, v[1:4]
	s_waitcnt lgkmcnt(0)
	s_waitcnt_vscnt null, 0x0
	s_barrier
	buffer_gl0_inv
	s_and_saveexec_b32 s6, s5
	s_cbranch_execz .LBB99_115
; %bb.108:
	ds_read_b128 v[1:4], v78
	s_andn2_b32 vcc_lo, exec_lo, s44
	s_cbranch_vccnz .LBB99_110
; %bb.109:
	s_clause 0x3
	buffer_load_dword v79, v77, s[0:3], 0 offen offset:8
	buffer_load_dword v80, v77, s[0:3], 0 offen offset:12
	buffer_load_dword v81, v77, s[0:3], 0 offen
	buffer_load_dword v82, v77, s[0:3], 0 offen offset:4
	s_waitcnt vmcnt(2) lgkmcnt(0)
	v_mul_f64 v[84:85], v[3:4], v[79:80]
	v_mul_f64 v[79:80], v[1:2], v[79:80]
	s_waitcnt vmcnt(0)
	v_fma_f64 v[1:2], v[1:2], v[81:82], -v[84:85]
	v_fma_f64 v[3:4], v[3:4], v[81:82], v[79:80]
.LBB99_110:
	s_and_saveexec_b32 s8, s4
	s_cbranch_execz .LBB99_114
; %bb.111:
	v_subrev_nc_u32_e32 v79, 22, v0
	s_movk_i32 s45, 0x3a0
	s_mov_b32 s4, 0
	s_mov_b32 s46, s21
	.p2align	6
.LBB99_112:                             ; =>This Inner Loop Header: Depth=1
	v_mov_b32_e32 v82, s46
	v_add_nc_u32_e32 v79, -1, v79
	s_add_i32 s46, s46, 16
	s_clause 0x3
	buffer_load_dword v80, v82, s[0:3], 0 offen offset:8
	buffer_load_dword v81, v82, s[0:3], 0 offen offset:12
	buffer_load_dword v88, v82, s[0:3], 0 offen
	buffer_load_dword v89, v82, s[0:3], 0 offen offset:4
	v_mov_b32_e32 v82, s45
	v_cmp_eq_u32_e32 vcc_lo, 0, v79
	s_add_i32 s45, s45, 16
	ds_read_b128 v[84:87], v82
	s_or_b32 s4, vcc_lo, s4
	s_waitcnt vmcnt(2) lgkmcnt(0)
	v_mul_f64 v[90:91], v[86:87], v[80:81]
	v_mul_f64 v[80:81], v[84:85], v[80:81]
	s_waitcnt vmcnt(0)
	v_fma_f64 v[84:85], v[84:85], v[88:89], -v[90:91]
	v_fma_f64 v[80:81], v[86:87], v[88:89], v[80:81]
	v_add_f64 v[1:2], v[1:2], v[84:85]
	v_add_f64 v[3:4], v[3:4], v[80:81]
	s_andn2_b32 exec_lo, exec_lo, s4
	s_cbranch_execnz .LBB99_112
; %bb.113:
	s_or_b32 exec_lo, exec_lo, s4
.LBB99_114:
	s_or_b32 exec_lo, exec_lo, s8
	v_mov_b32_e32 v79, 0
	ds_read_b128 v[79:82], v79 offset:336
	s_waitcnt lgkmcnt(0)
	v_mul_f64 v[84:85], v[3:4], v[81:82]
	v_mul_f64 v[81:82], v[1:2], v[81:82]
	v_fma_f64 v[1:2], v[1:2], v[79:80], -v[84:85]
	v_fma_f64 v[3:4], v[3:4], v[79:80], v[81:82]
	buffer_store_dword v2, off, s[0:3], 0 offset:340
	buffer_store_dword v1, off, s[0:3], 0 offset:336
	;; [unrolled: 1-line block ×4, first 2 shown]
.LBB99_115:
	s_or_b32 exec_lo, exec_lo, s6
	v_mov_b32_e32 v4, s23
	v_cmp_lt_u32_e64 s4, 20, v0
	s_clause 0x3
	buffer_load_dword v1, v4, s[0:3], 0 offen
	buffer_load_dword v2, v4, s[0:3], 0 offen offset:4
	buffer_load_dword v3, v4, s[0:3], 0 offen offset:8
	;; [unrolled: 1-line block ×3, first 2 shown]
	s_waitcnt vmcnt(0)
	ds_write_b128 v78, v[1:4]
	s_waitcnt lgkmcnt(0)
	s_waitcnt_vscnt null, 0x0
	s_barrier
	buffer_gl0_inv
	s_and_saveexec_b32 s6, s4
	s_cbranch_execz .LBB99_123
; %bb.116:
	ds_read_b128 v[1:4], v78
	s_andn2_b32 vcc_lo, exec_lo, s44
	s_cbranch_vccnz .LBB99_118
; %bb.117:
	s_clause 0x3
	buffer_load_dword v79, v77, s[0:3], 0 offen offset:8
	buffer_load_dword v80, v77, s[0:3], 0 offen offset:12
	buffer_load_dword v81, v77, s[0:3], 0 offen
	buffer_load_dword v82, v77, s[0:3], 0 offen offset:4
	s_waitcnt vmcnt(2) lgkmcnt(0)
	v_mul_f64 v[84:85], v[3:4], v[79:80]
	v_mul_f64 v[79:80], v[1:2], v[79:80]
	s_waitcnt vmcnt(0)
	v_fma_f64 v[1:2], v[1:2], v[81:82], -v[84:85]
	v_fma_f64 v[3:4], v[3:4], v[81:82], v[79:80]
.LBB99_118:
	s_and_saveexec_b32 s8, s5
	s_cbranch_execz .LBB99_122
; %bb.119:
	v_subrev_nc_u32_e32 v79, 21, v0
	s_movk_i32 s45, 0x390
	s_mov_b32 s5, 0
	s_mov_b32 s46, s22
	.p2align	6
.LBB99_120:                             ; =>This Inner Loop Header: Depth=1
	v_mov_b32_e32 v82, s46
	v_add_nc_u32_e32 v79, -1, v79
	s_add_i32 s46, s46, 16
	s_clause 0x3
	buffer_load_dword v80, v82, s[0:3], 0 offen offset:8
	buffer_load_dword v81, v82, s[0:3], 0 offen offset:12
	buffer_load_dword v88, v82, s[0:3], 0 offen
	buffer_load_dword v89, v82, s[0:3], 0 offen offset:4
	v_mov_b32_e32 v82, s45
	v_cmp_eq_u32_e32 vcc_lo, 0, v79
	s_add_i32 s45, s45, 16
	ds_read_b128 v[84:87], v82
	s_or_b32 s5, vcc_lo, s5
	s_waitcnt vmcnt(2) lgkmcnt(0)
	v_mul_f64 v[90:91], v[86:87], v[80:81]
	v_mul_f64 v[80:81], v[84:85], v[80:81]
	s_waitcnt vmcnt(0)
	v_fma_f64 v[84:85], v[84:85], v[88:89], -v[90:91]
	v_fma_f64 v[80:81], v[86:87], v[88:89], v[80:81]
	v_add_f64 v[1:2], v[1:2], v[84:85]
	v_add_f64 v[3:4], v[3:4], v[80:81]
	s_andn2_b32 exec_lo, exec_lo, s5
	s_cbranch_execnz .LBB99_120
; %bb.121:
	s_or_b32 exec_lo, exec_lo, s5
.LBB99_122:
	s_or_b32 exec_lo, exec_lo, s8
	v_mov_b32_e32 v79, 0
	ds_read_b128 v[79:82], v79 offset:320
	s_waitcnt lgkmcnt(0)
	v_mul_f64 v[84:85], v[3:4], v[81:82]
	v_mul_f64 v[81:82], v[1:2], v[81:82]
	v_fma_f64 v[1:2], v[1:2], v[79:80], -v[84:85]
	v_fma_f64 v[3:4], v[3:4], v[79:80], v[81:82]
	buffer_store_dword v2, off, s[0:3], 0 offset:324
	buffer_store_dword v1, off, s[0:3], 0 offset:320
	;; [unrolled: 1-line block ×4, first 2 shown]
.LBB99_123:
	s_or_b32 exec_lo, exec_lo, s6
	v_mov_b32_e32 v4, s24
	v_cmp_lt_u32_e64 s5, 19, v0
	s_clause 0x3
	buffer_load_dword v1, v4, s[0:3], 0 offen
	buffer_load_dword v2, v4, s[0:3], 0 offen offset:4
	buffer_load_dword v3, v4, s[0:3], 0 offen offset:8
	;; [unrolled: 1-line block ×3, first 2 shown]
	s_waitcnt vmcnt(0)
	ds_write_b128 v78, v[1:4]
	s_waitcnt lgkmcnt(0)
	s_waitcnt_vscnt null, 0x0
	s_barrier
	buffer_gl0_inv
	s_and_saveexec_b32 s6, s5
	s_cbranch_execz .LBB99_131
; %bb.124:
	ds_read_b128 v[1:4], v78
	s_andn2_b32 vcc_lo, exec_lo, s44
	s_cbranch_vccnz .LBB99_126
; %bb.125:
	s_clause 0x3
	buffer_load_dword v79, v77, s[0:3], 0 offen offset:8
	buffer_load_dword v80, v77, s[0:3], 0 offen offset:12
	buffer_load_dword v81, v77, s[0:3], 0 offen
	buffer_load_dword v82, v77, s[0:3], 0 offen offset:4
	s_waitcnt vmcnt(2) lgkmcnt(0)
	v_mul_f64 v[84:85], v[3:4], v[79:80]
	v_mul_f64 v[79:80], v[1:2], v[79:80]
	s_waitcnt vmcnt(0)
	v_fma_f64 v[1:2], v[1:2], v[81:82], -v[84:85]
	v_fma_f64 v[3:4], v[3:4], v[81:82], v[79:80]
.LBB99_126:
	s_and_saveexec_b32 s8, s4
	s_cbranch_execz .LBB99_130
; %bb.127:
	v_subrev_nc_u32_e32 v79, 20, v0
	s_movk_i32 s45, 0x380
	s_mov_b32 s4, 0
	s_mov_b32 s46, s23
	.p2align	6
.LBB99_128:                             ; =>This Inner Loop Header: Depth=1
	v_mov_b32_e32 v82, s46
	v_add_nc_u32_e32 v79, -1, v79
	s_add_i32 s46, s46, 16
	s_clause 0x3
	buffer_load_dword v80, v82, s[0:3], 0 offen offset:8
	buffer_load_dword v81, v82, s[0:3], 0 offen offset:12
	buffer_load_dword v88, v82, s[0:3], 0 offen
	buffer_load_dword v89, v82, s[0:3], 0 offen offset:4
	v_mov_b32_e32 v82, s45
	v_cmp_eq_u32_e32 vcc_lo, 0, v79
	s_add_i32 s45, s45, 16
	ds_read_b128 v[84:87], v82
	s_or_b32 s4, vcc_lo, s4
	s_waitcnt vmcnt(2) lgkmcnt(0)
	v_mul_f64 v[90:91], v[86:87], v[80:81]
	v_mul_f64 v[80:81], v[84:85], v[80:81]
	s_waitcnt vmcnt(0)
	v_fma_f64 v[84:85], v[84:85], v[88:89], -v[90:91]
	v_fma_f64 v[80:81], v[86:87], v[88:89], v[80:81]
	v_add_f64 v[1:2], v[1:2], v[84:85]
	v_add_f64 v[3:4], v[3:4], v[80:81]
	s_andn2_b32 exec_lo, exec_lo, s4
	s_cbranch_execnz .LBB99_128
; %bb.129:
	s_or_b32 exec_lo, exec_lo, s4
.LBB99_130:
	s_or_b32 exec_lo, exec_lo, s8
	v_mov_b32_e32 v79, 0
	ds_read_b128 v[79:82], v79 offset:304
	s_waitcnt lgkmcnt(0)
	v_mul_f64 v[84:85], v[3:4], v[81:82]
	v_mul_f64 v[81:82], v[1:2], v[81:82]
	v_fma_f64 v[1:2], v[1:2], v[79:80], -v[84:85]
	v_fma_f64 v[3:4], v[3:4], v[79:80], v[81:82]
	buffer_store_dword v2, off, s[0:3], 0 offset:308
	buffer_store_dword v1, off, s[0:3], 0 offset:304
	;; [unrolled: 1-line block ×4, first 2 shown]
.LBB99_131:
	s_or_b32 exec_lo, exec_lo, s6
	v_mov_b32_e32 v4, s25
	v_cmp_lt_u32_e64 s4, 18, v0
	s_clause 0x3
	buffer_load_dword v1, v4, s[0:3], 0 offen
	buffer_load_dword v2, v4, s[0:3], 0 offen offset:4
	buffer_load_dword v3, v4, s[0:3], 0 offen offset:8
	;; [unrolled: 1-line block ×3, first 2 shown]
	s_waitcnt vmcnt(0)
	ds_write_b128 v78, v[1:4]
	s_waitcnt lgkmcnt(0)
	s_waitcnt_vscnt null, 0x0
	s_barrier
	buffer_gl0_inv
	s_and_saveexec_b32 s6, s4
	s_cbranch_execz .LBB99_139
; %bb.132:
	ds_read_b128 v[1:4], v78
	s_andn2_b32 vcc_lo, exec_lo, s44
	s_cbranch_vccnz .LBB99_134
; %bb.133:
	s_clause 0x3
	buffer_load_dword v79, v77, s[0:3], 0 offen offset:8
	buffer_load_dword v80, v77, s[0:3], 0 offen offset:12
	buffer_load_dword v81, v77, s[0:3], 0 offen
	buffer_load_dword v82, v77, s[0:3], 0 offen offset:4
	s_waitcnt vmcnt(2) lgkmcnt(0)
	v_mul_f64 v[84:85], v[3:4], v[79:80]
	v_mul_f64 v[79:80], v[1:2], v[79:80]
	s_waitcnt vmcnt(0)
	v_fma_f64 v[1:2], v[1:2], v[81:82], -v[84:85]
	v_fma_f64 v[3:4], v[3:4], v[81:82], v[79:80]
.LBB99_134:
	s_and_saveexec_b32 s8, s5
	s_cbranch_execz .LBB99_138
; %bb.135:
	v_subrev_nc_u32_e32 v79, 19, v0
	s_movk_i32 s45, 0x370
	s_mov_b32 s5, 0
	s_mov_b32 s46, s24
	.p2align	6
.LBB99_136:                             ; =>This Inner Loop Header: Depth=1
	v_mov_b32_e32 v82, s46
	v_add_nc_u32_e32 v79, -1, v79
	s_add_i32 s46, s46, 16
	s_clause 0x3
	buffer_load_dword v80, v82, s[0:3], 0 offen offset:8
	buffer_load_dword v81, v82, s[0:3], 0 offen offset:12
	buffer_load_dword v88, v82, s[0:3], 0 offen
	buffer_load_dword v89, v82, s[0:3], 0 offen offset:4
	v_mov_b32_e32 v82, s45
	v_cmp_eq_u32_e32 vcc_lo, 0, v79
	s_add_i32 s45, s45, 16
	ds_read_b128 v[84:87], v82
	s_or_b32 s5, vcc_lo, s5
	s_waitcnt vmcnt(2) lgkmcnt(0)
	v_mul_f64 v[90:91], v[86:87], v[80:81]
	v_mul_f64 v[80:81], v[84:85], v[80:81]
	s_waitcnt vmcnt(0)
	v_fma_f64 v[84:85], v[84:85], v[88:89], -v[90:91]
	v_fma_f64 v[80:81], v[86:87], v[88:89], v[80:81]
	v_add_f64 v[1:2], v[1:2], v[84:85]
	v_add_f64 v[3:4], v[3:4], v[80:81]
	s_andn2_b32 exec_lo, exec_lo, s5
	s_cbranch_execnz .LBB99_136
; %bb.137:
	s_or_b32 exec_lo, exec_lo, s5
.LBB99_138:
	s_or_b32 exec_lo, exec_lo, s8
	v_mov_b32_e32 v79, 0
	ds_read_b128 v[79:82], v79 offset:288
	s_waitcnt lgkmcnt(0)
	v_mul_f64 v[84:85], v[3:4], v[81:82]
	v_mul_f64 v[81:82], v[1:2], v[81:82]
	v_fma_f64 v[1:2], v[1:2], v[79:80], -v[84:85]
	v_fma_f64 v[3:4], v[3:4], v[79:80], v[81:82]
	buffer_store_dword v2, off, s[0:3], 0 offset:292
	buffer_store_dword v1, off, s[0:3], 0 offset:288
	buffer_store_dword v4, off, s[0:3], 0 offset:300
	buffer_store_dword v3, off, s[0:3], 0 offset:296
.LBB99_139:
	s_or_b32 exec_lo, exec_lo, s6
	v_mov_b32_e32 v4, s26
	v_cmp_lt_u32_e64 s5, 17, v0
	s_clause 0x3
	buffer_load_dword v1, v4, s[0:3], 0 offen
	buffer_load_dword v2, v4, s[0:3], 0 offen offset:4
	buffer_load_dword v3, v4, s[0:3], 0 offen offset:8
	buffer_load_dword v4, v4, s[0:3], 0 offen offset:12
	s_waitcnt vmcnt(0)
	ds_write_b128 v78, v[1:4]
	s_waitcnt lgkmcnt(0)
	s_waitcnt_vscnt null, 0x0
	s_barrier
	buffer_gl0_inv
	s_and_saveexec_b32 s6, s5
	s_cbranch_execz .LBB99_147
; %bb.140:
	ds_read_b128 v[1:4], v78
	s_andn2_b32 vcc_lo, exec_lo, s44
	s_cbranch_vccnz .LBB99_142
; %bb.141:
	s_clause 0x3
	buffer_load_dword v79, v77, s[0:3], 0 offen offset:8
	buffer_load_dword v80, v77, s[0:3], 0 offen offset:12
	buffer_load_dword v81, v77, s[0:3], 0 offen
	buffer_load_dword v82, v77, s[0:3], 0 offen offset:4
	s_waitcnt vmcnt(2) lgkmcnt(0)
	v_mul_f64 v[84:85], v[3:4], v[79:80]
	v_mul_f64 v[79:80], v[1:2], v[79:80]
	s_waitcnt vmcnt(0)
	v_fma_f64 v[1:2], v[1:2], v[81:82], -v[84:85]
	v_fma_f64 v[3:4], v[3:4], v[81:82], v[79:80]
.LBB99_142:
	s_and_saveexec_b32 s8, s4
	s_cbranch_execz .LBB99_146
; %bb.143:
	v_subrev_nc_u32_e32 v79, 18, v0
	s_movk_i32 s45, 0x360
	s_mov_b32 s4, 0
	s_mov_b32 s46, s25
	.p2align	6
.LBB99_144:                             ; =>This Inner Loop Header: Depth=1
	v_mov_b32_e32 v82, s46
	v_add_nc_u32_e32 v79, -1, v79
	s_add_i32 s46, s46, 16
	s_clause 0x3
	buffer_load_dword v80, v82, s[0:3], 0 offen offset:8
	buffer_load_dword v81, v82, s[0:3], 0 offen offset:12
	buffer_load_dword v88, v82, s[0:3], 0 offen
	buffer_load_dword v89, v82, s[0:3], 0 offen offset:4
	v_mov_b32_e32 v82, s45
	v_cmp_eq_u32_e32 vcc_lo, 0, v79
	s_add_i32 s45, s45, 16
	ds_read_b128 v[84:87], v82
	s_or_b32 s4, vcc_lo, s4
	s_waitcnt vmcnt(2) lgkmcnt(0)
	v_mul_f64 v[90:91], v[86:87], v[80:81]
	v_mul_f64 v[80:81], v[84:85], v[80:81]
	s_waitcnt vmcnt(0)
	v_fma_f64 v[84:85], v[84:85], v[88:89], -v[90:91]
	v_fma_f64 v[80:81], v[86:87], v[88:89], v[80:81]
	v_add_f64 v[1:2], v[1:2], v[84:85]
	v_add_f64 v[3:4], v[3:4], v[80:81]
	s_andn2_b32 exec_lo, exec_lo, s4
	s_cbranch_execnz .LBB99_144
; %bb.145:
	s_or_b32 exec_lo, exec_lo, s4
.LBB99_146:
	s_or_b32 exec_lo, exec_lo, s8
	v_mov_b32_e32 v79, 0
	ds_read_b128 v[79:82], v79 offset:272
	s_waitcnt lgkmcnt(0)
	v_mul_f64 v[84:85], v[3:4], v[81:82]
	v_mul_f64 v[81:82], v[1:2], v[81:82]
	v_fma_f64 v[1:2], v[1:2], v[79:80], -v[84:85]
	v_fma_f64 v[3:4], v[3:4], v[79:80], v[81:82]
	buffer_store_dword v2, off, s[0:3], 0 offset:276
	buffer_store_dword v1, off, s[0:3], 0 offset:272
	;; [unrolled: 1-line block ×4, first 2 shown]
.LBB99_147:
	s_or_b32 exec_lo, exec_lo, s6
	v_mov_b32_e32 v4, s27
	v_cmp_lt_u32_e64 s4, 16, v0
	s_clause 0x3
	buffer_load_dword v1, v4, s[0:3], 0 offen
	buffer_load_dword v2, v4, s[0:3], 0 offen offset:4
	buffer_load_dword v3, v4, s[0:3], 0 offen offset:8
	;; [unrolled: 1-line block ×3, first 2 shown]
	s_waitcnt vmcnt(0)
	ds_write_b128 v78, v[1:4]
	s_waitcnt lgkmcnt(0)
	s_waitcnt_vscnt null, 0x0
	s_barrier
	buffer_gl0_inv
	s_and_saveexec_b32 s6, s4
	s_cbranch_execz .LBB99_155
; %bb.148:
	ds_read_b128 v[1:4], v78
	s_andn2_b32 vcc_lo, exec_lo, s44
	s_cbranch_vccnz .LBB99_150
; %bb.149:
	s_clause 0x3
	buffer_load_dword v79, v77, s[0:3], 0 offen offset:8
	buffer_load_dword v80, v77, s[0:3], 0 offen offset:12
	buffer_load_dword v81, v77, s[0:3], 0 offen
	buffer_load_dword v82, v77, s[0:3], 0 offen offset:4
	s_waitcnt vmcnt(2) lgkmcnt(0)
	v_mul_f64 v[84:85], v[3:4], v[79:80]
	v_mul_f64 v[79:80], v[1:2], v[79:80]
	s_waitcnt vmcnt(0)
	v_fma_f64 v[1:2], v[1:2], v[81:82], -v[84:85]
	v_fma_f64 v[3:4], v[3:4], v[81:82], v[79:80]
.LBB99_150:
	s_and_saveexec_b32 s8, s5
	s_cbranch_execz .LBB99_154
; %bb.151:
	v_subrev_nc_u32_e32 v79, 17, v0
	s_movk_i32 s45, 0x350
	s_mov_b32 s5, 0
	s_mov_b32 s46, s26
	.p2align	6
.LBB99_152:                             ; =>This Inner Loop Header: Depth=1
	v_mov_b32_e32 v82, s46
	v_add_nc_u32_e32 v79, -1, v79
	s_add_i32 s46, s46, 16
	s_clause 0x3
	buffer_load_dword v80, v82, s[0:3], 0 offen offset:8
	buffer_load_dword v81, v82, s[0:3], 0 offen offset:12
	buffer_load_dword v88, v82, s[0:3], 0 offen
	buffer_load_dword v89, v82, s[0:3], 0 offen offset:4
	v_mov_b32_e32 v82, s45
	v_cmp_eq_u32_e32 vcc_lo, 0, v79
	s_add_i32 s45, s45, 16
	ds_read_b128 v[84:87], v82
	s_or_b32 s5, vcc_lo, s5
	s_waitcnt vmcnt(2) lgkmcnt(0)
	v_mul_f64 v[90:91], v[86:87], v[80:81]
	v_mul_f64 v[80:81], v[84:85], v[80:81]
	s_waitcnt vmcnt(0)
	v_fma_f64 v[84:85], v[84:85], v[88:89], -v[90:91]
	v_fma_f64 v[80:81], v[86:87], v[88:89], v[80:81]
	v_add_f64 v[1:2], v[1:2], v[84:85]
	v_add_f64 v[3:4], v[3:4], v[80:81]
	s_andn2_b32 exec_lo, exec_lo, s5
	s_cbranch_execnz .LBB99_152
; %bb.153:
	s_or_b32 exec_lo, exec_lo, s5
.LBB99_154:
	s_or_b32 exec_lo, exec_lo, s8
	v_mov_b32_e32 v79, 0
	ds_read_b128 v[79:82], v79 offset:256
	s_waitcnt lgkmcnt(0)
	v_mul_f64 v[84:85], v[3:4], v[81:82]
	v_mul_f64 v[81:82], v[1:2], v[81:82]
	v_fma_f64 v[1:2], v[1:2], v[79:80], -v[84:85]
	v_fma_f64 v[3:4], v[3:4], v[79:80], v[81:82]
	buffer_store_dword v2, off, s[0:3], 0 offset:260
	buffer_store_dword v1, off, s[0:3], 0 offset:256
	;; [unrolled: 1-line block ×4, first 2 shown]
.LBB99_155:
	s_or_b32 exec_lo, exec_lo, s6
	v_mov_b32_e32 v4, s28
	v_cmp_lt_u32_e64 s5, 15, v0
	s_clause 0x3
	buffer_load_dword v1, v4, s[0:3], 0 offen
	buffer_load_dword v2, v4, s[0:3], 0 offen offset:4
	buffer_load_dword v3, v4, s[0:3], 0 offen offset:8
	;; [unrolled: 1-line block ×3, first 2 shown]
	s_waitcnt vmcnt(0)
	ds_write_b128 v78, v[1:4]
	s_waitcnt lgkmcnt(0)
	s_waitcnt_vscnt null, 0x0
	s_barrier
	buffer_gl0_inv
	s_and_saveexec_b32 s6, s5
	s_cbranch_execz .LBB99_163
; %bb.156:
	ds_read_b128 v[1:4], v78
	s_andn2_b32 vcc_lo, exec_lo, s44
	s_cbranch_vccnz .LBB99_158
; %bb.157:
	s_clause 0x3
	buffer_load_dword v79, v77, s[0:3], 0 offen offset:8
	buffer_load_dword v80, v77, s[0:3], 0 offen offset:12
	buffer_load_dword v81, v77, s[0:3], 0 offen
	buffer_load_dword v82, v77, s[0:3], 0 offen offset:4
	s_waitcnt vmcnt(2) lgkmcnt(0)
	v_mul_f64 v[84:85], v[3:4], v[79:80]
	v_mul_f64 v[79:80], v[1:2], v[79:80]
	s_waitcnt vmcnt(0)
	v_fma_f64 v[1:2], v[1:2], v[81:82], -v[84:85]
	v_fma_f64 v[3:4], v[3:4], v[81:82], v[79:80]
.LBB99_158:
	s_and_saveexec_b32 s8, s4
	s_cbranch_execz .LBB99_162
; %bb.159:
	v_add_nc_u32_e32 v79, -16, v0
	s_movk_i32 s45, 0x340
	s_mov_b32 s4, 0
	s_mov_b32 s46, s27
	.p2align	6
.LBB99_160:                             ; =>This Inner Loop Header: Depth=1
	v_mov_b32_e32 v82, s46
	v_add_nc_u32_e32 v79, -1, v79
	s_add_i32 s46, s46, 16
	s_clause 0x3
	buffer_load_dword v80, v82, s[0:3], 0 offen offset:8
	buffer_load_dword v81, v82, s[0:3], 0 offen offset:12
	buffer_load_dword v88, v82, s[0:3], 0 offen
	buffer_load_dword v89, v82, s[0:3], 0 offen offset:4
	v_mov_b32_e32 v82, s45
	v_cmp_eq_u32_e32 vcc_lo, 0, v79
	s_add_i32 s45, s45, 16
	ds_read_b128 v[84:87], v82
	s_or_b32 s4, vcc_lo, s4
	s_waitcnt vmcnt(2) lgkmcnt(0)
	v_mul_f64 v[90:91], v[86:87], v[80:81]
	v_mul_f64 v[80:81], v[84:85], v[80:81]
	s_waitcnt vmcnt(0)
	v_fma_f64 v[84:85], v[84:85], v[88:89], -v[90:91]
	v_fma_f64 v[80:81], v[86:87], v[88:89], v[80:81]
	v_add_f64 v[1:2], v[1:2], v[84:85]
	v_add_f64 v[3:4], v[3:4], v[80:81]
	s_andn2_b32 exec_lo, exec_lo, s4
	s_cbranch_execnz .LBB99_160
; %bb.161:
	s_or_b32 exec_lo, exec_lo, s4
.LBB99_162:
	s_or_b32 exec_lo, exec_lo, s8
	v_mov_b32_e32 v79, 0
	ds_read_b128 v[79:82], v79 offset:240
	s_waitcnt lgkmcnt(0)
	v_mul_f64 v[84:85], v[3:4], v[81:82]
	v_mul_f64 v[81:82], v[1:2], v[81:82]
	v_fma_f64 v[1:2], v[1:2], v[79:80], -v[84:85]
	v_fma_f64 v[3:4], v[3:4], v[79:80], v[81:82]
	buffer_store_dword v2, off, s[0:3], 0 offset:244
	buffer_store_dword v1, off, s[0:3], 0 offset:240
	;; [unrolled: 1-line block ×4, first 2 shown]
.LBB99_163:
	s_or_b32 exec_lo, exec_lo, s6
	v_mov_b32_e32 v4, s29
	v_cmp_lt_u32_e64 s4, 14, v0
	s_clause 0x3
	buffer_load_dword v1, v4, s[0:3], 0 offen
	buffer_load_dword v2, v4, s[0:3], 0 offen offset:4
	buffer_load_dword v3, v4, s[0:3], 0 offen offset:8
	;; [unrolled: 1-line block ×3, first 2 shown]
	s_waitcnt vmcnt(0)
	ds_write_b128 v78, v[1:4]
	s_waitcnt lgkmcnt(0)
	s_waitcnt_vscnt null, 0x0
	s_barrier
	buffer_gl0_inv
	s_and_saveexec_b32 s6, s4
	s_cbranch_execz .LBB99_171
; %bb.164:
	ds_read_b128 v[1:4], v78
	s_andn2_b32 vcc_lo, exec_lo, s44
	s_cbranch_vccnz .LBB99_166
; %bb.165:
	s_clause 0x3
	buffer_load_dword v79, v77, s[0:3], 0 offen offset:8
	buffer_load_dword v80, v77, s[0:3], 0 offen offset:12
	buffer_load_dword v81, v77, s[0:3], 0 offen
	buffer_load_dword v82, v77, s[0:3], 0 offen offset:4
	s_waitcnt vmcnt(2) lgkmcnt(0)
	v_mul_f64 v[84:85], v[3:4], v[79:80]
	v_mul_f64 v[79:80], v[1:2], v[79:80]
	s_waitcnt vmcnt(0)
	v_fma_f64 v[1:2], v[1:2], v[81:82], -v[84:85]
	v_fma_f64 v[3:4], v[3:4], v[81:82], v[79:80]
.LBB99_166:
	s_and_saveexec_b32 s8, s5
	s_cbranch_execz .LBB99_170
; %bb.167:
	v_add_nc_u32_e32 v79, -15, v0
	s_movk_i32 s45, 0x330
	s_mov_b32 s5, 0
	s_mov_b32 s46, s28
	.p2align	6
.LBB99_168:                             ; =>This Inner Loop Header: Depth=1
	v_mov_b32_e32 v82, s46
	v_add_nc_u32_e32 v79, -1, v79
	s_add_i32 s46, s46, 16
	s_clause 0x3
	buffer_load_dword v80, v82, s[0:3], 0 offen offset:8
	buffer_load_dword v81, v82, s[0:3], 0 offen offset:12
	buffer_load_dword v88, v82, s[0:3], 0 offen
	buffer_load_dword v89, v82, s[0:3], 0 offen offset:4
	v_mov_b32_e32 v82, s45
	v_cmp_eq_u32_e32 vcc_lo, 0, v79
	s_add_i32 s45, s45, 16
	ds_read_b128 v[84:87], v82
	s_or_b32 s5, vcc_lo, s5
	s_waitcnt vmcnt(2) lgkmcnt(0)
	v_mul_f64 v[90:91], v[86:87], v[80:81]
	v_mul_f64 v[80:81], v[84:85], v[80:81]
	s_waitcnt vmcnt(0)
	v_fma_f64 v[84:85], v[84:85], v[88:89], -v[90:91]
	v_fma_f64 v[80:81], v[86:87], v[88:89], v[80:81]
	v_add_f64 v[1:2], v[1:2], v[84:85]
	v_add_f64 v[3:4], v[3:4], v[80:81]
	s_andn2_b32 exec_lo, exec_lo, s5
	s_cbranch_execnz .LBB99_168
; %bb.169:
	s_or_b32 exec_lo, exec_lo, s5
.LBB99_170:
	s_or_b32 exec_lo, exec_lo, s8
	v_mov_b32_e32 v79, 0
	ds_read_b128 v[79:82], v79 offset:224
	s_waitcnt lgkmcnt(0)
	v_mul_f64 v[84:85], v[3:4], v[81:82]
	v_mul_f64 v[81:82], v[1:2], v[81:82]
	v_fma_f64 v[1:2], v[1:2], v[79:80], -v[84:85]
	v_fma_f64 v[3:4], v[3:4], v[79:80], v[81:82]
	buffer_store_dword v2, off, s[0:3], 0 offset:228
	buffer_store_dword v1, off, s[0:3], 0 offset:224
	;; [unrolled: 1-line block ×4, first 2 shown]
.LBB99_171:
	s_or_b32 exec_lo, exec_lo, s6
	v_mov_b32_e32 v4, s30
	v_cmp_lt_u32_e64 s5, 13, v0
	s_clause 0x3
	buffer_load_dword v1, v4, s[0:3], 0 offen
	buffer_load_dword v2, v4, s[0:3], 0 offen offset:4
	buffer_load_dword v3, v4, s[0:3], 0 offen offset:8
	;; [unrolled: 1-line block ×3, first 2 shown]
	s_waitcnt vmcnt(0)
	ds_write_b128 v78, v[1:4]
	s_waitcnt lgkmcnt(0)
	s_waitcnt_vscnt null, 0x0
	s_barrier
	buffer_gl0_inv
	s_and_saveexec_b32 s6, s5
	s_cbranch_execz .LBB99_179
; %bb.172:
	ds_read_b128 v[1:4], v78
	s_andn2_b32 vcc_lo, exec_lo, s44
	s_cbranch_vccnz .LBB99_174
; %bb.173:
	s_clause 0x3
	buffer_load_dword v79, v77, s[0:3], 0 offen offset:8
	buffer_load_dword v80, v77, s[0:3], 0 offen offset:12
	buffer_load_dword v81, v77, s[0:3], 0 offen
	buffer_load_dword v82, v77, s[0:3], 0 offen offset:4
	s_waitcnt vmcnt(2) lgkmcnt(0)
	v_mul_f64 v[84:85], v[3:4], v[79:80]
	v_mul_f64 v[79:80], v[1:2], v[79:80]
	s_waitcnt vmcnt(0)
	v_fma_f64 v[1:2], v[1:2], v[81:82], -v[84:85]
	v_fma_f64 v[3:4], v[3:4], v[81:82], v[79:80]
.LBB99_174:
	s_and_saveexec_b32 s8, s4
	s_cbranch_execz .LBB99_178
; %bb.175:
	v_add_nc_u32_e32 v79, -14, v0
	s_movk_i32 s45, 0x320
	s_mov_b32 s4, 0
	s_mov_b32 s46, s29
	.p2align	6
.LBB99_176:                             ; =>This Inner Loop Header: Depth=1
	v_mov_b32_e32 v82, s46
	v_add_nc_u32_e32 v79, -1, v79
	s_add_i32 s46, s46, 16
	s_clause 0x3
	buffer_load_dword v80, v82, s[0:3], 0 offen offset:8
	buffer_load_dword v81, v82, s[0:3], 0 offen offset:12
	buffer_load_dword v88, v82, s[0:3], 0 offen
	buffer_load_dword v89, v82, s[0:3], 0 offen offset:4
	v_mov_b32_e32 v82, s45
	v_cmp_eq_u32_e32 vcc_lo, 0, v79
	s_add_i32 s45, s45, 16
	ds_read_b128 v[84:87], v82
	s_or_b32 s4, vcc_lo, s4
	s_waitcnt vmcnt(2) lgkmcnt(0)
	v_mul_f64 v[90:91], v[86:87], v[80:81]
	v_mul_f64 v[80:81], v[84:85], v[80:81]
	s_waitcnt vmcnt(0)
	v_fma_f64 v[84:85], v[84:85], v[88:89], -v[90:91]
	v_fma_f64 v[80:81], v[86:87], v[88:89], v[80:81]
	v_add_f64 v[1:2], v[1:2], v[84:85]
	v_add_f64 v[3:4], v[3:4], v[80:81]
	s_andn2_b32 exec_lo, exec_lo, s4
	s_cbranch_execnz .LBB99_176
; %bb.177:
	s_or_b32 exec_lo, exec_lo, s4
.LBB99_178:
	s_or_b32 exec_lo, exec_lo, s8
	v_mov_b32_e32 v79, 0
	ds_read_b128 v[79:82], v79 offset:208
	s_waitcnt lgkmcnt(0)
	v_mul_f64 v[84:85], v[3:4], v[81:82]
	v_mul_f64 v[81:82], v[1:2], v[81:82]
	v_fma_f64 v[1:2], v[1:2], v[79:80], -v[84:85]
	v_fma_f64 v[3:4], v[3:4], v[79:80], v[81:82]
	buffer_store_dword v2, off, s[0:3], 0 offset:212
	buffer_store_dword v1, off, s[0:3], 0 offset:208
	;; [unrolled: 1-line block ×4, first 2 shown]
.LBB99_179:
	s_or_b32 exec_lo, exec_lo, s6
	v_mov_b32_e32 v4, s31
	v_cmp_lt_u32_e64 s4, 12, v0
	s_clause 0x3
	buffer_load_dword v1, v4, s[0:3], 0 offen
	buffer_load_dword v2, v4, s[0:3], 0 offen offset:4
	buffer_load_dword v3, v4, s[0:3], 0 offen offset:8
	;; [unrolled: 1-line block ×3, first 2 shown]
	s_waitcnt vmcnt(0)
	ds_write_b128 v78, v[1:4]
	s_waitcnt lgkmcnt(0)
	s_waitcnt_vscnt null, 0x0
	s_barrier
	buffer_gl0_inv
	s_and_saveexec_b32 s6, s4
	s_cbranch_execz .LBB99_187
; %bb.180:
	ds_read_b128 v[1:4], v78
	s_andn2_b32 vcc_lo, exec_lo, s44
	s_cbranch_vccnz .LBB99_182
; %bb.181:
	s_clause 0x3
	buffer_load_dword v79, v77, s[0:3], 0 offen offset:8
	buffer_load_dword v80, v77, s[0:3], 0 offen offset:12
	buffer_load_dword v81, v77, s[0:3], 0 offen
	buffer_load_dword v82, v77, s[0:3], 0 offen offset:4
	s_waitcnt vmcnt(2) lgkmcnt(0)
	v_mul_f64 v[84:85], v[3:4], v[79:80]
	v_mul_f64 v[79:80], v[1:2], v[79:80]
	s_waitcnt vmcnt(0)
	v_fma_f64 v[1:2], v[1:2], v[81:82], -v[84:85]
	v_fma_f64 v[3:4], v[3:4], v[81:82], v[79:80]
.LBB99_182:
	s_and_saveexec_b32 s8, s5
	s_cbranch_execz .LBB99_186
; %bb.183:
	v_add_nc_u32_e32 v79, -13, v0
	s_movk_i32 s45, 0x310
	s_mov_b32 s5, 0
	s_mov_b32 s46, s30
	.p2align	6
.LBB99_184:                             ; =>This Inner Loop Header: Depth=1
	v_mov_b32_e32 v82, s46
	v_add_nc_u32_e32 v79, -1, v79
	s_add_i32 s46, s46, 16
	s_clause 0x3
	buffer_load_dword v80, v82, s[0:3], 0 offen offset:8
	buffer_load_dword v81, v82, s[0:3], 0 offen offset:12
	buffer_load_dword v88, v82, s[0:3], 0 offen
	buffer_load_dword v89, v82, s[0:3], 0 offen offset:4
	v_mov_b32_e32 v82, s45
	v_cmp_eq_u32_e32 vcc_lo, 0, v79
	s_add_i32 s45, s45, 16
	ds_read_b128 v[84:87], v82
	s_or_b32 s5, vcc_lo, s5
	s_waitcnt vmcnt(2) lgkmcnt(0)
	v_mul_f64 v[90:91], v[86:87], v[80:81]
	v_mul_f64 v[80:81], v[84:85], v[80:81]
	s_waitcnt vmcnt(0)
	v_fma_f64 v[84:85], v[84:85], v[88:89], -v[90:91]
	v_fma_f64 v[80:81], v[86:87], v[88:89], v[80:81]
	v_add_f64 v[1:2], v[1:2], v[84:85]
	v_add_f64 v[3:4], v[3:4], v[80:81]
	s_andn2_b32 exec_lo, exec_lo, s5
	s_cbranch_execnz .LBB99_184
; %bb.185:
	s_or_b32 exec_lo, exec_lo, s5
.LBB99_186:
	s_or_b32 exec_lo, exec_lo, s8
	v_mov_b32_e32 v79, 0
	ds_read_b128 v[79:82], v79 offset:192
	s_waitcnt lgkmcnt(0)
	v_mul_f64 v[84:85], v[3:4], v[81:82]
	v_mul_f64 v[81:82], v[1:2], v[81:82]
	v_fma_f64 v[1:2], v[1:2], v[79:80], -v[84:85]
	v_fma_f64 v[3:4], v[3:4], v[79:80], v[81:82]
	buffer_store_dword v2, off, s[0:3], 0 offset:196
	buffer_store_dword v1, off, s[0:3], 0 offset:192
	;; [unrolled: 1-line block ×4, first 2 shown]
.LBB99_187:
	s_or_b32 exec_lo, exec_lo, s6
	v_mov_b32_e32 v4, s33
	v_cmp_lt_u32_e64 s5, 11, v0
	s_clause 0x3
	buffer_load_dword v1, v4, s[0:3], 0 offen
	buffer_load_dword v2, v4, s[0:3], 0 offen offset:4
	buffer_load_dword v3, v4, s[0:3], 0 offen offset:8
	;; [unrolled: 1-line block ×3, first 2 shown]
	s_waitcnt vmcnt(0)
	ds_write_b128 v78, v[1:4]
	s_waitcnt lgkmcnt(0)
	s_waitcnt_vscnt null, 0x0
	s_barrier
	buffer_gl0_inv
	s_and_saveexec_b32 s6, s5
	s_cbranch_execz .LBB99_195
; %bb.188:
	ds_read_b128 v[1:4], v78
	s_andn2_b32 vcc_lo, exec_lo, s44
	s_cbranch_vccnz .LBB99_190
; %bb.189:
	s_clause 0x3
	buffer_load_dword v79, v77, s[0:3], 0 offen offset:8
	buffer_load_dword v80, v77, s[0:3], 0 offen offset:12
	buffer_load_dword v81, v77, s[0:3], 0 offen
	buffer_load_dword v82, v77, s[0:3], 0 offen offset:4
	s_waitcnt vmcnt(2) lgkmcnt(0)
	v_mul_f64 v[84:85], v[3:4], v[79:80]
	v_mul_f64 v[79:80], v[1:2], v[79:80]
	s_waitcnt vmcnt(0)
	v_fma_f64 v[1:2], v[1:2], v[81:82], -v[84:85]
	v_fma_f64 v[3:4], v[3:4], v[81:82], v[79:80]
.LBB99_190:
	s_and_saveexec_b32 s8, s4
	s_cbranch_execz .LBB99_194
; %bb.191:
	v_add_nc_u32_e32 v79, -12, v0
	s_movk_i32 s45, 0x300
	s_mov_b32 s4, 0
	s_mov_b32 s46, s31
	.p2align	6
.LBB99_192:                             ; =>This Inner Loop Header: Depth=1
	v_mov_b32_e32 v82, s46
	v_add_nc_u32_e32 v79, -1, v79
	s_add_i32 s46, s46, 16
	s_clause 0x3
	buffer_load_dword v80, v82, s[0:3], 0 offen offset:8
	buffer_load_dword v81, v82, s[0:3], 0 offen offset:12
	buffer_load_dword v88, v82, s[0:3], 0 offen
	buffer_load_dword v89, v82, s[0:3], 0 offen offset:4
	v_mov_b32_e32 v82, s45
	v_cmp_eq_u32_e32 vcc_lo, 0, v79
	s_add_i32 s45, s45, 16
	ds_read_b128 v[84:87], v82
	s_or_b32 s4, vcc_lo, s4
	s_waitcnt vmcnt(2) lgkmcnt(0)
	v_mul_f64 v[90:91], v[86:87], v[80:81]
	v_mul_f64 v[80:81], v[84:85], v[80:81]
	s_waitcnt vmcnt(0)
	v_fma_f64 v[84:85], v[84:85], v[88:89], -v[90:91]
	v_fma_f64 v[80:81], v[86:87], v[88:89], v[80:81]
	v_add_f64 v[1:2], v[1:2], v[84:85]
	v_add_f64 v[3:4], v[3:4], v[80:81]
	s_andn2_b32 exec_lo, exec_lo, s4
	s_cbranch_execnz .LBB99_192
; %bb.193:
	s_or_b32 exec_lo, exec_lo, s4
.LBB99_194:
	s_or_b32 exec_lo, exec_lo, s8
	v_mov_b32_e32 v79, 0
	ds_read_b128 v[79:82], v79 offset:176
	s_waitcnt lgkmcnt(0)
	v_mul_f64 v[84:85], v[3:4], v[81:82]
	v_mul_f64 v[81:82], v[1:2], v[81:82]
	v_fma_f64 v[1:2], v[1:2], v[79:80], -v[84:85]
	v_fma_f64 v[3:4], v[3:4], v[79:80], v[81:82]
	buffer_store_dword v2, off, s[0:3], 0 offset:180
	buffer_store_dword v1, off, s[0:3], 0 offset:176
	;; [unrolled: 1-line block ×4, first 2 shown]
.LBB99_195:
	s_or_b32 exec_lo, exec_lo, s6
	v_mov_b32_e32 v4, s34
	v_cmp_lt_u32_e64 s4, 10, v0
	s_clause 0x3
	buffer_load_dword v1, v4, s[0:3], 0 offen
	buffer_load_dword v2, v4, s[0:3], 0 offen offset:4
	buffer_load_dword v3, v4, s[0:3], 0 offen offset:8
	;; [unrolled: 1-line block ×3, first 2 shown]
	s_waitcnt vmcnt(0)
	ds_write_b128 v78, v[1:4]
	s_waitcnt lgkmcnt(0)
	s_waitcnt_vscnt null, 0x0
	s_barrier
	buffer_gl0_inv
	s_and_saveexec_b32 s6, s4
	s_cbranch_execz .LBB99_203
; %bb.196:
	ds_read_b128 v[1:4], v78
	s_andn2_b32 vcc_lo, exec_lo, s44
	s_cbranch_vccnz .LBB99_198
; %bb.197:
	s_clause 0x3
	buffer_load_dword v79, v77, s[0:3], 0 offen offset:8
	buffer_load_dword v80, v77, s[0:3], 0 offen offset:12
	buffer_load_dword v81, v77, s[0:3], 0 offen
	buffer_load_dword v82, v77, s[0:3], 0 offen offset:4
	s_waitcnt vmcnt(2) lgkmcnt(0)
	v_mul_f64 v[84:85], v[3:4], v[79:80]
	v_mul_f64 v[79:80], v[1:2], v[79:80]
	s_waitcnt vmcnt(0)
	v_fma_f64 v[1:2], v[1:2], v[81:82], -v[84:85]
	v_fma_f64 v[3:4], v[3:4], v[81:82], v[79:80]
.LBB99_198:
	s_and_saveexec_b32 s8, s5
	s_cbranch_execz .LBB99_202
; %bb.199:
	v_add_nc_u32_e32 v79, -11, v0
	s_movk_i32 s45, 0x2f0
	s_mov_b32 s5, 0
	s_mov_b32 s46, s33
	.p2align	6
.LBB99_200:                             ; =>This Inner Loop Header: Depth=1
	v_mov_b32_e32 v82, s46
	v_add_nc_u32_e32 v79, -1, v79
	s_add_i32 s46, s46, 16
	s_clause 0x3
	buffer_load_dword v80, v82, s[0:3], 0 offen offset:8
	buffer_load_dword v81, v82, s[0:3], 0 offen offset:12
	buffer_load_dword v88, v82, s[0:3], 0 offen
	buffer_load_dword v89, v82, s[0:3], 0 offen offset:4
	v_mov_b32_e32 v82, s45
	v_cmp_eq_u32_e32 vcc_lo, 0, v79
	s_add_i32 s45, s45, 16
	ds_read_b128 v[84:87], v82
	s_or_b32 s5, vcc_lo, s5
	s_waitcnt vmcnt(2) lgkmcnt(0)
	v_mul_f64 v[90:91], v[86:87], v[80:81]
	v_mul_f64 v[80:81], v[84:85], v[80:81]
	s_waitcnt vmcnt(0)
	v_fma_f64 v[84:85], v[84:85], v[88:89], -v[90:91]
	v_fma_f64 v[80:81], v[86:87], v[88:89], v[80:81]
	v_add_f64 v[1:2], v[1:2], v[84:85]
	v_add_f64 v[3:4], v[3:4], v[80:81]
	s_andn2_b32 exec_lo, exec_lo, s5
	s_cbranch_execnz .LBB99_200
; %bb.201:
	s_or_b32 exec_lo, exec_lo, s5
.LBB99_202:
	s_or_b32 exec_lo, exec_lo, s8
	v_mov_b32_e32 v79, 0
	ds_read_b128 v[79:82], v79 offset:160
	s_waitcnt lgkmcnt(0)
	v_mul_f64 v[84:85], v[3:4], v[81:82]
	v_mul_f64 v[81:82], v[1:2], v[81:82]
	v_fma_f64 v[1:2], v[1:2], v[79:80], -v[84:85]
	v_fma_f64 v[3:4], v[3:4], v[79:80], v[81:82]
	buffer_store_dword v2, off, s[0:3], 0 offset:164
	buffer_store_dword v1, off, s[0:3], 0 offset:160
	;; [unrolled: 1-line block ×4, first 2 shown]
.LBB99_203:
	s_or_b32 exec_lo, exec_lo, s6
	v_mov_b32_e32 v4, s35
	v_cmp_lt_u32_e64 s5, 9, v0
	s_clause 0x3
	buffer_load_dword v1, v4, s[0:3], 0 offen
	buffer_load_dword v2, v4, s[0:3], 0 offen offset:4
	buffer_load_dword v3, v4, s[0:3], 0 offen offset:8
	;; [unrolled: 1-line block ×3, first 2 shown]
	s_waitcnt vmcnt(0)
	ds_write_b128 v78, v[1:4]
	s_waitcnt lgkmcnt(0)
	s_waitcnt_vscnt null, 0x0
	s_barrier
	buffer_gl0_inv
	s_and_saveexec_b32 s6, s5
	s_cbranch_execz .LBB99_211
; %bb.204:
	ds_read_b128 v[1:4], v78
	s_andn2_b32 vcc_lo, exec_lo, s44
	s_cbranch_vccnz .LBB99_206
; %bb.205:
	s_clause 0x3
	buffer_load_dword v79, v77, s[0:3], 0 offen offset:8
	buffer_load_dword v80, v77, s[0:3], 0 offen offset:12
	buffer_load_dword v81, v77, s[0:3], 0 offen
	buffer_load_dword v82, v77, s[0:3], 0 offen offset:4
	s_waitcnt vmcnt(2) lgkmcnt(0)
	v_mul_f64 v[84:85], v[3:4], v[79:80]
	v_mul_f64 v[79:80], v[1:2], v[79:80]
	s_waitcnt vmcnt(0)
	v_fma_f64 v[1:2], v[1:2], v[81:82], -v[84:85]
	v_fma_f64 v[3:4], v[3:4], v[81:82], v[79:80]
.LBB99_206:
	s_and_saveexec_b32 s8, s4
	s_cbranch_execz .LBB99_210
; %bb.207:
	v_add_nc_u32_e32 v79, -10, v0
	s_movk_i32 s45, 0x2e0
	s_mov_b32 s4, 0
	s_mov_b32 s46, s34
	.p2align	6
.LBB99_208:                             ; =>This Inner Loop Header: Depth=1
	v_mov_b32_e32 v82, s46
	v_add_nc_u32_e32 v79, -1, v79
	s_add_i32 s46, s46, 16
	s_clause 0x3
	buffer_load_dword v80, v82, s[0:3], 0 offen offset:8
	buffer_load_dword v81, v82, s[0:3], 0 offen offset:12
	buffer_load_dword v88, v82, s[0:3], 0 offen
	buffer_load_dword v89, v82, s[0:3], 0 offen offset:4
	v_mov_b32_e32 v82, s45
	v_cmp_eq_u32_e32 vcc_lo, 0, v79
	s_add_i32 s45, s45, 16
	ds_read_b128 v[84:87], v82
	s_or_b32 s4, vcc_lo, s4
	s_waitcnt vmcnt(2) lgkmcnt(0)
	v_mul_f64 v[90:91], v[86:87], v[80:81]
	v_mul_f64 v[80:81], v[84:85], v[80:81]
	s_waitcnt vmcnt(0)
	v_fma_f64 v[84:85], v[84:85], v[88:89], -v[90:91]
	v_fma_f64 v[80:81], v[86:87], v[88:89], v[80:81]
	v_add_f64 v[1:2], v[1:2], v[84:85]
	v_add_f64 v[3:4], v[3:4], v[80:81]
	s_andn2_b32 exec_lo, exec_lo, s4
	s_cbranch_execnz .LBB99_208
; %bb.209:
	s_or_b32 exec_lo, exec_lo, s4
.LBB99_210:
	s_or_b32 exec_lo, exec_lo, s8
	v_mov_b32_e32 v79, 0
	ds_read_b128 v[79:82], v79 offset:144
	s_waitcnt lgkmcnt(0)
	v_mul_f64 v[84:85], v[3:4], v[81:82]
	v_mul_f64 v[81:82], v[1:2], v[81:82]
	v_fma_f64 v[1:2], v[1:2], v[79:80], -v[84:85]
	v_fma_f64 v[3:4], v[3:4], v[79:80], v[81:82]
	buffer_store_dword v2, off, s[0:3], 0 offset:148
	buffer_store_dword v1, off, s[0:3], 0 offset:144
	;; [unrolled: 1-line block ×4, first 2 shown]
.LBB99_211:
	s_or_b32 exec_lo, exec_lo, s6
	v_mov_b32_e32 v4, s36
	v_cmp_lt_u32_e64 s4, 8, v0
	s_clause 0x3
	buffer_load_dword v1, v4, s[0:3], 0 offen
	buffer_load_dword v2, v4, s[0:3], 0 offen offset:4
	buffer_load_dword v3, v4, s[0:3], 0 offen offset:8
	buffer_load_dword v4, v4, s[0:3], 0 offen offset:12
	s_waitcnt vmcnt(0)
	ds_write_b128 v78, v[1:4]
	s_waitcnt lgkmcnt(0)
	s_waitcnt_vscnt null, 0x0
	s_barrier
	buffer_gl0_inv
	s_and_saveexec_b32 s6, s4
	s_cbranch_execz .LBB99_219
; %bb.212:
	ds_read_b128 v[1:4], v78
	s_andn2_b32 vcc_lo, exec_lo, s44
	s_cbranch_vccnz .LBB99_214
; %bb.213:
	s_clause 0x3
	buffer_load_dword v79, v77, s[0:3], 0 offen offset:8
	buffer_load_dword v80, v77, s[0:3], 0 offen offset:12
	buffer_load_dword v81, v77, s[0:3], 0 offen
	buffer_load_dword v82, v77, s[0:3], 0 offen offset:4
	s_waitcnt vmcnt(2) lgkmcnt(0)
	v_mul_f64 v[84:85], v[3:4], v[79:80]
	v_mul_f64 v[79:80], v[1:2], v[79:80]
	s_waitcnt vmcnt(0)
	v_fma_f64 v[1:2], v[1:2], v[81:82], -v[84:85]
	v_fma_f64 v[3:4], v[3:4], v[81:82], v[79:80]
.LBB99_214:
	s_and_saveexec_b32 s8, s5
	s_cbranch_execz .LBB99_218
; %bb.215:
	v_add_nc_u32_e32 v79, -9, v0
	s_movk_i32 s45, 0x2d0
	s_mov_b32 s5, 0
	s_mov_b32 s46, s35
	.p2align	6
.LBB99_216:                             ; =>This Inner Loop Header: Depth=1
	v_mov_b32_e32 v82, s46
	v_add_nc_u32_e32 v79, -1, v79
	s_add_i32 s46, s46, 16
	s_clause 0x3
	buffer_load_dword v80, v82, s[0:3], 0 offen offset:8
	buffer_load_dword v81, v82, s[0:3], 0 offen offset:12
	buffer_load_dword v88, v82, s[0:3], 0 offen
	buffer_load_dword v89, v82, s[0:3], 0 offen offset:4
	v_mov_b32_e32 v82, s45
	v_cmp_eq_u32_e32 vcc_lo, 0, v79
	s_add_i32 s45, s45, 16
	ds_read_b128 v[84:87], v82
	s_or_b32 s5, vcc_lo, s5
	s_waitcnt vmcnt(2) lgkmcnt(0)
	v_mul_f64 v[90:91], v[86:87], v[80:81]
	v_mul_f64 v[80:81], v[84:85], v[80:81]
	s_waitcnt vmcnt(0)
	v_fma_f64 v[84:85], v[84:85], v[88:89], -v[90:91]
	v_fma_f64 v[80:81], v[86:87], v[88:89], v[80:81]
	v_add_f64 v[1:2], v[1:2], v[84:85]
	v_add_f64 v[3:4], v[3:4], v[80:81]
	s_andn2_b32 exec_lo, exec_lo, s5
	s_cbranch_execnz .LBB99_216
; %bb.217:
	s_or_b32 exec_lo, exec_lo, s5
.LBB99_218:
	s_or_b32 exec_lo, exec_lo, s8
	v_mov_b32_e32 v79, 0
	ds_read_b128 v[79:82], v79 offset:128
	s_waitcnt lgkmcnt(0)
	v_mul_f64 v[84:85], v[3:4], v[81:82]
	v_mul_f64 v[81:82], v[1:2], v[81:82]
	v_fma_f64 v[1:2], v[1:2], v[79:80], -v[84:85]
	v_fma_f64 v[3:4], v[3:4], v[79:80], v[81:82]
	buffer_store_dword v2, off, s[0:3], 0 offset:132
	buffer_store_dword v1, off, s[0:3], 0 offset:128
	;; [unrolled: 1-line block ×4, first 2 shown]
.LBB99_219:
	s_or_b32 exec_lo, exec_lo, s6
	v_mov_b32_e32 v4, s37
	v_cmp_lt_u32_e64 s5, 7, v0
	s_clause 0x3
	buffer_load_dword v1, v4, s[0:3], 0 offen
	buffer_load_dword v2, v4, s[0:3], 0 offen offset:4
	buffer_load_dword v3, v4, s[0:3], 0 offen offset:8
	;; [unrolled: 1-line block ×3, first 2 shown]
	s_waitcnt vmcnt(0)
	ds_write_b128 v78, v[1:4]
	s_waitcnt lgkmcnt(0)
	s_waitcnt_vscnt null, 0x0
	s_barrier
	buffer_gl0_inv
	s_and_saveexec_b32 s6, s5
	s_cbranch_execz .LBB99_227
; %bb.220:
	ds_read_b128 v[1:4], v78
	s_andn2_b32 vcc_lo, exec_lo, s44
	s_cbranch_vccnz .LBB99_222
; %bb.221:
	s_clause 0x3
	buffer_load_dword v79, v77, s[0:3], 0 offen offset:8
	buffer_load_dword v80, v77, s[0:3], 0 offen offset:12
	buffer_load_dword v81, v77, s[0:3], 0 offen
	buffer_load_dword v82, v77, s[0:3], 0 offen offset:4
	s_waitcnt vmcnt(2) lgkmcnt(0)
	v_mul_f64 v[84:85], v[3:4], v[79:80]
	v_mul_f64 v[79:80], v[1:2], v[79:80]
	s_waitcnt vmcnt(0)
	v_fma_f64 v[1:2], v[1:2], v[81:82], -v[84:85]
	v_fma_f64 v[3:4], v[3:4], v[81:82], v[79:80]
.LBB99_222:
	s_and_saveexec_b32 s8, s4
	s_cbranch_execz .LBB99_226
; %bb.223:
	v_add_nc_u32_e32 v79, -8, v0
	s_movk_i32 s45, 0x2c0
	s_mov_b32 s4, 0
	s_mov_b32 s46, s36
	.p2align	6
.LBB99_224:                             ; =>This Inner Loop Header: Depth=1
	v_mov_b32_e32 v82, s46
	v_add_nc_u32_e32 v79, -1, v79
	s_add_i32 s46, s46, 16
	s_clause 0x3
	buffer_load_dword v80, v82, s[0:3], 0 offen offset:8
	buffer_load_dword v81, v82, s[0:3], 0 offen offset:12
	buffer_load_dword v88, v82, s[0:3], 0 offen
	buffer_load_dword v89, v82, s[0:3], 0 offen offset:4
	v_mov_b32_e32 v82, s45
	v_cmp_eq_u32_e32 vcc_lo, 0, v79
	s_add_i32 s45, s45, 16
	ds_read_b128 v[84:87], v82
	s_or_b32 s4, vcc_lo, s4
	s_waitcnt vmcnt(2) lgkmcnt(0)
	v_mul_f64 v[90:91], v[86:87], v[80:81]
	v_mul_f64 v[80:81], v[84:85], v[80:81]
	s_waitcnt vmcnt(0)
	v_fma_f64 v[84:85], v[84:85], v[88:89], -v[90:91]
	v_fma_f64 v[80:81], v[86:87], v[88:89], v[80:81]
	v_add_f64 v[1:2], v[1:2], v[84:85]
	v_add_f64 v[3:4], v[3:4], v[80:81]
	s_andn2_b32 exec_lo, exec_lo, s4
	s_cbranch_execnz .LBB99_224
; %bb.225:
	s_or_b32 exec_lo, exec_lo, s4
.LBB99_226:
	s_or_b32 exec_lo, exec_lo, s8
	v_mov_b32_e32 v79, 0
	ds_read_b128 v[79:82], v79 offset:112
	s_waitcnt lgkmcnt(0)
	v_mul_f64 v[84:85], v[3:4], v[81:82]
	v_mul_f64 v[81:82], v[1:2], v[81:82]
	v_fma_f64 v[1:2], v[1:2], v[79:80], -v[84:85]
	v_fma_f64 v[3:4], v[3:4], v[79:80], v[81:82]
	buffer_store_dword v2, off, s[0:3], 0 offset:116
	buffer_store_dword v1, off, s[0:3], 0 offset:112
	;; [unrolled: 1-line block ×4, first 2 shown]
.LBB99_227:
	s_or_b32 exec_lo, exec_lo, s6
	v_mov_b32_e32 v4, s38
	v_cmp_lt_u32_e64 s4, 6, v0
	s_clause 0x3
	buffer_load_dword v1, v4, s[0:3], 0 offen
	buffer_load_dword v2, v4, s[0:3], 0 offen offset:4
	buffer_load_dword v3, v4, s[0:3], 0 offen offset:8
	;; [unrolled: 1-line block ×3, first 2 shown]
	s_waitcnt vmcnt(0)
	ds_write_b128 v78, v[1:4]
	s_waitcnt lgkmcnt(0)
	s_waitcnt_vscnt null, 0x0
	s_barrier
	buffer_gl0_inv
	s_and_saveexec_b32 s6, s4
	s_cbranch_execz .LBB99_235
; %bb.228:
	ds_read_b128 v[1:4], v78
	s_andn2_b32 vcc_lo, exec_lo, s44
	s_cbranch_vccnz .LBB99_230
; %bb.229:
	s_clause 0x3
	buffer_load_dword v79, v77, s[0:3], 0 offen offset:8
	buffer_load_dword v80, v77, s[0:3], 0 offen offset:12
	buffer_load_dword v81, v77, s[0:3], 0 offen
	buffer_load_dword v82, v77, s[0:3], 0 offen offset:4
	s_waitcnt vmcnt(2) lgkmcnt(0)
	v_mul_f64 v[84:85], v[3:4], v[79:80]
	v_mul_f64 v[79:80], v[1:2], v[79:80]
	s_waitcnt vmcnt(0)
	v_fma_f64 v[1:2], v[1:2], v[81:82], -v[84:85]
	v_fma_f64 v[3:4], v[3:4], v[81:82], v[79:80]
.LBB99_230:
	s_and_saveexec_b32 s8, s5
	s_cbranch_execz .LBB99_234
; %bb.231:
	v_add_nc_u32_e32 v79, -7, v0
	s_movk_i32 s45, 0x2b0
	s_mov_b32 s5, 0
	s_mov_b32 s46, s37
	.p2align	6
.LBB99_232:                             ; =>This Inner Loop Header: Depth=1
	v_mov_b32_e32 v82, s46
	v_add_nc_u32_e32 v79, -1, v79
	s_add_i32 s46, s46, 16
	s_clause 0x3
	buffer_load_dword v80, v82, s[0:3], 0 offen offset:8
	buffer_load_dword v81, v82, s[0:3], 0 offen offset:12
	buffer_load_dword v88, v82, s[0:3], 0 offen
	buffer_load_dword v89, v82, s[0:3], 0 offen offset:4
	v_mov_b32_e32 v82, s45
	v_cmp_eq_u32_e32 vcc_lo, 0, v79
	s_add_i32 s45, s45, 16
	ds_read_b128 v[84:87], v82
	s_or_b32 s5, vcc_lo, s5
	s_waitcnt vmcnt(2) lgkmcnt(0)
	v_mul_f64 v[90:91], v[86:87], v[80:81]
	v_mul_f64 v[80:81], v[84:85], v[80:81]
	s_waitcnt vmcnt(0)
	v_fma_f64 v[84:85], v[84:85], v[88:89], -v[90:91]
	v_fma_f64 v[80:81], v[86:87], v[88:89], v[80:81]
	v_add_f64 v[1:2], v[1:2], v[84:85]
	v_add_f64 v[3:4], v[3:4], v[80:81]
	s_andn2_b32 exec_lo, exec_lo, s5
	s_cbranch_execnz .LBB99_232
; %bb.233:
	s_or_b32 exec_lo, exec_lo, s5
.LBB99_234:
	s_or_b32 exec_lo, exec_lo, s8
	v_mov_b32_e32 v79, 0
	ds_read_b128 v[79:82], v79 offset:96
	s_waitcnt lgkmcnt(0)
	v_mul_f64 v[84:85], v[3:4], v[81:82]
	v_mul_f64 v[81:82], v[1:2], v[81:82]
	v_fma_f64 v[1:2], v[1:2], v[79:80], -v[84:85]
	v_fma_f64 v[3:4], v[3:4], v[79:80], v[81:82]
	buffer_store_dword v2, off, s[0:3], 0 offset:100
	buffer_store_dword v1, off, s[0:3], 0 offset:96
	;; [unrolled: 1-line block ×4, first 2 shown]
.LBB99_235:
	s_or_b32 exec_lo, exec_lo, s6
	v_mov_b32_e32 v4, s39
	v_cmp_lt_u32_e64 s5, 5, v0
	s_clause 0x3
	buffer_load_dword v1, v4, s[0:3], 0 offen
	buffer_load_dword v2, v4, s[0:3], 0 offen offset:4
	buffer_load_dword v3, v4, s[0:3], 0 offen offset:8
	;; [unrolled: 1-line block ×3, first 2 shown]
	s_waitcnt vmcnt(0)
	ds_write_b128 v78, v[1:4]
	s_waitcnt lgkmcnt(0)
	s_waitcnt_vscnt null, 0x0
	s_barrier
	buffer_gl0_inv
	s_and_saveexec_b32 s6, s5
	s_cbranch_execz .LBB99_243
; %bb.236:
	ds_read_b128 v[1:4], v78
	s_andn2_b32 vcc_lo, exec_lo, s44
	s_cbranch_vccnz .LBB99_238
; %bb.237:
	s_clause 0x3
	buffer_load_dword v79, v77, s[0:3], 0 offen offset:8
	buffer_load_dword v80, v77, s[0:3], 0 offen offset:12
	buffer_load_dword v81, v77, s[0:3], 0 offen
	buffer_load_dword v82, v77, s[0:3], 0 offen offset:4
	s_waitcnt vmcnt(2) lgkmcnt(0)
	v_mul_f64 v[84:85], v[3:4], v[79:80]
	v_mul_f64 v[79:80], v[1:2], v[79:80]
	s_waitcnt vmcnt(0)
	v_fma_f64 v[1:2], v[1:2], v[81:82], -v[84:85]
	v_fma_f64 v[3:4], v[3:4], v[81:82], v[79:80]
.LBB99_238:
	s_and_saveexec_b32 s8, s4
	s_cbranch_execz .LBB99_242
; %bb.239:
	v_add_nc_u32_e32 v79, -6, v0
	s_movk_i32 s45, 0x2a0
	s_mov_b32 s4, 0
	s_mov_b32 s46, s38
	.p2align	6
.LBB99_240:                             ; =>This Inner Loop Header: Depth=1
	v_mov_b32_e32 v82, s46
	v_add_nc_u32_e32 v79, -1, v79
	s_add_i32 s46, s46, 16
	s_clause 0x3
	buffer_load_dword v80, v82, s[0:3], 0 offen offset:8
	buffer_load_dword v81, v82, s[0:3], 0 offen offset:12
	buffer_load_dword v88, v82, s[0:3], 0 offen
	buffer_load_dword v89, v82, s[0:3], 0 offen offset:4
	v_mov_b32_e32 v82, s45
	v_cmp_eq_u32_e32 vcc_lo, 0, v79
	s_add_i32 s45, s45, 16
	ds_read_b128 v[84:87], v82
	s_or_b32 s4, vcc_lo, s4
	s_waitcnt vmcnt(2) lgkmcnt(0)
	v_mul_f64 v[90:91], v[86:87], v[80:81]
	v_mul_f64 v[80:81], v[84:85], v[80:81]
	s_waitcnt vmcnt(0)
	v_fma_f64 v[84:85], v[84:85], v[88:89], -v[90:91]
	v_fma_f64 v[80:81], v[86:87], v[88:89], v[80:81]
	v_add_f64 v[1:2], v[1:2], v[84:85]
	v_add_f64 v[3:4], v[3:4], v[80:81]
	s_andn2_b32 exec_lo, exec_lo, s4
	s_cbranch_execnz .LBB99_240
; %bb.241:
	s_or_b32 exec_lo, exec_lo, s4
.LBB99_242:
	s_or_b32 exec_lo, exec_lo, s8
	v_mov_b32_e32 v79, 0
	ds_read_b128 v[79:82], v79 offset:80
	s_waitcnt lgkmcnt(0)
	v_mul_f64 v[84:85], v[3:4], v[81:82]
	v_mul_f64 v[81:82], v[1:2], v[81:82]
	v_fma_f64 v[1:2], v[1:2], v[79:80], -v[84:85]
	v_fma_f64 v[3:4], v[3:4], v[79:80], v[81:82]
	buffer_store_dword v2, off, s[0:3], 0 offset:84
	buffer_store_dword v1, off, s[0:3], 0 offset:80
	;; [unrolled: 1-line block ×4, first 2 shown]
.LBB99_243:
	s_or_b32 exec_lo, exec_lo, s6
	v_mov_b32_e32 v4, s40
	v_cmp_lt_u32_e64 s4, 4, v0
	s_clause 0x3
	buffer_load_dword v1, v4, s[0:3], 0 offen
	buffer_load_dword v2, v4, s[0:3], 0 offen offset:4
	buffer_load_dword v3, v4, s[0:3], 0 offen offset:8
	;; [unrolled: 1-line block ×3, first 2 shown]
	s_waitcnt vmcnt(0)
	ds_write_b128 v78, v[1:4]
	s_waitcnt lgkmcnt(0)
	s_waitcnt_vscnt null, 0x0
	s_barrier
	buffer_gl0_inv
	s_and_saveexec_b32 s6, s4
	s_cbranch_execz .LBB99_251
; %bb.244:
	ds_read_b128 v[1:4], v78
	s_andn2_b32 vcc_lo, exec_lo, s44
	s_cbranch_vccnz .LBB99_246
; %bb.245:
	s_clause 0x3
	buffer_load_dword v79, v77, s[0:3], 0 offen offset:8
	buffer_load_dword v80, v77, s[0:3], 0 offen offset:12
	buffer_load_dword v81, v77, s[0:3], 0 offen
	buffer_load_dword v82, v77, s[0:3], 0 offen offset:4
	s_waitcnt vmcnt(2) lgkmcnt(0)
	v_mul_f64 v[84:85], v[3:4], v[79:80]
	v_mul_f64 v[79:80], v[1:2], v[79:80]
	s_waitcnt vmcnt(0)
	v_fma_f64 v[1:2], v[1:2], v[81:82], -v[84:85]
	v_fma_f64 v[3:4], v[3:4], v[81:82], v[79:80]
.LBB99_246:
	s_and_saveexec_b32 s8, s5
	s_cbranch_execz .LBB99_250
; %bb.247:
	v_add_nc_u32_e32 v79, -5, v0
	s_movk_i32 s45, 0x290
	s_mov_b32 s5, 0
	s_mov_b32 s46, s39
	.p2align	6
.LBB99_248:                             ; =>This Inner Loop Header: Depth=1
	v_mov_b32_e32 v82, s46
	v_add_nc_u32_e32 v79, -1, v79
	s_add_i32 s46, s46, 16
	s_clause 0x3
	buffer_load_dword v80, v82, s[0:3], 0 offen offset:8
	buffer_load_dword v81, v82, s[0:3], 0 offen offset:12
	buffer_load_dword v88, v82, s[0:3], 0 offen
	buffer_load_dword v89, v82, s[0:3], 0 offen offset:4
	v_mov_b32_e32 v82, s45
	v_cmp_eq_u32_e32 vcc_lo, 0, v79
	s_add_i32 s45, s45, 16
	ds_read_b128 v[84:87], v82
	s_or_b32 s5, vcc_lo, s5
	s_waitcnt vmcnt(2) lgkmcnt(0)
	v_mul_f64 v[90:91], v[86:87], v[80:81]
	v_mul_f64 v[80:81], v[84:85], v[80:81]
	s_waitcnt vmcnt(0)
	v_fma_f64 v[84:85], v[84:85], v[88:89], -v[90:91]
	v_fma_f64 v[80:81], v[86:87], v[88:89], v[80:81]
	v_add_f64 v[1:2], v[1:2], v[84:85]
	v_add_f64 v[3:4], v[3:4], v[80:81]
	s_andn2_b32 exec_lo, exec_lo, s5
	s_cbranch_execnz .LBB99_248
; %bb.249:
	s_or_b32 exec_lo, exec_lo, s5
.LBB99_250:
	s_or_b32 exec_lo, exec_lo, s8
	v_mov_b32_e32 v79, 0
	ds_read_b128 v[79:82], v79 offset:64
	s_waitcnt lgkmcnt(0)
	v_mul_f64 v[84:85], v[3:4], v[81:82]
	v_mul_f64 v[81:82], v[1:2], v[81:82]
	v_fma_f64 v[1:2], v[1:2], v[79:80], -v[84:85]
	v_fma_f64 v[3:4], v[3:4], v[79:80], v[81:82]
	buffer_store_dword v2, off, s[0:3], 0 offset:68
	buffer_store_dword v1, off, s[0:3], 0 offset:64
	buffer_store_dword v4, off, s[0:3], 0 offset:76
	buffer_store_dword v3, off, s[0:3], 0 offset:72
.LBB99_251:
	s_or_b32 exec_lo, exec_lo, s6
	v_mov_b32_e32 v4, s41
	v_cmp_lt_u32_e64 s5, 3, v0
	s_clause 0x3
	buffer_load_dword v1, v4, s[0:3], 0 offen
	buffer_load_dword v2, v4, s[0:3], 0 offen offset:4
	buffer_load_dword v3, v4, s[0:3], 0 offen offset:8
	;; [unrolled: 1-line block ×3, first 2 shown]
	s_waitcnt vmcnt(0)
	ds_write_b128 v78, v[1:4]
	s_waitcnt lgkmcnt(0)
	s_waitcnt_vscnt null, 0x0
	s_barrier
	buffer_gl0_inv
	s_and_saveexec_b32 s6, s5
	s_cbranch_execz .LBB99_259
; %bb.252:
	ds_read_b128 v[1:4], v78
	s_andn2_b32 vcc_lo, exec_lo, s44
	s_cbranch_vccnz .LBB99_254
; %bb.253:
	s_clause 0x3
	buffer_load_dword v79, v77, s[0:3], 0 offen offset:8
	buffer_load_dword v80, v77, s[0:3], 0 offen offset:12
	buffer_load_dword v81, v77, s[0:3], 0 offen
	buffer_load_dword v82, v77, s[0:3], 0 offen offset:4
	s_waitcnt vmcnt(2) lgkmcnt(0)
	v_mul_f64 v[84:85], v[3:4], v[79:80]
	v_mul_f64 v[79:80], v[1:2], v[79:80]
	s_waitcnt vmcnt(0)
	v_fma_f64 v[1:2], v[1:2], v[81:82], -v[84:85]
	v_fma_f64 v[3:4], v[3:4], v[81:82], v[79:80]
.LBB99_254:
	s_and_saveexec_b32 s8, s4
	s_cbranch_execz .LBB99_258
; %bb.255:
	v_add_nc_u32_e32 v79, -4, v0
	s_movk_i32 s45, 0x280
	s_mov_b32 s4, 0
	s_mov_b32 s46, s40
	.p2align	6
.LBB99_256:                             ; =>This Inner Loop Header: Depth=1
	v_mov_b32_e32 v82, s46
	v_add_nc_u32_e32 v79, -1, v79
	s_add_i32 s46, s46, 16
	s_clause 0x3
	buffer_load_dword v80, v82, s[0:3], 0 offen offset:8
	buffer_load_dword v81, v82, s[0:3], 0 offen offset:12
	buffer_load_dword v88, v82, s[0:3], 0 offen
	buffer_load_dword v89, v82, s[0:3], 0 offen offset:4
	v_mov_b32_e32 v82, s45
	v_cmp_eq_u32_e32 vcc_lo, 0, v79
	s_add_i32 s45, s45, 16
	ds_read_b128 v[84:87], v82
	s_or_b32 s4, vcc_lo, s4
	s_waitcnt vmcnt(2) lgkmcnt(0)
	v_mul_f64 v[90:91], v[86:87], v[80:81]
	v_mul_f64 v[80:81], v[84:85], v[80:81]
	s_waitcnt vmcnt(0)
	v_fma_f64 v[84:85], v[84:85], v[88:89], -v[90:91]
	v_fma_f64 v[80:81], v[86:87], v[88:89], v[80:81]
	v_add_f64 v[1:2], v[1:2], v[84:85]
	v_add_f64 v[3:4], v[3:4], v[80:81]
	s_andn2_b32 exec_lo, exec_lo, s4
	s_cbranch_execnz .LBB99_256
; %bb.257:
	s_or_b32 exec_lo, exec_lo, s4
.LBB99_258:
	s_or_b32 exec_lo, exec_lo, s8
	v_mov_b32_e32 v79, 0
	ds_read_b128 v[79:82], v79 offset:48
	s_waitcnt lgkmcnt(0)
	v_mul_f64 v[84:85], v[3:4], v[81:82]
	v_mul_f64 v[81:82], v[1:2], v[81:82]
	v_fma_f64 v[1:2], v[1:2], v[79:80], -v[84:85]
	v_fma_f64 v[3:4], v[3:4], v[79:80], v[81:82]
	buffer_store_dword v2, off, s[0:3], 0 offset:52
	buffer_store_dword v1, off, s[0:3], 0 offset:48
	;; [unrolled: 1-line block ×4, first 2 shown]
.LBB99_259:
	s_or_b32 exec_lo, exec_lo, s6
	v_mov_b32_e32 v4, s42
	v_cmp_lt_u32_e64 s6, 2, v0
	s_clause 0x3
	buffer_load_dword v1, v4, s[0:3], 0 offen
	buffer_load_dword v2, v4, s[0:3], 0 offen offset:4
	buffer_load_dword v3, v4, s[0:3], 0 offen offset:8
	;; [unrolled: 1-line block ×3, first 2 shown]
	s_waitcnt vmcnt(0)
	ds_write_b128 v78, v[1:4]
	s_waitcnt lgkmcnt(0)
	s_waitcnt_vscnt null, 0x0
	s_barrier
	buffer_gl0_inv
	s_and_saveexec_b32 s4, s6
	s_cbranch_execz .LBB99_267
; %bb.260:
	ds_read_b128 v[1:4], v78
	s_andn2_b32 vcc_lo, exec_lo, s44
	s_cbranch_vccnz .LBB99_262
; %bb.261:
	s_clause 0x3
	buffer_load_dword v79, v77, s[0:3], 0 offen offset:8
	buffer_load_dword v80, v77, s[0:3], 0 offen offset:12
	buffer_load_dword v81, v77, s[0:3], 0 offen
	buffer_load_dword v82, v77, s[0:3], 0 offen offset:4
	s_waitcnt vmcnt(2) lgkmcnt(0)
	v_mul_f64 v[84:85], v[3:4], v[79:80]
	v_mul_f64 v[79:80], v[1:2], v[79:80]
	s_waitcnt vmcnt(0)
	v_fma_f64 v[1:2], v[1:2], v[81:82], -v[84:85]
	v_fma_f64 v[3:4], v[3:4], v[81:82], v[79:80]
.LBB99_262:
	s_and_saveexec_b32 s8, s5
	s_cbranch_execz .LBB99_266
; %bb.263:
	v_add_nc_u32_e32 v79, -3, v0
	s_movk_i32 s45, 0x270
	s_mov_b32 s5, 0
	s_mov_b32 s46, s41
	.p2align	6
.LBB99_264:                             ; =>This Inner Loop Header: Depth=1
	v_mov_b32_e32 v82, s46
	v_add_nc_u32_e32 v79, -1, v79
	s_add_i32 s46, s46, 16
	s_clause 0x3
	buffer_load_dword v80, v82, s[0:3], 0 offen offset:8
	buffer_load_dword v81, v82, s[0:3], 0 offen offset:12
	buffer_load_dword v88, v82, s[0:3], 0 offen
	buffer_load_dword v89, v82, s[0:3], 0 offen offset:4
	v_mov_b32_e32 v82, s45
	v_cmp_eq_u32_e32 vcc_lo, 0, v79
	s_add_i32 s45, s45, 16
	ds_read_b128 v[84:87], v82
	s_or_b32 s5, vcc_lo, s5
	s_waitcnt vmcnt(2) lgkmcnt(0)
	v_mul_f64 v[90:91], v[86:87], v[80:81]
	v_mul_f64 v[80:81], v[84:85], v[80:81]
	s_waitcnt vmcnt(0)
	v_fma_f64 v[84:85], v[84:85], v[88:89], -v[90:91]
	v_fma_f64 v[80:81], v[86:87], v[88:89], v[80:81]
	v_add_f64 v[1:2], v[1:2], v[84:85]
	v_add_f64 v[3:4], v[3:4], v[80:81]
	s_andn2_b32 exec_lo, exec_lo, s5
	s_cbranch_execnz .LBB99_264
; %bb.265:
	s_or_b32 exec_lo, exec_lo, s5
.LBB99_266:
	s_or_b32 exec_lo, exec_lo, s8
	v_mov_b32_e32 v79, 0
	ds_read_b128 v[79:82], v79 offset:32
	s_waitcnt lgkmcnt(0)
	v_mul_f64 v[84:85], v[3:4], v[81:82]
	v_mul_f64 v[81:82], v[1:2], v[81:82]
	v_fma_f64 v[1:2], v[1:2], v[79:80], -v[84:85]
	v_fma_f64 v[3:4], v[3:4], v[79:80], v[81:82]
	buffer_store_dword v2, off, s[0:3], 0 offset:36
	buffer_store_dword v1, off, s[0:3], 0 offset:32
	buffer_store_dword v4, off, s[0:3], 0 offset:44
	buffer_store_dword v3, off, s[0:3], 0 offset:40
.LBB99_267:
	s_or_b32 exec_lo, exec_lo, s4
	v_mov_b32_e32 v4, s43
	v_cmp_lt_u32_e64 s4, 1, v0
	s_clause 0x3
	buffer_load_dword v1, v4, s[0:3], 0 offen
	buffer_load_dword v2, v4, s[0:3], 0 offen offset:4
	buffer_load_dword v3, v4, s[0:3], 0 offen offset:8
	;; [unrolled: 1-line block ×3, first 2 shown]
	s_waitcnt vmcnt(0)
	ds_write_b128 v78, v[1:4]
	s_waitcnt lgkmcnt(0)
	s_waitcnt_vscnt null, 0x0
	s_barrier
	buffer_gl0_inv
	s_and_saveexec_b32 s5, s4
	s_cbranch_execz .LBB99_275
; %bb.268:
	ds_read_b128 v[1:4], v78
	s_andn2_b32 vcc_lo, exec_lo, s44
	s_cbranch_vccnz .LBB99_270
; %bb.269:
	s_clause 0x3
	buffer_load_dword v79, v77, s[0:3], 0 offen offset:8
	buffer_load_dword v80, v77, s[0:3], 0 offen offset:12
	buffer_load_dword v81, v77, s[0:3], 0 offen
	buffer_load_dword v82, v77, s[0:3], 0 offen offset:4
	s_waitcnt vmcnt(2) lgkmcnt(0)
	v_mul_f64 v[84:85], v[3:4], v[79:80]
	v_mul_f64 v[79:80], v[1:2], v[79:80]
	s_waitcnt vmcnt(0)
	v_fma_f64 v[1:2], v[1:2], v[81:82], -v[84:85]
	v_fma_f64 v[3:4], v[3:4], v[81:82], v[79:80]
.LBB99_270:
	s_and_saveexec_b32 s8, s6
	s_cbranch_execz .LBB99_274
; %bb.271:
	v_add_nc_u32_e32 v79, -2, v0
	s_movk_i32 s45, 0x260
	s_mov_b32 s6, 0
	s_mov_b32 s46, s42
	.p2align	6
.LBB99_272:                             ; =>This Inner Loop Header: Depth=1
	v_mov_b32_e32 v82, s46
	v_add_nc_u32_e32 v79, -1, v79
	s_add_i32 s46, s46, 16
	s_clause 0x3
	buffer_load_dword v80, v82, s[0:3], 0 offen offset:8
	buffer_load_dword v81, v82, s[0:3], 0 offen offset:12
	buffer_load_dword v88, v82, s[0:3], 0 offen
	buffer_load_dword v89, v82, s[0:3], 0 offen offset:4
	v_mov_b32_e32 v82, s45
	v_cmp_eq_u32_e32 vcc_lo, 0, v79
	s_add_i32 s45, s45, 16
	ds_read_b128 v[84:87], v82
	s_or_b32 s6, vcc_lo, s6
	s_waitcnt vmcnt(2) lgkmcnt(0)
	v_mul_f64 v[90:91], v[86:87], v[80:81]
	v_mul_f64 v[80:81], v[84:85], v[80:81]
	s_waitcnt vmcnt(0)
	v_fma_f64 v[84:85], v[84:85], v[88:89], -v[90:91]
	v_fma_f64 v[80:81], v[86:87], v[88:89], v[80:81]
	v_add_f64 v[1:2], v[1:2], v[84:85]
	v_add_f64 v[3:4], v[3:4], v[80:81]
	s_andn2_b32 exec_lo, exec_lo, s6
	s_cbranch_execnz .LBB99_272
; %bb.273:
	s_or_b32 exec_lo, exec_lo, s6
.LBB99_274:
	s_or_b32 exec_lo, exec_lo, s8
	v_mov_b32_e32 v79, 0
	ds_read_b128 v[79:82], v79 offset:16
	s_waitcnt lgkmcnt(0)
	v_mul_f64 v[84:85], v[3:4], v[81:82]
	v_mul_f64 v[81:82], v[1:2], v[81:82]
	v_fma_f64 v[1:2], v[1:2], v[79:80], -v[84:85]
	v_fma_f64 v[3:4], v[3:4], v[79:80], v[81:82]
	buffer_store_dword v2, off, s[0:3], 0 offset:20
	buffer_store_dword v1, off, s[0:3], 0 offset:16
	buffer_store_dword v4, off, s[0:3], 0 offset:28
	buffer_store_dword v3, off, s[0:3], 0 offset:24
.LBB99_275:
	s_or_b32 exec_lo, exec_lo, s5
	s_clause 0x3
	buffer_load_dword v1, off, s[0:3], 0
	buffer_load_dword v2, off, s[0:3], 0 offset:4
	buffer_load_dword v3, off, s[0:3], 0 offset:8
	;; [unrolled: 1-line block ×3, first 2 shown]
	s_mov_b32 s6, 0
	s_mov_b32 s5, 0
	s_mov_b32 s8, exec_lo
                                        ; implicit-def: $sgpr45
	s_waitcnt vmcnt(0)
	ds_write_b128 v78, v[1:4]
	s_waitcnt lgkmcnt(0)
	s_waitcnt_vscnt null, 0x0
	s_barrier
	buffer_gl0_inv
                                        ; implicit-def: $vgpr1_vgpr2
	v_cmpx_ne_u32_e32 0, v0
	s_cbranch_execz .LBB99_283
; %bb.276:
	ds_read_b128 v[1:4], v78
	s_andn2_b32 vcc_lo, exec_lo, s44
	s_cbranch_vccnz .LBB99_278
; %bb.277:
	s_clause 0x3
	buffer_load_dword v79, v77, s[0:3], 0 offen offset:8
	buffer_load_dword v80, v77, s[0:3], 0 offen offset:12
	buffer_load_dword v81, v77, s[0:3], 0 offen
	buffer_load_dword v82, v77, s[0:3], 0 offen offset:4
	s_waitcnt vmcnt(2) lgkmcnt(0)
	v_mul_f64 v[84:85], v[3:4], v[79:80]
	v_mul_f64 v[79:80], v[1:2], v[79:80]
	s_waitcnt vmcnt(0)
	v_fma_f64 v[1:2], v[1:2], v[81:82], -v[84:85]
	v_fma_f64 v[3:4], v[3:4], v[81:82], v[79:80]
.LBB99_278:
	s_and_saveexec_b32 s5, s4
	s_cbranch_execz .LBB99_282
; %bb.279:
	v_add_nc_u32_e32 v79, -1, v0
	s_movk_i32 s45, 0x250
	s_mov_b32 s4, 0
	s_mov_b32 s46, s43
	.p2align	6
.LBB99_280:                             ; =>This Inner Loop Header: Depth=1
	v_mov_b32_e32 v82, s46
	v_add_nc_u32_e32 v79, -1, v79
	s_add_i32 s46, s46, 16
	s_clause 0x3
	buffer_load_dword v80, v82, s[0:3], 0 offen offset:8
	buffer_load_dword v81, v82, s[0:3], 0 offen offset:12
	buffer_load_dword v88, v82, s[0:3], 0 offen
	buffer_load_dword v89, v82, s[0:3], 0 offen offset:4
	v_mov_b32_e32 v82, s45
	v_cmp_eq_u32_e32 vcc_lo, 0, v79
	s_add_i32 s45, s45, 16
	ds_read_b128 v[84:87], v82
	s_or_b32 s4, vcc_lo, s4
	s_waitcnt vmcnt(2) lgkmcnt(0)
	v_mul_f64 v[90:91], v[86:87], v[80:81]
	v_mul_f64 v[80:81], v[84:85], v[80:81]
	s_waitcnt vmcnt(0)
	v_fma_f64 v[84:85], v[84:85], v[88:89], -v[90:91]
	v_fma_f64 v[80:81], v[86:87], v[88:89], v[80:81]
	v_add_f64 v[1:2], v[1:2], v[84:85]
	v_add_f64 v[3:4], v[3:4], v[80:81]
	s_andn2_b32 exec_lo, exec_lo, s4
	s_cbranch_execnz .LBB99_280
; %bb.281:
	s_or_b32 exec_lo, exec_lo, s4
.LBB99_282:
	s_or_b32 exec_lo, exec_lo, s5
	v_mov_b32_e32 v79, 0
	s_mov_b32 s5, exec_lo
	s_or_b32 s45, 0, 8
	ds_read_b128 v[79:82], v79
	s_waitcnt lgkmcnt(0)
	v_mul_f64 v[84:85], v[3:4], v[81:82]
	v_mul_f64 v[81:82], v[1:2], v[81:82]
	v_fma_f64 v[84:85], v[1:2], v[79:80], -v[84:85]
	v_fma_f64 v[1:2], v[3:4], v[79:80], v[81:82]
	buffer_store_dword v85, off, s[0:3], 0 offset:4
	buffer_store_dword v84, off, s[0:3], 0
.LBB99_283:
	s_or_b32 exec_lo, exec_lo, s8
	s_and_b32 vcc_lo, exec_lo, s6
	s_cbranch_vccnz .LBB99_285
	s_branch .LBB99_560
.LBB99_284:
	s_mov_b32 s5, 0
                                        ; implicit-def: $vgpr1_vgpr2
                                        ; implicit-def: $sgpr45
	s_cbranch_execz .LBB99_560
.LBB99_285:
	v_mov_b32_e32 v4, s43
	v_cmp_eq_u32_e64 s4, 0, v0
	v_cndmask_b32_e64 v79, 0, 1, s44
	s_clause 0x3
	buffer_load_dword v1, v4, s[0:3], 0 offen
	buffer_load_dword v2, v4, s[0:3], 0 offen offset:4
	buffer_load_dword v3, v4, s[0:3], 0 offen offset:8
	;; [unrolled: 1-line block ×3, first 2 shown]
	s_waitcnt vmcnt(0)
	ds_write_b128 v78, v[1:4]
	s_waitcnt lgkmcnt(0)
	s_waitcnt_vscnt null, 0x0
	s_barrier
	buffer_gl0_inv
	s_and_saveexec_b32 s6, s4
	s_cbranch_execz .LBB99_289
; %bb.286:
	ds_read_b128 v[1:4], v78
	s_andn2_b32 vcc_lo, exec_lo, s44
	s_cbranch_vccnz .LBB99_288
; %bb.287:
	s_clause 0x3
	buffer_load_dword v80, v77, s[0:3], 0 offen offset:8
	buffer_load_dword v81, v77, s[0:3], 0 offen offset:12
	buffer_load_dword v84, v77, s[0:3], 0 offen
	buffer_load_dword v85, v77, s[0:3], 0 offen offset:4
	s_waitcnt vmcnt(2) lgkmcnt(0)
	v_mul_f64 v[86:87], v[3:4], v[80:81]
	v_mul_f64 v[80:81], v[1:2], v[80:81]
	s_waitcnt vmcnt(0)
	v_fma_f64 v[1:2], v[1:2], v[84:85], -v[86:87]
	v_fma_f64 v[3:4], v[3:4], v[84:85], v[80:81]
.LBB99_288:
	v_mov_b32_e32 v80, 0
	ds_read_b128 v[84:87], v80 offset:16
	s_waitcnt lgkmcnt(0)
	v_mul_f64 v[80:81], v[3:4], v[86:87]
	v_mul_f64 v[86:87], v[1:2], v[86:87]
	v_fma_f64 v[1:2], v[1:2], v[84:85], -v[80:81]
	v_fma_f64 v[3:4], v[3:4], v[84:85], v[86:87]
	buffer_store_dword v2, off, s[0:3], 0 offset:20
	buffer_store_dword v1, off, s[0:3], 0 offset:16
	;; [unrolled: 1-line block ×4, first 2 shown]
.LBB99_289:
	s_or_b32 exec_lo, exec_lo, s6
	v_mov_b32_e32 v4, s42
	s_mov_b32 s6, exec_lo
	s_clause 0x3
	buffer_load_dword v1, v4, s[0:3], 0 offen
	buffer_load_dword v2, v4, s[0:3], 0 offen offset:4
	buffer_load_dword v3, v4, s[0:3], 0 offen offset:8
	;; [unrolled: 1-line block ×3, first 2 shown]
	s_waitcnt vmcnt(0)
	ds_write_b128 v78, v[1:4]
	s_waitcnt lgkmcnt(0)
	s_waitcnt_vscnt null, 0x0
	s_barrier
	buffer_gl0_inv
	v_cmpx_gt_u32_e32 2, v0
	s_cbranch_execz .LBB99_295
; %bb.290:
	ds_read_b128 v[1:4], v78
	v_cmp_ne_u32_e32 vcc_lo, 1, v79
	s_cbranch_vccnz .LBB99_292
; %bb.291:
	s_clause 0x3
	buffer_load_dword v80, v77, s[0:3], 0 offen offset:8
	buffer_load_dword v81, v77, s[0:3], 0 offen offset:12
	buffer_load_dword v84, v77, s[0:3], 0 offen
	buffer_load_dword v85, v77, s[0:3], 0 offen offset:4
	s_waitcnt vmcnt(2) lgkmcnt(0)
	v_mul_f64 v[86:87], v[3:4], v[80:81]
	v_mul_f64 v[80:81], v[1:2], v[80:81]
	s_waitcnt vmcnt(0)
	v_fma_f64 v[1:2], v[1:2], v[84:85], -v[86:87]
	v_fma_f64 v[3:4], v[3:4], v[84:85], v[80:81]
.LBB99_292:
	s_and_saveexec_b32 s8, s4
	s_cbranch_execz .LBB99_294
; %bb.293:
	s_clause 0x3
	buffer_load_dword v80, off, s[0:3], 0 offset:24
	buffer_load_dword v81, off, s[0:3], 0 offset:28
	;; [unrolled: 1-line block ×4, first 2 shown]
	v_mov_b32_e32 v82, 0
	ds_read_b128 v[84:87], v82 offset:592
	s_waitcnt vmcnt(2) lgkmcnt(0)
	v_mul_f64 v[90:91], v[86:87], v[80:81]
	v_mul_f64 v[80:81], v[84:85], v[80:81]
	s_waitcnt vmcnt(0)
	v_fma_f64 v[84:85], v[84:85], v[88:89], -v[90:91]
	v_fma_f64 v[80:81], v[86:87], v[88:89], v[80:81]
	v_add_f64 v[1:2], v[1:2], v[84:85]
	v_add_f64 v[3:4], v[3:4], v[80:81]
.LBB99_294:
	s_or_b32 exec_lo, exec_lo, s8
	v_mov_b32_e32 v80, 0
	ds_read_b128 v[84:87], v80 offset:32
	s_waitcnt lgkmcnt(0)
	v_mul_f64 v[80:81], v[3:4], v[86:87]
	v_mul_f64 v[86:87], v[1:2], v[86:87]
	v_fma_f64 v[1:2], v[1:2], v[84:85], -v[80:81]
	v_fma_f64 v[3:4], v[3:4], v[84:85], v[86:87]
	buffer_store_dword v2, off, s[0:3], 0 offset:36
	buffer_store_dword v1, off, s[0:3], 0 offset:32
	;; [unrolled: 1-line block ×4, first 2 shown]
.LBB99_295:
	s_or_b32 exec_lo, exec_lo, s6
	v_mov_b32_e32 v4, s41
	s_mov_b32 s6, exec_lo
	s_clause 0x3
	buffer_load_dword v1, v4, s[0:3], 0 offen
	buffer_load_dword v2, v4, s[0:3], 0 offen offset:4
	buffer_load_dword v3, v4, s[0:3], 0 offen offset:8
	buffer_load_dword v4, v4, s[0:3], 0 offen offset:12
	s_waitcnt vmcnt(0)
	ds_write_b128 v78, v[1:4]
	s_waitcnt lgkmcnt(0)
	s_waitcnt_vscnt null, 0x0
	s_barrier
	buffer_gl0_inv
	v_cmpx_gt_u32_e32 3, v0
	s_cbranch_execz .LBB99_303
; %bb.296:
	ds_read_b128 v[1:4], v78
	v_cmp_ne_u32_e32 vcc_lo, 1, v79
	s_cbranch_vccnz .LBB99_298
; %bb.297:
	s_clause 0x3
	buffer_load_dword v80, v77, s[0:3], 0 offen offset:8
	buffer_load_dword v81, v77, s[0:3], 0 offen offset:12
	buffer_load_dword v84, v77, s[0:3], 0 offen
	buffer_load_dword v85, v77, s[0:3], 0 offen offset:4
	s_waitcnt vmcnt(2) lgkmcnt(0)
	v_mul_f64 v[86:87], v[3:4], v[80:81]
	v_mul_f64 v[80:81], v[1:2], v[80:81]
	s_waitcnt vmcnt(0)
	v_fma_f64 v[1:2], v[1:2], v[84:85], -v[86:87]
	v_fma_f64 v[3:4], v[3:4], v[84:85], v[80:81]
.LBB99_298:
	s_mov_b32 s8, exec_lo
	v_cmpx_ne_u32_e32 2, v0
	s_cbranch_execz .LBB99_302
; %bb.299:
	s_clause 0x3
	buffer_load_dword v80, v77, s[0:3], 0 offen offset:24
	buffer_load_dword v81, v77, s[0:3], 0 offen offset:28
	;; [unrolled: 1-line block ×4, first 2 shown]
	ds_read_b128 v[84:87], v78 offset:16
	s_waitcnt vmcnt(2) lgkmcnt(0)
	v_mul_f64 v[90:91], v[86:87], v[80:81]
	v_mul_f64 v[80:81], v[84:85], v[80:81]
	s_waitcnt vmcnt(0)
	v_fma_f64 v[84:85], v[84:85], v[88:89], -v[90:91]
	v_fma_f64 v[80:81], v[86:87], v[88:89], v[80:81]
	v_add_f64 v[1:2], v[1:2], v[84:85]
	v_add_f64 v[3:4], v[3:4], v[80:81]
	s_and_saveexec_b32 s44, s4
	s_cbranch_execz .LBB99_301
; %bb.300:
	s_clause 0x3
	buffer_load_dword v80, off, s[0:3], 0 offset:40
	buffer_load_dword v81, off, s[0:3], 0 offset:44
	;; [unrolled: 1-line block ×4, first 2 shown]
	v_mov_b32_e32 v82, 0
	ds_read_b128 v[84:87], v82 offset:608
	s_waitcnt vmcnt(2) lgkmcnt(0)
	v_mul_f64 v[90:91], v[84:85], v[80:81]
	v_mul_f64 v[80:81], v[86:87], v[80:81]
	s_waitcnt vmcnt(0)
	v_fma_f64 v[86:87], v[86:87], v[88:89], v[90:91]
	v_fma_f64 v[80:81], v[84:85], v[88:89], -v[80:81]
	v_add_f64 v[3:4], v[3:4], v[86:87]
	v_add_f64 v[1:2], v[1:2], v[80:81]
.LBB99_301:
	s_or_b32 exec_lo, exec_lo, s44
.LBB99_302:
	s_or_b32 exec_lo, exec_lo, s8
	v_mov_b32_e32 v80, 0
	ds_read_b128 v[84:87], v80 offset:48
	s_waitcnt lgkmcnt(0)
	v_mul_f64 v[80:81], v[3:4], v[86:87]
	v_mul_f64 v[86:87], v[1:2], v[86:87]
	v_fma_f64 v[1:2], v[1:2], v[84:85], -v[80:81]
	v_fma_f64 v[3:4], v[3:4], v[84:85], v[86:87]
	buffer_store_dword v2, off, s[0:3], 0 offset:52
	buffer_store_dword v1, off, s[0:3], 0 offset:48
	;; [unrolled: 1-line block ×4, first 2 shown]
.LBB99_303:
	s_or_b32 exec_lo, exec_lo, s6
	v_mov_b32_e32 v4, s40
	s_mov_b32 s4, exec_lo
	s_clause 0x3
	buffer_load_dword v1, v4, s[0:3], 0 offen
	buffer_load_dword v2, v4, s[0:3], 0 offen offset:4
	buffer_load_dword v3, v4, s[0:3], 0 offen offset:8
	buffer_load_dword v4, v4, s[0:3], 0 offen offset:12
	s_waitcnt vmcnt(0)
	ds_write_b128 v78, v[1:4]
	s_waitcnt lgkmcnt(0)
	s_waitcnt_vscnt null, 0x0
	s_barrier
	buffer_gl0_inv
	v_cmpx_gt_u32_e32 4, v0
	s_cbranch_execz .LBB99_311
; %bb.304:
	ds_read_b128 v[1:4], v78
	v_cmp_ne_u32_e32 vcc_lo, 1, v79
	s_cbranch_vccnz .LBB99_306
; %bb.305:
	s_clause 0x3
	buffer_load_dword v80, v77, s[0:3], 0 offen offset:8
	buffer_load_dword v81, v77, s[0:3], 0 offen offset:12
	buffer_load_dword v84, v77, s[0:3], 0 offen
	buffer_load_dword v85, v77, s[0:3], 0 offen offset:4
	s_waitcnt vmcnt(2) lgkmcnt(0)
	v_mul_f64 v[86:87], v[3:4], v[80:81]
	v_mul_f64 v[80:81], v[1:2], v[80:81]
	s_waitcnt vmcnt(0)
	v_fma_f64 v[1:2], v[1:2], v[84:85], -v[86:87]
	v_fma_f64 v[3:4], v[3:4], v[84:85], v[80:81]
.LBB99_306:
	s_mov_b32 s6, exec_lo
	v_cmpx_ne_u32_e32 3, v0
	s_cbranch_execz .LBB99_310
; %bb.307:
	v_add_nc_u32_e32 v80, 0x250, v83
	v_add3_u32 v81, 0, v83, 16
	v_mov_b32_e32 v82, v0
	s_mov_b32 s8, 0
	.p2align	6
.LBB99_308:                             ; =>This Inner Loop Header: Depth=1
	s_clause 0x3
	buffer_load_dword v88, v81, s[0:3], 0 offen offset:8
	buffer_load_dword v89, v81, s[0:3], 0 offen offset:12
	buffer_load_dword v90, v81, s[0:3], 0 offen
	buffer_load_dword v91, v81, s[0:3], 0 offen offset:4
	ds_read_b128 v[84:87], v80
	v_add_nc_u32_e32 v82, 1, v82
	v_add_nc_u32_e32 v80, 16, v80
	;; [unrolled: 1-line block ×3, first 2 shown]
	v_cmp_lt_u32_e32 vcc_lo, 2, v82
	s_or_b32 s8, vcc_lo, s8
	s_waitcnt vmcnt(2) lgkmcnt(0)
	v_mul_f64 v[92:93], v[86:87], v[88:89]
	v_mul_f64 v[88:89], v[84:85], v[88:89]
	s_waitcnt vmcnt(0)
	v_fma_f64 v[84:85], v[84:85], v[90:91], -v[92:93]
	v_fma_f64 v[86:87], v[86:87], v[90:91], v[88:89]
	v_add_f64 v[1:2], v[1:2], v[84:85]
	v_add_f64 v[3:4], v[3:4], v[86:87]
	s_andn2_b32 exec_lo, exec_lo, s8
	s_cbranch_execnz .LBB99_308
; %bb.309:
	s_or_b32 exec_lo, exec_lo, s8
.LBB99_310:
	s_or_b32 exec_lo, exec_lo, s6
	v_mov_b32_e32 v80, 0
	ds_read_b128 v[84:87], v80 offset:64
	s_waitcnt lgkmcnt(0)
	v_mul_f64 v[80:81], v[3:4], v[86:87]
	v_mul_f64 v[86:87], v[1:2], v[86:87]
	v_fma_f64 v[1:2], v[1:2], v[84:85], -v[80:81]
	v_fma_f64 v[3:4], v[3:4], v[84:85], v[86:87]
	buffer_store_dword v2, off, s[0:3], 0 offset:68
	buffer_store_dword v1, off, s[0:3], 0 offset:64
	;; [unrolled: 1-line block ×4, first 2 shown]
.LBB99_311:
	s_or_b32 exec_lo, exec_lo, s4
	v_mov_b32_e32 v4, s39
	s_mov_b32 s4, exec_lo
	s_clause 0x3
	buffer_load_dword v1, v4, s[0:3], 0 offen
	buffer_load_dword v2, v4, s[0:3], 0 offen offset:4
	buffer_load_dword v3, v4, s[0:3], 0 offen offset:8
	;; [unrolled: 1-line block ×3, first 2 shown]
	s_waitcnt vmcnt(0)
	ds_write_b128 v78, v[1:4]
	s_waitcnt lgkmcnt(0)
	s_waitcnt_vscnt null, 0x0
	s_barrier
	buffer_gl0_inv
	v_cmpx_gt_u32_e32 5, v0
	s_cbranch_execz .LBB99_319
; %bb.312:
	ds_read_b128 v[1:4], v78
	v_cmp_ne_u32_e32 vcc_lo, 1, v79
	s_cbranch_vccnz .LBB99_314
; %bb.313:
	s_clause 0x3
	buffer_load_dword v80, v77, s[0:3], 0 offen offset:8
	buffer_load_dword v81, v77, s[0:3], 0 offen offset:12
	buffer_load_dword v84, v77, s[0:3], 0 offen
	buffer_load_dword v85, v77, s[0:3], 0 offen offset:4
	s_waitcnt vmcnt(2) lgkmcnt(0)
	v_mul_f64 v[86:87], v[3:4], v[80:81]
	v_mul_f64 v[80:81], v[1:2], v[80:81]
	s_waitcnt vmcnt(0)
	v_fma_f64 v[1:2], v[1:2], v[84:85], -v[86:87]
	v_fma_f64 v[3:4], v[3:4], v[84:85], v[80:81]
.LBB99_314:
	s_mov_b32 s6, exec_lo
	v_cmpx_ne_u32_e32 4, v0
	s_cbranch_execz .LBB99_318
; %bb.315:
	v_add_nc_u32_e32 v80, 0x250, v83
	v_add3_u32 v81, 0, v83, 16
	v_mov_b32_e32 v82, v0
	s_mov_b32 s8, 0
	.p2align	6
.LBB99_316:                             ; =>This Inner Loop Header: Depth=1
	s_clause 0x3
	buffer_load_dword v88, v81, s[0:3], 0 offen offset:8
	buffer_load_dword v89, v81, s[0:3], 0 offen offset:12
	buffer_load_dword v90, v81, s[0:3], 0 offen
	buffer_load_dword v91, v81, s[0:3], 0 offen offset:4
	ds_read_b128 v[84:87], v80
	v_add_nc_u32_e32 v82, 1, v82
	v_add_nc_u32_e32 v80, 16, v80
	;; [unrolled: 1-line block ×3, first 2 shown]
	v_cmp_lt_u32_e32 vcc_lo, 3, v82
	s_or_b32 s8, vcc_lo, s8
	s_waitcnt vmcnt(2) lgkmcnt(0)
	v_mul_f64 v[92:93], v[86:87], v[88:89]
	v_mul_f64 v[88:89], v[84:85], v[88:89]
	s_waitcnt vmcnt(0)
	v_fma_f64 v[84:85], v[84:85], v[90:91], -v[92:93]
	v_fma_f64 v[86:87], v[86:87], v[90:91], v[88:89]
	v_add_f64 v[1:2], v[1:2], v[84:85]
	v_add_f64 v[3:4], v[3:4], v[86:87]
	s_andn2_b32 exec_lo, exec_lo, s8
	s_cbranch_execnz .LBB99_316
; %bb.317:
	s_or_b32 exec_lo, exec_lo, s8
.LBB99_318:
	s_or_b32 exec_lo, exec_lo, s6
	v_mov_b32_e32 v80, 0
	ds_read_b128 v[84:87], v80 offset:80
	s_waitcnt lgkmcnt(0)
	v_mul_f64 v[80:81], v[3:4], v[86:87]
	v_mul_f64 v[86:87], v[1:2], v[86:87]
	v_fma_f64 v[1:2], v[1:2], v[84:85], -v[80:81]
	v_fma_f64 v[3:4], v[3:4], v[84:85], v[86:87]
	buffer_store_dword v2, off, s[0:3], 0 offset:84
	buffer_store_dword v1, off, s[0:3], 0 offset:80
	;; [unrolled: 1-line block ×4, first 2 shown]
.LBB99_319:
	s_or_b32 exec_lo, exec_lo, s4
	v_mov_b32_e32 v4, s38
	s_mov_b32 s4, exec_lo
	s_clause 0x3
	buffer_load_dword v1, v4, s[0:3], 0 offen
	buffer_load_dword v2, v4, s[0:3], 0 offen offset:4
	buffer_load_dword v3, v4, s[0:3], 0 offen offset:8
	;; [unrolled: 1-line block ×3, first 2 shown]
	s_waitcnt vmcnt(0)
	ds_write_b128 v78, v[1:4]
	s_waitcnt lgkmcnt(0)
	s_waitcnt_vscnt null, 0x0
	s_barrier
	buffer_gl0_inv
	v_cmpx_gt_u32_e32 6, v0
	s_cbranch_execz .LBB99_327
; %bb.320:
	ds_read_b128 v[1:4], v78
	v_cmp_ne_u32_e32 vcc_lo, 1, v79
	s_cbranch_vccnz .LBB99_322
; %bb.321:
	s_clause 0x3
	buffer_load_dword v80, v77, s[0:3], 0 offen offset:8
	buffer_load_dword v81, v77, s[0:3], 0 offen offset:12
	buffer_load_dword v84, v77, s[0:3], 0 offen
	buffer_load_dword v85, v77, s[0:3], 0 offen offset:4
	s_waitcnt vmcnt(2) lgkmcnt(0)
	v_mul_f64 v[86:87], v[3:4], v[80:81]
	v_mul_f64 v[80:81], v[1:2], v[80:81]
	s_waitcnt vmcnt(0)
	v_fma_f64 v[1:2], v[1:2], v[84:85], -v[86:87]
	v_fma_f64 v[3:4], v[3:4], v[84:85], v[80:81]
.LBB99_322:
	s_mov_b32 s6, exec_lo
	v_cmpx_ne_u32_e32 5, v0
	s_cbranch_execz .LBB99_326
; %bb.323:
	v_add_nc_u32_e32 v80, 0x250, v83
	v_add3_u32 v81, 0, v83, 16
	v_mov_b32_e32 v82, v0
	s_mov_b32 s8, 0
	.p2align	6
.LBB99_324:                             ; =>This Inner Loop Header: Depth=1
	s_clause 0x3
	buffer_load_dword v88, v81, s[0:3], 0 offen offset:8
	buffer_load_dword v89, v81, s[0:3], 0 offen offset:12
	buffer_load_dword v90, v81, s[0:3], 0 offen
	buffer_load_dword v91, v81, s[0:3], 0 offen offset:4
	ds_read_b128 v[84:87], v80
	v_add_nc_u32_e32 v82, 1, v82
	v_add_nc_u32_e32 v80, 16, v80
	;; [unrolled: 1-line block ×3, first 2 shown]
	v_cmp_lt_u32_e32 vcc_lo, 4, v82
	s_or_b32 s8, vcc_lo, s8
	s_waitcnt vmcnt(2) lgkmcnt(0)
	v_mul_f64 v[92:93], v[86:87], v[88:89]
	v_mul_f64 v[88:89], v[84:85], v[88:89]
	s_waitcnt vmcnt(0)
	v_fma_f64 v[84:85], v[84:85], v[90:91], -v[92:93]
	v_fma_f64 v[86:87], v[86:87], v[90:91], v[88:89]
	v_add_f64 v[1:2], v[1:2], v[84:85]
	v_add_f64 v[3:4], v[3:4], v[86:87]
	s_andn2_b32 exec_lo, exec_lo, s8
	s_cbranch_execnz .LBB99_324
; %bb.325:
	s_or_b32 exec_lo, exec_lo, s8
.LBB99_326:
	s_or_b32 exec_lo, exec_lo, s6
	v_mov_b32_e32 v80, 0
	ds_read_b128 v[84:87], v80 offset:96
	s_waitcnt lgkmcnt(0)
	v_mul_f64 v[80:81], v[3:4], v[86:87]
	v_mul_f64 v[86:87], v[1:2], v[86:87]
	v_fma_f64 v[1:2], v[1:2], v[84:85], -v[80:81]
	v_fma_f64 v[3:4], v[3:4], v[84:85], v[86:87]
	buffer_store_dword v2, off, s[0:3], 0 offset:100
	buffer_store_dword v1, off, s[0:3], 0 offset:96
	buffer_store_dword v4, off, s[0:3], 0 offset:108
	buffer_store_dword v3, off, s[0:3], 0 offset:104
.LBB99_327:
	s_or_b32 exec_lo, exec_lo, s4
	v_mov_b32_e32 v4, s37
	s_mov_b32 s4, exec_lo
	s_clause 0x3
	buffer_load_dword v1, v4, s[0:3], 0 offen
	buffer_load_dword v2, v4, s[0:3], 0 offen offset:4
	buffer_load_dword v3, v4, s[0:3], 0 offen offset:8
	;; [unrolled: 1-line block ×3, first 2 shown]
	s_waitcnt vmcnt(0)
	ds_write_b128 v78, v[1:4]
	s_waitcnt lgkmcnt(0)
	s_waitcnt_vscnt null, 0x0
	s_barrier
	buffer_gl0_inv
	v_cmpx_gt_u32_e32 7, v0
	s_cbranch_execz .LBB99_335
; %bb.328:
	ds_read_b128 v[1:4], v78
	v_cmp_ne_u32_e32 vcc_lo, 1, v79
	s_cbranch_vccnz .LBB99_330
; %bb.329:
	s_clause 0x3
	buffer_load_dword v80, v77, s[0:3], 0 offen offset:8
	buffer_load_dword v81, v77, s[0:3], 0 offen offset:12
	buffer_load_dword v84, v77, s[0:3], 0 offen
	buffer_load_dword v85, v77, s[0:3], 0 offen offset:4
	s_waitcnt vmcnt(2) lgkmcnt(0)
	v_mul_f64 v[86:87], v[3:4], v[80:81]
	v_mul_f64 v[80:81], v[1:2], v[80:81]
	s_waitcnt vmcnt(0)
	v_fma_f64 v[1:2], v[1:2], v[84:85], -v[86:87]
	v_fma_f64 v[3:4], v[3:4], v[84:85], v[80:81]
.LBB99_330:
	s_mov_b32 s6, exec_lo
	v_cmpx_ne_u32_e32 6, v0
	s_cbranch_execz .LBB99_334
; %bb.331:
	v_add_nc_u32_e32 v80, 0x250, v83
	v_add3_u32 v81, 0, v83, 16
	v_mov_b32_e32 v82, v0
	s_mov_b32 s8, 0
	.p2align	6
.LBB99_332:                             ; =>This Inner Loop Header: Depth=1
	s_clause 0x3
	buffer_load_dword v88, v81, s[0:3], 0 offen offset:8
	buffer_load_dword v89, v81, s[0:3], 0 offen offset:12
	buffer_load_dword v90, v81, s[0:3], 0 offen
	buffer_load_dword v91, v81, s[0:3], 0 offen offset:4
	ds_read_b128 v[84:87], v80
	v_add_nc_u32_e32 v82, 1, v82
	v_add_nc_u32_e32 v80, 16, v80
	;; [unrolled: 1-line block ×3, first 2 shown]
	v_cmp_lt_u32_e32 vcc_lo, 5, v82
	s_or_b32 s8, vcc_lo, s8
	s_waitcnt vmcnt(2) lgkmcnt(0)
	v_mul_f64 v[92:93], v[86:87], v[88:89]
	v_mul_f64 v[88:89], v[84:85], v[88:89]
	s_waitcnt vmcnt(0)
	v_fma_f64 v[84:85], v[84:85], v[90:91], -v[92:93]
	v_fma_f64 v[86:87], v[86:87], v[90:91], v[88:89]
	v_add_f64 v[1:2], v[1:2], v[84:85]
	v_add_f64 v[3:4], v[3:4], v[86:87]
	s_andn2_b32 exec_lo, exec_lo, s8
	s_cbranch_execnz .LBB99_332
; %bb.333:
	s_or_b32 exec_lo, exec_lo, s8
.LBB99_334:
	s_or_b32 exec_lo, exec_lo, s6
	v_mov_b32_e32 v80, 0
	ds_read_b128 v[84:87], v80 offset:112
	s_waitcnt lgkmcnt(0)
	v_mul_f64 v[80:81], v[3:4], v[86:87]
	v_mul_f64 v[86:87], v[1:2], v[86:87]
	v_fma_f64 v[1:2], v[1:2], v[84:85], -v[80:81]
	v_fma_f64 v[3:4], v[3:4], v[84:85], v[86:87]
	buffer_store_dword v2, off, s[0:3], 0 offset:116
	buffer_store_dword v1, off, s[0:3], 0 offset:112
	;; [unrolled: 1-line block ×4, first 2 shown]
.LBB99_335:
	s_or_b32 exec_lo, exec_lo, s4
	v_mov_b32_e32 v4, s36
	s_mov_b32 s4, exec_lo
	s_clause 0x3
	buffer_load_dword v1, v4, s[0:3], 0 offen
	buffer_load_dword v2, v4, s[0:3], 0 offen offset:4
	buffer_load_dword v3, v4, s[0:3], 0 offen offset:8
	;; [unrolled: 1-line block ×3, first 2 shown]
	s_waitcnt vmcnt(0)
	ds_write_b128 v78, v[1:4]
	s_waitcnt lgkmcnt(0)
	s_waitcnt_vscnt null, 0x0
	s_barrier
	buffer_gl0_inv
	v_cmpx_gt_u32_e32 8, v0
	s_cbranch_execz .LBB99_343
; %bb.336:
	ds_read_b128 v[1:4], v78
	v_cmp_ne_u32_e32 vcc_lo, 1, v79
	s_cbranch_vccnz .LBB99_338
; %bb.337:
	s_clause 0x3
	buffer_load_dword v80, v77, s[0:3], 0 offen offset:8
	buffer_load_dword v81, v77, s[0:3], 0 offen offset:12
	buffer_load_dword v84, v77, s[0:3], 0 offen
	buffer_load_dword v85, v77, s[0:3], 0 offen offset:4
	s_waitcnt vmcnt(2) lgkmcnt(0)
	v_mul_f64 v[86:87], v[3:4], v[80:81]
	v_mul_f64 v[80:81], v[1:2], v[80:81]
	s_waitcnt vmcnt(0)
	v_fma_f64 v[1:2], v[1:2], v[84:85], -v[86:87]
	v_fma_f64 v[3:4], v[3:4], v[84:85], v[80:81]
.LBB99_338:
	s_mov_b32 s6, exec_lo
	v_cmpx_ne_u32_e32 7, v0
	s_cbranch_execz .LBB99_342
; %bb.339:
	v_add_nc_u32_e32 v80, 0x250, v83
	v_add3_u32 v81, 0, v83, 16
	v_mov_b32_e32 v82, v0
	s_mov_b32 s8, 0
	.p2align	6
.LBB99_340:                             ; =>This Inner Loop Header: Depth=1
	s_clause 0x3
	buffer_load_dword v88, v81, s[0:3], 0 offen offset:8
	buffer_load_dword v89, v81, s[0:3], 0 offen offset:12
	buffer_load_dword v90, v81, s[0:3], 0 offen
	buffer_load_dword v91, v81, s[0:3], 0 offen offset:4
	ds_read_b128 v[84:87], v80
	v_add_nc_u32_e32 v82, 1, v82
	v_add_nc_u32_e32 v80, 16, v80
	;; [unrolled: 1-line block ×3, first 2 shown]
	v_cmp_lt_u32_e32 vcc_lo, 6, v82
	s_or_b32 s8, vcc_lo, s8
	s_waitcnt vmcnt(2) lgkmcnt(0)
	v_mul_f64 v[92:93], v[86:87], v[88:89]
	v_mul_f64 v[88:89], v[84:85], v[88:89]
	s_waitcnt vmcnt(0)
	v_fma_f64 v[84:85], v[84:85], v[90:91], -v[92:93]
	v_fma_f64 v[86:87], v[86:87], v[90:91], v[88:89]
	v_add_f64 v[1:2], v[1:2], v[84:85]
	v_add_f64 v[3:4], v[3:4], v[86:87]
	s_andn2_b32 exec_lo, exec_lo, s8
	s_cbranch_execnz .LBB99_340
; %bb.341:
	s_or_b32 exec_lo, exec_lo, s8
.LBB99_342:
	s_or_b32 exec_lo, exec_lo, s6
	v_mov_b32_e32 v80, 0
	ds_read_b128 v[84:87], v80 offset:128
	s_waitcnt lgkmcnt(0)
	v_mul_f64 v[80:81], v[3:4], v[86:87]
	v_mul_f64 v[86:87], v[1:2], v[86:87]
	v_fma_f64 v[1:2], v[1:2], v[84:85], -v[80:81]
	v_fma_f64 v[3:4], v[3:4], v[84:85], v[86:87]
	buffer_store_dword v2, off, s[0:3], 0 offset:132
	buffer_store_dword v1, off, s[0:3], 0 offset:128
	;; [unrolled: 1-line block ×4, first 2 shown]
.LBB99_343:
	s_or_b32 exec_lo, exec_lo, s4
	v_mov_b32_e32 v4, s35
	s_mov_b32 s4, exec_lo
	s_clause 0x3
	buffer_load_dword v1, v4, s[0:3], 0 offen
	buffer_load_dword v2, v4, s[0:3], 0 offen offset:4
	buffer_load_dword v3, v4, s[0:3], 0 offen offset:8
	;; [unrolled: 1-line block ×3, first 2 shown]
	s_waitcnt vmcnt(0)
	ds_write_b128 v78, v[1:4]
	s_waitcnt lgkmcnt(0)
	s_waitcnt_vscnt null, 0x0
	s_barrier
	buffer_gl0_inv
	v_cmpx_gt_u32_e32 9, v0
	s_cbranch_execz .LBB99_351
; %bb.344:
	ds_read_b128 v[1:4], v78
	v_cmp_ne_u32_e32 vcc_lo, 1, v79
	s_cbranch_vccnz .LBB99_346
; %bb.345:
	s_clause 0x3
	buffer_load_dword v80, v77, s[0:3], 0 offen offset:8
	buffer_load_dword v81, v77, s[0:3], 0 offen offset:12
	buffer_load_dword v84, v77, s[0:3], 0 offen
	buffer_load_dword v85, v77, s[0:3], 0 offen offset:4
	s_waitcnt vmcnt(2) lgkmcnt(0)
	v_mul_f64 v[86:87], v[3:4], v[80:81]
	v_mul_f64 v[80:81], v[1:2], v[80:81]
	s_waitcnt vmcnt(0)
	v_fma_f64 v[1:2], v[1:2], v[84:85], -v[86:87]
	v_fma_f64 v[3:4], v[3:4], v[84:85], v[80:81]
.LBB99_346:
	s_mov_b32 s6, exec_lo
	v_cmpx_ne_u32_e32 8, v0
	s_cbranch_execz .LBB99_350
; %bb.347:
	v_add_nc_u32_e32 v80, 0x250, v83
	v_add3_u32 v81, 0, v83, 16
	v_mov_b32_e32 v82, v0
	s_mov_b32 s8, 0
	.p2align	6
.LBB99_348:                             ; =>This Inner Loop Header: Depth=1
	s_clause 0x3
	buffer_load_dword v88, v81, s[0:3], 0 offen offset:8
	buffer_load_dword v89, v81, s[0:3], 0 offen offset:12
	buffer_load_dword v90, v81, s[0:3], 0 offen
	buffer_load_dword v91, v81, s[0:3], 0 offen offset:4
	ds_read_b128 v[84:87], v80
	v_add_nc_u32_e32 v82, 1, v82
	v_add_nc_u32_e32 v80, 16, v80
	v_add_nc_u32_e32 v81, 16, v81
	v_cmp_lt_u32_e32 vcc_lo, 7, v82
	s_or_b32 s8, vcc_lo, s8
	s_waitcnt vmcnt(2) lgkmcnt(0)
	v_mul_f64 v[92:93], v[86:87], v[88:89]
	v_mul_f64 v[88:89], v[84:85], v[88:89]
	s_waitcnt vmcnt(0)
	v_fma_f64 v[84:85], v[84:85], v[90:91], -v[92:93]
	v_fma_f64 v[86:87], v[86:87], v[90:91], v[88:89]
	v_add_f64 v[1:2], v[1:2], v[84:85]
	v_add_f64 v[3:4], v[3:4], v[86:87]
	s_andn2_b32 exec_lo, exec_lo, s8
	s_cbranch_execnz .LBB99_348
; %bb.349:
	s_or_b32 exec_lo, exec_lo, s8
.LBB99_350:
	s_or_b32 exec_lo, exec_lo, s6
	v_mov_b32_e32 v80, 0
	ds_read_b128 v[84:87], v80 offset:144
	s_waitcnt lgkmcnt(0)
	v_mul_f64 v[80:81], v[3:4], v[86:87]
	v_mul_f64 v[86:87], v[1:2], v[86:87]
	v_fma_f64 v[1:2], v[1:2], v[84:85], -v[80:81]
	v_fma_f64 v[3:4], v[3:4], v[84:85], v[86:87]
	buffer_store_dword v2, off, s[0:3], 0 offset:148
	buffer_store_dword v1, off, s[0:3], 0 offset:144
	;; [unrolled: 1-line block ×4, first 2 shown]
.LBB99_351:
	s_or_b32 exec_lo, exec_lo, s4
	v_mov_b32_e32 v4, s34
	s_mov_b32 s4, exec_lo
	s_clause 0x3
	buffer_load_dword v1, v4, s[0:3], 0 offen
	buffer_load_dword v2, v4, s[0:3], 0 offen offset:4
	buffer_load_dword v3, v4, s[0:3], 0 offen offset:8
	;; [unrolled: 1-line block ×3, first 2 shown]
	s_waitcnt vmcnt(0)
	ds_write_b128 v78, v[1:4]
	s_waitcnt lgkmcnt(0)
	s_waitcnt_vscnt null, 0x0
	s_barrier
	buffer_gl0_inv
	v_cmpx_gt_u32_e32 10, v0
	s_cbranch_execz .LBB99_359
; %bb.352:
	ds_read_b128 v[1:4], v78
	v_cmp_ne_u32_e32 vcc_lo, 1, v79
	s_cbranch_vccnz .LBB99_354
; %bb.353:
	s_clause 0x3
	buffer_load_dword v80, v77, s[0:3], 0 offen offset:8
	buffer_load_dword v81, v77, s[0:3], 0 offen offset:12
	buffer_load_dword v84, v77, s[0:3], 0 offen
	buffer_load_dword v85, v77, s[0:3], 0 offen offset:4
	s_waitcnt vmcnt(2) lgkmcnt(0)
	v_mul_f64 v[86:87], v[3:4], v[80:81]
	v_mul_f64 v[80:81], v[1:2], v[80:81]
	s_waitcnt vmcnt(0)
	v_fma_f64 v[1:2], v[1:2], v[84:85], -v[86:87]
	v_fma_f64 v[3:4], v[3:4], v[84:85], v[80:81]
.LBB99_354:
	s_mov_b32 s6, exec_lo
	v_cmpx_ne_u32_e32 9, v0
	s_cbranch_execz .LBB99_358
; %bb.355:
	v_add_nc_u32_e32 v80, 0x250, v83
	v_add3_u32 v81, 0, v83, 16
	v_mov_b32_e32 v82, v0
	s_mov_b32 s8, 0
	.p2align	6
.LBB99_356:                             ; =>This Inner Loop Header: Depth=1
	s_clause 0x3
	buffer_load_dword v88, v81, s[0:3], 0 offen offset:8
	buffer_load_dword v89, v81, s[0:3], 0 offen offset:12
	buffer_load_dword v90, v81, s[0:3], 0 offen
	buffer_load_dword v91, v81, s[0:3], 0 offen offset:4
	ds_read_b128 v[84:87], v80
	v_add_nc_u32_e32 v82, 1, v82
	v_add_nc_u32_e32 v80, 16, v80
	;; [unrolled: 1-line block ×3, first 2 shown]
	v_cmp_lt_u32_e32 vcc_lo, 8, v82
	s_or_b32 s8, vcc_lo, s8
	s_waitcnt vmcnt(2) lgkmcnt(0)
	v_mul_f64 v[92:93], v[86:87], v[88:89]
	v_mul_f64 v[88:89], v[84:85], v[88:89]
	s_waitcnt vmcnt(0)
	v_fma_f64 v[84:85], v[84:85], v[90:91], -v[92:93]
	v_fma_f64 v[86:87], v[86:87], v[90:91], v[88:89]
	v_add_f64 v[1:2], v[1:2], v[84:85]
	v_add_f64 v[3:4], v[3:4], v[86:87]
	s_andn2_b32 exec_lo, exec_lo, s8
	s_cbranch_execnz .LBB99_356
; %bb.357:
	s_or_b32 exec_lo, exec_lo, s8
.LBB99_358:
	s_or_b32 exec_lo, exec_lo, s6
	v_mov_b32_e32 v80, 0
	ds_read_b128 v[84:87], v80 offset:160
	s_waitcnt lgkmcnt(0)
	v_mul_f64 v[80:81], v[3:4], v[86:87]
	v_mul_f64 v[86:87], v[1:2], v[86:87]
	v_fma_f64 v[1:2], v[1:2], v[84:85], -v[80:81]
	v_fma_f64 v[3:4], v[3:4], v[84:85], v[86:87]
	buffer_store_dword v2, off, s[0:3], 0 offset:164
	buffer_store_dword v1, off, s[0:3], 0 offset:160
	;; [unrolled: 1-line block ×4, first 2 shown]
.LBB99_359:
	s_or_b32 exec_lo, exec_lo, s4
	v_mov_b32_e32 v4, s33
	s_mov_b32 s4, exec_lo
	s_clause 0x3
	buffer_load_dword v1, v4, s[0:3], 0 offen
	buffer_load_dword v2, v4, s[0:3], 0 offen offset:4
	buffer_load_dword v3, v4, s[0:3], 0 offen offset:8
	;; [unrolled: 1-line block ×3, first 2 shown]
	s_waitcnt vmcnt(0)
	ds_write_b128 v78, v[1:4]
	s_waitcnt lgkmcnt(0)
	s_waitcnt_vscnt null, 0x0
	s_barrier
	buffer_gl0_inv
	v_cmpx_gt_u32_e32 11, v0
	s_cbranch_execz .LBB99_367
; %bb.360:
	ds_read_b128 v[1:4], v78
	v_cmp_ne_u32_e32 vcc_lo, 1, v79
	s_cbranch_vccnz .LBB99_362
; %bb.361:
	s_clause 0x3
	buffer_load_dword v80, v77, s[0:3], 0 offen offset:8
	buffer_load_dword v81, v77, s[0:3], 0 offen offset:12
	buffer_load_dword v84, v77, s[0:3], 0 offen
	buffer_load_dword v85, v77, s[0:3], 0 offen offset:4
	s_waitcnt vmcnt(2) lgkmcnt(0)
	v_mul_f64 v[86:87], v[3:4], v[80:81]
	v_mul_f64 v[80:81], v[1:2], v[80:81]
	s_waitcnt vmcnt(0)
	v_fma_f64 v[1:2], v[1:2], v[84:85], -v[86:87]
	v_fma_f64 v[3:4], v[3:4], v[84:85], v[80:81]
.LBB99_362:
	s_mov_b32 s6, exec_lo
	v_cmpx_ne_u32_e32 10, v0
	s_cbranch_execz .LBB99_366
; %bb.363:
	v_add_nc_u32_e32 v80, 0x250, v83
	v_add3_u32 v81, 0, v83, 16
	v_mov_b32_e32 v82, v0
	s_mov_b32 s8, 0
	.p2align	6
.LBB99_364:                             ; =>This Inner Loop Header: Depth=1
	s_clause 0x3
	buffer_load_dword v88, v81, s[0:3], 0 offen offset:8
	buffer_load_dword v89, v81, s[0:3], 0 offen offset:12
	buffer_load_dword v90, v81, s[0:3], 0 offen
	buffer_load_dword v91, v81, s[0:3], 0 offen offset:4
	ds_read_b128 v[84:87], v80
	v_add_nc_u32_e32 v82, 1, v82
	v_add_nc_u32_e32 v80, 16, v80
	;; [unrolled: 1-line block ×3, first 2 shown]
	v_cmp_lt_u32_e32 vcc_lo, 9, v82
	s_or_b32 s8, vcc_lo, s8
	s_waitcnt vmcnt(2) lgkmcnt(0)
	v_mul_f64 v[92:93], v[86:87], v[88:89]
	v_mul_f64 v[88:89], v[84:85], v[88:89]
	s_waitcnt vmcnt(0)
	v_fma_f64 v[84:85], v[84:85], v[90:91], -v[92:93]
	v_fma_f64 v[86:87], v[86:87], v[90:91], v[88:89]
	v_add_f64 v[1:2], v[1:2], v[84:85]
	v_add_f64 v[3:4], v[3:4], v[86:87]
	s_andn2_b32 exec_lo, exec_lo, s8
	s_cbranch_execnz .LBB99_364
; %bb.365:
	s_or_b32 exec_lo, exec_lo, s8
.LBB99_366:
	s_or_b32 exec_lo, exec_lo, s6
	v_mov_b32_e32 v80, 0
	ds_read_b128 v[84:87], v80 offset:176
	s_waitcnt lgkmcnt(0)
	v_mul_f64 v[80:81], v[3:4], v[86:87]
	v_mul_f64 v[86:87], v[1:2], v[86:87]
	v_fma_f64 v[1:2], v[1:2], v[84:85], -v[80:81]
	v_fma_f64 v[3:4], v[3:4], v[84:85], v[86:87]
	buffer_store_dword v2, off, s[0:3], 0 offset:180
	buffer_store_dword v1, off, s[0:3], 0 offset:176
	;; [unrolled: 1-line block ×4, first 2 shown]
.LBB99_367:
	s_or_b32 exec_lo, exec_lo, s4
	v_mov_b32_e32 v4, s31
	s_mov_b32 s4, exec_lo
	s_clause 0x3
	buffer_load_dword v1, v4, s[0:3], 0 offen
	buffer_load_dword v2, v4, s[0:3], 0 offen offset:4
	buffer_load_dword v3, v4, s[0:3], 0 offen offset:8
	;; [unrolled: 1-line block ×3, first 2 shown]
	s_waitcnt vmcnt(0)
	ds_write_b128 v78, v[1:4]
	s_waitcnt lgkmcnt(0)
	s_waitcnt_vscnt null, 0x0
	s_barrier
	buffer_gl0_inv
	v_cmpx_gt_u32_e32 12, v0
	s_cbranch_execz .LBB99_375
; %bb.368:
	ds_read_b128 v[1:4], v78
	v_cmp_ne_u32_e32 vcc_lo, 1, v79
	s_cbranch_vccnz .LBB99_370
; %bb.369:
	s_clause 0x3
	buffer_load_dword v80, v77, s[0:3], 0 offen offset:8
	buffer_load_dword v81, v77, s[0:3], 0 offen offset:12
	buffer_load_dword v84, v77, s[0:3], 0 offen
	buffer_load_dword v85, v77, s[0:3], 0 offen offset:4
	s_waitcnt vmcnt(2) lgkmcnt(0)
	v_mul_f64 v[86:87], v[3:4], v[80:81]
	v_mul_f64 v[80:81], v[1:2], v[80:81]
	s_waitcnt vmcnt(0)
	v_fma_f64 v[1:2], v[1:2], v[84:85], -v[86:87]
	v_fma_f64 v[3:4], v[3:4], v[84:85], v[80:81]
.LBB99_370:
	s_mov_b32 s6, exec_lo
	v_cmpx_ne_u32_e32 11, v0
	s_cbranch_execz .LBB99_374
; %bb.371:
	v_add_nc_u32_e32 v80, 0x250, v83
	v_add3_u32 v81, 0, v83, 16
	v_mov_b32_e32 v82, v0
	s_mov_b32 s8, 0
	.p2align	6
.LBB99_372:                             ; =>This Inner Loop Header: Depth=1
	s_clause 0x3
	buffer_load_dword v88, v81, s[0:3], 0 offen offset:8
	buffer_load_dword v89, v81, s[0:3], 0 offen offset:12
	buffer_load_dword v90, v81, s[0:3], 0 offen
	buffer_load_dword v91, v81, s[0:3], 0 offen offset:4
	ds_read_b128 v[84:87], v80
	v_add_nc_u32_e32 v82, 1, v82
	v_add_nc_u32_e32 v80, 16, v80
	;; [unrolled: 1-line block ×3, first 2 shown]
	v_cmp_lt_u32_e32 vcc_lo, 10, v82
	s_or_b32 s8, vcc_lo, s8
	s_waitcnt vmcnt(2) lgkmcnt(0)
	v_mul_f64 v[92:93], v[86:87], v[88:89]
	v_mul_f64 v[88:89], v[84:85], v[88:89]
	s_waitcnt vmcnt(0)
	v_fma_f64 v[84:85], v[84:85], v[90:91], -v[92:93]
	v_fma_f64 v[86:87], v[86:87], v[90:91], v[88:89]
	v_add_f64 v[1:2], v[1:2], v[84:85]
	v_add_f64 v[3:4], v[3:4], v[86:87]
	s_andn2_b32 exec_lo, exec_lo, s8
	s_cbranch_execnz .LBB99_372
; %bb.373:
	s_or_b32 exec_lo, exec_lo, s8
.LBB99_374:
	s_or_b32 exec_lo, exec_lo, s6
	v_mov_b32_e32 v80, 0
	ds_read_b128 v[84:87], v80 offset:192
	s_waitcnt lgkmcnt(0)
	v_mul_f64 v[80:81], v[3:4], v[86:87]
	v_mul_f64 v[86:87], v[1:2], v[86:87]
	v_fma_f64 v[1:2], v[1:2], v[84:85], -v[80:81]
	v_fma_f64 v[3:4], v[3:4], v[84:85], v[86:87]
	buffer_store_dword v2, off, s[0:3], 0 offset:196
	buffer_store_dword v1, off, s[0:3], 0 offset:192
	;; [unrolled: 1-line block ×4, first 2 shown]
.LBB99_375:
	s_or_b32 exec_lo, exec_lo, s4
	v_mov_b32_e32 v4, s30
	s_mov_b32 s4, exec_lo
	s_clause 0x3
	buffer_load_dword v1, v4, s[0:3], 0 offen
	buffer_load_dword v2, v4, s[0:3], 0 offen offset:4
	buffer_load_dword v3, v4, s[0:3], 0 offen offset:8
	;; [unrolled: 1-line block ×3, first 2 shown]
	s_waitcnt vmcnt(0)
	ds_write_b128 v78, v[1:4]
	s_waitcnt lgkmcnt(0)
	s_waitcnt_vscnt null, 0x0
	s_barrier
	buffer_gl0_inv
	v_cmpx_gt_u32_e32 13, v0
	s_cbranch_execz .LBB99_383
; %bb.376:
	ds_read_b128 v[1:4], v78
	v_cmp_ne_u32_e32 vcc_lo, 1, v79
	s_cbranch_vccnz .LBB99_378
; %bb.377:
	s_clause 0x3
	buffer_load_dword v80, v77, s[0:3], 0 offen offset:8
	buffer_load_dword v81, v77, s[0:3], 0 offen offset:12
	buffer_load_dword v84, v77, s[0:3], 0 offen
	buffer_load_dword v85, v77, s[0:3], 0 offen offset:4
	s_waitcnt vmcnt(2) lgkmcnt(0)
	v_mul_f64 v[86:87], v[3:4], v[80:81]
	v_mul_f64 v[80:81], v[1:2], v[80:81]
	s_waitcnt vmcnt(0)
	v_fma_f64 v[1:2], v[1:2], v[84:85], -v[86:87]
	v_fma_f64 v[3:4], v[3:4], v[84:85], v[80:81]
.LBB99_378:
	s_mov_b32 s6, exec_lo
	v_cmpx_ne_u32_e32 12, v0
	s_cbranch_execz .LBB99_382
; %bb.379:
	v_add_nc_u32_e32 v80, 0x250, v83
	v_add3_u32 v81, 0, v83, 16
	v_mov_b32_e32 v82, v0
	s_mov_b32 s8, 0
	.p2align	6
.LBB99_380:                             ; =>This Inner Loop Header: Depth=1
	s_clause 0x3
	buffer_load_dword v88, v81, s[0:3], 0 offen offset:8
	buffer_load_dword v89, v81, s[0:3], 0 offen offset:12
	buffer_load_dword v90, v81, s[0:3], 0 offen
	buffer_load_dword v91, v81, s[0:3], 0 offen offset:4
	ds_read_b128 v[84:87], v80
	v_add_nc_u32_e32 v82, 1, v82
	v_add_nc_u32_e32 v80, 16, v80
	;; [unrolled: 1-line block ×3, first 2 shown]
	v_cmp_lt_u32_e32 vcc_lo, 11, v82
	s_or_b32 s8, vcc_lo, s8
	s_waitcnt vmcnt(2) lgkmcnt(0)
	v_mul_f64 v[92:93], v[86:87], v[88:89]
	v_mul_f64 v[88:89], v[84:85], v[88:89]
	s_waitcnt vmcnt(0)
	v_fma_f64 v[84:85], v[84:85], v[90:91], -v[92:93]
	v_fma_f64 v[86:87], v[86:87], v[90:91], v[88:89]
	v_add_f64 v[1:2], v[1:2], v[84:85]
	v_add_f64 v[3:4], v[3:4], v[86:87]
	s_andn2_b32 exec_lo, exec_lo, s8
	s_cbranch_execnz .LBB99_380
; %bb.381:
	s_or_b32 exec_lo, exec_lo, s8
.LBB99_382:
	s_or_b32 exec_lo, exec_lo, s6
	v_mov_b32_e32 v80, 0
	ds_read_b128 v[84:87], v80 offset:208
	s_waitcnt lgkmcnt(0)
	v_mul_f64 v[80:81], v[3:4], v[86:87]
	v_mul_f64 v[86:87], v[1:2], v[86:87]
	v_fma_f64 v[1:2], v[1:2], v[84:85], -v[80:81]
	v_fma_f64 v[3:4], v[3:4], v[84:85], v[86:87]
	buffer_store_dword v2, off, s[0:3], 0 offset:212
	buffer_store_dword v1, off, s[0:3], 0 offset:208
	;; [unrolled: 1-line block ×4, first 2 shown]
.LBB99_383:
	s_or_b32 exec_lo, exec_lo, s4
	v_mov_b32_e32 v4, s29
	s_mov_b32 s4, exec_lo
	s_clause 0x3
	buffer_load_dword v1, v4, s[0:3], 0 offen
	buffer_load_dword v2, v4, s[0:3], 0 offen offset:4
	buffer_load_dword v3, v4, s[0:3], 0 offen offset:8
	;; [unrolled: 1-line block ×3, first 2 shown]
	s_waitcnt vmcnt(0)
	ds_write_b128 v78, v[1:4]
	s_waitcnt lgkmcnt(0)
	s_waitcnt_vscnt null, 0x0
	s_barrier
	buffer_gl0_inv
	v_cmpx_gt_u32_e32 14, v0
	s_cbranch_execz .LBB99_391
; %bb.384:
	ds_read_b128 v[1:4], v78
	v_cmp_ne_u32_e32 vcc_lo, 1, v79
	s_cbranch_vccnz .LBB99_386
; %bb.385:
	s_clause 0x3
	buffer_load_dword v80, v77, s[0:3], 0 offen offset:8
	buffer_load_dword v81, v77, s[0:3], 0 offen offset:12
	buffer_load_dword v84, v77, s[0:3], 0 offen
	buffer_load_dword v85, v77, s[0:3], 0 offen offset:4
	s_waitcnt vmcnt(2) lgkmcnt(0)
	v_mul_f64 v[86:87], v[3:4], v[80:81]
	v_mul_f64 v[80:81], v[1:2], v[80:81]
	s_waitcnt vmcnt(0)
	v_fma_f64 v[1:2], v[1:2], v[84:85], -v[86:87]
	v_fma_f64 v[3:4], v[3:4], v[84:85], v[80:81]
.LBB99_386:
	s_mov_b32 s6, exec_lo
	v_cmpx_ne_u32_e32 13, v0
	s_cbranch_execz .LBB99_390
; %bb.387:
	v_add_nc_u32_e32 v80, 0x250, v83
	v_add3_u32 v81, 0, v83, 16
	v_mov_b32_e32 v82, v0
	s_mov_b32 s8, 0
	.p2align	6
.LBB99_388:                             ; =>This Inner Loop Header: Depth=1
	s_clause 0x3
	buffer_load_dword v88, v81, s[0:3], 0 offen offset:8
	buffer_load_dword v89, v81, s[0:3], 0 offen offset:12
	buffer_load_dword v90, v81, s[0:3], 0 offen
	buffer_load_dword v91, v81, s[0:3], 0 offen offset:4
	ds_read_b128 v[84:87], v80
	v_add_nc_u32_e32 v82, 1, v82
	v_add_nc_u32_e32 v80, 16, v80
	;; [unrolled: 1-line block ×3, first 2 shown]
	v_cmp_lt_u32_e32 vcc_lo, 12, v82
	s_or_b32 s8, vcc_lo, s8
	s_waitcnt vmcnt(2) lgkmcnt(0)
	v_mul_f64 v[92:93], v[86:87], v[88:89]
	v_mul_f64 v[88:89], v[84:85], v[88:89]
	s_waitcnt vmcnt(0)
	v_fma_f64 v[84:85], v[84:85], v[90:91], -v[92:93]
	v_fma_f64 v[86:87], v[86:87], v[90:91], v[88:89]
	v_add_f64 v[1:2], v[1:2], v[84:85]
	v_add_f64 v[3:4], v[3:4], v[86:87]
	s_andn2_b32 exec_lo, exec_lo, s8
	s_cbranch_execnz .LBB99_388
; %bb.389:
	s_or_b32 exec_lo, exec_lo, s8
.LBB99_390:
	s_or_b32 exec_lo, exec_lo, s6
	v_mov_b32_e32 v80, 0
	ds_read_b128 v[84:87], v80 offset:224
	s_waitcnt lgkmcnt(0)
	v_mul_f64 v[80:81], v[3:4], v[86:87]
	v_mul_f64 v[86:87], v[1:2], v[86:87]
	v_fma_f64 v[1:2], v[1:2], v[84:85], -v[80:81]
	v_fma_f64 v[3:4], v[3:4], v[84:85], v[86:87]
	buffer_store_dword v2, off, s[0:3], 0 offset:228
	buffer_store_dword v1, off, s[0:3], 0 offset:224
	;; [unrolled: 1-line block ×4, first 2 shown]
.LBB99_391:
	s_or_b32 exec_lo, exec_lo, s4
	v_mov_b32_e32 v4, s28
	s_mov_b32 s4, exec_lo
	s_clause 0x3
	buffer_load_dword v1, v4, s[0:3], 0 offen
	buffer_load_dword v2, v4, s[0:3], 0 offen offset:4
	buffer_load_dword v3, v4, s[0:3], 0 offen offset:8
	;; [unrolled: 1-line block ×3, first 2 shown]
	s_waitcnt vmcnt(0)
	ds_write_b128 v78, v[1:4]
	s_waitcnt lgkmcnt(0)
	s_waitcnt_vscnt null, 0x0
	s_barrier
	buffer_gl0_inv
	v_cmpx_gt_u32_e32 15, v0
	s_cbranch_execz .LBB99_399
; %bb.392:
	ds_read_b128 v[1:4], v78
	v_cmp_ne_u32_e32 vcc_lo, 1, v79
	s_cbranch_vccnz .LBB99_394
; %bb.393:
	s_clause 0x3
	buffer_load_dword v80, v77, s[0:3], 0 offen offset:8
	buffer_load_dword v81, v77, s[0:3], 0 offen offset:12
	buffer_load_dword v84, v77, s[0:3], 0 offen
	buffer_load_dword v85, v77, s[0:3], 0 offen offset:4
	s_waitcnt vmcnt(2) lgkmcnt(0)
	v_mul_f64 v[86:87], v[3:4], v[80:81]
	v_mul_f64 v[80:81], v[1:2], v[80:81]
	s_waitcnt vmcnt(0)
	v_fma_f64 v[1:2], v[1:2], v[84:85], -v[86:87]
	v_fma_f64 v[3:4], v[3:4], v[84:85], v[80:81]
.LBB99_394:
	s_mov_b32 s6, exec_lo
	v_cmpx_ne_u32_e32 14, v0
	s_cbranch_execz .LBB99_398
; %bb.395:
	v_add_nc_u32_e32 v80, 0x250, v83
	v_add3_u32 v81, 0, v83, 16
	v_mov_b32_e32 v82, v0
	s_mov_b32 s8, 0
	.p2align	6
.LBB99_396:                             ; =>This Inner Loop Header: Depth=1
	s_clause 0x3
	buffer_load_dword v88, v81, s[0:3], 0 offen offset:8
	buffer_load_dword v89, v81, s[0:3], 0 offen offset:12
	buffer_load_dword v90, v81, s[0:3], 0 offen
	buffer_load_dword v91, v81, s[0:3], 0 offen offset:4
	ds_read_b128 v[84:87], v80
	v_add_nc_u32_e32 v82, 1, v82
	v_add_nc_u32_e32 v80, 16, v80
	;; [unrolled: 1-line block ×3, first 2 shown]
	v_cmp_lt_u32_e32 vcc_lo, 13, v82
	s_or_b32 s8, vcc_lo, s8
	s_waitcnt vmcnt(2) lgkmcnt(0)
	v_mul_f64 v[92:93], v[86:87], v[88:89]
	v_mul_f64 v[88:89], v[84:85], v[88:89]
	s_waitcnt vmcnt(0)
	v_fma_f64 v[84:85], v[84:85], v[90:91], -v[92:93]
	v_fma_f64 v[86:87], v[86:87], v[90:91], v[88:89]
	v_add_f64 v[1:2], v[1:2], v[84:85]
	v_add_f64 v[3:4], v[3:4], v[86:87]
	s_andn2_b32 exec_lo, exec_lo, s8
	s_cbranch_execnz .LBB99_396
; %bb.397:
	s_or_b32 exec_lo, exec_lo, s8
.LBB99_398:
	s_or_b32 exec_lo, exec_lo, s6
	v_mov_b32_e32 v80, 0
	ds_read_b128 v[84:87], v80 offset:240
	s_waitcnt lgkmcnt(0)
	v_mul_f64 v[80:81], v[3:4], v[86:87]
	v_mul_f64 v[86:87], v[1:2], v[86:87]
	v_fma_f64 v[1:2], v[1:2], v[84:85], -v[80:81]
	v_fma_f64 v[3:4], v[3:4], v[84:85], v[86:87]
	buffer_store_dword v2, off, s[0:3], 0 offset:244
	buffer_store_dword v1, off, s[0:3], 0 offset:240
	;; [unrolled: 1-line block ×4, first 2 shown]
.LBB99_399:
	s_or_b32 exec_lo, exec_lo, s4
	v_mov_b32_e32 v4, s27
	s_mov_b32 s4, exec_lo
	s_clause 0x3
	buffer_load_dword v1, v4, s[0:3], 0 offen
	buffer_load_dword v2, v4, s[0:3], 0 offen offset:4
	buffer_load_dword v3, v4, s[0:3], 0 offen offset:8
	;; [unrolled: 1-line block ×3, first 2 shown]
	s_waitcnt vmcnt(0)
	ds_write_b128 v78, v[1:4]
	s_waitcnt lgkmcnt(0)
	s_waitcnt_vscnt null, 0x0
	s_barrier
	buffer_gl0_inv
	v_cmpx_gt_u32_e32 16, v0
	s_cbranch_execz .LBB99_407
; %bb.400:
	ds_read_b128 v[1:4], v78
	v_cmp_ne_u32_e32 vcc_lo, 1, v79
	s_cbranch_vccnz .LBB99_402
; %bb.401:
	s_clause 0x3
	buffer_load_dword v80, v77, s[0:3], 0 offen offset:8
	buffer_load_dword v81, v77, s[0:3], 0 offen offset:12
	buffer_load_dword v84, v77, s[0:3], 0 offen
	buffer_load_dword v85, v77, s[0:3], 0 offen offset:4
	s_waitcnt vmcnt(2) lgkmcnt(0)
	v_mul_f64 v[86:87], v[3:4], v[80:81]
	v_mul_f64 v[80:81], v[1:2], v[80:81]
	s_waitcnt vmcnt(0)
	v_fma_f64 v[1:2], v[1:2], v[84:85], -v[86:87]
	v_fma_f64 v[3:4], v[3:4], v[84:85], v[80:81]
.LBB99_402:
	s_mov_b32 s6, exec_lo
	v_cmpx_ne_u32_e32 15, v0
	s_cbranch_execz .LBB99_406
; %bb.403:
	v_add_nc_u32_e32 v80, 0x250, v83
	v_add3_u32 v81, 0, v83, 16
	v_mov_b32_e32 v82, v0
	s_mov_b32 s8, 0
	.p2align	6
.LBB99_404:                             ; =>This Inner Loop Header: Depth=1
	s_clause 0x3
	buffer_load_dword v88, v81, s[0:3], 0 offen offset:8
	buffer_load_dword v89, v81, s[0:3], 0 offen offset:12
	buffer_load_dword v90, v81, s[0:3], 0 offen
	buffer_load_dword v91, v81, s[0:3], 0 offen offset:4
	ds_read_b128 v[84:87], v80
	v_add_nc_u32_e32 v82, 1, v82
	v_add_nc_u32_e32 v80, 16, v80
	;; [unrolled: 1-line block ×3, first 2 shown]
	v_cmp_lt_u32_e32 vcc_lo, 14, v82
	s_or_b32 s8, vcc_lo, s8
	s_waitcnt vmcnt(2) lgkmcnt(0)
	v_mul_f64 v[92:93], v[86:87], v[88:89]
	v_mul_f64 v[88:89], v[84:85], v[88:89]
	s_waitcnt vmcnt(0)
	v_fma_f64 v[84:85], v[84:85], v[90:91], -v[92:93]
	v_fma_f64 v[86:87], v[86:87], v[90:91], v[88:89]
	v_add_f64 v[1:2], v[1:2], v[84:85]
	v_add_f64 v[3:4], v[3:4], v[86:87]
	s_andn2_b32 exec_lo, exec_lo, s8
	s_cbranch_execnz .LBB99_404
; %bb.405:
	s_or_b32 exec_lo, exec_lo, s8
.LBB99_406:
	s_or_b32 exec_lo, exec_lo, s6
	v_mov_b32_e32 v80, 0
	ds_read_b128 v[84:87], v80 offset:256
	s_waitcnt lgkmcnt(0)
	v_mul_f64 v[80:81], v[3:4], v[86:87]
	v_mul_f64 v[86:87], v[1:2], v[86:87]
	v_fma_f64 v[1:2], v[1:2], v[84:85], -v[80:81]
	v_fma_f64 v[3:4], v[3:4], v[84:85], v[86:87]
	buffer_store_dword v2, off, s[0:3], 0 offset:260
	buffer_store_dword v1, off, s[0:3], 0 offset:256
	;; [unrolled: 1-line block ×4, first 2 shown]
.LBB99_407:
	s_or_b32 exec_lo, exec_lo, s4
	v_mov_b32_e32 v4, s26
	s_mov_b32 s4, exec_lo
	s_clause 0x3
	buffer_load_dword v1, v4, s[0:3], 0 offen
	buffer_load_dword v2, v4, s[0:3], 0 offen offset:4
	buffer_load_dword v3, v4, s[0:3], 0 offen offset:8
	;; [unrolled: 1-line block ×3, first 2 shown]
	s_waitcnt vmcnt(0)
	ds_write_b128 v78, v[1:4]
	s_waitcnt lgkmcnt(0)
	s_waitcnt_vscnt null, 0x0
	s_barrier
	buffer_gl0_inv
	v_cmpx_gt_u32_e32 17, v0
	s_cbranch_execz .LBB99_415
; %bb.408:
	ds_read_b128 v[1:4], v78
	v_cmp_ne_u32_e32 vcc_lo, 1, v79
	s_cbranch_vccnz .LBB99_410
; %bb.409:
	s_clause 0x3
	buffer_load_dword v80, v77, s[0:3], 0 offen offset:8
	buffer_load_dword v81, v77, s[0:3], 0 offen offset:12
	buffer_load_dword v84, v77, s[0:3], 0 offen
	buffer_load_dword v85, v77, s[0:3], 0 offen offset:4
	s_waitcnt vmcnt(2) lgkmcnt(0)
	v_mul_f64 v[86:87], v[3:4], v[80:81]
	v_mul_f64 v[80:81], v[1:2], v[80:81]
	s_waitcnt vmcnt(0)
	v_fma_f64 v[1:2], v[1:2], v[84:85], -v[86:87]
	v_fma_f64 v[3:4], v[3:4], v[84:85], v[80:81]
.LBB99_410:
	s_mov_b32 s6, exec_lo
	v_cmpx_ne_u32_e32 16, v0
	s_cbranch_execz .LBB99_414
; %bb.411:
	v_add_nc_u32_e32 v80, 0x250, v83
	v_add3_u32 v81, 0, v83, 16
	v_mov_b32_e32 v82, v0
	s_mov_b32 s8, 0
	.p2align	6
.LBB99_412:                             ; =>This Inner Loop Header: Depth=1
	s_clause 0x3
	buffer_load_dword v88, v81, s[0:3], 0 offen offset:8
	buffer_load_dword v89, v81, s[0:3], 0 offen offset:12
	buffer_load_dword v90, v81, s[0:3], 0 offen
	buffer_load_dword v91, v81, s[0:3], 0 offen offset:4
	ds_read_b128 v[84:87], v80
	v_add_nc_u32_e32 v82, 1, v82
	v_add_nc_u32_e32 v80, 16, v80
	;; [unrolled: 1-line block ×3, first 2 shown]
	v_cmp_lt_u32_e32 vcc_lo, 15, v82
	s_or_b32 s8, vcc_lo, s8
	s_waitcnt vmcnt(2) lgkmcnt(0)
	v_mul_f64 v[92:93], v[86:87], v[88:89]
	v_mul_f64 v[88:89], v[84:85], v[88:89]
	s_waitcnt vmcnt(0)
	v_fma_f64 v[84:85], v[84:85], v[90:91], -v[92:93]
	v_fma_f64 v[86:87], v[86:87], v[90:91], v[88:89]
	v_add_f64 v[1:2], v[1:2], v[84:85]
	v_add_f64 v[3:4], v[3:4], v[86:87]
	s_andn2_b32 exec_lo, exec_lo, s8
	s_cbranch_execnz .LBB99_412
; %bb.413:
	s_or_b32 exec_lo, exec_lo, s8
.LBB99_414:
	s_or_b32 exec_lo, exec_lo, s6
	v_mov_b32_e32 v80, 0
	ds_read_b128 v[84:87], v80 offset:272
	s_waitcnt lgkmcnt(0)
	v_mul_f64 v[80:81], v[3:4], v[86:87]
	v_mul_f64 v[86:87], v[1:2], v[86:87]
	v_fma_f64 v[1:2], v[1:2], v[84:85], -v[80:81]
	v_fma_f64 v[3:4], v[3:4], v[84:85], v[86:87]
	buffer_store_dword v2, off, s[0:3], 0 offset:276
	buffer_store_dword v1, off, s[0:3], 0 offset:272
	;; [unrolled: 1-line block ×4, first 2 shown]
.LBB99_415:
	s_or_b32 exec_lo, exec_lo, s4
	v_mov_b32_e32 v4, s25
	s_mov_b32 s4, exec_lo
	s_clause 0x3
	buffer_load_dword v1, v4, s[0:3], 0 offen
	buffer_load_dword v2, v4, s[0:3], 0 offen offset:4
	buffer_load_dword v3, v4, s[0:3], 0 offen offset:8
	;; [unrolled: 1-line block ×3, first 2 shown]
	s_waitcnt vmcnt(0)
	ds_write_b128 v78, v[1:4]
	s_waitcnt lgkmcnt(0)
	s_waitcnt_vscnt null, 0x0
	s_barrier
	buffer_gl0_inv
	v_cmpx_gt_u32_e32 18, v0
	s_cbranch_execz .LBB99_423
; %bb.416:
	ds_read_b128 v[1:4], v78
	v_cmp_ne_u32_e32 vcc_lo, 1, v79
	s_cbranch_vccnz .LBB99_418
; %bb.417:
	s_clause 0x3
	buffer_load_dword v80, v77, s[0:3], 0 offen offset:8
	buffer_load_dword v81, v77, s[0:3], 0 offen offset:12
	buffer_load_dword v84, v77, s[0:3], 0 offen
	buffer_load_dword v85, v77, s[0:3], 0 offen offset:4
	s_waitcnt vmcnt(2) lgkmcnt(0)
	v_mul_f64 v[86:87], v[3:4], v[80:81]
	v_mul_f64 v[80:81], v[1:2], v[80:81]
	s_waitcnt vmcnt(0)
	v_fma_f64 v[1:2], v[1:2], v[84:85], -v[86:87]
	v_fma_f64 v[3:4], v[3:4], v[84:85], v[80:81]
.LBB99_418:
	s_mov_b32 s6, exec_lo
	v_cmpx_ne_u32_e32 17, v0
	s_cbranch_execz .LBB99_422
; %bb.419:
	v_add_nc_u32_e32 v80, 0x250, v83
	v_add3_u32 v81, 0, v83, 16
	v_mov_b32_e32 v82, v0
	s_mov_b32 s8, 0
	.p2align	6
.LBB99_420:                             ; =>This Inner Loop Header: Depth=1
	s_clause 0x3
	buffer_load_dword v88, v81, s[0:3], 0 offen offset:8
	buffer_load_dword v89, v81, s[0:3], 0 offen offset:12
	buffer_load_dword v90, v81, s[0:3], 0 offen
	buffer_load_dword v91, v81, s[0:3], 0 offen offset:4
	ds_read_b128 v[84:87], v80
	v_add_nc_u32_e32 v82, 1, v82
	v_add_nc_u32_e32 v80, 16, v80
	;; [unrolled: 1-line block ×3, first 2 shown]
	v_cmp_lt_u32_e32 vcc_lo, 16, v82
	s_or_b32 s8, vcc_lo, s8
	s_waitcnt vmcnt(2) lgkmcnt(0)
	v_mul_f64 v[92:93], v[86:87], v[88:89]
	v_mul_f64 v[88:89], v[84:85], v[88:89]
	s_waitcnt vmcnt(0)
	v_fma_f64 v[84:85], v[84:85], v[90:91], -v[92:93]
	v_fma_f64 v[86:87], v[86:87], v[90:91], v[88:89]
	v_add_f64 v[1:2], v[1:2], v[84:85]
	v_add_f64 v[3:4], v[3:4], v[86:87]
	s_andn2_b32 exec_lo, exec_lo, s8
	s_cbranch_execnz .LBB99_420
; %bb.421:
	s_or_b32 exec_lo, exec_lo, s8
.LBB99_422:
	s_or_b32 exec_lo, exec_lo, s6
	v_mov_b32_e32 v80, 0
	ds_read_b128 v[84:87], v80 offset:288
	s_waitcnt lgkmcnt(0)
	v_mul_f64 v[80:81], v[3:4], v[86:87]
	v_mul_f64 v[86:87], v[1:2], v[86:87]
	v_fma_f64 v[1:2], v[1:2], v[84:85], -v[80:81]
	v_fma_f64 v[3:4], v[3:4], v[84:85], v[86:87]
	buffer_store_dword v2, off, s[0:3], 0 offset:292
	buffer_store_dword v1, off, s[0:3], 0 offset:288
	;; [unrolled: 1-line block ×4, first 2 shown]
.LBB99_423:
	s_or_b32 exec_lo, exec_lo, s4
	v_mov_b32_e32 v4, s24
	s_mov_b32 s4, exec_lo
	s_clause 0x3
	buffer_load_dword v1, v4, s[0:3], 0 offen
	buffer_load_dword v2, v4, s[0:3], 0 offen offset:4
	buffer_load_dword v3, v4, s[0:3], 0 offen offset:8
	;; [unrolled: 1-line block ×3, first 2 shown]
	s_waitcnt vmcnt(0)
	ds_write_b128 v78, v[1:4]
	s_waitcnt lgkmcnt(0)
	s_waitcnt_vscnt null, 0x0
	s_barrier
	buffer_gl0_inv
	v_cmpx_gt_u32_e32 19, v0
	s_cbranch_execz .LBB99_431
; %bb.424:
	ds_read_b128 v[1:4], v78
	v_cmp_ne_u32_e32 vcc_lo, 1, v79
	s_cbranch_vccnz .LBB99_426
; %bb.425:
	s_clause 0x3
	buffer_load_dword v80, v77, s[0:3], 0 offen offset:8
	buffer_load_dword v81, v77, s[0:3], 0 offen offset:12
	buffer_load_dword v84, v77, s[0:3], 0 offen
	buffer_load_dword v85, v77, s[0:3], 0 offen offset:4
	s_waitcnt vmcnt(2) lgkmcnt(0)
	v_mul_f64 v[86:87], v[3:4], v[80:81]
	v_mul_f64 v[80:81], v[1:2], v[80:81]
	s_waitcnt vmcnt(0)
	v_fma_f64 v[1:2], v[1:2], v[84:85], -v[86:87]
	v_fma_f64 v[3:4], v[3:4], v[84:85], v[80:81]
.LBB99_426:
	s_mov_b32 s6, exec_lo
	v_cmpx_ne_u32_e32 18, v0
	s_cbranch_execz .LBB99_430
; %bb.427:
	v_add_nc_u32_e32 v80, 0x250, v83
	v_add3_u32 v81, 0, v83, 16
	v_mov_b32_e32 v82, v0
	s_mov_b32 s8, 0
	.p2align	6
.LBB99_428:                             ; =>This Inner Loop Header: Depth=1
	s_clause 0x3
	buffer_load_dword v88, v81, s[0:3], 0 offen offset:8
	buffer_load_dword v89, v81, s[0:3], 0 offen offset:12
	buffer_load_dword v90, v81, s[0:3], 0 offen
	buffer_load_dword v91, v81, s[0:3], 0 offen offset:4
	ds_read_b128 v[84:87], v80
	v_add_nc_u32_e32 v82, 1, v82
	v_add_nc_u32_e32 v80, 16, v80
	;; [unrolled: 1-line block ×3, first 2 shown]
	v_cmp_lt_u32_e32 vcc_lo, 17, v82
	s_or_b32 s8, vcc_lo, s8
	s_waitcnt vmcnt(2) lgkmcnt(0)
	v_mul_f64 v[92:93], v[86:87], v[88:89]
	v_mul_f64 v[88:89], v[84:85], v[88:89]
	s_waitcnt vmcnt(0)
	v_fma_f64 v[84:85], v[84:85], v[90:91], -v[92:93]
	v_fma_f64 v[86:87], v[86:87], v[90:91], v[88:89]
	v_add_f64 v[1:2], v[1:2], v[84:85]
	v_add_f64 v[3:4], v[3:4], v[86:87]
	s_andn2_b32 exec_lo, exec_lo, s8
	s_cbranch_execnz .LBB99_428
; %bb.429:
	s_or_b32 exec_lo, exec_lo, s8
.LBB99_430:
	s_or_b32 exec_lo, exec_lo, s6
	v_mov_b32_e32 v80, 0
	ds_read_b128 v[84:87], v80 offset:304
	s_waitcnt lgkmcnt(0)
	v_mul_f64 v[80:81], v[3:4], v[86:87]
	v_mul_f64 v[86:87], v[1:2], v[86:87]
	v_fma_f64 v[1:2], v[1:2], v[84:85], -v[80:81]
	v_fma_f64 v[3:4], v[3:4], v[84:85], v[86:87]
	buffer_store_dword v2, off, s[0:3], 0 offset:308
	buffer_store_dword v1, off, s[0:3], 0 offset:304
	;; [unrolled: 1-line block ×4, first 2 shown]
.LBB99_431:
	s_or_b32 exec_lo, exec_lo, s4
	v_mov_b32_e32 v4, s23
	s_mov_b32 s4, exec_lo
	s_clause 0x3
	buffer_load_dword v1, v4, s[0:3], 0 offen
	buffer_load_dword v2, v4, s[0:3], 0 offen offset:4
	buffer_load_dword v3, v4, s[0:3], 0 offen offset:8
	;; [unrolled: 1-line block ×3, first 2 shown]
	s_waitcnt vmcnt(0)
	ds_write_b128 v78, v[1:4]
	s_waitcnt lgkmcnt(0)
	s_waitcnt_vscnt null, 0x0
	s_barrier
	buffer_gl0_inv
	v_cmpx_gt_u32_e32 20, v0
	s_cbranch_execz .LBB99_439
; %bb.432:
	ds_read_b128 v[1:4], v78
	v_cmp_ne_u32_e32 vcc_lo, 1, v79
	s_cbranch_vccnz .LBB99_434
; %bb.433:
	s_clause 0x3
	buffer_load_dword v80, v77, s[0:3], 0 offen offset:8
	buffer_load_dword v81, v77, s[0:3], 0 offen offset:12
	buffer_load_dword v84, v77, s[0:3], 0 offen
	buffer_load_dword v85, v77, s[0:3], 0 offen offset:4
	s_waitcnt vmcnt(2) lgkmcnt(0)
	v_mul_f64 v[86:87], v[3:4], v[80:81]
	v_mul_f64 v[80:81], v[1:2], v[80:81]
	s_waitcnt vmcnt(0)
	v_fma_f64 v[1:2], v[1:2], v[84:85], -v[86:87]
	v_fma_f64 v[3:4], v[3:4], v[84:85], v[80:81]
.LBB99_434:
	s_mov_b32 s6, exec_lo
	v_cmpx_ne_u32_e32 19, v0
	s_cbranch_execz .LBB99_438
; %bb.435:
	v_add_nc_u32_e32 v80, 0x250, v83
	v_add3_u32 v81, 0, v83, 16
	v_mov_b32_e32 v82, v0
	s_mov_b32 s8, 0
	.p2align	6
.LBB99_436:                             ; =>This Inner Loop Header: Depth=1
	s_clause 0x3
	buffer_load_dword v88, v81, s[0:3], 0 offen offset:8
	buffer_load_dword v89, v81, s[0:3], 0 offen offset:12
	buffer_load_dword v90, v81, s[0:3], 0 offen
	buffer_load_dword v91, v81, s[0:3], 0 offen offset:4
	ds_read_b128 v[84:87], v80
	v_add_nc_u32_e32 v82, 1, v82
	v_add_nc_u32_e32 v80, 16, v80
	;; [unrolled: 1-line block ×3, first 2 shown]
	v_cmp_lt_u32_e32 vcc_lo, 18, v82
	s_or_b32 s8, vcc_lo, s8
	s_waitcnt vmcnt(2) lgkmcnt(0)
	v_mul_f64 v[92:93], v[86:87], v[88:89]
	v_mul_f64 v[88:89], v[84:85], v[88:89]
	s_waitcnt vmcnt(0)
	v_fma_f64 v[84:85], v[84:85], v[90:91], -v[92:93]
	v_fma_f64 v[86:87], v[86:87], v[90:91], v[88:89]
	v_add_f64 v[1:2], v[1:2], v[84:85]
	v_add_f64 v[3:4], v[3:4], v[86:87]
	s_andn2_b32 exec_lo, exec_lo, s8
	s_cbranch_execnz .LBB99_436
; %bb.437:
	s_or_b32 exec_lo, exec_lo, s8
.LBB99_438:
	s_or_b32 exec_lo, exec_lo, s6
	v_mov_b32_e32 v80, 0
	ds_read_b128 v[84:87], v80 offset:320
	s_waitcnt lgkmcnt(0)
	v_mul_f64 v[80:81], v[3:4], v[86:87]
	v_mul_f64 v[86:87], v[1:2], v[86:87]
	v_fma_f64 v[1:2], v[1:2], v[84:85], -v[80:81]
	v_fma_f64 v[3:4], v[3:4], v[84:85], v[86:87]
	buffer_store_dword v2, off, s[0:3], 0 offset:324
	buffer_store_dword v1, off, s[0:3], 0 offset:320
	;; [unrolled: 1-line block ×4, first 2 shown]
.LBB99_439:
	s_or_b32 exec_lo, exec_lo, s4
	v_mov_b32_e32 v4, s22
	s_mov_b32 s4, exec_lo
	s_clause 0x3
	buffer_load_dword v1, v4, s[0:3], 0 offen
	buffer_load_dword v2, v4, s[0:3], 0 offen offset:4
	buffer_load_dword v3, v4, s[0:3], 0 offen offset:8
	;; [unrolled: 1-line block ×3, first 2 shown]
	s_waitcnt vmcnt(0)
	ds_write_b128 v78, v[1:4]
	s_waitcnt lgkmcnt(0)
	s_waitcnt_vscnt null, 0x0
	s_barrier
	buffer_gl0_inv
	v_cmpx_gt_u32_e32 21, v0
	s_cbranch_execz .LBB99_447
; %bb.440:
	ds_read_b128 v[1:4], v78
	v_cmp_ne_u32_e32 vcc_lo, 1, v79
	s_cbranch_vccnz .LBB99_442
; %bb.441:
	s_clause 0x3
	buffer_load_dword v80, v77, s[0:3], 0 offen offset:8
	buffer_load_dword v81, v77, s[0:3], 0 offen offset:12
	buffer_load_dword v84, v77, s[0:3], 0 offen
	buffer_load_dword v85, v77, s[0:3], 0 offen offset:4
	s_waitcnt vmcnt(2) lgkmcnt(0)
	v_mul_f64 v[86:87], v[3:4], v[80:81]
	v_mul_f64 v[80:81], v[1:2], v[80:81]
	s_waitcnt vmcnt(0)
	v_fma_f64 v[1:2], v[1:2], v[84:85], -v[86:87]
	v_fma_f64 v[3:4], v[3:4], v[84:85], v[80:81]
.LBB99_442:
	s_mov_b32 s6, exec_lo
	v_cmpx_ne_u32_e32 20, v0
	s_cbranch_execz .LBB99_446
; %bb.443:
	v_add_nc_u32_e32 v80, 0x250, v83
	v_add3_u32 v81, 0, v83, 16
	v_mov_b32_e32 v82, v0
	s_mov_b32 s8, 0
	.p2align	6
.LBB99_444:                             ; =>This Inner Loop Header: Depth=1
	s_clause 0x3
	buffer_load_dword v88, v81, s[0:3], 0 offen offset:8
	buffer_load_dword v89, v81, s[0:3], 0 offen offset:12
	buffer_load_dword v90, v81, s[0:3], 0 offen
	buffer_load_dword v91, v81, s[0:3], 0 offen offset:4
	ds_read_b128 v[84:87], v80
	v_add_nc_u32_e32 v82, 1, v82
	v_add_nc_u32_e32 v80, 16, v80
	v_add_nc_u32_e32 v81, 16, v81
	v_cmp_lt_u32_e32 vcc_lo, 19, v82
	s_or_b32 s8, vcc_lo, s8
	s_waitcnt vmcnt(2) lgkmcnt(0)
	v_mul_f64 v[92:93], v[86:87], v[88:89]
	v_mul_f64 v[88:89], v[84:85], v[88:89]
	s_waitcnt vmcnt(0)
	v_fma_f64 v[84:85], v[84:85], v[90:91], -v[92:93]
	v_fma_f64 v[86:87], v[86:87], v[90:91], v[88:89]
	v_add_f64 v[1:2], v[1:2], v[84:85]
	v_add_f64 v[3:4], v[3:4], v[86:87]
	s_andn2_b32 exec_lo, exec_lo, s8
	s_cbranch_execnz .LBB99_444
; %bb.445:
	s_or_b32 exec_lo, exec_lo, s8
.LBB99_446:
	s_or_b32 exec_lo, exec_lo, s6
	v_mov_b32_e32 v80, 0
	ds_read_b128 v[84:87], v80 offset:336
	s_waitcnt lgkmcnt(0)
	v_mul_f64 v[80:81], v[3:4], v[86:87]
	v_mul_f64 v[86:87], v[1:2], v[86:87]
	v_fma_f64 v[1:2], v[1:2], v[84:85], -v[80:81]
	v_fma_f64 v[3:4], v[3:4], v[84:85], v[86:87]
	buffer_store_dword v2, off, s[0:3], 0 offset:340
	buffer_store_dword v1, off, s[0:3], 0 offset:336
	;; [unrolled: 1-line block ×4, first 2 shown]
.LBB99_447:
	s_or_b32 exec_lo, exec_lo, s4
	v_mov_b32_e32 v4, s21
	s_mov_b32 s4, exec_lo
	s_clause 0x3
	buffer_load_dword v1, v4, s[0:3], 0 offen
	buffer_load_dword v2, v4, s[0:3], 0 offen offset:4
	buffer_load_dword v3, v4, s[0:3], 0 offen offset:8
	;; [unrolled: 1-line block ×3, first 2 shown]
	s_waitcnt vmcnt(0)
	ds_write_b128 v78, v[1:4]
	s_waitcnt lgkmcnt(0)
	s_waitcnt_vscnt null, 0x0
	s_barrier
	buffer_gl0_inv
	v_cmpx_gt_u32_e32 22, v0
	s_cbranch_execz .LBB99_455
; %bb.448:
	ds_read_b128 v[1:4], v78
	v_cmp_ne_u32_e32 vcc_lo, 1, v79
	s_cbranch_vccnz .LBB99_450
; %bb.449:
	s_clause 0x3
	buffer_load_dword v80, v77, s[0:3], 0 offen offset:8
	buffer_load_dword v81, v77, s[0:3], 0 offen offset:12
	buffer_load_dword v84, v77, s[0:3], 0 offen
	buffer_load_dword v85, v77, s[0:3], 0 offen offset:4
	s_waitcnt vmcnt(2) lgkmcnt(0)
	v_mul_f64 v[86:87], v[3:4], v[80:81]
	v_mul_f64 v[80:81], v[1:2], v[80:81]
	s_waitcnt vmcnt(0)
	v_fma_f64 v[1:2], v[1:2], v[84:85], -v[86:87]
	v_fma_f64 v[3:4], v[3:4], v[84:85], v[80:81]
.LBB99_450:
	s_mov_b32 s6, exec_lo
	v_cmpx_ne_u32_e32 21, v0
	s_cbranch_execz .LBB99_454
; %bb.451:
	v_add_nc_u32_e32 v80, 0x250, v83
	v_add3_u32 v81, 0, v83, 16
	v_mov_b32_e32 v82, v0
	s_mov_b32 s8, 0
	.p2align	6
.LBB99_452:                             ; =>This Inner Loop Header: Depth=1
	s_clause 0x3
	buffer_load_dword v88, v81, s[0:3], 0 offen offset:8
	buffer_load_dword v89, v81, s[0:3], 0 offen offset:12
	buffer_load_dword v90, v81, s[0:3], 0 offen
	buffer_load_dword v91, v81, s[0:3], 0 offen offset:4
	ds_read_b128 v[84:87], v80
	v_add_nc_u32_e32 v82, 1, v82
	v_add_nc_u32_e32 v80, 16, v80
	;; [unrolled: 1-line block ×3, first 2 shown]
	v_cmp_lt_u32_e32 vcc_lo, 20, v82
	s_or_b32 s8, vcc_lo, s8
	s_waitcnt vmcnt(2) lgkmcnt(0)
	v_mul_f64 v[92:93], v[86:87], v[88:89]
	v_mul_f64 v[88:89], v[84:85], v[88:89]
	s_waitcnt vmcnt(0)
	v_fma_f64 v[84:85], v[84:85], v[90:91], -v[92:93]
	v_fma_f64 v[86:87], v[86:87], v[90:91], v[88:89]
	v_add_f64 v[1:2], v[1:2], v[84:85]
	v_add_f64 v[3:4], v[3:4], v[86:87]
	s_andn2_b32 exec_lo, exec_lo, s8
	s_cbranch_execnz .LBB99_452
; %bb.453:
	s_or_b32 exec_lo, exec_lo, s8
.LBB99_454:
	s_or_b32 exec_lo, exec_lo, s6
	v_mov_b32_e32 v80, 0
	ds_read_b128 v[84:87], v80 offset:352
	s_waitcnt lgkmcnt(0)
	v_mul_f64 v[80:81], v[3:4], v[86:87]
	v_mul_f64 v[86:87], v[1:2], v[86:87]
	v_fma_f64 v[1:2], v[1:2], v[84:85], -v[80:81]
	v_fma_f64 v[3:4], v[3:4], v[84:85], v[86:87]
	buffer_store_dword v2, off, s[0:3], 0 offset:356
	buffer_store_dword v1, off, s[0:3], 0 offset:352
	;; [unrolled: 1-line block ×4, first 2 shown]
.LBB99_455:
	s_or_b32 exec_lo, exec_lo, s4
	v_mov_b32_e32 v4, s20
	s_mov_b32 s4, exec_lo
	s_clause 0x3
	buffer_load_dword v1, v4, s[0:3], 0 offen
	buffer_load_dword v2, v4, s[0:3], 0 offen offset:4
	buffer_load_dword v3, v4, s[0:3], 0 offen offset:8
	;; [unrolled: 1-line block ×3, first 2 shown]
	s_waitcnt vmcnt(0)
	ds_write_b128 v78, v[1:4]
	s_waitcnt lgkmcnt(0)
	s_waitcnt_vscnt null, 0x0
	s_barrier
	buffer_gl0_inv
	v_cmpx_gt_u32_e32 23, v0
	s_cbranch_execz .LBB99_463
; %bb.456:
	ds_read_b128 v[1:4], v78
	v_cmp_ne_u32_e32 vcc_lo, 1, v79
	s_cbranch_vccnz .LBB99_458
; %bb.457:
	s_clause 0x3
	buffer_load_dword v80, v77, s[0:3], 0 offen offset:8
	buffer_load_dword v81, v77, s[0:3], 0 offen offset:12
	buffer_load_dword v84, v77, s[0:3], 0 offen
	buffer_load_dword v85, v77, s[0:3], 0 offen offset:4
	s_waitcnt vmcnt(2) lgkmcnt(0)
	v_mul_f64 v[86:87], v[3:4], v[80:81]
	v_mul_f64 v[80:81], v[1:2], v[80:81]
	s_waitcnt vmcnt(0)
	v_fma_f64 v[1:2], v[1:2], v[84:85], -v[86:87]
	v_fma_f64 v[3:4], v[3:4], v[84:85], v[80:81]
.LBB99_458:
	s_mov_b32 s6, exec_lo
	v_cmpx_ne_u32_e32 22, v0
	s_cbranch_execz .LBB99_462
; %bb.459:
	v_add_nc_u32_e32 v80, 0x250, v83
	v_add3_u32 v81, 0, v83, 16
	v_mov_b32_e32 v82, v0
	s_mov_b32 s8, 0
	.p2align	6
.LBB99_460:                             ; =>This Inner Loop Header: Depth=1
	s_clause 0x3
	buffer_load_dword v88, v81, s[0:3], 0 offen offset:8
	buffer_load_dword v89, v81, s[0:3], 0 offen offset:12
	buffer_load_dword v90, v81, s[0:3], 0 offen
	buffer_load_dword v91, v81, s[0:3], 0 offen offset:4
	ds_read_b128 v[84:87], v80
	v_add_nc_u32_e32 v82, 1, v82
	v_add_nc_u32_e32 v80, 16, v80
	;; [unrolled: 1-line block ×3, first 2 shown]
	v_cmp_lt_u32_e32 vcc_lo, 21, v82
	s_or_b32 s8, vcc_lo, s8
	s_waitcnt vmcnt(2) lgkmcnt(0)
	v_mul_f64 v[92:93], v[86:87], v[88:89]
	v_mul_f64 v[88:89], v[84:85], v[88:89]
	s_waitcnt vmcnt(0)
	v_fma_f64 v[84:85], v[84:85], v[90:91], -v[92:93]
	v_fma_f64 v[86:87], v[86:87], v[90:91], v[88:89]
	v_add_f64 v[1:2], v[1:2], v[84:85]
	v_add_f64 v[3:4], v[3:4], v[86:87]
	s_andn2_b32 exec_lo, exec_lo, s8
	s_cbranch_execnz .LBB99_460
; %bb.461:
	s_or_b32 exec_lo, exec_lo, s8
.LBB99_462:
	s_or_b32 exec_lo, exec_lo, s6
	v_mov_b32_e32 v80, 0
	ds_read_b128 v[84:87], v80 offset:368
	s_waitcnt lgkmcnt(0)
	v_mul_f64 v[80:81], v[3:4], v[86:87]
	v_mul_f64 v[86:87], v[1:2], v[86:87]
	v_fma_f64 v[1:2], v[1:2], v[84:85], -v[80:81]
	v_fma_f64 v[3:4], v[3:4], v[84:85], v[86:87]
	buffer_store_dword v2, off, s[0:3], 0 offset:372
	buffer_store_dword v1, off, s[0:3], 0 offset:368
	;; [unrolled: 1-line block ×4, first 2 shown]
.LBB99_463:
	s_or_b32 exec_lo, exec_lo, s4
	v_mov_b32_e32 v4, s19
	s_mov_b32 s4, exec_lo
	s_clause 0x3
	buffer_load_dword v1, v4, s[0:3], 0 offen
	buffer_load_dword v2, v4, s[0:3], 0 offen offset:4
	buffer_load_dword v3, v4, s[0:3], 0 offen offset:8
	;; [unrolled: 1-line block ×3, first 2 shown]
	s_waitcnt vmcnt(0)
	ds_write_b128 v78, v[1:4]
	s_waitcnt lgkmcnt(0)
	s_waitcnt_vscnt null, 0x0
	s_barrier
	buffer_gl0_inv
	v_cmpx_gt_u32_e32 24, v0
	s_cbranch_execz .LBB99_471
; %bb.464:
	ds_read_b128 v[1:4], v78
	v_cmp_ne_u32_e32 vcc_lo, 1, v79
	s_cbranch_vccnz .LBB99_466
; %bb.465:
	s_clause 0x3
	buffer_load_dword v80, v77, s[0:3], 0 offen offset:8
	buffer_load_dword v81, v77, s[0:3], 0 offen offset:12
	buffer_load_dword v84, v77, s[0:3], 0 offen
	buffer_load_dword v85, v77, s[0:3], 0 offen offset:4
	s_waitcnt vmcnt(2) lgkmcnt(0)
	v_mul_f64 v[86:87], v[3:4], v[80:81]
	v_mul_f64 v[80:81], v[1:2], v[80:81]
	s_waitcnt vmcnt(0)
	v_fma_f64 v[1:2], v[1:2], v[84:85], -v[86:87]
	v_fma_f64 v[3:4], v[3:4], v[84:85], v[80:81]
.LBB99_466:
	s_mov_b32 s6, exec_lo
	v_cmpx_ne_u32_e32 23, v0
	s_cbranch_execz .LBB99_470
; %bb.467:
	v_add_nc_u32_e32 v80, 0x250, v83
	v_add3_u32 v81, 0, v83, 16
	v_mov_b32_e32 v82, v0
	s_mov_b32 s8, 0
	.p2align	6
.LBB99_468:                             ; =>This Inner Loop Header: Depth=1
	s_clause 0x3
	buffer_load_dword v88, v81, s[0:3], 0 offen offset:8
	buffer_load_dword v89, v81, s[0:3], 0 offen offset:12
	buffer_load_dword v90, v81, s[0:3], 0 offen
	buffer_load_dword v91, v81, s[0:3], 0 offen offset:4
	ds_read_b128 v[84:87], v80
	v_add_nc_u32_e32 v82, 1, v82
	v_add_nc_u32_e32 v80, 16, v80
	;; [unrolled: 1-line block ×3, first 2 shown]
	v_cmp_lt_u32_e32 vcc_lo, 22, v82
	s_or_b32 s8, vcc_lo, s8
	s_waitcnt vmcnt(2) lgkmcnt(0)
	v_mul_f64 v[92:93], v[86:87], v[88:89]
	v_mul_f64 v[88:89], v[84:85], v[88:89]
	s_waitcnt vmcnt(0)
	v_fma_f64 v[84:85], v[84:85], v[90:91], -v[92:93]
	v_fma_f64 v[86:87], v[86:87], v[90:91], v[88:89]
	v_add_f64 v[1:2], v[1:2], v[84:85]
	v_add_f64 v[3:4], v[3:4], v[86:87]
	s_andn2_b32 exec_lo, exec_lo, s8
	s_cbranch_execnz .LBB99_468
; %bb.469:
	s_or_b32 exec_lo, exec_lo, s8
.LBB99_470:
	s_or_b32 exec_lo, exec_lo, s6
	v_mov_b32_e32 v80, 0
	ds_read_b128 v[84:87], v80 offset:384
	s_waitcnt lgkmcnt(0)
	v_mul_f64 v[80:81], v[3:4], v[86:87]
	v_mul_f64 v[86:87], v[1:2], v[86:87]
	v_fma_f64 v[1:2], v[1:2], v[84:85], -v[80:81]
	v_fma_f64 v[3:4], v[3:4], v[84:85], v[86:87]
	buffer_store_dword v2, off, s[0:3], 0 offset:388
	buffer_store_dword v1, off, s[0:3], 0 offset:384
	;; [unrolled: 1-line block ×4, first 2 shown]
.LBB99_471:
	s_or_b32 exec_lo, exec_lo, s4
	v_mov_b32_e32 v4, s18
	s_mov_b32 s4, exec_lo
	s_clause 0x3
	buffer_load_dword v1, v4, s[0:3], 0 offen
	buffer_load_dword v2, v4, s[0:3], 0 offen offset:4
	buffer_load_dword v3, v4, s[0:3], 0 offen offset:8
	;; [unrolled: 1-line block ×3, first 2 shown]
	s_waitcnt vmcnt(0)
	ds_write_b128 v78, v[1:4]
	s_waitcnt lgkmcnt(0)
	s_waitcnt_vscnt null, 0x0
	s_barrier
	buffer_gl0_inv
	v_cmpx_gt_u32_e32 25, v0
	s_cbranch_execz .LBB99_479
; %bb.472:
	ds_read_b128 v[1:4], v78
	v_cmp_ne_u32_e32 vcc_lo, 1, v79
	s_cbranch_vccnz .LBB99_474
; %bb.473:
	s_clause 0x3
	buffer_load_dword v80, v77, s[0:3], 0 offen offset:8
	buffer_load_dword v81, v77, s[0:3], 0 offen offset:12
	buffer_load_dword v84, v77, s[0:3], 0 offen
	buffer_load_dword v85, v77, s[0:3], 0 offen offset:4
	s_waitcnt vmcnt(2) lgkmcnt(0)
	v_mul_f64 v[86:87], v[3:4], v[80:81]
	v_mul_f64 v[80:81], v[1:2], v[80:81]
	s_waitcnt vmcnt(0)
	v_fma_f64 v[1:2], v[1:2], v[84:85], -v[86:87]
	v_fma_f64 v[3:4], v[3:4], v[84:85], v[80:81]
.LBB99_474:
	s_mov_b32 s6, exec_lo
	v_cmpx_ne_u32_e32 24, v0
	s_cbranch_execz .LBB99_478
; %bb.475:
	v_add_nc_u32_e32 v80, 0x250, v83
	v_add3_u32 v81, 0, v83, 16
	v_mov_b32_e32 v82, v0
	s_mov_b32 s8, 0
	.p2align	6
.LBB99_476:                             ; =>This Inner Loop Header: Depth=1
	s_clause 0x3
	buffer_load_dword v88, v81, s[0:3], 0 offen offset:8
	buffer_load_dword v89, v81, s[0:3], 0 offen offset:12
	buffer_load_dword v90, v81, s[0:3], 0 offen
	buffer_load_dword v91, v81, s[0:3], 0 offen offset:4
	ds_read_b128 v[84:87], v80
	v_add_nc_u32_e32 v82, 1, v82
	v_add_nc_u32_e32 v80, 16, v80
	;; [unrolled: 1-line block ×3, first 2 shown]
	v_cmp_lt_u32_e32 vcc_lo, 23, v82
	s_or_b32 s8, vcc_lo, s8
	s_waitcnt vmcnt(2) lgkmcnt(0)
	v_mul_f64 v[92:93], v[86:87], v[88:89]
	v_mul_f64 v[88:89], v[84:85], v[88:89]
	s_waitcnt vmcnt(0)
	v_fma_f64 v[84:85], v[84:85], v[90:91], -v[92:93]
	v_fma_f64 v[86:87], v[86:87], v[90:91], v[88:89]
	v_add_f64 v[1:2], v[1:2], v[84:85]
	v_add_f64 v[3:4], v[3:4], v[86:87]
	s_andn2_b32 exec_lo, exec_lo, s8
	s_cbranch_execnz .LBB99_476
; %bb.477:
	s_or_b32 exec_lo, exec_lo, s8
.LBB99_478:
	s_or_b32 exec_lo, exec_lo, s6
	v_mov_b32_e32 v80, 0
	ds_read_b128 v[84:87], v80 offset:400
	s_waitcnt lgkmcnt(0)
	v_mul_f64 v[80:81], v[3:4], v[86:87]
	v_mul_f64 v[86:87], v[1:2], v[86:87]
	v_fma_f64 v[1:2], v[1:2], v[84:85], -v[80:81]
	v_fma_f64 v[3:4], v[3:4], v[84:85], v[86:87]
	buffer_store_dword v2, off, s[0:3], 0 offset:404
	buffer_store_dword v1, off, s[0:3], 0 offset:400
	buffer_store_dword v4, off, s[0:3], 0 offset:412
	buffer_store_dword v3, off, s[0:3], 0 offset:408
.LBB99_479:
	s_or_b32 exec_lo, exec_lo, s4
	v_mov_b32_e32 v4, s17
	s_mov_b32 s4, exec_lo
	s_clause 0x3
	buffer_load_dword v1, v4, s[0:3], 0 offen
	buffer_load_dword v2, v4, s[0:3], 0 offen offset:4
	buffer_load_dword v3, v4, s[0:3], 0 offen offset:8
	;; [unrolled: 1-line block ×3, first 2 shown]
	s_waitcnt vmcnt(0)
	ds_write_b128 v78, v[1:4]
	s_waitcnt lgkmcnt(0)
	s_waitcnt_vscnt null, 0x0
	s_barrier
	buffer_gl0_inv
	v_cmpx_gt_u32_e32 26, v0
	s_cbranch_execz .LBB99_487
; %bb.480:
	ds_read_b128 v[1:4], v78
	v_cmp_ne_u32_e32 vcc_lo, 1, v79
	s_cbranch_vccnz .LBB99_482
; %bb.481:
	s_clause 0x3
	buffer_load_dword v80, v77, s[0:3], 0 offen offset:8
	buffer_load_dword v81, v77, s[0:3], 0 offen offset:12
	buffer_load_dword v84, v77, s[0:3], 0 offen
	buffer_load_dword v85, v77, s[0:3], 0 offen offset:4
	s_waitcnt vmcnt(2) lgkmcnt(0)
	v_mul_f64 v[86:87], v[3:4], v[80:81]
	v_mul_f64 v[80:81], v[1:2], v[80:81]
	s_waitcnt vmcnt(0)
	v_fma_f64 v[1:2], v[1:2], v[84:85], -v[86:87]
	v_fma_f64 v[3:4], v[3:4], v[84:85], v[80:81]
.LBB99_482:
	s_mov_b32 s6, exec_lo
	v_cmpx_ne_u32_e32 25, v0
	s_cbranch_execz .LBB99_486
; %bb.483:
	v_add_nc_u32_e32 v80, 0x250, v83
	v_add3_u32 v81, 0, v83, 16
	v_mov_b32_e32 v82, v0
	s_mov_b32 s8, 0
	.p2align	6
.LBB99_484:                             ; =>This Inner Loop Header: Depth=1
	s_clause 0x3
	buffer_load_dword v88, v81, s[0:3], 0 offen offset:8
	buffer_load_dword v89, v81, s[0:3], 0 offen offset:12
	buffer_load_dword v90, v81, s[0:3], 0 offen
	buffer_load_dword v91, v81, s[0:3], 0 offen offset:4
	ds_read_b128 v[84:87], v80
	v_add_nc_u32_e32 v82, 1, v82
	v_add_nc_u32_e32 v80, 16, v80
	;; [unrolled: 1-line block ×3, first 2 shown]
	v_cmp_lt_u32_e32 vcc_lo, 24, v82
	s_or_b32 s8, vcc_lo, s8
	s_waitcnt vmcnt(2) lgkmcnt(0)
	v_mul_f64 v[92:93], v[86:87], v[88:89]
	v_mul_f64 v[88:89], v[84:85], v[88:89]
	s_waitcnt vmcnt(0)
	v_fma_f64 v[84:85], v[84:85], v[90:91], -v[92:93]
	v_fma_f64 v[86:87], v[86:87], v[90:91], v[88:89]
	v_add_f64 v[1:2], v[1:2], v[84:85]
	v_add_f64 v[3:4], v[3:4], v[86:87]
	s_andn2_b32 exec_lo, exec_lo, s8
	s_cbranch_execnz .LBB99_484
; %bb.485:
	s_or_b32 exec_lo, exec_lo, s8
.LBB99_486:
	s_or_b32 exec_lo, exec_lo, s6
	v_mov_b32_e32 v80, 0
	ds_read_b128 v[84:87], v80 offset:416
	s_waitcnt lgkmcnt(0)
	v_mul_f64 v[80:81], v[3:4], v[86:87]
	v_mul_f64 v[86:87], v[1:2], v[86:87]
	v_fma_f64 v[1:2], v[1:2], v[84:85], -v[80:81]
	v_fma_f64 v[3:4], v[3:4], v[84:85], v[86:87]
	buffer_store_dword v2, off, s[0:3], 0 offset:420
	buffer_store_dword v1, off, s[0:3], 0 offset:416
	;; [unrolled: 1-line block ×4, first 2 shown]
.LBB99_487:
	s_or_b32 exec_lo, exec_lo, s4
	v_mov_b32_e32 v4, s16
	s_mov_b32 s4, exec_lo
	s_clause 0x3
	buffer_load_dword v1, v4, s[0:3], 0 offen
	buffer_load_dword v2, v4, s[0:3], 0 offen offset:4
	buffer_load_dword v3, v4, s[0:3], 0 offen offset:8
	;; [unrolled: 1-line block ×3, first 2 shown]
	s_waitcnt vmcnt(0)
	ds_write_b128 v78, v[1:4]
	s_waitcnt lgkmcnt(0)
	s_waitcnt_vscnt null, 0x0
	s_barrier
	buffer_gl0_inv
	v_cmpx_gt_u32_e32 27, v0
	s_cbranch_execz .LBB99_495
; %bb.488:
	ds_read_b128 v[1:4], v78
	v_cmp_ne_u32_e32 vcc_lo, 1, v79
	s_cbranch_vccnz .LBB99_490
; %bb.489:
	s_clause 0x3
	buffer_load_dword v80, v77, s[0:3], 0 offen offset:8
	buffer_load_dword v81, v77, s[0:3], 0 offen offset:12
	buffer_load_dword v84, v77, s[0:3], 0 offen
	buffer_load_dword v85, v77, s[0:3], 0 offen offset:4
	s_waitcnt vmcnt(2) lgkmcnt(0)
	v_mul_f64 v[86:87], v[3:4], v[80:81]
	v_mul_f64 v[80:81], v[1:2], v[80:81]
	s_waitcnt vmcnt(0)
	v_fma_f64 v[1:2], v[1:2], v[84:85], -v[86:87]
	v_fma_f64 v[3:4], v[3:4], v[84:85], v[80:81]
.LBB99_490:
	s_mov_b32 s6, exec_lo
	v_cmpx_ne_u32_e32 26, v0
	s_cbranch_execz .LBB99_494
; %bb.491:
	v_add_nc_u32_e32 v80, 0x250, v83
	v_add3_u32 v81, 0, v83, 16
	v_mov_b32_e32 v82, v0
	s_mov_b32 s8, 0
	.p2align	6
.LBB99_492:                             ; =>This Inner Loop Header: Depth=1
	s_clause 0x3
	buffer_load_dword v88, v81, s[0:3], 0 offen offset:8
	buffer_load_dword v89, v81, s[0:3], 0 offen offset:12
	buffer_load_dword v90, v81, s[0:3], 0 offen
	buffer_load_dword v91, v81, s[0:3], 0 offen offset:4
	ds_read_b128 v[84:87], v80
	v_add_nc_u32_e32 v82, 1, v82
	v_add_nc_u32_e32 v80, 16, v80
	;; [unrolled: 1-line block ×3, first 2 shown]
	v_cmp_lt_u32_e32 vcc_lo, 25, v82
	s_or_b32 s8, vcc_lo, s8
	s_waitcnt vmcnt(2) lgkmcnt(0)
	v_mul_f64 v[92:93], v[86:87], v[88:89]
	v_mul_f64 v[88:89], v[84:85], v[88:89]
	s_waitcnt vmcnt(0)
	v_fma_f64 v[84:85], v[84:85], v[90:91], -v[92:93]
	v_fma_f64 v[86:87], v[86:87], v[90:91], v[88:89]
	v_add_f64 v[1:2], v[1:2], v[84:85]
	v_add_f64 v[3:4], v[3:4], v[86:87]
	s_andn2_b32 exec_lo, exec_lo, s8
	s_cbranch_execnz .LBB99_492
; %bb.493:
	s_or_b32 exec_lo, exec_lo, s8
.LBB99_494:
	s_or_b32 exec_lo, exec_lo, s6
	v_mov_b32_e32 v80, 0
	ds_read_b128 v[84:87], v80 offset:432
	s_waitcnt lgkmcnt(0)
	v_mul_f64 v[80:81], v[3:4], v[86:87]
	v_mul_f64 v[86:87], v[1:2], v[86:87]
	v_fma_f64 v[1:2], v[1:2], v[84:85], -v[80:81]
	v_fma_f64 v[3:4], v[3:4], v[84:85], v[86:87]
	buffer_store_dword v2, off, s[0:3], 0 offset:436
	buffer_store_dword v1, off, s[0:3], 0 offset:432
	;; [unrolled: 1-line block ×4, first 2 shown]
.LBB99_495:
	s_or_b32 exec_lo, exec_lo, s4
	v_mov_b32_e32 v4, s15
	s_mov_b32 s4, exec_lo
	s_clause 0x3
	buffer_load_dword v1, v4, s[0:3], 0 offen
	buffer_load_dword v2, v4, s[0:3], 0 offen offset:4
	buffer_load_dword v3, v4, s[0:3], 0 offen offset:8
	;; [unrolled: 1-line block ×3, first 2 shown]
	s_waitcnt vmcnt(0)
	ds_write_b128 v78, v[1:4]
	s_waitcnt lgkmcnt(0)
	s_waitcnt_vscnt null, 0x0
	s_barrier
	buffer_gl0_inv
	v_cmpx_gt_u32_e32 28, v0
	s_cbranch_execz .LBB99_503
; %bb.496:
	ds_read_b128 v[1:4], v78
	v_cmp_ne_u32_e32 vcc_lo, 1, v79
	s_cbranch_vccnz .LBB99_498
; %bb.497:
	s_clause 0x3
	buffer_load_dword v80, v77, s[0:3], 0 offen offset:8
	buffer_load_dword v81, v77, s[0:3], 0 offen offset:12
	buffer_load_dword v84, v77, s[0:3], 0 offen
	buffer_load_dword v85, v77, s[0:3], 0 offen offset:4
	s_waitcnt vmcnt(2) lgkmcnt(0)
	v_mul_f64 v[86:87], v[3:4], v[80:81]
	v_mul_f64 v[80:81], v[1:2], v[80:81]
	s_waitcnt vmcnt(0)
	v_fma_f64 v[1:2], v[1:2], v[84:85], -v[86:87]
	v_fma_f64 v[3:4], v[3:4], v[84:85], v[80:81]
.LBB99_498:
	s_mov_b32 s6, exec_lo
	v_cmpx_ne_u32_e32 27, v0
	s_cbranch_execz .LBB99_502
; %bb.499:
	v_add_nc_u32_e32 v80, 0x250, v83
	v_add3_u32 v81, 0, v83, 16
	v_mov_b32_e32 v82, v0
	s_mov_b32 s8, 0
	.p2align	6
.LBB99_500:                             ; =>This Inner Loop Header: Depth=1
	s_clause 0x3
	buffer_load_dword v88, v81, s[0:3], 0 offen offset:8
	buffer_load_dword v89, v81, s[0:3], 0 offen offset:12
	buffer_load_dword v90, v81, s[0:3], 0 offen
	buffer_load_dword v91, v81, s[0:3], 0 offen offset:4
	ds_read_b128 v[84:87], v80
	v_add_nc_u32_e32 v82, 1, v82
	v_add_nc_u32_e32 v80, 16, v80
	;; [unrolled: 1-line block ×3, first 2 shown]
	v_cmp_lt_u32_e32 vcc_lo, 26, v82
	s_or_b32 s8, vcc_lo, s8
	s_waitcnt vmcnt(2) lgkmcnt(0)
	v_mul_f64 v[92:93], v[86:87], v[88:89]
	v_mul_f64 v[88:89], v[84:85], v[88:89]
	s_waitcnt vmcnt(0)
	v_fma_f64 v[84:85], v[84:85], v[90:91], -v[92:93]
	v_fma_f64 v[86:87], v[86:87], v[90:91], v[88:89]
	v_add_f64 v[1:2], v[1:2], v[84:85]
	v_add_f64 v[3:4], v[3:4], v[86:87]
	s_andn2_b32 exec_lo, exec_lo, s8
	s_cbranch_execnz .LBB99_500
; %bb.501:
	s_or_b32 exec_lo, exec_lo, s8
.LBB99_502:
	s_or_b32 exec_lo, exec_lo, s6
	v_mov_b32_e32 v80, 0
	ds_read_b128 v[84:87], v80 offset:448
	s_waitcnt lgkmcnt(0)
	v_mul_f64 v[80:81], v[3:4], v[86:87]
	v_mul_f64 v[86:87], v[1:2], v[86:87]
	v_fma_f64 v[1:2], v[1:2], v[84:85], -v[80:81]
	v_fma_f64 v[3:4], v[3:4], v[84:85], v[86:87]
	buffer_store_dword v2, off, s[0:3], 0 offset:452
	buffer_store_dword v1, off, s[0:3], 0 offset:448
	;; [unrolled: 1-line block ×4, first 2 shown]
.LBB99_503:
	s_or_b32 exec_lo, exec_lo, s4
	v_mov_b32_e32 v4, s14
	s_mov_b32 s4, exec_lo
	s_clause 0x3
	buffer_load_dword v1, v4, s[0:3], 0 offen
	buffer_load_dword v2, v4, s[0:3], 0 offen offset:4
	buffer_load_dword v3, v4, s[0:3], 0 offen offset:8
	;; [unrolled: 1-line block ×3, first 2 shown]
	s_waitcnt vmcnt(0)
	ds_write_b128 v78, v[1:4]
	s_waitcnt lgkmcnt(0)
	s_waitcnt_vscnt null, 0x0
	s_barrier
	buffer_gl0_inv
	v_cmpx_gt_u32_e32 29, v0
	s_cbranch_execz .LBB99_511
; %bb.504:
	ds_read_b128 v[1:4], v78
	v_cmp_ne_u32_e32 vcc_lo, 1, v79
	s_cbranch_vccnz .LBB99_506
; %bb.505:
	s_clause 0x3
	buffer_load_dword v80, v77, s[0:3], 0 offen offset:8
	buffer_load_dword v81, v77, s[0:3], 0 offen offset:12
	buffer_load_dword v84, v77, s[0:3], 0 offen
	buffer_load_dword v85, v77, s[0:3], 0 offen offset:4
	s_waitcnt vmcnt(2) lgkmcnt(0)
	v_mul_f64 v[86:87], v[3:4], v[80:81]
	v_mul_f64 v[80:81], v[1:2], v[80:81]
	s_waitcnt vmcnt(0)
	v_fma_f64 v[1:2], v[1:2], v[84:85], -v[86:87]
	v_fma_f64 v[3:4], v[3:4], v[84:85], v[80:81]
.LBB99_506:
	s_mov_b32 s6, exec_lo
	v_cmpx_ne_u32_e32 28, v0
	s_cbranch_execz .LBB99_510
; %bb.507:
	v_add_nc_u32_e32 v80, 0x250, v83
	v_add3_u32 v81, 0, v83, 16
	v_mov_b32_e32 v82, v0
	s_mov_b32 s8, 0
	.p2align	6
.LBB99_508:                             ; =>This Inner Loop Header: Depth=1
	s_clause 0x3
	buffer_load_dword v88, v81, s[0:3], 0 offen offset:8
	buffer_load_dword v89, v81, s[0:3], 0 offen offset:12
	buffer_load_dword v90, v81, s[0:3], 0 offen
	buffer_load_dword v91, v81, s[0:3], 0 offen offset:4
	ds_read_b128 v[84:87], v80
	v_add_nc_u32_e32 v82, 1, v82
	v_add_nc_u32_e32 v80, 16, v80
	;; [unrolled: 1-line block ×3, first 2 shown]
	v_cmp_lt_u32_e32 vcc_lo, 27, v82
	s_or_b32 s8, vcc_lo, s8
	s_waitcnt vmcnt(2) lgkmcnt(0)
	v_mul_f64 v[92:93], v[86:87], v[88:89]
	v_mul_f64 v[88:89], v[84:85], v[88:89]
	s_waitcnt vmcnt(0)
	v_fma_f64 v[84:85], v[84:85], v[90:91], -v[92:93]
	v_fma_f64 v[86:87], v[86:87], v[90:91], v[88:89]
	v_add_f64 v[1:2], v[1:2], v[84:85]
	v_add_f64 v[3:4], v[3:4], v[86:87]
	s_andn2_b32 exec_lo, exec_lo, s8
	s_cbranch_execnz .LBB99_508
; %bb.509:
	s_or_b32 exec_lo, exec_lo, s8
.LBB99_510:
	s_or_b32 exec_lo, exec_lo, s6
	v_mov_b32_e32 v80, 0
	ds_read_b128 v[84:87], v80 offset:464
	s_waitcnt lgkmcnt(0)
	v_mul_f64 v[80:81], v[3:4], v[86:87]
	v_mul_f64 v[86:87], v[1:2], v[86:87]
	v_fma_f64 v[1:2], v[1:2], v[84:85], -v[80:81]
	v_fma_f64 v[3:4], v[3:4], v[84:85], v[86:87]
	buffer_store_dword v2, off, s[0:3], 0 offset:468
	buffer_store_dword v1, off, s[0:3], 0 offset:464
	;; [unrolled: 1-line block ×4, first 2 shown]
.LBB99_511:
	s_or_b32 exec_lo, exec_lo, s4
	v_mov_b32_e32 v4, s13
	s_mov_b32 s4, exec_lo
	s_clause 0x3
	buffer_load_dword v1, v4, s[0:3], 0 offen
	buffer_load_dword v2, v4, s[0:3], 0 offen offset:4
	buffer_load_dword v3, v4, s[0:3], 0 offen offset:8
	;; [unrolled: 1-line block ×3, first 2 shown]
	s_waitcnt vmcnt(0)
	ds_write_b128 v78, v[1:4]
	s_waitcnt lgkmcnt(0)
	s_waitcnt_vscnt null, 0x0
	s_barrier
	buffer_gl0_inv
	v_cmpx_gt_u32_e32 30, v0
	s_cbranch_execz .LBB99_519
; %bb.512:
	ds_read_b128 v[1:4], v78
	v_cmp_ne_u32_e32 vcc_lo, 1, v79
	s_cbranch_vccnz .LBB99_514
; %bb.513:
	s_clause 0x3
	buffer_load_dword v80, v77, s[0:3], 0 offen offset:8
	buffer_load_dword v81, v77, s[0:3], 0 offen offset:12
	buffer_load_dword v84, v77, s[0:3], 0 offen
	buffer_load_dword v85, v77, s[0:3], 0 offen offset:4
	s_waitcnt vmcnt(2) lgkmcnt(0)
	v_mul_f64 v[86:87], v[3:4], v[80:81]
	v_mul_f64 v[80:81], v[1:2], v[80:81]
	s_waitcnt vmcnt(0)
	v_fma_f64 v[1:2], v[1:2], v[84:85], -v[86:87]
	v_fma_f64 v[3:4], v[3:4], v[84:85], v[80:81]
.LBB99_514:
	s_mov_b32 s6, exec_lo
	v_cmpx_ne_u32_e32 29, v0
	s_cbranch_execz .LBB99_518
; %bb.515:
	v_add_nc_u32_e32 v80, 0x250, v83
	v_add3_u32 v81, 0, v83, 16
	v_mov_b32_e32 v82, v0
	s_mov_b32 s8, 0
	.p2align	6
.LBB99_516:                             ; =>This Inner Loop Header: Depth=1
	s_clause 0x3
	buffer_load_dword v88, v81, s[0:3], 0 offen offset:8
	buffer_load_dword v89, v81, s[0:3], 0 offen offset:12
	buffer_load_dword v90, v81, s[0:3], 0 offen
	buffer_load_dword v91, v81, s[0:3], 0 offen offset:4
	ds_read_b128 v[84:87], v80
	v_add_nc_u32_e32 v82, 1, v82
	v_add_nc_u32_e32 v80, 16, v80
	v_add_nc_u32_e32 v81, 16, v81
	v_cmp_lt_u32_e32 vcc_lo, 28, v82
	s_or_b32 s8, vcc_lo, s8
	s_waitcnt vmcnt(2) lgkmcnt(0)
	v_mul_f64 v[92:93], v[86:87], v[88:89]
	v_mul_f64 v[88:89], v[84:85], v[88:89]
	s_waitcnt vmcnt(0)
	v_fma_f64 v[84:85], v[84:85], v[90:91], -v[92:93]
	v_fma_f64 v[86:87], v[86:87], v[90:91], v[88:89]
	v_add_f64 v[1:2], v[1:2], v[84:85]
	v_add_f64 v[3:4], v[3:4], v[86:87]
	s_andn2_b32 exec_lo, exec_lo, s8
	s_cbranch_execnz .LBB99_516
; %bb.517:
	s_or_b32 exec_lo, exec_lo, s8
.LBB99_518:
	s_or_b32 exec_lo, exec_lo, s6
	v_mov_b32_e32 v80, 0
	ds_read_b128 v[84:87], v80 offset:480
	s_waitcnt lgkmcnt(0)
	v_mul_f64 v[80:81], v[3:4], v[86:87]
	v_mul_f64 v[86:87], v[1:2], v[86:87]
	v_fma_f64 v[1:2], v[1:2], v[84:85], -v[80:81]
	v_fma_f64 v[3:4], v[3:4], v[84:85], v[86:87]
	buffer_store_dword v2, off, s[0:3], 0 offset:484
	buffer_store_dword v1, off, s[0:3], 0 offset:480
	;; [unrolled: 1-line block ×4, first 2 shown]
.LBB99_519:
	s_or_b32 exec_lo, exec_lo, s4
	v_mov_b32_e32 v4, s12
	s_mov_b32 s4, exec_lo
	s_clause 0x3
	buffer_load_dword v1, v4, s[0:3], 0 offen
	buffer_load_dword v2, v4, s[0:3], 0 offen offset:4
	buffer_load_dword v3, v4, s[0:3], 0 offen offset:8
	;; [unrolled: 1-line block ×3, first 2 shown]
	s_waitcnt vmcnt(0)
	ds_write_b128 v78, v[1:4]
	s_waitcnt lgkmcnt(0)
	s_waitcnt_vscnt null, 0x0
	s_barrier
	buffer_gl0_inv
	v_cmpx_gt_u32_e32 31, v0
	s_cbranch_execz .LBB99_527
; %bb.520:
	ds_read_b128 v[1:4], v78
	v_cmp_ne_u32_e32 vcc_lo, 1, v79
	s_cbranch_vccnz .LBB99_522
; %bb.521:
	s_clause 0x3
	buffer_load_dword v80, v77, s[0:3], 0 offen offset:8
	buffer_load_dword v81, v77, s[0:3], 0 offen offset:12
	buffer_load_dword v84, v77, s[0:3], 0 offen
	buffer_load_dword v85, v77, s[0:3], 0 offen offset:4
	s_waitcnt vmcnt(2) lgkmcnt(0)
	v_mul_f64 v[86:87], v[3:4], v[80:81]
	v_mul_f64 v[80:81], v[1:2], v[80:81]
	s_waitcnt vmcnt(0)
	v_fma_f64 v[1:2], v[1:2], v[84:85], -v[86:87]
	v_fma_f64 v[3:4], v[3:4], v[84:85], v[80:81]
.LBB99_522:
	s_mov_b32 s6, exec_lo
	v_cmpx_ne_u32_e32 30, v0
	s_cbranch_execz .LBB99_526
; %bb.523:
	v_add_nc_u32_e32 v80, 0x250, v83
	v_add3_u32 v81, 0, v83, 16
	v_mov_b32_e32 v82, v0
	s_mov_b32 s8, 0
	.p2align	6
.LBB99_524:                             ; =>This Inner Loop Header: Depth=1
	s_clause 0x3
	buffer_load_dword v88, v81, s[0:3], 0 offen offset:8
	buffer_load_dword v89, v81, s[0:3], 0 offen offset:12
	buffer_load_dword v90, v81, s[0:3], 0 offen
	buffer_load_dword v91, v81, s[0:3], 0 offen offset:4
	ds_read_b128 v[84:87], v80
	v_add_nc_u32_e32 v82, 1, v82
	v_add_nc_u32_e32 v80, 16, v80
	;; [unrolled: 1-line block ×3, first 2 shown]
	v_cmp_lt_u32_e32 vcc_lo, 29, v82
	s_or_b32 s8, vcc_lo, s8
	s_waitcnt vmcnt(2) lgkmcnt(0)
	v_mul_f64 v[92:93], v[86:87], v[88:89]
	v_mul_f64 v[88:89], v[84:85], v[88:89]
	s_waitcnt vmcnt(0)
	v_fma_f64 v[84:85], v[84:85], v[90:91], -v[92:93]
	v_fma_f64 v[86:87], v[86:87], v[90:91], v[88:89]
	v_add_f64 v[1:2], v[1:2], v[84:85]
	v_add_f64 v[3:4], v[3:4], v[86:87]
	s_andn2_b32 exec_lo, exec_lo, s8
	s_cbranch_execnz .LBB99_524
; %bb.525:
	s_or_b32 exec_lo, exec_lo, s8
.LBB99_526:
	s_or_b32 exec_lo, exec_lo, s6
	v_mov_b32_e32 v80, 0
	ds_read_b128 v[84:87], v80 offset:496
	s_waitcnt lgkmcnt(0)
	v_mul_f64 v[80:81], v[3:4], v[86:87]
	v_mul_f64 v[86:87], v[1:2], v[86:87]
	v_fma_f64 v[1:2], v[1:2], v[84:85], -v[80:81]
	v_fma_f64 v[3:4], v[3:4], v[84:85], v[86:87]
	buffer_store_dword v2, off, s[0:3], 0 offset:500
	buffer_store_dword v1, off, s[0:3], 0 offset:496
	;; [unrolled: 1-line block ×4, first 2 shown]
.LBB99_527:
	s_or_b32 exec_lo, exec_lo, s4
	v_mov_b32_e32 v4, s11
	s_mov_b32 s4, exec_lo
	s_clause 0x3
	buffer_load_dword v1, v4, s[0:3], 0 offen
	buffer_load_dword v2, v4, s[0:3], 0 offen offset:4
	buffer_load_dword v3, v4, s[0:3], 0 offen offset:8
	;; [unrolled: 1-line block ×3, first 2 shown]
	s_waitcnt vmcnt(0)
	ds_write_b128 v78, v[1:4]
	s_waitcnt lgkmcnt(0)
	s_waitcnt_vscnt null, 0x0
	s_barrier
	buffer_gl0_inv
	v_cmpx_gt_u32_e32 32, v0
	s_cbranch_execz .LBB99_535
; %bb.528:
	ds_read_b128 v[1:4], v78
	v_cmp_ne_u32_e32 vcc_lo, 1, v79
	s_cbranch_vccnz .LBB99_530
; %bb.529:
	s_clause 0x3
	buffer_load_dword v80, v77, s[0:3], 0 offen offset:8
	buffer_load_dword v81, v77, s[0:3], 0 offen offset:12
	buffer_load_dword v84, v77, s[0:3], 0 offen
	buffer_load_dword v85, v77, s[0:3], 0 offen offset:4
	s_waitcnt vmcnt(2) lgkmcnt(0)
	v_mul_f64 v[86:87], v[3:4], v[80:81]
	v_mul_f64 v[80:81], v[1:2], v[80:81]
	s_waitcnt vmcnt(0)
	v_fma_f64 v[1:2], v[1:2], v[84:85], -v[86:87]
	v_fma_f64 v[3:4], v[3:4], v[84:85], v[80:81]
.LBB99_530:
	s_mov_b32 s6, exec_lo
	v_cmpx_ne_u32_e32 31, v0
	s_cbranch_execz .LBB99_534
; %bb.531:
	v_add_nc_u32_e32 v80, 0x250, v83
	v_add3_u32 v81, 0, v83, 16
	v_mov_b32_e32 v82, v0
	s_mov_b32 s8, 0
	.p2align	6
.LBB99_532:                             ; =>This Inner Loop Header: Depth=1
	s_clause 0x3
	buffer_load_dword v88, v81, s[0:3], 0 offen offset:8
	buffer_load_dword v89, v81, s[0:3], 0 offen offset:12
	buffer_load_dword v90, v81, s[0:3], 0 offen
	buffer_load_dword v91, v81, s[0:3], 0 offen offset:4
	ds_read_b128 v[84:87], v80
	v_add_nc_u32_e32 v82, 1, v82
	v_add_nc_u32_e32 v80, 16, v80
	;; [unrolled: 1-line block ×3, first 2 shown]
	v_cmp_lt_u32_e32 vcc_lo, 30, v82
	s_or_b32 s8, vcc_lo, s8
	s_waitcnt vmcnt(2) lgkmcnt(0)
	v_mul_f64 v[92:93], v[86:87], v[88:89]
	v_mul_f64 v[88:89], v[84:85], v[88:89]
	s_waitcnt vmcnt(0)
	v_fma_f64 v[84:85], v[84:85], v[90:91], -v[92:93]
	v_fma_f64 v[86:87], v[86:87], v[90:91], v[88:89]
	v_add_f64 v[1:2], v[1:2], v[84:85]
	v_add_f64 v[3:4], v[3:4], v[86:87]
	s_andn2_b32 exec_lo, exec_lo, s8
	s_cbranch_execnz .LBB99_532
; %bb.533:
	s_or_b32 exec_lo, exec_lo, s8
.LBB99_534:
	s_or_b32 exec_lo, exec_lo, s6
	v_mov_b32_e32 v80, 0
	ds_read_b128 v[84:87], v80 offset:512
	s_waitcnt lgkmcnt(0)
	v_mul_f64 v[80:81], v[3:4], v[86:87]
	v_mul_f64 v[86:87], v[1:2], v[86:87]
	v_fma_f64 v[1:2], v[1:2], v[84:85], -v[80:81]
	v_fma_f64 v[3:4], v[3:4], v[84:85], v[86:87]
	buffer_store_dword v2, off, s[0:3], 0 offset:516
	buffer_store_dword v1, off, s[0:3], 0 offset:512
	;; [unrolled: 1-line block ×4, first 2 shown]
.LBB99_535:
	s_or_b32 exec_lo, exec_lo, s4
	v_mov_b32_e32 v4, s10
	s_mov_b32 s4, exec_lo
	s_clause 0x3
	buffer_load_dword v1, v4, s[0:3], 0 offen
	buffer_load_dword v2, v4, s[0:3], 0 offen offset:4
	buffer_load_dword v3, v4, s[0:3], 0 offen offset:8
	;; [unrolled: 1-line block ×3, first 2 shown]
	s_waitcnt vmcnt(0)
	ds_write_b128 v78, v[1:4]
	s_waitcnt lgkmcnt(0)
	s_waitcnt_vscnt null, 0x0
	s_barrier
	buffer_gl0_inv
	v_cmpx_gt_u32_e32 33, v0
	s_cbranch_execz .LBB99_543
; %bb.536:
	ds_read_b128 v[1:4], v78
	v_cmp_ne_u32_e32 vcc_lo, 1, v79
	s_cbranch_vccnz .LBB99_538
; %bb.537:
	s_clause 0x3
	buffer_load_dword v80, v77, s[0:3], 0 offen offset:8
	buffer_load_dword v81, v77, s[0:3], 0 offen offset:12
	buffer_load_dword v84, v77, s[0:3], 0 offen
	buffer_load_dword v85, v77, s[0:3], 0 offen offset:4
	s_waitcnt vmcnt(2) lgkmcnt(0)
	v_mul_f64 v[86:87], v[3:4], v[80:81]
	v_mul_f64 v[80:81], v[1:2], v[80:81]
	s_waitcnt vmcnt(0)
	v_fma_f64 v[1:2], v[1:2], v[84:85], -v[86:87]
	v_fma_f64 v[3:4], v[3:4], v[84:85], v[80:81]
.LBB99_538:
	s_mov_b32 s6, exec_lo
	v_cmpx_ne_u32_e32 32, v0
	s_cbranch_execz .LBB99_542
; %bb.539:
	v_add_nc_u32_e32 v80, 0x250, v83
	v_add3_u32 v81, 0, v83, 16
	v_mov_b32_e32 v82, v0
	s_mov_b32 s8, 0
	.p2align	6
.LBB99_540:                             ; =>This Inner Loop Header: Depth=1
	s_clause 0x3
	buffer_load_dword v88, v81, s[0:3], 0 offen offset:8
	buffer_load_dword v89, v81, s[0:3], 0 offen offset:12
	buffer_load_dword v90, v81, s[0:3], 0 offen
	buffer_load_dword v91, v81, s[0:3], 0 offen offset:4
	ds_read_b128 v[84:87], v80
	v_add_nc_u32_e32 v82, 1, v82
	v_add_nc_u32_e32 v80, 16, v80
	;; [unrolled: 1-line block ×3, first 2 shown]
	v_cmp_lt_u32_e32 vcc_lo, 31, v82
	s_or_b32 s8, vcc_lo, s8
	s_waitcnt vmcnt(2) lgkmcnt(0)
	v_mul_f64 v[92:93], v[86:87], v[88:89]
	v_mul_f64 v[88:89], v[84:85], v[88:89]
	s_waitcnt vmcnt(0)
	v_fma_f64 v[84:85], v[84:85], v[90:91], -v[92:93]
	v_fma_f64 v[86:87], v[86:87], v[90:91], v[88:89]
	v_add_f64 v[1:2], v[1:2], v[84:85]
	v_add_f64 v[3:4], v[3:4], v[86:87]
	s_andn2_b32 exec_lo, exec_lo, s8
	s_cbranch_execnz .LBB99_540
; %bb.541:
	s_or_b32 exec_lo, exec_lo, s8
.LBB99_542:
	s_or_b32 exec_lo, exec_lo, s6
	v_mov_b32_e32 v80, 0
	ds_read_b128 v[84:87], v80 offset:528
	s_waitcnt lgkmcnt(0)
	v_mul_f64 v[80:81], v[3:4], v[86:87]
	v_mul_f64 v[86:87], v[1:2], v[86:87]
	v_fma_f64 v[1:2], v[1:2], v[84:85], -v[80:81]
	v_fma_f64 v[3:4], v[3:4], v[84:85], v[86:87]
	buffer_store_dword v2, off, s[0:3], 0 offset:532
	buffer_store_dword v1, off, s[0:3], 0 offset:528
	;; [unrolled: 1-line block ×4, first 2 shown]
.LBB99_543:
	s_or_b32 exec_lo, exec_lo, s4
	v_mov_b32_e32 v4, s9
	v_cmp_gt_u32_e64 s4, 34, v0
	s_clause 0x3
	buffer_load_dword v1, v4, s[0:3], 0 offen
	buffer_load_dword v2, v4, s[0:3], 0 offen offset:4
	buffer_load_dword v3, v4, s[0:3], 0 offen offset:8
	;; [unrolled: 1-line block ×3, first 2 shown]
	s_waitcnt vmcnt(0)
	ds_write_b128 v78, v[1:4]
	s_waitcnt lgkmcnt(0)
	s_waitcnt_vscnt null, 0x0
	s_barrier
	buffer_gl0_inv
	s_and_saveexec_b32 s6, s4
	s_cbranch_execz .LBB99_551
; %bb.544:
	ds_read_b128 v[1:4], v78
	v_cmp_ne_u32_e32 vcc_lo, 1, v79
	s_cbranch_vccnz .LBB99_546
; %bb.545:
	s_clause 0x3
	buffer_load_dword v80, v77, s[0:3], 0 offen offset:8
	buffer_load_dword v81, v77, s[0:3], 0 offen offset:12
	buffer_load_dword v84, v77, s[0:3], 0 offen
	buffer_load_dword v85, v77, s[0:3], 0 offen offset:4
	s_waitcnt vmcnt(2) lgkmcnt(0)
	v_mul_f64 v[86:87], v[3:4], v[80:81]
	v_mul_f64 v[80:81], v[1:2], v[80:81]
	s_waitcnt vmcnt(0)
	v_fma_f64 v[1:2], v[1:2], v[84:85], -v[86:87]
	v_fma_f64 v[3:4], v[3:4], v[84:85], v[80:81]
.LBB99_546:
	s_mov_b32 s8, exec_lo
	v_cmpx_ne_u32_e32 33, v0
	s_cbranch_execz .LBB99_550
; %bb.547:
	v_add_nc_u32_e32 v80, 0x250, v83
	v_add3_u32 v81, 0, v83, 16
	v_mov_b32_e32 v82, v0
	s_mov_b32 s44, 0
	.p2align	6
.LBB99_548:                             ; =>This Inner Loop Header: Depth=1
	s_clause 0x3
	buffer_load_dword v88, v81, s[0:3], 0 offen offset:8
	buffer_load_dword v89, v81, s[0:3], 0 offen offset:12
	buffer_load_dword v90, v81, s[0:3], 0 offen
	buffer_load_dword v91, v81, s[0:3], 0 offen offset:4
	ds_read_b128 v[84:87], v80
	v_add_nc_u32_e32 v82, 1, v82
	v_add_nc_u32_e32 v80, 16, v80
	;; [unrolled: 1-line block ×3, first 2 shown]
	v_cmp_lt_u32_e32 vcc_lo, 32, v82
	s_or_b32 s44, vcc_lo, s44
	s_waitcnt vmcnt(2) lgkmcnt(0)
	v_mul_f64 v[92:93], v[86:87], v[88:89]
	v_mul_f64 v[88:89], v[84:85], v[88:89]
	s_waitcnt vmcnt(0)
	v_fma_f64 v[84:85], v[84:85], v[90:91], -v[92:93]
	v_fma_f64 v[86:87], v[86:87], v[90:91], v[88:89]
	v_add_f64 v[1:2], v[1:2], v[84:85]
	v_add_f64 v[3:4], v[3:4], v[86:87]
	s_andn2_b32 exec_lo, exec_lo, s44
	s_cbranch_execnz .LBB99_548
; %bb.549:
	s_or_b32 exec_lo, exec_lo, s44
.LBB99_550:
	s_or_b32 exec_lo, exec_lo, s8
	v_mov_b32_e32 v80, 0
	ds_read_b128 v[84:87], v80 offset:544
	s_waitcnt lgkmcnt(0)
	v_mul_f64 v[80:81], v[3:4], v[86:87]
	v_mul_f64 v[86:87], v[1:2], v[86:87]
	v_fma_f64 v[1:2], v[1:2], v[84:85], -v[80:81]
	v_fma_f64 v[3:4], v[3:4], v[84:85], v[86:87]
	buffer_store_dword v2, off, s[0:3], 0 offset:548
	buffer_store_dword v1, off, s[0:3], 0 offset:544
	;; [unrolled: 1-line block ×4, first 2 shown]
.LBB99_551:
	s_or_b32 exec_lo, exec_lo, s6
	v_mov_b32_e32 v4, s7
	s_mov_b32 s6, exec_lo
                                        ; implicit-def: $sgpr45
	s_clause 0x3
	buffer_load_dword v1, v4, s[0:3], 0 offen
	buffer_load_dword v2, v4, s[0:3], 0 offen offset:4
	buffer_load_dword v3, v4, s[0:3], 0 offen offset:8
	;; [unrolled: 1-line block ×3, first 2 shown]
	s_waitcnt vmcnt(0)
	ds_write_b128 v78, v[1:4]
	s_waitcnt lgkmcnt(0)
	s_waitcnt_vscnt null, 0x0
	s_barrier
	buffer_gl0_inv
                                        ; implicit-def: $vgpr1_vgpr2
	v_cmpx_ne_u32_e32 35, v0
	s_cbranch_execz .LBB99_559
; %bb.552:
	ds_read_b128 v[1:4], v78
	v_cmp_ne_u32_e32 vcc_lo, 1, v79
	s_cbranch_vccnz .LBB99_554
; %bb.553:
	s_clause 0x3
	buffer_load_dword v78, v77, s[0:3], 0 offen offset:8
	buffer_load_dword v79, v77, s[0:3], 0 offen offset:12
	buffer_load_dword v80, v77, s[0:3], 0 offen
	buffer_load_dword v81, v77, s[0:3], 0 offen offset:4
	s_waitcnt vmcnt(2) lgkmcnt(0)
	v_mul_f64 v[84:85], v[3:4], v[78:79]
	v_mul_f64 v[77:78], v[1:2], v[78:79]
	s_waitcnt vmcnt(0)
	v_fma_f64 v[1:2], v[1:2], v[80:81], -v[84:85]
	v_fma_f64 v[3:4], v[3:4], v[80:81], v[77:78]
.LBB99_554:
	s_and_saveexec_b32 s8, s4
	s_cbranch_execz .LBB99_558
; %bb.555:
	v_add_nc_u32_e32 v77, 0x250, v83
	v_add3_u32 v78, 0, v83, 16
	s_mov_b32 s4, 0
	.p2align	6
.LBB99_556:                             ; =>This Inner Loop Header: Depth=1
	s_clause 0x3
	buffer_load_dword v83, v78, s[0:3], 0 offen offset:8
	buffer_load_dword v84, v78, s[0:3], 0 offen offset:12
	buffer_load_dword v85, v78, s[0:3], 0 offen
	buffer_load_dword v86, v78, s[0:3], 0 offen offset:4
	ds_read_b128 v[79:82], v77
	v_add_nc_u32_e32 v0, 1, v0
	v_add_nc_u32_e32 v77, 16, v77
	;; [unrolled: 1-line block ×3, first 2 shown]
	v_cmp_lt_u32_e32 vcc_lo, 33, v0
	s_or_b32 s4, vcc_lo, s4
	s_waitcnt vmcnt(2) lgkmcnt(0)
	v_mul_f64 v[87:88], v[81:82], v[83:84]
	v_mul_f64 v[83:84], v[79:80], v[83:84]
	s_waitcnt vmcnt(0)
	v_fma_f64 v[79:80], v[79:80], v[85:86], -v[87:88]
	v_fma_f64 v[81:82], v[81:82], v[85:86], v[83:84]
	v_add_f64 v[1:2], v[1:2], v[79:80]
	v_add_f64 v[3:4], v[3:4], v[81:82]
	s_andn2_b32 exec_lo, exec_lo, s4
	s_cbranch_execnz .LBB99_556
; %bb.557:
	s_or_b32 exec_lo, exec_lo, s4
.LBB99_558:
	s_or_b32 exec_lo, exec_lo, s8
	v_mov_b32_e32 v0, 0
	s_movk_i32 s45, 0x238
	s_or_b32 s5, s5, exec_lo
	ds_read_b128 v[77:80], v0 offset:560
	s_waitcnt lgkmcnt(0)
	v_mul_f64 v[81:82], v[3:4], v[79:80]
	v_mul_f64 v[79:80], v[1:2], v[79:80]
	v_fma_f64 v[81:82], v[1:2], v[77:78], -v[81:82]
	v_fma_f64 v[1:2], v[3:4], v[77:78], v[79:80]
	buffer_store_dword v82, off, s[0:3], 0 offset:564
	buffer_store_dword v81, off, s[0:3], 0 offset:560
.LBB99_559:
	s_or_b32 exec_lo, exec_lo, s6
.LBB99_560:
	s_and_saveexec_b32 s4, s5
	s_cbranch_execz .LBB99_562
; %bb.561:
	v_mov_b32_e32 v0, s45
	buffer_store_dword v2, v0, s[0:3], 0 offen offset:4
	buffer_store_dword v1, v0, s[0:3], 0 offen
.LBB99_562:
	s_or_b32 exec_lo, exec_lo, s4
	s_clause 0x3
	buffer_load_dword v0, off, s[0:3], 0
	buffer_load_dword v1, off, s[0:3], 0 offset:4
	buffer_load_dword v2, off, s[0:3], 0 offset:8
	;; [unrolled: 1-line block ×3, first 2 shown]
	v_mov_b32_e32 v4, s43
	s_waitcnt vmcnt(0)
	flat_store_dwordx4 v[5:6], v[0:3]
	s_clause 0x3
	buffer_load_dword v0, v4, s[0:3], 0 offen
	buffer_load_dword v1, v4, s[0:3], 0 offen offset:4
	buffer_load_dword v2, v4, s[0:3], 0 offen offset:8
	buffer_load_dword v3, v4, s[0:3], 0 offen offset:12
	v_mov_b32_e32 v4, s42
	s_waitcnt vmcnt(0)
	flat_store_dwordx4 v[59:60], v[0:3]
	s_clause 0x3
	buffer_load_dword v0, v4, s[0:3], 0 offen
	buffer_load_dword v1, v4, s[0:3], 0 offen offset:4
	buffer_load_dword v2, v4, s[0:3], 0 offen offset:8
	buffer_load_dword v3, v4, s[0:3], 0 offen offset:12
	;; [unrolled: 8-line block ×35, first 2 shown]
	s_waitcnt vmcnt(0)
	flat_store_dwordx4 v[75:76], v[0:3]
.LBB99_563:
	s_endpgm
	.section	.rodata,"a",@progbits
	.p2align	6, 0x0
	.amdhsa_kernel _ZN9rocsolver6v33100L18trti2_kernel_smallILi36E19rocblas_complex_numIdEPKPS3_EEv13rocblas_fill_17rocblas_diagonal_T1_iil
		.amdhsa_group_segment_fixed_size 1152
		.amdhsa_private_segment_fixed_size 592
		.amdhsa_kernarg_size 32
		.amdhsa_user_sgpr_count 6
		.amdhsa_user_sgpr_private_segment_buffer 1
		.amdhsa_user_sgpr_dispatch_ptr 0
		.amdhsa_user_sgpr_queue_ptr 0
		.amdhsa_user_sgpr_kernarg_segment_ptr 1
		.amdhsa_user_sgpr_dispatch_id 0
		.amdhsa_user_sgpr_flat_scratch_init 0
		.amdhsa_user_sgpr_private_segment_size 0
		.amdhsa_wavefront_size32 1
		.amdhsa_uses_dynamic_stack 0
		.amdhsa_system_sgpr_private_segment_wavefront_offset 1
		.amdhsa_system_sgpr_workgroup_id_x 1
		.amdhsa_system_sgpr_workgroup_id_y 0
		.amdhsa_system_sgpr_workgroup_id_z 0
		.amdhsa_system_sgpr_workgroup_info 0
		.amdhsa_system_vgpr_workitem_id 0
		.amdhsa_next_free_vgpr 94
		.amdhsa_next_free_sgpr 59
		.amdhsa_reserve_vcc 1
		.amdhsa_reserve_flat_scratch 0
		.amdhsa_float_round_mode_32 0
		.amdhsa_float_round_mode_16_64 0
		.amdhsa_float_denorm_mode_32 3
		.amdhsa_float_denorm_mode_16_64 3
		.amdhsa_dx10_clamp 1
		.amdhsa_ieee_mode 1
		.amdhsa_fp16_overflow 0
		.amdhsa_workgroup_processor_mode 1
		.amdhsa_memory_ordered 1
		.amdhsa_forward_progress 1
		.amdhsa_shared_vgpr_count 0
		.amdhsa_exception_fp_ieee_invalid_op 0
		.amdhsa_exception_fp_denorm_src 0
		.amdhsa_exception_fp_ieee_div_zero 0
		.amdhsa_exception_fp_ieee_overflow 0
		.amdhsa_exception_fp_ieee_underflow 0
		.amdhsa_exception_fp_ieee_inexact 0
		.amdhsa_exception_int_div_zero 0
	.end_amdhsa_kernel
	.section	.text._ZN9rocsolver6v33100L18trti2_kernel_smallILi36E19rocblas_complex_numIdEPKPS3_EEv13rocblas_fill_17rocblas_diagonal_T1_iil,"axG",@progbits,_ZN9rocsolver6v33100L18trti2_kernel_smallILi36E19rocblas_complex_numIdEPKPS3_EEv13rocblas_fill_17rocblas_diagonal_T1_iil,comdat
.Lfunc_end99:
	.size	_ZN9rocsolver6v33100L18trti2_kernel_smallILi36E19rocblas_complex_numIdEPKPS3_EEv13rocblas_fill_17rocblas_diagonal_T1_iil, .Lfunc_end99-_ZN9rocsolver6v33100L18trti2_kernel_smallILi36E19rocblas_complex_numIdEPKPS3_EEv13rocblas_fill_17rocblas_diagonal_T1_iil
                                        ; -- End function
	.set _ZN9rocsolver6v33100L18trti2_kernel_smallILi36E19rocblas_complex_numIdEPKPS3_EEv13rocblas_fill_17rocblas_diagonal_T1_iil.num_vgpr, 94
	.set _ZN9rocsolver6v33100L18trti2_kernel_smallILi36E19rocblas_complex_numIdEPKPS3_EEv13rocblas_fill_17rocblas_diagonal_T1_iil.num_agpr, 0
	.set _ZN9rocsolver6v33100L18trti2_kernel_smallILi36E19rocblas_complex_numIdEPKPS3_EEv13rocblas_fill_17rocblas_diagonal_T1_iil.numbered_sgpr, 59
	.set _ZN9rocsolver6v33100L18trti2_kernel_smallILi36E19rocblas_complex_numIdEPKPS3_EEv13rocblas_fill_17rocblas_diagonal_T1_iil.num_named_barrier, 0
	.set _ZN9rocsolver6v33100L18trti2_kernel_smallILi36E19rocblas_complex_numIdEPKPS3_EEv13rocblas_fill_17rocblas_diagonal_T1_iil.private_seg_size, 592
	.set _ZN9rocsolver6v33100L18trti2_kernel_smallILi36E19rocblas_complex_numIdEPKPS3_EEv13rocblas_fill_17rocblas_diagonal_T1_iil.uses_vcc, 1
	.set _ZN9rocsolver6v33100L18trti2_kernel_smallILi36E19rocblas_complex_numIdEPKPS3_EEv13rocblas_fill_17rocblas_diagonal_T1_iil.uses_flat_scratch, 0
	.set _ZN9rocsolver6v33100L18trti2_kernel_smallILi36E19rocblas_complex_numIdEPKPS3_EEv13rocblas_fill_17rocblas_diagonal_T1_iil.has_dyn_sized_stack, 0
	.set _ZN9rocsolver6v33100L18trti2_kernel_smallILi36E19rocblas_complex_numIdEPKPS3_EEv13rocblas_fill_17rocblas_diagonal_T1_iil.has_recursion, 0
	.set _ZN9rocsolver6v33100L18trti2_kernel_smallILi36E19rocblas_complex_numIdEPKPS3_EEv13rocblas_fill_17rocblas_diagonal_T1_iil.has_indirect_call, 0
	.section	.AMDGPU.csdata,"",@progbits
; Kernel info:
; codeLenInByte = 36484
; TotalNumSgprs: 61
; NumVgprs: 94
; ScratchSize: 592
; MemoryBound: 0
; FloatMode: 240
; IeeeMode: 1
; LDSByteSize: 1152 bytes/workgroup (compile time only)
; SGPRBlocks: 0
; VGPRBlocks: 11
; NumSGPRsForWavesPerEU: 61
; NumVGPRsForWavesPerEU: 94
; Occupancy: 10
; WaveLimiterHint : 1
; COMPUTE_PGM_RSRC2:SCRATCH_EN: 1
; COMPUTE_PGM_RSRC2:USER_SGPR: 6
; COMPUTE_PGM_RSRC2:TRAP_HANDLER: 0
; COMPUTE_PGM_RSRC2:TGID_X_EN: 1
; COMPUTE_PGM_RSRC2:TGID_Y_EN: 0
; COMPUTE_PGM_RSRC2:TGID_Z_EN: 0
; COMPUTE_PGM_RSRC2:TIDIG_COMP_CNT: 0
	.section	.text._ZN9rocsolver6v33100L18trti2_kernel_smallILi37E19rocblas_complex_numIdEPKPS3_EEv13rocblas_fill_17rocblas_diagonal_T1_iil,"axG",@progbits,_ZN9rocsolver6v33100L18trti2_kernel_smallILi37E19rocblas_complex_numIdEPKPS3_EEv13rocblas_fill_17rocblas_diagonal_T1_iil,comdat
	.globl	_ZN9rocsolver6v33100L18trti2_kernel_smallILi37E19rocblas_complex_numIdEPKPS3_EEv13rocblas_fill_17rocblas_diagonal_T1_iil ; -- Begin function _ZN9rocsolver6v33100L18trti2_kernel_smallILi37E19rocblas_complex_numIdEPKPS3_EEv13rocblas_fill_17rocblas_diagonal_T1_iil
	.p2align	8
	.type	_ZN9rocsolver6v33100L18trti2_kernel_smallILi37E19rocblas_complex_numIdEPKPS3_EEv13rocblas_fill_17rocblas_diagonal_T1_iil,@function
_ZN9rocsolver6v33100L18trti2_kernel_smallILi37E19rocblas_complex_numIdEPKPS3_EEv13rocblas_fill_17rocblas_diagonal_T1_iil: ; @_ZN9rocsolver6v33100L18trti2_kernel_smallILi37E19rocblas_complex_numIdEPKPS3_EEv13rocblas_fill_17rocblas_diagonal_T1_iil
; %bb.0:
	s_add_u32 s0, s0, s7
	s_addc_u32 s1, s1, 0
	s_mov_b32 s7, exec_lo
	v_cmpx_gt_u32_e32 37, v0
	s_cbranch_execz .LBB100_579
; %bb.1:
	s_clause 0x1
	s_load_dwordx2 s[12:13], s[4:5], 0x10
	s_load_dwordx4 s[8:11], s[4:5], 0x0
	s_ashr_i32 s7, s6, 31
	v_lshlrev_b32_e32 v85, 4, v0
	s_lshl_b64 s[4:5], s[6:7], 3
	s_movk_i32 s14, 0xd0
	s_movk_i32 s15, 0xe0
	;; [unrolled: 1-line block ×15, first 2 shown]
	s_waitcnt lgkmcnt(0)
	s_ashr_i32 s7, s12, 31
	s_add_u32 s4, s10, s4
	s_addc_u32 s5, s11, s5
	s_mov_b32 s6, s12
	s_load_dwordx2 s[4:5], s[4:5], 0x0
	s_lshl_b64 s[6:7], s[6:7], 4
	v_add3_u32 v7, s13, s13, v0
	s_movk_i32 s10, 0x90
	s_movk_i32 s11, 0xa0
	;; [unrolled: 1-line block ×4, first 2 shown]
	v_ashrrev_i32_e32 v8, 31, v7
	s_movk_i32 s52, 0x1d0
	s_movk_i32 s53, 0x1e0
	;; [unrolled: 1-line block ×4, first 2 shown]
	v_lshlrev_b64 v[8:9], 4, v[7:8]
	v_add_nc_u32_e32 v7, s13, v7
	s_movk_i32 s56, 0x210
	s_movk_i32 s57, 0x220
	;; [unrolled: 1-line block ×4, first 2 shown]
	s_waitcnt lgkmcnt(0)
	s_add_u32 s6, s4, s6
	s_addc_u32 s7, s5, s7
	v_add_co_u32 v5, s4, s6, v85
	v_add_co_ci_u32_e64 v6, null, s7, 0, s4
	s_mov_b32 s4, s13
	s_ashr_i32 s5, s13, 31
	s_lshl_b64 s[4:5], s[4:5], 4
	flat_load_dwordx4 v[1:4], v[5:6]
	v_add_co_u32 v59, vcc_lo, v5, s4
	v_add_co_ci_u32_e64 v60, null, s5, v6, vcc_lo
	v_add_co_u32 v57, vcc_lo, s6, v8
	v_add_co_ci_u32_e64 v58, null, s7, v9, vcc_lo
	v_ashrrev_i32_e32 v8, 31, v7
	s_cmpk_lg_i32 s9, 0x84
	s_movk_i32 s4, 0x50
	s_movk_i32 s5, 0x60
	s_cselect_b32 s44, -1, 0
	v_lshlrev_b64 v[8:9], 4, v[7:8]
	v_add_nc_u32_e32 v7, s13, v7
	s_cmpk_eq_i32 s9, 0x84
	s_waitcnt vmcnt(0) lgkmcnt(0)
	buffer_store_dword v4, off, s[0:3], 0 offset:12
	buffer_store_dword v3, off, s[0:3], 0 offset:8
	;; [unrolled: 1-line block ×3, first 2 shown]
	buffer_store_dword v1, off, s[0:3], 0
	flat_load_dwordx4 v[1:4], v[59:60]
	v_add_co_u32 v55, vcc_lo, s6, v8
	v_add_co_ci_u32_e64 v56, null, s7, v9, vcc_lo
	v_ashrrev_i32_e32 v8, 31, v7
	s_waitcnt vmcnt(0) lgkmcnt(0)
	buffer_store_dword v4, off, s[0:3], 0 offset:28
	buffer_store_dword v3, off, s[0:3], 0 offset:24
	;; [unrolled: 1-line block ×4, first 2 shown]
	flat_load_dwordx4 v[1:4], v[57:58]
	v_lshlrev_b64 v[8:9], 4, v[7:8]
	v_add_nc_u32_e32 v7, s13, v7
	s_waitcnt vmcnt(0) lgkmcnt(0)
	buffer_store_dword v4, off, s[0:3], 0 offset:44
	buffer_store_dword v3, off, s[0:3], 0 offset:40
	;; [unrolled: 1-line block ×4, first 2 shown]
	flat_load_dwordx4 v[1:4], v[55:56]
	v_add_co_u32 v53, vcc_lo, s6, v8
	v_add_co_ci_u32_e64 v54, null, s7, v9, vcc_lo
	v_ashrrev_i32_e32 v8, 31, v7
	s_waitcnt vmcnt(0) lgkmcnt(0)
	buffer_store_dword v4, off, s[0:3], 0 offset:60
	buffer_store_dword v3, off, s[0:3], 0 offset:56
	;; [unrolled: 1-line block ×4, first 2 shown]
	flat_load_dwordx4 v[1:4], v[53:54]
	v_lshlrev_b64 v[8:9], 4, v[7:8]
	v_add_nc_u32_e32 v7, s13, v7
	s_waitcnt vmcnt(0) lgkmcnt(0)
	buffer_store_dword v4, off, s[0:3], 0 offset:76
	buffer_store_dword v3, off, s[0:3], 0 offset:72
	;; [unrolled: 1-line block ×4, first 2 shown]
	v_add_co_u32 v49, vcc_lo, s6, v8
	v_add_co_ci_u32_e64 v50, null, s7, v9, vcc_lo
	v_ashrrev_i32_e32 v8, 31, v7
	flat_load_dwordx4 v[1:4], v[49:50]
	s_waitcnt vmcnt(0) lgkmcnt(0)
	buffer_store_dword v4, off, s[0:3], 0 offset:92
	buffer_store_dword v3, off, s[0:3], 0 offset:88
	buffer_store_dword v2, off, s[0:3], 0 offset:84
	buffer_store_dword v1, off, s[0:3], 0 offset:80
	v_lshlrev_b64 v[8:9], 4, v[7:8]
	v_add_nc_u32_e32 v7, s13, v7
	v_add_co_u32 v47, vcc_lo, s6, v8
	v_add_co_ci_u32_e64 v48, null, s7, v9, vcc_lo
	v_ashrrev_i32_e32 v8, 31, v7
	flat_load_dwordx4 v[1:4], v[47:48]
	s_waitcnt vmcnt(0) lgkmcnt(0)
	buffer_store_dword v4, off, s[0:3], 0 offset:108
	buffer_store_dword v3, off, s[0:3], 0 offset:104
	buffer_store_dword v2, off, s[0:3], 0 offset:100
	buffer_store_dword v1, off, s[0:3], 0 offset:96
	v_lshlrev_b64 v[8:9], 4, v[7:8]
	v_add_nc_u32_e32 v7, s13, v7
	v_add_co_u32 v45, vcc_lo, s6, v8
	v_add_co_ci_u32_e64 v46, null, s7, v9, vcc_lo
	v_ashrrev_i32_e32 v8, 31, v7
	flat_load_dwordx4 v[1:4], v[45:46]
	s_waitcnt vmcnt(0) lgkmcnt(0)
	buffer_store_dword v4, off, s[0:3], 0 offset:124
	buffer_store_dword v3, off, s[0:3], 0 offset:120
	buffer_store_dword v2, off, s[0:3], 0 offset:116
	buffer_store_dword v1, off, s[0:3], 0 offset:112
	v_lshlrev_b64 v[8:9], 4, v[7:8]
	v_add_nc_u32_e32 v7, s13, v7
	v_add_co_u32 v43, vcc_lo, s6, v8
	v_add_co_ci_u32_e64 v44, null, s7, v9, vcc_lo
	v_ashrrev_i32_e32 v8, 31, v7
	flat_load_dwordx4 v[1:4], v[43:44]
	s_waitcnt vmcnt(0) lgkmcnt(0)
	buffer_store_dword v4, off, s[0:3], 0 offset:140
	buffer_store_dword v3, off, s[0:3], 0 offset:136
	buffer_store_dword v2, off, s[0:3], 0 offset:132
	buffer_store_dword v1, off, s[0:3], 0 offset:128
	v_lshlrev_b64 v[8:9], 4, v[7:8]
	v_add_nc_u32_e32 v7, s13, v7
	v_add_co_u32 v41, vcc_lo, s6, v8
	v_add_co_ci_u32_e64 v42, null, s7, v9, vcc_lo
	v_ashrrev_i32_e32 v8, 31, v7
	flat_load_dwordx4 v[1:4], v[41:42]
	s_waitcnt vmcnt(0) lgkmcnt(0)
	buffer_store_dword v4, off, s[0:3], 0 offset:156
	buffer_store_dword v3, off, s[0:3], 0 offset:152
	buffer_store_dword v2, off, s[0:3], 0 offset:148
	buffer_store_dword v1, off, s[0:3], 0 offset:144
	v_lshlrev_b64 v[8:9], 4, v[7:8]
	v_add_nc_u32_e32 v7, s13, v7
	v_add_co_u32 v39, vcc_lo, s6, v8
	v_add_co_ci_u32_e64 v40, null, s7, v9, vcc_lo
	v_ashrrev_i32_e32 v8, 31, v7
	flat_load_dwordx4 v[1:4], v[39:40]
	s_waitcnt vmcnt(0) lgkmcnt(0)
	buffer_store_dword v4, off, s[0:3], 0 offset:172
	buffer_store_dword v3, off, s[0:3], 0 offset:168
	buffer_store_dword v2, off, s[0:3], 0 offset:164
	buffer_store_dword v1, off, s[0:3], 0 offset:160
	v_lshlrev_b64 v[8:9], 4, v[7:8]
	v_add_nc_u32_e32 v7, s13, v7
	v_add_co_u32 v37, vcc_lo, s6, v8
	v_add_co_ci_u32_e64 v38, null, s7, v9, vcc_lo
	v_ashrrev_i32_e32 v8, 31, v7
	flat_load_dwordx4 v[1:4], v[37:38]
	s_waitcnt vmcnt(0) lgkmcnt(0)
	buffer_store_dword v4, off, s[0:3], 0 offset:188
	buffer_store_dword v3, off, s[0:3], 0 offset:184
	buffer_store_dword v2, off, s[0:3], 0 offset:180
	buffer_store_dword v1, off, s[0:3], 0 offset:176
	v_lshlrev_b64 v[8:9], 4, v[7:8]
	v_add_nc_u32_e32 v7, s13, v7
	v_add_co_u32 v35, vcc_lo, s6, v8
	v_add_co_ci_u32_e64 v36, null, s7, v9, vcc_lo
	v_ashrrev_i32_e32 v8, 31, v7
	flat_load_dwordx4 v[1:4], v[35:36]
	s_waitcnt vmcnt(0) lgkmcnt(0)
	buffer_store_dword v4, off, s[0:3], 0 offset:204
	buffer_store_dword v3, off, s[0:3], 0 offset:200
	buffer_store_dword v2, off, s[0:3], 0 offset:196
	buffer_store_dword v1, off, s[0:3], 0 offset:192
	v_lshlrev_b64 v[8:9], 4, v[7:8]
	v_add_nc_u32_e32 v7, s13, v7
	v_add_co_u32 v31, vcc_lo, s6, v8
	v_add_co_ci_u32_e64 v32, null, s7, v9, vcc_lo
	v_ashrrev_i32_e32 v8, 31, v7
	flat_load_dwordx4 v[1:4], v[31:32]
	s_waitcnt vmcnt(0) lgkmcnt(0)
	buffer_store_dword v4, off, s[0:3], 0 offset:220
	buffer_store_dword v3, off, s[0:3], 0 offset:216
	buffer_store_dword v2, off, s[0:3], 0 offset:212
	buffer_store_dword v1, off, s[0:3], 0 offset:208
	v_lshlrev_b64 v[8:9], 4, v[7:8]
	v_add_nc_u32_e32 v7, s13, v7
	v_add_co_u32 v29, vcc_lo, s6, v8
	v_add_co_ci_u32_e64 v30, null, s7, v9, vcc_lo
	v_ashrrev_i32_e32 v8, 31, v7
	flat_load_dwordx4 v[1:4], v[29:30]
	s_waitcnt vmcnt(0) lgkmcnt(0)
	buffer_store_dword v4, off, s[0:3], 0 offset:236
	buffer_store_dword v3, off, s[0:3], 0 offset:232
	buffer_store_dword v2, off, s[0:3], 0 offset:228
	buffer_store_dword v1, off, s[0:3], 0 offset:224
	v_lshlrev_b64 v[8:9], 4, v[7:8]
	v_add_nc_u32_e32 v7, s13, v7
	v_add_co_u32 v27, vcc_lo, s6, v8
	v_add_co_ci_u32_e64 v28, null, s7, v9, vcc_lo
	v_ashrrev_i32_e32 v8, 31, v7
	flat_load_dwordx4 v[1:4], v[27:28]
	s_waitcnt vmcnt(0) lgkmcnt(0)
	buffer_store_dword v4, off, s[0:3], 0 offset:252
	buffer_store_dword v3, off, s[0:3], 0 offset:248
	buffer_store_dword v2, off, s[0:3], 0 offset:244
	buffer_store_dword v1, off, s[0:3], 0 offset:240
	v_lshlrev_b64 v[8:9], 4, v[7:8]
	v_add_nc_u32_e32 v7, s13, v7
	v_add_co_u32 v25, vcc_lo, s6, v8
	v_add_co_ci_u32_e64 v26, null, s7, v9, vcc_lo
	v_ashrrev_i32_e32 v8, 31, v7
	flat_load_dwordx4 v[1:4], v[25:26]
	s_waitcnt vmcnt(0) lgkmcnt(0)
	buffer_store_dword v4, off, s[0:3], 0 offset:268
	buffer_store_dword v3, off, s[0:3], 0 offset:264
	buffer_store_dword v2, off, s[0:3], 0 offset:260
	buffer_store_dword v1, off, s[0:3], 0 offset:256
	v_lshlrev_b64 v[8:9], 4, v[7:8]
	v_add_nc_u32_e32 v7, s13, v7
	v_add_co_u32 v23, vcc_lo, s6, v8
	v_add_co_ci_u32_e64 v24, null, s7, v9, vcc_lo
	v_ashrrev_i32_e32 v8, 31, v7
	flat_load_dwordx4 v[1:4], v[23:24]
	s_waitcnt vmcnt(0) lgkmcnt(0)
	buffer_store_dword v4, off, s[0:3], 0 offset:284
	buffer_store_dword v3, off, s[0:3], 0 offset:280
	buffer_store_dword v2, off, s[0:3], 0 offset:276
	buffer_store_dword v1, off, s[0:3], 0 offset:272
	v_lshlrev_b64 v[8:9], 4, v[7:8]
	v_add_nc_u32_e32 v7, s13, v7
	v_add_co_u32 v21, vcc_lo, s6, v8
	v_add_co_ci_u32_e64 v22, null, s7, v9, vcc_lo
	v_ashrrev_i32_e32 v8, 31, v7
	flat_load_dwordx4 v[1:4], v[21:22]
	s_waitcnt vmcnt(0) lgkmcnt(0)
	buffer_store_dword v4, off, s[0:3], 0 offset:300
	buffer_store_dword v3, off, s[0:3], 0 offset:296
	buffer_store_dword v2, off, s[0:3], 0 offset:292
	buffer_store_dword v1, off, s[0:3], 0 offset:288
	v_lshlrev_b64 v[8:9], 4, v[7:8]
	v_add_nc_u32_e32 v7, s13, v7
	v_add_co_u32 v19, vcc_lo, s6, v8
	v_add_co_ci_u32_e64 v20, null, s7, v9, vcc_lo
	v_ashrrev_i32_e32 v8, 31, v7
	flat_load_dwordx4 v[1:4], v[19:20]
	s_waitcnt vmcnt(0) lgkmcnt(0)
	buffer_store_dword v4, off, s[0:3], 0 offset:316
	buffer_store_dword v3, off, s[0:3], 0 offset:312
	buffer_store_dword v2, off, s[0:3], 0 offset:308
	buffer_store_dword v1, off, s[0:3], 0 offset:304
	v_lshlrev_b64 v[8:9], 4, v[7:8]
	v_add_nc_u32_e32 v7, s13, v7
	v_add_co_u32 v17, vcc_lo, s6, v8
	v_add_co_ci_u32_e64 v18, null, s7, v9, vcc_lo
	v_ashrrev_i32_e32 v8, 31, v7
	flat_load_dwordx4 v[1:4], v[17:18]
	s_waitcnt vmcnt(0) lgkmcnt(0)
	buffer_store_dword v4, off, s[0:3], 0 offset:332
	buffer_store_dword v3, off, s[0:3], 0 offset:328
	buffer_store_dword v2, off, s[0:3], 0 offset:324
	buffer_store_dword v1, off, s[0:3], 0 offset:320
	v_lshlrev_b64 v[8:9], 4, v[7:8]
	v_add_nc_u32_e32 v7, s13, v7
	v_add_co_u32 v15, vcc_lo, s6, v8
	v_add_co_ci_u32_e64 v16, null, s7, v9, vcc_lo
	v_ashrrev_i32_e32 v8, 31, v7
	flat_load_dwordx4 v[1:4], v[15:16]
	s_waitcnt vmcnt(0) lgkmcnt(0)
	buffer_store_dword v4, off, s[0:3], 0 offset:348
	buffer_store_dword v3, off, s[0:3], 0 offset:344
	buffer_store_dword v2, off, s[0:3], 0 offset:340
	buffer_store_dword v1, off, s[0:3], 0 offset:336
	v_lshlrev_b64 v[8:9], 4, v[7:8]
	v_add_nc_u32_e32 v7, s13, v7
	v_add_co_u32 v13, vcc_lo, s6, v8
	v_add_co_ci_u32_e64 v14, null, s7, v9, vcc_lo
	v_ashrrev_i32_e32 v8, 31, v7
	flat_load_dwordx4 v[1:4], v[13:14]
	s_waitcnt vmcnt(0) lgkmcnt(0)
	buffer_store_dword v4, off, s[0:3], 0 offset:364
	buffer_store_dword v3, off, s[0:3], 0 offset:360
	buffer_store_dword v2, off, s[0:3], 0 offset:356
	buffer_store_dword v1, off, s[0:3], 0 offset:352
	v_lshlrev_b64 v[8:9], 4, v[7:8]
	v_add_nc_u32_e32 v7, s13, v7
	v_add_co_u32 v11, vcc_lo, s6, v8
	v_add_co_ci_u32_e64 v12, null, s7, v9, vcc_lo
	v_ashrrev_i32_e32 v8, 31, v7
	v_add_nc_u32_e32 v33, s13, v7
	flat_load_dwordx4 v[1:4], v[11:12]
	s_waitcnt vmcnt(0) lgkmcnt(0)
	buffer_store_dword v4, off, s[0:3], 0 offset:380
	buffer_store_dword v3, off, s[0:3], 0 offset:376
	;; [unrolled: 1-line block ×4, first 2 shown]
	v_lshlrev_b64 v[9:10], 4, v[7:8]
	v_ashrrev_i32_e32 v34, 31, v33
	v_add_nc_u32_e32 v51, s13, v33
	v_add_co_u32 v9, vcc_lo, s6, v9
	v_add_co_ci_u32_e64 v10, null, s7, v10, vcc_lo
	v_lshlrev_b64 v[7:8], 4, v[33:34]
	v_ashrrev_i32_e32 v52, 31, v51
	v_add_nc_u32_e32 v61, s13, v51
	flat_load_dwordx4 v[1:4], v[9:10]
	s_waitcnt vmcnt(0) lgkmcnt(0)
	buffer_store_dword v4, off, s[0:3], 0 offset:396
	buffer_store_dword v3, off, s[0:3], 0 offset:392
	buffer_store_dword v2, off, s[0:3], 0 offset:388
	buffer_store_dword v1, off, s[0:3], 0 offset:384
	v_add_co_u32 v7, vcc_lo, s6, v7
	v_add_co_ci_u32_e64 v8, null, s7, v8, vcc_lo
	v_lshlrev_b64 v[33:34], 4, v[51:52]
	v_ashrrev_i32_e32 v62, 31, v61
	v_add_nc_u32_e32 v63, s13, v61
	flat_load_dwordx4 v[1:4], v[7:8]
	s_waitcnt vmcnt(0) lgkmcnt(0)
	buffer_store_dword v4, off, s[0:3], 0 offset:412
	buffer_store_dword v3, off, s[0:3], 0 offset:408
	buffer_store_dword v2, off, s[0:3], 0 offset:404
	buffer_store_dword v1, off, s[0:3], 0 offset:400
	v_add_co_u32 v33, vcc_lo, s6, v33
	v_add_co_ci_u32_e64 v34, null, s7, v34, vcc_lo
	v_lshlrev_b64 v[51:52], 4, v[61:62]
	v_ashrrev_i32_e32 v64, 31, v63
	v_add_nc_u32_e32 v65, s13, v63
	flat_load_dwordx4 v[1:4], v[33:34]
	s_waitcnt vmcnt(0) lgkmcnt(0)
	buffer_store_dword v4, off, s[0:3], 0 offset:428
	buffer_store_dword v3, off, s[0:3], 0 offset:424
	buffer_store_dword v2, off, s[0:3], 0 offset:420
	buffer_store_dword v1, off, s[0:3], 0 offset:416
	v_add_co_u32 v51, vcc_lo, s6, v51
	v_add_co_ci_u32_e64 v52, null, s7, v52, vcc_lo
	v_lshlrev_b64 v[61:62], 4, v[63:64]
	v_ashrrev_i32_e32 v66, 31, v65
	v_add_nc_u32_e32 v67, s13, v65
	flat_load_dwordx4 v[1:4], v[51:52]
	s_waitcnt vmcnt(0) lgkmcnt(0)
	buffer_store_dword v4, off, s[0:3], 0 offset:444
	buffer_store_dword v3, off, s[0:3], 0 offset:440
	buffer_store_dword v2, off, s[0:3], 0 offset:436
	buffer_store_dword v1, off, s[0:3], 0 offset:432
	v_add_co_u32 v61, vcc_lo, s6, v61
	v_add_co_ci_u32_e64 v62, null, s7, v62, vcc_lo
	v_lshlrev_b64 v[63:64], 4, v[65:66]
	v_ashrrev_i32_e32 v68, 31, v67
	v_add_nc_u32_e32 v69, s13, v67
	flat_load_dwordx4 v[1:4], v[61:62]
	s_waitcnt vmcnt(0) lgkmcnt(0)
	buffer_store_dword v4, off, s[0:3], 0 offset:460
	buffer_store_dword v3, off, s[0:3], 0 offset:456
	buffer_store_dword v2, off, s[0:3], 0 offset:452
	buffer_store_dword v1, off, s[0:3], 0 offset:448
	v_add_co_u32 v63, vcc_lo, s6, v63
	v_add_co_ci_u32_e64 v64, null, s7, v64, vcc_lo
	v_lshlrev_b64 v[65:66], 4, v[67:68]
	v_ashrrev_i32_e32 v70, 31, v69
	v_add_nc_u32_e32 v71, s13, v69
	flat_load_dwordx4 v[1:4], v[63:64]
	s_waitcnt vmcnt(0) lgkmcnt(0)
	buffer_store_dword v4, off, s[0:3], 0 offset:476
	buffer_store_dword v3, off, s[0:3], 0 offset:472
	buffer_store_dword v2, off, s[0:3], 0 offset:468
	buffer_store_dword v1, off, s[0:3], 0 offset:464
	v_add_co_u32 v65, vcc_lo, s6, v65
	v_add_co_ci_u32_e64 v66, null, s7, v66, vcc_lo
	v_lshlrev_b64 v[67:68], 4, v[69:70]
	v_ashrrev_i32_e32 v72, 31, v71
	v_add_nc_u32_e32 v73, s13, v71
	flat_load_dwordx4 v[1:4], v[65:66]
	s_waitcnt vmcnt(0) lgkmcnt(0)
	buffer_store_dword v4, off, s[0:3], 0 offset:492
	buffer_store_dword v3, off, s[0:3], 0 offset:488
	buffer_store_dword v2, off, s[0:3], 0 offset:484
	buffer_store_dword v1, off, s[0:3], 0 offset:480
	v_add_co_u32 v67, vcc_lo, s6, v67
	v_add_co_ci_u32_e64 v68, null, s7, v68, vcc_lo
	v_lshlrev_b64 v[69:70], 4, v[71:72]
	v_ashrrev_i32_e32 v74, 31, v73
	v_add_nc_u32_e32 v75, s13, v73
	flat_load_dwordx4 v[1:4], v[67:68]
	s_waitcnt vmcnt(0) lgkmcnt(0)
	buffer_store_dword v4, off, s[0:3], 0 offset:508
	buffer_store_dword v3, off, s[0:3], 0 offset:504
	buffer_store_dword v2, off, s[0:3], 0 offset:500
	buffer_store_dword v1, off, s[0:3], 0 offset:496
	v_add_co_u32 v69, vcc_lo, s6, v69
	v_add_co_ci_u32_e64 v70, null, s7, v70, vcc_lo
	v_lshlrev_b64 v[71:72], 4, v[73:74]
	v_ashrrev_i32_e32 v76, 31, v75
	v_add_nc_u32_e32 v77, s13, v75
	flat_load_dwordx4 v[1:4], v[69:70]
	s_waitcnt vmcnt(0) lgkmcnt(0)
	buffer_store_dword v4, off, s[0:3], 0 offset:524
	buffer_store_dword v3, off, s[0:3], 0 offset:520
	buffer_store_dword v2, off, s[0:3], 0 offset:516
	buffer_store_dword v1, off, s[0:3], 0 offset:512
	v_add_co_u32 v71, vcc_lo, s6, v71
	v_add_co_ci_u32_e64 v72, null, s7, v72, vcc_lo
	v_lshlrev_b64 v[73:74], 4, v[75:76]
	v_ashrrev_i32_e32 v78, 31, v77
	flat_load_dwordx4 v[1:4], v[71:72]
	s_waitcnt vmcnt(0) lgkmcnt(0)
	buffer_store_dword v4, off, s[0:3], 0 offset:540
	buffer_store_dword v3, off, s[0:3], 0 offset:536
	;; [unrolled: 1-line block ×4, first 2 shown]
	v_add_co_u32 v73, vcc_lo, s6, v73
	v_add_co_ci_u32_e64 v74, null, s7, v74, vcc_lo
	v_lshlrev_b64 v[75:76], 4, v[77:78]
	v_add_nc_u32_e32 v77, s13, v77
	s_movk_i32 s13, 0xc0
	flat_load_dwordx4 v[1:4], v[73:74]
	s_waitcnt vmcnt(0) lgkmcnt(0)
	buffer_store_dword v4, off, s[0:3], 0 offset:556
	buffer_store_dword v3, off, s[0:3], 0 offset:552
	;; [unrolled: 1-line block ×4, first 2 shown]
	v_add_co_u32 v75, vcc_lo, s6, v75
	v_add_co_ci_u32_e64 v76, null, s7, v76, vcc_lo
	v_ashrrev_i32_e32 v78, 31, v77
	flat_load_dwordx4 v[1:4], v[75:76]
	s_waitcnt vmcnt(0) lgkmcnt(0)
	buffer_store_dword v4, off, s[0:3], 0 offset:572
	buffer_store_dword v3, off, s[0:3], 0 offset:568
	;; [unrolled: 1-line block ×4, first 2 shown]
	v_lshlrev_b64 v[77:78], 4, v[77:78]
	v_add_co_u32 v77, vcc_lo, s6, v77
	v_add_co_ci_u32_e64 v78, null, s7, v78, vcc_lo
	s_movk_i32 s6, 0x70
	s_movk_i32 s7, 0x80
	flat_load_dwordx4 v[1:4], v[77:78]
	s_waitcnt vmcnt(0) lgkmcnt(0)
	buffer_store_dword v4, off, s[0:3], 0 offset:588
	buffer_store_dword v3, off, s[0:3], 0 offset:584
	;; [unrolled: 1-line block ×4, first 2 shown]
	s_cbranch_scc1 .LBB100_7
; %bb.2:
	v_lshl_add_u32 v86, v0, 4, 0
                                        ; implicit-def: $vgpr81_vgpr82
                                        ; implicit-def: $vgpr3_vgpr4
	s_clause 0x3
	buffer_load_dword v79, v86, s[0:3], 0 offen
	buffer_load_dword v80, v86, s[0:3], 0 offen offset:4
	buffer_load_dword v83, v86, s[0:3], 0 offen offset:8
	;; [unrolled: 1-line block ×3, first 2 shown]
	s_waitcnt vmcnt(0)
	v_cmp_ngt_f64_e64 s9, |v[79:80]|, |v[83:84]|
	s_and_saveexec_b32 s23, s9
	s_xor_b32 s9, exec_lo, s23
	s_cbranch_execz .LBB100_4
; %bb.3:
	v_div_scale_f64 v[1:2], null, v[83:84], v[83:84], v[79:80]
	v_div_scale_f64 v[87:88], vcc_lo, v[79:80], v[83:84], v[79:80]
	v_rcp_f64_e32 v[3:4], v[1:2]
	v_fma_f64 v[81:82], -v[1:2], v[3:4], 1.0
	v_fma_f64 v[3:4], v[3:4], v[81:82], v[3:4]
	v_fma_f64 v[81:82], -v[1:2], v[3:4], 1.0
	v_fma_f64 v[3:4], v[3:4], v[81:82], v[3:4]
	v_mul_f64 v[81:82], v[87:88], v[3:4]
	v_fma_f64 v[1:2], -v[1:2], v[81:82], v[87:88]
	v_div_fmas_f64 v[1:2], v[1:2], v[3:4], v[81:82]
	v_div_fixup_f64 v[1:2], v[1:2], v[83:84], v[79:80]
	v_fma_f64 v[3:4], v[79:80], v[1:2], v[83:84]
	v_div_scale_f64 v[79:80], null, v[3:4], v[3:4], 1.0
	v_div_scale_f64 v[87:88], vcc_lo, 1.0, v[3:4], 1.0
	v_rcp_f64_e32 v[81:82], v[79:80]
	v_fma_f64 v[83:84], -v[79:80], v[81:82], 1.0
	v_fma_f64 v[81:82], v[81:82], v[83:84], v[81:82]
	v_fma_f64 v[83:84], -v[79:80], v[81:82], 1.0
	v_fma_f64 v[81:82], v[81:82], v[83:84], v[81:82]
	v_mul_f64 v[83:84], v[87:88], v[81:82]
	v_fma_f64 v[79:80], -v[79:80], v[83:84], v[87:88]
	v_div_fmas_f64 v[79:80], v[79:80], v[81:82], v[83:84]
                                        ; implicit-def: $vgpr83_vgpr84
	v_div_fixup_f64 v[3:4], v[79:80], v[3:4], 1.0
                                        ; implicit-def: $vgpr79_vgpr80
	v_mul_f64 v[81:82], v[1:2], v[3:4]
	v_xor_b32_e32 v4, 0x80000000, v4
	v_xor_b32_e32 v2, 0x80000000, v82
	v_mov_b32_e32 v1, v81
.LBB100_4:
	s_andn2_saveexec_b32 s9, s9
	s_cbranch_execz .LBB100_6
; %bb.5:
	v_div_scale_f64 v[1:2], null, v[79:80], v[79:80], v[83:84]
	v_div_scale_f64 v[87:88], vcc_lo, v[83:84], v[79:80], v[83:84]
	v_rcp_f64_e32 v[3:4], v[1:2]
	v_fma_f64 v[81:82], -v[1:2], v[3:4], 1.0
	v_fma_f64 v[3:4], v[3:4], v[81:82], v[3:4]
	v_fma_f64 v[81:82], -v[1:2], v[3:4], 1.0
	v_fma_f64 v[3:4], v[3:4], v[81:82], v[3:4]
	v_mul_f64 v[81:82], v[87:88], v[3:4]
	v_fma_f64 v[1:2], -v[1:2], v[81:82], v[87:88]
	v_div_fmas_f64 v[1:2], v[1:2], v[3:4], v[81:82]
	v_div_fixup_f64 v[1:2], v[1:2], v[79:80], v[83:84]
	v_fma_f64 v[3:4], v[83:84], v[1:2], v[79:80]
	v_div_scale_f64 v[79:80], null, v[3:4], v[3:4], 1.0
	v_rcp_f64_e32 v[81:82], v[79:80]
	v_fma_f64 v[83:84], -v[79:80], v[81:82], 1.0
	v_fma_f64 v[81:82], v[81:82], v[83:84], v[81:82]
	v_fma_f64 v[83:84], -v[79:80], v[81:82], 1.0
	v_fma_f64 v[81:82], v[81:82], v[83:84], v[81:82]
	v_div_scale_f64 v[83:84], vcc_lo, 1.0, v[3:4], 1.0
	v_mul_f64 v[87:88], v[83:84], v[81:82]
	v_fma_f64 v[79:80], -v[79:80], v[87:88], v[83:84]
	v_div_fmas_f64 v[79:80], v[79:80], v[81:82], v[87:88]
	v_div_fixup_f64 v[81:82], v[79:80], v[3:4], 1.0
	v_mul_f64 v[3:4], v[1:2], -v[81:82]
	v_xor_b32_e32 v2, 0x80000000, v82
	v_mov_b32_e32 v1, v81
.LBB100_6:
	s_or_b32 exec_lo, exec_lo, s9
	buffer_store_dword v4, v86, s[0:3], 0 offen offset:12
	v_xor_b32_e32 v4, 0x80000000, v4
	buffer_store_dword v82, v86, s[0:3], 0 offen offset:4
	buffer_store_dword v81, v86, s[0:3], 0 offen
	buffer_store_dword v3, v86, s[0:3], 0 offen offset:8
	s_branch .LBB100_8
.LBB100_7:
	v_mov_b32_e32 v1, 0
	v_mov_b32_e32 v3, 0
	;; [unrolled: 1-line block ×4, first 2 shown]
.LBB100_8:
	v_add_nc_u32_e32 v80, 0x250, v85
	v_mov_b32_e32 v79, v85
	s_mov_b32 s43, 16
	s_mov_b32 s42, 32
	;; [unrolled: 1-line block ×35, first 2 shown]
	s_cmpk_eq_i32 s8, 0x79
	ds_write_b128 v85, v[1:4]
	s_cbranch_scc1 .LBB100_292
; %bb.9:
	v_mov_b32_e32 v4, s7
	v_cmp_eq_u32_e64 s4, 36, v0
	s_clause 0x3
	buffer_load_dword v1, v4, s[0:3], 0 offen
	buffer_load_dword v2, v4, s[0:3], 0 offen offset:4
	buffer_load_dword v3, v4, s[0:3], 0 offen offset:8
	;; [unrolled: 1-line block ×3, first 2 shown]
	s_waitcnt vmcnt(0)
	ds_write_b128 v80, v[1:4]
	s_waitcnt lgkmcnt(0)
	s_waitcnt_vscnt null, 0x0
	s_barrier
	buffer_gl0_inv
	s_and_saveexec_b32 s5, s4
	s_cbranch_execz .LBB100_13
; %bb.10:
	ds_read_b128 v[1:4], v80
	s_andn2_b32 vcc_lo, exec_lo, s44
	s_cbranch_vccnz .LBB100_12
; %bb.11:
	s_clause 0x3
	buffer_load_dword v81, v79, s[0:3], 0 offen offset:8
	buffer_load_dword v82, v79, s[0:3], 0 offen offset:12
	buffer_load_dword v83, v79, s[0:3], 0 offen
	buffer_load_dword v84, v79, s[0:3], 0 offen offset:4
	s_waitcnt vmcnt(2) lgkmcnt(0)
	v_mul_f64 v[86:87], v[3:4], v[81:82]
	v_mul_f64 v[81:82], v[1:2], v[81:82]
	s_waitcnt vmcnt(0)
	v_fma_f64 v[1:2], v[1:2], v[83:84], -v[86:87]
	v_fma_f64 v[3:4], v[3:4], v[83:84], v[81:82]
.LBB100_12:
	v_mov_b32_e32 v81, 0
	ds_read_b128 v[81:84], v81 offset:560
	s_waitcnt lgkmcnt(0)
	v_mul_f64 v[86:87], v[3:4], v[83:84]
	v_mul_f64 v[83:84], v[1:2], v[83:84]
	v_fma_f64 v[1:2], v[1:2], v[81:82], -v[86:87]
	v_fma_f64 v[3:4], v[3:4], v[81:82], v[83:84]
	buffer_store_dword v2, off, s[0:3], 0 offset:564
	buffer_store_dword v1, off, s[0:3], 0 offset:560
	;; [unrolled: 1-line block ×4, first 2 shown]
.LBB100_13:
	s_or_b32 exec_lo, exec_lo, s5
	v_mov_b32_e32 v4, s9
	v_cmp_lt_u32_e64 s5, 34, v0
	s_clause 0x3
	buffer_load_dword v1, v4, s[0:3], 0 offen
	buffer_load_dword v2, v4, s[0:3], 0 offen offset:4
	buffer_load_dword v3, v4, s[0:3], 0 offen offset:8
	;; [unrolled: 1-line block ×3, first 2 shown]
	s_waitcnt vmcnt(0)
	ds_write_b128 v80, v[1:4]
	s_waitcnt lgkmcnt(0)
	s_waitcnt_vscnt null, 0x0
	s_barrier
	buffer_gl0_inv
	s_and_saveexec_b32 s8, s5
	s_cbranch_execz .LBB100_19
; %bb.14:
	ds_read_b128 v[1:4], v80
	s_andn2_b32 vcc_lo, exec_lo, s44
	s_cbranch_vccnz .LBB100_16
; %bb.15:
	s_clause 0x3
	buffer_load_dword v81, v79, s[0:3], 0 offen offset:8
	buffer_load_dword v82, v79, s[0:3], 0 offen offset:12
	buffer_load_dword v83, v79, s[0:3], 0 offen
	buffer_load_dword v84, v79, s[0:3], 0 offen offset:4
	s_waitcnt vmcnt(2) lgkmcnt(0)
	v_mul_f64 v[86:87], v[3:4], v[81:82]
	v_mul_f64 v[81:82], v[1:2], v[81:82]
	s_waitcnt vmcnt(0)
	v_fma_f64 v[1:2], v[1:2], v[83:84], -v[86:87]
	v_fma_f64 v[3:4], v[3:4], v[83:84], v[81:82]
.LBB100_16:
	s_and_saveexec_b32 s45, s4
	s_cbranch_execz .LBB100_18
; %bb.17:
	s_clause 0x3
	buffer_load_dword v86, off, s[0:3], 0 offset:568
	buffer_load_dword v87, off, s[0:3], 0 offset:572
	;; [unrolled: 1-line block ×4, first 2 shown]
	v_mov_b32_e32 v81, 0
	ds_read_b128 v[81:84], v81 offset:1152
	s_waitcnt vmcnt(2) lgkmcnt(0)
	v_mul_f64 v[90:91], v[81:82], v[86:87]
	v_mul_f64 v[86:87], v[83:84], v[86:87]
	s_waitcnt vmcnt(0)
	v_fma_f64 v[83:84], v[83:84], v[88:89], v[90:91]
	v_fma_f64 v[81:82], v[81:82], v[88:89], -v[86:87]
	v_add_f64 v[3:4], v[3:4], v[83:84]
	v_add_f64 v[1:2], v[1:2], v[81:82]
.LBB100_18:
	s_or_b32 exec_lo, exec_lo, s45
	v_mov_b32_e32 v81, 0
	ds_read_b128 v[81:84], v81 offset:544
	s_waitcnt lgkmcnt(0)
	v_mul_f64 v[86:87], v[3:4], v[83:84]
	v_mul_f64 v[83:84], v[1:2], v[83:84]
	v_fma_f64 v[1:2], v[1:2], v[81:82], -v[86:87]
	v_fma_f64 v[3:4], v[3:4], v[81:82], v[83:84]
	buffer_store_dword v2, off, s[0:3], 0 offset:548
	buffer_store_dword v1, off, s[0:3], 0 offset:544
	;; [unrolled: 1-line block ×4, first 2 shown]
.LBB100_19:
	s_or_b32 exec_lo, exec_lo, s8
	v_mov_b32_e32 v4, s10
	v_cmp_lt_u32_e64 s4, 33, v0
	s_clause 0x3
	buffer_load_dword v1, v4, s[0:3], 0 offen
	buffer_load_dword v2, v4, s[0:3], 0 offen offset:4
	buffer_load_dword v3, v4, s[0:3], 0 offen offset:8
	;; [unrolled: 1-line block ×3, first 2 shown]
	s_waitcnt vmcnt(0)
	ds_write_b128 v80, v[1:4]
	s_waitcnt lgkmcnt(0)
	s_waitcnt_vscnt null, 0x0
	s_barrier
	buffer_gl0_inv
	s_and_saveexec_b32 s8, s4
	s_cbranch_execz .LBB100_27
; %bb.20:
	ds_read_b128 v[1:4], v80
	s_andn2_b32 vcc_lo, exec_lo, s44
	s_cbranch_vccnz .LBB100_22
; %bb.21:
	s_clause 0x3
	buffer_load_dword v81, v79, s[0:3], 0 offen offset:8
	buffer_load_dword v82, v79, s[0:3], 0 offen offset:12
	buffer_load_dword v83, v79, s[0:3], 0 offen
	buffer_load_dword v84, v79, s[0:3], 0 offen offset:4
	s_waitcnt vmcnt(2) lgkmcnt(0)
	v_mul_f64 v[86:87], v[3:4], v[81:82]
	v_mul_f64 v[81:82], v[1:2], v[81:82]
	s_waitcnt vmcnt(0)
	v_fma_f64 v[1:2], v[1:2], v[83:84], -v[86:87]
	v_fma_f64 v[3:4], v[3:4], v[83:84], v[81:82]
.LBB100_22:
	s_and_saveexec_b32 s45, s5
	s_cbranch_execz .LBB100_26
; %bb.23:
	v_subrev_nc_u32_e32 v81, 34, v0
	s_movk_i32 s46, 0x470
	s_mov_b32 s5, 0
	s_mov_b32 s47, s9
	.p2align	6
.LBB100_24:                             ; =>This Inner Loop Header: Depth=1
	v_mov_b32_e32 v84, s47
	v_add_nc_u32_e32 v81, -1, v81
	s_add_i32 s47, s47, 16
	s_clause 0x3
	buffer_load_dword v82, v84, s[0:3], 0 offen offset:8
	buffer_load_dword v83, v84, s[0:3], 0 offen offset:12
	buffer_load_dword v90, v84, s[0:3], 0 offen
	buffer_load_dword v91, v84, s[0:3], 0 offen offset:4
	v_mov_b32_e32 v84, s46
	v_cmp_eq_u32_e32 vcc_lo, 0, v81
	s_add_i32 s46, s46, 16
	ds_read_b128 v[86:89], v84
	s_or_b32 s5, vcc_lo, s5
	s_waitcnt vmcnt(2) lgkmcnt(0)
	v_mul_f64 v[92:93], v[88:89], v[82:83]
	v_mul_f64 v[82:83], v[86:87], v[82:83]
	s_waitcnt vmcnt(0)
	v_fma_f64 v[86:87], v[86:87], v[90:91], -v[92:93]
	v_fma_f64 v[82:83], v[88:89], v[90:91], v[82:83]
	v_add_f64 v[1:2], v[1:2], v[86:87]
	v_add_f64 v[3:4], v[3:4], v[82:83]
	s_andn2_b32 exec_lo, exec_lo, s5
	s_cbranch_execnz .LBB100_24
; %bb.25:
	s_or_b32 exec_lo, exec_lo, s5
.LBB100_26:
	s_or_b32 exec_lo, exec_lo, s45
	v_mov_b32_e32 v81, 0
	ds_read_b128 v[81:84], v81 offset:528
	s_waitcnt lgkmcnt(0)
	v_mul_f64 v[86:87], v[3:4], v[83:84]
	v_mul_f64 v[83:84], v[1:2], v[83:84]
	v_fma_f64 v[1:2], v[1:2], v[81:82], -v[86:87]
	v_fma_f64 v[3:4], v[3:4], v[81:82], v[83:84]
	buffer_store_dword v2, off, s[0:3], 0 offset:532
	buffer_store_dword v1, off, s[0:3], 0 offset:528
	;; [unrolled: 1-line block ×4, first 2 shown]
.LBB100_27:
	s_or_b32 exec_lo, exec_lo, s8
	v_mov_b32_e32 v4, s11
	v_cmp_lt_u32_e64 s5, 32, v0
	s_clause 0x3
	buffer_load_dword v1, v4, s[0:3], 0 offen
	buffer_load_dword v2, v4, s[0:3], 0 offen offset:4
	buffer_load_dword v3, v4, s[0:3], 0 offen offset:8
	;; [unrolled: 1-line block ×3, first 2 shown]
	s_waitcnt vmcnt(0)
	ds_write_b128 v80, v[1:4]
	s_waitcnt lgkmcnt(0)
	s_waitcnt_vscnt null, 0x0
	s_barrier
	buffer_gl0_inv
	s_and_saveexec_b32 s8, s5
	s_cbranch_execz .LBB100_35
; %bb.28:
	ds_read_b128 v[1:4], v80
	s_andn2_b32 vcc_lo, exec_lo, s44
	s_cbranch_vccnz .LBB100_30
; %bb.29:
	s_clause 0x3
	buffer_load_dword v81, v79, s[0:3], 0 offen offset:8
	buffer_load_dword v82, v79, s[0:3], 0 offen offset:12
	buffer_load_dword v83, v79, s[0:3], 0 offen
	buffer_load_dword v84, v79, s[0:3], 0 offen offset:4
	s_waitcnt vmcnt(2) lgkmcnt(0)
	v_mul_f64 v[86:87], v[3:4], v[81:82]
	v_mul_f64 v[81:82], v[1:2], v[81:82]
	s_waitcnt vmcnt(0)
	v_fma_f64 v[1:2], v[1:2], v[83:84], -v[86:87]
	v_fma_f64 v[3:4], v[3:4], v[83:84], v[81:82]
.LBB100_30:
	s_and_saveexec_b32 s45, s4
	s_cbranch_execz .LBB100_34
; %bb.31:
	v_subrev_nc_u32_e32 v81, 33, v0
	s_movk_i32 s46, 0x460
	s_mov_b32 s4, 0
	s_mov_b32 s47, s10
	.p2align	6
.LBB100_32:                             ; =>This Inner Loop Header: Depth=1
	v_mov_b32_e32 v84, s47
	v_add_nc_u32_e32 v81, -1, v81
	s_add_i32 s47, s47, 16
	s_clause 0x3
	buffer_load_dword v82, v84, s[0:3], 0 offen offset:8
	buffer_load_dword v83, v84, s[0:3], 0 offen offset:12
	buffer_load_dword v90, v84, s[0:3], 0 offen
	buffer_load_dword v91, v84, s[0:3], 0 offen offset:4
	v_mov_b32_e32 v84, s46
	v_cmp_eq_u32_e32 vcc_lo, 0, v81
	s_add_i32 s46, s46, 16
	ds_read_b128 v[86:89], v84
	s_or_b32 s4, vcc_lo, s4
	s_waitcnt vmcnt(2) lgkmcnt(0)
	v_mul_f64 v[92:93], v[88:89], v[82:83]
	v_mul_f64 v[82:83], v[86:87], v[82:83]
	s_waitcnt vmcnt(0)
	v_fma_f64 v[86:87], v[86:87], v[90:91], -v[92:93]
	v_fma_f64 v[82:83], v[88:89], v[90:91], v[82:83]
	v_add_f64 v[1:2], v[1:2], v[86:87]
	v_add_f64 v[3:4], v[3:4], v[82:83]
	s_andn2_b32 exec_lo, exec_lo, s4
	s_cbranch_execnz .LBB100_32
; %bb.33:
	s_or_b32 exec_lo, exec_lo, s4
.LBB100_34:
	s_or_b32 exec_lo, exec_lo, s45
	v_mov_b32_e32 v81, 0
	ds_read_b128 v[81:84], v81 offset:512
	s_waitcnt lgkmcnt(0)
	v_mul_f64 v[86:87], v[3:4], v[83:84]
	v_mul_f64 v[83:84], v[1:2], v[83:84]
	v_fma_f64 v[1:2], v[1:2], v[81:82], -v[86:87]
	v_fma_f64 v[3:4], v[3:4], v[81:82], v[83:84]
	buffer_store_dword v2, off, s[0:3], 0 offset:516
	buffer_store_dword v1, off, s[0:3], 0 offset:512
	;; [unrolled: 1-line block ×4, first 2 shown]
.LBB100_35:
	s_or_b32 exec_lo, exec_lo, s8
	v_mov_b32_e32 v4, s12
	v_cmp_lt_u32_e64 s4, 31, v0
	s_clause 0x3
	buffer_load_dword v1, v4, s[0:3], 0 offen
	buffer_load_dword v2, v4, s[0:3], 0 offen offset:4
	buffer_load_dword v3, v4, s[0:3], 0 offen offset:8
	;; [unrolled: 1-line block ×3, first 2 shown]
	s_waitcnt vmcnt(0)
	ds_write_b128 v80, v[1:4]
	s_waitcnt lgkmcnt(0)
	s_waitcnt_vscnt null, 0x0
	s_barrier
	buffer_gl0_inv
	s_and_saveexec_b32 s8, s4
	s_cbranch_execz .LBB100_43
; %bb.36:
	ds_read_b128 v[1:4], v80
	s_andn2_b32 vcc_lo, exec_lo, s44
	s_cbranch_vccnz .LBB100_38
; %bb.37:
	s_clause 0x3
	buffer_load_dword v81, v79, s[0:3], 0 offen offset:8
	buffer_load_dword v82, v79, s[0:3], 0 offen offset:12
	buffer_load_dword v83, v79, s[0:3], 0 offen
	buffer_load_dword v84, v79, s[0:3], 0 offen offset:4
	s_waitcnt vmcnt(2) lgkmcnt(0)
	v_mul_f64 v[86:87], v[3:4], v[81:82]
	v_mul_f64 v[81:82], v[1:2], v[81:82]
	s_waitcnt vmcnt(0)
	v_fma_f64 v[1:2], v[1:2], v[83:84], -v[86:87]
	v_fma_f64 v[3:4], v[3:4], v[83:84], v[81:82]
.LBB100_38:
	s_and_saveexec_b32 s45, s5
	s_cbranch_execz .LBB100_42
; %bb.39:
	v_subrev_nc_u32_e32 v81, 32, v0
	s_movk_i32 s46, 0x450
	s_mov_b32 s5, 0
	s_mov_b32 s47, s11
	.p2align	6
.LBB100_40:                             ; =>This Inner Loop Header: Depth=1
	v_mov_b32_e32 v84, s47
	v_add_nc_u32_e32 v81, -1, v81
	s_add_i32 s47, s47, 16
	s_clause 0x3
	buffer_load_dword v82, v84, s[0:3], 0 offen offset:8
	buffer_load_dword v83, v84, s[0:3], 0 offen offset:12
	buffer_load_dword v90, v84, s[0:3], 0 offen
	buffer_load_dword v91, v84, s[0:3], 0 offen offset:4
	v_mov_b32_e32 v84, s46
	v_cmp_eq_u32_e32 vcc_lo, 0, v81
	s_add_i32 s46, s46, 16
	ds_read_b128 v[86:89], v84
	s_or_b32 s5, vcc_lo, s5
	s_waitcnt vmcnt(2) lgkmcnt(0)
	v_mul_f64 v[92:93], v[88:89], v[82:83]
	v_mul_f64 v[82:83], v[86:87], v[82:83]
	s_waitcnt vmcnt(0)
	v_fma_f64 v[86:87], v[86:87], v[90:91], -v[92:93]
	v_fma_f64 v[82:83], v[88:89], v[90:91], v[82:83]
	v_add_f64 v[1:2], v[1:2], v[86:87]
	v_add_f64 v[3:4], v[3:4], v[82:83]
	s_andn2_b32 exec_lo, exec_lo, s5
	s_cbranch_execnz .LBB100_40
; %bb.41:
	s_or_b32 exec_lo, exec_lo, s5
.LBB100_42:
	s_or_b32 exec_lo, exec_lo, s45
	v_mov_b32_e32 v81, 0
	ds_read_b128 v[81:84], v81 offset:496
	s_waitcnt lgkmcnt(0)
	v_mul_f64 v[86:87], v[3:4], v[83:84]
	v_mul_f64 v[83:84], v[1:2], v[83:84]
	v_fma_f64 v[1:2], v[1:2], v[81:82], -v[86:87]
	v_fma_f64 v[3:4], v[3:4], v[81:82], v[83:84]
	buffer_store_dword v2, off, s[0:3], 0 offset:500
	buffer_store_dword v1, off, s[0:3], 0 offset:496
	;; [unrolled: 1-line block ×4, first 2 shown]
.LBB100_43:
	s_or_b32 exec_lo, exec_lo, s8
	v_mov_b32_e32 v4, s13
	v_cmp_lt_u32_e64 s5, 30, v0
	s_clause 0x3
	buffer_load_dword v1, v4, s[0:3], 0 offen
	buffer_load_dword v2, v4, s[0:3], 0 offen offset:4
	buffer_load_dword v3, v4, s[0:3], 0 offen offset:8
	;; [unrolled: 1-line block ×3, first 2 shown]
	s_waitcnt vmcnt(0)
	ds_write_b128 v80, v[1:4]
	s_waitcnt lgkmcnt(0)
	s_waitcnt_vscnt null, 0x0
	s_barrier
	buffer_gl0_inv
	s_and_saveexec_b32 s8, s5
	s_cbranch_execz .LBB100_51
; %bb.44:
	ds_read_b128 v[1:4], v80
	s_andn2_b32 vcc_lo, exec_lo, s44
	s_cbranch_vccnz .LBB100_46
; %bb.45:
	s_clause 0x3
	buffer_load_dword v81, v79, s[0:3], 0 offen offset:8
	buffer_load_dword v82, v79, s[0:3], 0 offen offset:12
	buffer_load_dword v83, v79, s[0:3], 0 offen
	buffer_load_dword v84, v79, s[0:3], 0 offen offset:4
	s_waitcnt vmcnt(2) lgkmcnt(0)
	v_mul_f64 v[86:87], v[3:4], v[81:82]
	v_mul_f64 v[81:82], v[1:2], v[81:82]
	s_waitcnt vmcnt(0)
	v_fma_f64 v[1:2], v[1:2], v[83:84], -v[86:87]
	v_fma_f64 v[3:4], v[3:4], v[83:84], v[81:82]
.LBB100_46:
	s_and_saveexec_b32 s45, s4
	s_cbranch_execz .LBB100_50
; %bb.47:
	v_subrev_nc_u32_e32 v81, 31, v0
	s_movk_i32 s46, 0x440
	s_mov_b32 s4, 0
	s_mov_b32 s47, s12
	.p2align	6
.LBB100_48:                             ; =>This Inner Loop Header: Depth=1
	v_mov_b32_e32 v84, s47
	v_add_nc_u32_e32 v81, -1, v81
	s_add_i32 s47, s47, 16
	s_clause 0x3
	buffer_load_dword v82, v84, s[0:3], 0 offen offset:8
	buffer_load_dword v83, v84, s[0:3], 0 offen offset:12
	buffer_load_dword v90, v84, s[0:3], 0 offen
	buffer_load_dword v91, v84, s[0:3], 0 offen offset:4
	v_mov_b32_e32 v84, s46
	v_cmp_eq_u32_e32 vcc_lo, 0, v81
	s_add_i32 s46, s46, 16
	ds_read_b128 v[86:89], v84
	s_or_b32 s4, vcc_lo, s4
	s_waitcnt vmcnt(2) lgkmcnt(0)
	v_mul_f64 v[92:93], v[88:89], v[82:83]
	v_mul_f64 v[82:83], v[86:87], v[82:83]
	s_waitcnt vmcnt(0)
	v_fma_f64 v[86:87], v[86:87], v[90:91], -v[92:93]
	v_fma_f64 v[82:83], v[88:89], v[90:91], v[82:83]
	v_add_f64 v[1:2], v[1:2], v[86:87]
	v_add_f64 v[3:4], v[3:4], v[82:83]
	s_andn2_b32 exec_lo, exec_lo, s4
	s_cbranch_execnz .LBB100_48
; %bb.49:
	s_or_b32 exec_lo, exec_lo, s4
.LBB100_50:
	s_or_b32 exec_lo, exec_lo, s45
	v_mov_b32_e32 v81, 0
	ds_read_b128 v[81:84], v81 offset:480
	s_waitcnt lgkmcnt(0)
	v_mul_f64 v[86:87], v[3:4], v[83:84]
	v_mul_f64 v[83:84], v[1:2], v[83:84]
	v_fma_f64 v[1:2], v[1:2], v[81:82], -v[86:87]
	v_fma_f64 v[3:4], v[3:4], v[81:82], v[83:84]
	buffer_store_dword v2, off, s[0:3], 0 offset:484
	buffer_store_dword v1, off, s[0:3], 0 offset:480
	;; [unrolled: 1-line block ×4, first 2 shown]
.LBB100_51:
	s_or_b32 exec_lo, exec_lo, s8
	v_mov_b32_e32 v4, s14
	v_cmp_lt_u32_e64 s4, 29, v0
	s_clause 0x3
	buffer_load_dword v1, v4, s[0:3], 0 offen
	buffer_load_dword v2, v4, s[0:3], 0 offen offset:4
	buffer_load_dword v3, v4, s[0:3], 0 offen offset:8
	;; [unrolled: 1-line block ×3, first 2 shown]
	s_waitcnt vmcnt(0)
	ds_write_b128 v80, v[1:4]
	s_waitcnt lgkmcnt(0)
	s_waitcnt_vscnt null, 0x0
	s_barrier
	buffer_gl0_inv
	s_and_saveexec_b32 s8, s4
	s_cbranch_execz .LBB100_59
; %bb.52:
	ds_read_b128 v[1:4], v80
	s_andn2_b32 vcc_lo, exec_lo, s44
	s_cbranch_vccnz .LBB100_54
; %bb.53:
	s_clause 0x3
	buffer_load_dword v81, v79, s[0:3], 0 offen offset:8
	buffer_load_dword v82, v79, s[0:3], 0 offen offset:12
	buffer_load_dword v83, v79, s[0:3], 0 offen
	buffer_load_dword v84, v79, s[0:3], 0 offen offset:4
	s_waitcnt vmcnt(2) lgkmcnt(0)
	v_mul_f64 v[86:87], v[3:4], v[81:82]
	v_mul_f64 v[81:82], v[1:2], v[81:82]
	s_waitcnt vmcnt(0)
	v_fma_f64 v[1:2], v[1:2], v[83:84], -v[86:87]
	v_fma_f64 v[3:4], v[3:4], v[83:84], v[81:82]
.LBB100_54:
	s_and_saveexec_b32 s45, s5
	s_cbranch_execz .LBB100_58
; %bb.55:
	v_subrev_nc_u32_e32 v81, 30, v0
	s_movk_i32 s46, 0x430
	s_mov_b32 s5, 0
	s_mov_b32 s47, s13
	.p2align	6
.LBB100_56:                             ; =>This Inner Loop Header: Depth=1
	v_mov_b32_e32 v84, s47
	v_add_nc_u32_e32 v81, -1, v81
	s_add_i32 s47, s47, 16
	s_clause 0x3
	buffer_load_dword v82, v84, s[0:3], 0 offen offset:8
	buffer_load_dword v83, v84, s[0:3], 0 offen offset:12
	buffer_load_dword v90, v84, s[0:3], 0 offen
	buffer_load_dword v91, v84, s[0:3], 0 offen offset:4
	v_mov_b32_e32 v84, s46
	v_cmp_eq_u32_e32 vcc_lo, 0, v81
	s_add_i32 s46, s46, 16
	ds_read_b128 v[86:89], v84
	s_or_b32 s5, vcc_lo, s5
	s_waitcnt vmcnt(2) lgkmcnt(0)
	v_mul_f64 v[92:93], v[88:89], v[82:83]
	v_mul_f64 v[82:83], v[86:87], v[82:83]
	s_waitcnt vmcnt(0)
	v_fma_f64 v[86:87], v[86:87], v[90:91], -v[92:93]
	v_fma_f64 v[82:83], v[88:89], v[90:91], v[82:83]
	v_add_f64 v[1:2], v[1:2], v[86:87]
	v_add_f64 v[3:4], v[3:4], v[82:83]
	s_andn2_b32 exec_lo, exec_lo, s5
	s_cbranch_execnz .LBB100_56
; %bb.57:
	s_or_b32 exec_lo, exec_lo, s5
.LBB100_58:
	s_or_b32 exec_lo, exec_lo, s45
	v_mov_b32_e32 v81, 0
	ds_read_b128 v[81:84], v81 offset:464
	s_waitcnt lgkmcnt(0)
	v_mul_f64 v[86:87], v[3:4], v[83:84]
	v_mul_f64 v[83:84], v[1:2], v[83:84]
	v_fma_f64 v[1:2], v[1:2], v[81:82], -v[86:87]
	v_fma_f64 v[3:4], v[3:4], v[81:82], v[83:84]
	buffer_store_dword v2, off, s[0:3], 0 offset:468
	buffer_store_dword v1, off, s[0:3], 0 offset:464
	;; [unrolled: 1-line block ×4, first 2 shown]
.LBB100_59:
	s_or_b32 exec_lo, exec_lo, s8
	v_mov_b32_e32 v4, s15
	v_cmp_lt_u32_e64 s5, 28, v0
	s_clause 0x3
	buffer_load_dword v1, v4, s[0:3], 0 offen
	buffer_load_dword v2, v4, s[0:3], 0 offen offset:4
	buffer_load_dword v3, v4, s[0:3], 0 offen offset:8
	;; [unrolled: 1-line block ×3, first 2 shown]
	s_waitcnt vmcnt(0)
	ds_write_b128 v80, v[1:4]
	s_waitcnt lgkmcnt(0)
	s_waitcnt_vscnt null, 0x0
	s_barrier
	buffer_gl0_inv
	s_and_saveexec_b32 s8, s5
	s_cbranch_execz .LBB100_67
; %bb.60:
	ds_read_b128 v[1:4], v80
	s_andn2_b32 vcc_lo, exec_lo, s44
	s_cbranch_vccnz .LBB100_62
; %bb.61:
	s_clause 0x3
	buffer_load_dword v81, v79, s[0:3], 0 offen offset:8
	buffer_load_dword v82, v79, s[0:3], 0 offen offset:12
	buffer_load_dword v83, v79, s[0:3], 0 offen
	buffer_load_dword v84, v79, s[0:3], 0 offen offset:4
	s_waitcnt vmcnt(2) lgkmcnt(0)
	v_mul_f64 v[86:87], v[3:4], v[81:82]
	v_mul_f64 v[81:82], v[1:2], v[81:82]
	s_waitcnt vmcnt(0)
	v_fma_f64 v[1:2], v[1:2], v[83:84], -v[86:87]
	v_fma_f64 v[3:4], v[3:4], v[83:84], v[81:82]
.LBB100_62:
	s_and_saveexec_b32 s45, s4
	s_cbranch_execz .LBB100_66
; %bb.63:
	v_subrev_nc_u32_e32 v81, 29, v0
	s_movk_i32 s46, 0x420
	s_mov_b32 s4, 0
	s_mov_b32 s47, s14
	.p2align	6
.LBB100_64:                             ; =>This Inner Loop Header: Depth=1
	v_mov_b32_e32 v84, s47
	v_add_nc_u32_e32 v81, -1, v81
	s_add_i32 s47, s47, 16
	s_clause 0x3
	buffer_load_dword v82, v84, s[0:3], 0 offen offset:8
	buffer_load_dword v83, v84, s[0:3], 0 offen offset:12
	buffer_load_dword v90, v84, s[0:3], 0 offen
	buffer_load_dword v91, v84, s[0:3], 0 offen offset:4
	v_mov_b32_e32 v84, s46
	v_cmp_eq_u32_e32 vcc_lo, 0, v81
	s_add_i32 s46, s46, 16
	ds_read_b128 v[86:89], v84
	s_or_b32 s4, vcc_lo, s4
	s_waitcnt vmcnt(2) lgkmcnt(0)
	v_mul_f64 v[92:93], v[88:89], v[82:83]
	v_mul_f64 v[82:83], v[86:87], v[82:83]
	s_waitcnt vmcnt(0)
	v_fma_f64 v[86:87], v[86:87], v[90:91], -v[92:93]
	v_fma_f64 v[82:83], v[88:89], v[90:91], v[82:83]
	v_add_f64 v[1:2], v[1:2], v[86:87]
	v_add_f64 v[3:4], v[3:4], v[82:83]
	s_andn2_b32 exec_lo, exec_lo, s4
	s_cbranch_execnz .LBB100_64
; %bb.65:
	s_or_b32 exec_lo, exec_lo, s4
.LBB100_66:
	s_or_b32 exec_lo, exec_lo, s45
	v_mov_b32_e32 v81, 0
	ds_read_b128 v[81:84], v81 offset:448
	s_waitcnt lgkmcnt(0)
	v_mul_f64 v[86:87], v[3:4], v[83:84]
	v_mul_f64 v[83:84], v[1:2], v[83:84]
	v_fma_f64 v[1:2], v[1:2], v[81:82], -v[86:87]
	v_fma_f64 v[3:4], v[3:4], v[81:82], v[83:84]
	buffer_store_dword v2, off, s[0:3], 0 offset:452
	buffer_store_dword v1, off, s[0:3], 0 offset:448
	;; [unrolled: 1-line block ×4, first 2 shown]
.LBB100_67:
	s_or_b32 exec_lo, exec_lo, s8
	v_mov_b32_e32 v4, s16
	v_cmp_lt_u32_e64 s4, 27, v0
	s_clause 0x3
	buffer_load_dword v1, v4, s[0:3], 0 offen
	buffer_load_dword v2, v4, s[0:3], 0 offen offset:4
	buffer_load_dword v3, v4, s[0:3], 0 offen offset:8
	;; [unrolled: 1-line block ×3, first 2 shown]
	s_waitcnt vmcnt(0)
	ds_write_b128 v80, v[1:4]
	s_waitcnt lgkmcnt(0)
	s_waitcnt_vscnt null, 0x0
	s_barrier
	buffer_gl0_inv
	s_and_saveexec_b32 s8, s4
	s_cbranch_execz .LBB100_75
; %bb.68:
	ds_read_b128 v[1:4], v80
	s_andn2_b32 vcc_lo, exec_lo, s44
	s_cbranch_vccnz .LBB100_70
; %bb.69:
	s_clause 0x3
	buffer_load_dword v81, v79, s[0:3], 0 offen offset:8
	buffer_load_dword v82, v79, s[0:3], 0 offen offset:12
	buffer_load_dword v83, v79, s[0:3], 0 offen
	buffer_load_dword v84, v79, s[0:3], 0 offen offset:4
	s_waitcnt vmcnt(2) lgkmcnt(0)
	v_mul_f64 v[86:87], v[3:4], v[81:82]
	v_mul_f64 v[81:82], v[1:2], v[81:82]
	s_waitcnt vmcnt(0)
	v_fma_f64 v[1:2], v[1:2], v[83:84], -v[86:87]
	v_fma_f64 v[3:4], v[3:4], v[83:84], v[81:82]
.LBB100_70:
	s_and_saveexec_b32 s45, s5
	s_cbranch_execz .LBB100_74
; %bb.71:
	v_subrev_nc_u32_e32 v81, 28, v0
	s_movk_i32 s46, 0x410
	s_mov_b32 s5, 0
	s_mov_b32 s47, s15
	.p2align	6
.LBB100_72:                             ; =>This Inner Loop Header: Depth=1
	v_mov_b32_e32 v84, s47
	v_add_nc_u32_e32 v81, -1, v81
	s_add_i32 s47, s47, 16
	s_clause 0x3
	buffer_load_dword v82, v84, s[0:3], 0 offen offset:8
	buffer_load_dword v83, v84, s[0:3], 0 offen offset:12
	buffer_load_dword v90, v84, s[0:3], 0 offen
	buffer_load_dword v91, v84, s[0:3], 0 offen offset:4
	v_mov_b32_e32 v84, s46
	v_cmp_eq_u32_e32 vcc_lo, 0, v81
	s_add_i32 s46, s46, 16
	ds_read_b128 v[86:89], v84
	s_or_b32 s5, vcc_lo, s5
	s_waitcnt vmcnt(2) lgkmcnt(0)
	v_mul_f64 v[92:93], v[88:89], v[82:83]
	v_mul_f64 v[82:83], v[86:87], v[82:83]
	s_waitcnt vmcnt(0)
	v_fma_f64 v[86:87], v[86:87], v[90:91], -v[92:93]
	v_fma_f64 v[82:83], v[88:89], v[90:91], v[82:83]
	v_add_f64 v[1:2], v[1:2], v[86:87]
	v_add_f64 v[3:4], v[3:4], v[82:83]
	s_andn2_b32 exec_lo, exec_lo, s5
	s_cbranch_execnz .LBB100_72
; %bb.73:
	s_or_b32 exec_lo, exec_lo, s5
.LBB100_74:
	s_or_b32 exec_lo, exec_lo, s45
	v_mov_b32_e32 v81, 0
	ds_read_b128 v[81:84], v81 offset:432
	s_waitcnt lgkmcnt(0)
	v_mul_f64 v[86:87], v[3:4], v[83:84]
	v_mul_f64 v[83:84], v[1:2], v[83:84]
	v_fma_f64 v[1:2], v[1:2], v[81:82], -v[86:87]
	v_fma_f64 v[3:4], v[3:4], v[81:82], v[83:84]
	buffer_store_dword v2, off, s[0:3], 0 offset:436
	buffer_store_dword v1, off, s[0:3], 0 offset:432
	;; [unrolled: 1-line block ×4, first 2 shown]
.LBB100_75:
	s_or_b32 exec_lo, exec_lo, s8
	v_mov_b32_e32 v4, s17
	v_cmp_lt_u32_e64 s5, 26, v0
	s_clause 0x3
	buffer_load_dword v1, v4, s[0:3], 0 offen
	buffer_load_dword v2, v4, s[0:3], 0 offen offset:4
	buffer_load_dword v3, v4, s[0:3], 0 offen offset:8
	;; [unrolled: 1-line block ×3, first 2 shown]
	s_waitcnt vmcnt(0)
	ds_write_b128 v80, v[1:4]
	s_waitcnt lgkmcnt(0)
	s_waitcnt_vscnt null, 0x0
	s_barrier
	buffer_gl0_inv
	s_and_saveexec_b32 s8, s5
	s_cbranch_execz .LBB100_83
; %bb.76:
	ds_read_b128 v[1:4], v80
	s_andn2_b32 vcc_lo, exec_lo, s44
	s_cbranch_vccnz .LBB100_78
; %bb.77:
	s_clause 0x3
	buffer_load_dword v81, v79, s[0:3], 0 offen offset:8
	buffer_load_dword v82, v79, s[0:3], 0 offen offset:12
	buffer_load_dword v83, v79, s[0:3], 0 offen
	buffer_load_dword v84, v79, s[0:3], 0 offen offset:4
	s_waitcnt vmcnt(2) lgkmcnt(0)
	v_mul_f64 v[86:87], v[3:4], v[81:82]
	v_mul_f64 v[81:82], v[1:2], v[81:82]
	s_waitcnt vmcnt(0)
	v_fma_f64 v[1:2], v[1:2], v[83:84], -v[86:87]
	v_fma_f64 v[3:4], v[3:4], v[83:84], v[81:82]
.LBB100_78:
	s_and_saveexec_b32 s45, s4
	s_cbranch_execz .LBB100_82
; %bb.79:
	v_subrev_nc_u32_e32 v81, 27, v0
	s_movk_i32 s46, 0x400
	s_mov_b32 s4, 0
	s_mov_b32 s47, s16
	.p2align	6
.LBB100_80:                             ; =>This Inner Loop Header: Depth=1
	v_mov_b32_e32 v84, s47
	v_add_nc_u32_e32 v81, -1, v81
	s_add_i32 s47, s47, 16
	s_clause 0x3
	buffer_load_dword v82, v84, s[0:3], 0 offen offset:8
	buffer_load_dword v83, v84, s[0:3], 0 offen offset:12
	buffer_load_dword v90, v84, s[0:3], 0 offen
	buffer_load_dword v91, v84, s[0:3], 0 offen offset:4
	v_mov_b32_e32 v84, s46
	v_cmp_eq_u32_e32 vcc_lo, 0, v81
	s_add_i32 s46, s46, 16
	ds_read_b128 v[86:89], v84
	s_or_b32 s4, vcc_lo, s4
	s_waitcnt vmcnt(2) lgkmcnt(0)
	v_mul_f64 v[92:93], v[88:89], v[82:83]
	v_mul_f64 v[82:83], v[86:87], v[82:83]
	s_waitcnt vmcnt(0)
	v_fma_f64 v[86:87], v[86:87], v[90:91], -v[92:93]
	v_fma_f64 v[82:83], v[88:89], v[90:91], v[82:83]
	v_add_f64 v[1:2], v[1:2], v[86:87]
	v_add_f64 v[3:4], v[3:4], v[82:83]
	s_andn2_b32 exec_lo, exec_lo, s4
	s_cbranch_execnz .LBB100_80
; %bb.81:
	s_or_b32 exec_lo, exec_lo, s4
.LBB100_82:
	s_or_b32 exec_lo, exec_lo, s45
	v_mov_b32_e32 v81, 0
	ds_read_b128 v[81:84], v81 offset:416
	s_waitcnt lgkmcnt(0)
	v_mul_f64 v[86:87], v[3:4], v[83:84]
	v_mul_f64 v[83:84], v[1:2], v[83:84]
	v_fma_f64 v[1:2], v[1:2], v[81:82], -v[86:87]
	v_fma_f64 v[3:4], v[3:4], v[81:82], v[83:84]
	buffer_store_dword v2, off, s[0:3], 0 offset:420
	buffer_store_dword v1, off, s[0:3], 0 offset:416
	;; [unrolled: 1-line block ×4, first 2 shown]
.LBB100_83:
	s_or_b32 exec_lo, exec_lo, s8
	v_mov_b32_e32 v4, s18
	v_cmp_lt_u32_e64 s4, 25, v0
	s_clause 0x3
	buffer_load_dword v1, v4, s[0:3], 0 offen
	buffer_load_dword v2, v4, s[0:3], 0 offen offset:4
	buffer_load_dword v3, v4, s[0:3], 0 offen offset:8
	;; [unrolled: 1-line block ×3, first 2 shown]
	s_waitcnt vmcnt(0)
	ds_write_b128 v80, v[1:4]
	s_waitcnt lgkmcnt(0)
	s_waitcnt_vscnt null, 0x0
	s_barrier
	buffer_gl0_inv
	s_and_saveexec_b32 s8, s4
	s_cbranch_execz .LBB100_91
; %bb.84:
	ds_read_b128 v[1:4], v80
	s_andn2_b32 vcc_lo, exec_lo, s44
	s_cbranch_vccnz .LBB100_86
; %bb.85:
	s_clause 0x3
	buffer_load_dword v81, v79, s[0:3], 0 offen offset:8
	buffer_load_dword v82, v79, s[0:3], 0 offen offset:12
	buffer_load_dword v83, v79, s[0:3], 0 offen
	buffer_load_dword v84, v79, s[0:3], 0 offen offset:4
	s_waitcnt vmcnt(2) lgkmcnt(0)
	v_mul_f64 v[86:87], v[3:4], v[81:82]
	v_mul_f64 v[81:82], v[1:2], v[81:82]
	s_waitcnt vmcnt(0)
	v_fma_f64 v[1:2], v[1:2], v[83:84], -v[86:87]
	v_fma_f64 v[3:4], v[3:4], v[83:84], v[81:82]
.LBB100_86:
	s_and_saveexec_b32 s45, s5
	s_cbranch_execz .LBB100_90
; %bb.87:
	v_subrev_nc_u32_e32 v81, 26, v0
	s_movk_i32 s46, 0x3f0
	s_mov_b32 s5, 0
	s_mov_b32 s47, s17
	.p2align	6
.LBB100_88:                             ; =>This Inner Loop Header: Depth=1
	v_mov_b32_e32 v84, s47
	v_add_nc_u32_e32 v81, -1, v81
	s_add_i32 s47, s47, 16
	s_clause 0x3
	buffer_load_dword v82, v84, s[0:3], 0 offen offset:8
	buffer_load_dword v83, v84, s[0:3], 0 offen offset:12
	buffer_load_dword v90, v84, s[0:3], 0 offen
	buffer_load_dword v91, v84, s[0:3], 0 offen offset:4
	v_mov_b32_e32 v84, s46
	v_cmp_eq_u32_e32 vcc_lo, 0, v81
	s_add_i32 s46, s46, 16
	ds_read_b128 v[86:89], v84
	s_or_b32 s5, vcc_lo, s5
	s_waitcnt vmcnt(2) lgkmcnt(0)
	v_mul_f64 v[92:93], v[88:89], v[82:83]
	v_mul_f64 v[82:83], v[86:87], v[82:83]
	s_waitcnt vmcnt(0)
	v_fma_f64 v[86:87], v[86:87], v[90:91], -v[92:93]
	v_fma_f64 v[82:83], v[88:89], v[90:91], v[82:83]
	v_add_f64 v[1:2], v[1:2], v[86:87]
	v_add_f64 v[3:4], v[3:4], v[82:83]
	s_andn2_b32 exec_lo, exec_lo, s5
	s_cbranch_execnz .LBB100_88
; %bb.89:
	s_or_b32 exec_lo, exec_lo, s5
.LBB100_90:
	s_or_b32 exec_lo, exec_lo, s45
	v_mov_b32_e32 v81, 0
	ds_read_b128 v[81:84], v81 offset:400
	s_waitcnt lgkmcnt(0)
	v_mul_f64 v[86:87], v[3:4], v[83:84]
	v_mul_f64 v[83:84], v[1:2], v[83:84]
	v_fma_f64 v[1:2], v[1:2], v[81:82], -v[86:87]
	v_fma_f64 v[3:4], v[3:4], v[81:82], v[83:84]
	buffer_store_dword v2, off, s[0:3], 0 offset:404
	buffer_store_dword v1, off, s[0:3], 0 offset:400
	;; [unrolled: 1-line block ×4, first 2 shown]
.LBB100_91:
	s_or_b32 exec_lo, exec_lo, s8
	v_mov_b32_e32 v4, s19
	v_cmp_lt_u32_e64 s5, 24, v0
	s_clause 0x3
	buffer_load_dword v1, v4, s[0:3], 0 offen
	buffer_load_dword v2, v4, s[0:3], 0 offen offset:4
	buffer_load_dword v3, v4, s[0:3], 0 offen offset:8
	;; [unrolled: 1-line block ×3, first 2 shown]
	s_waitcnt vmcnt(0)
	ds_write_b128 v80, v[1:4]
	s_waitcnt lgkmcnt(0)
	s_waitcnt_vscnt null, 0x0
	s_barrier
	buffer_gl0_inv
	s_and_saveexec_b32 s8, s5
	s_cbranch_execz .LBB100_99
; %bb.92:
	ds_read_b128 v[1:4], v80
	s_andn2_b32 vcc_lo, exec_lo, s44
	s_cbranch_vccnz .LBB100_94
; %bb.93:
	s_clause 0x3
	buffer_load_dword v81, v79, s[0:3], 0 offen offset:8
	buffer_load_dword v82, v79, s[0:3], 0 offen offset:12
	buffer_load_dword v83, v79, s[0:3], 0 offen
	buffer_load_dword v84, v79, s[0:3], 0 offen offset:4
	s_waitcnt vmcnt(2) lgkmcnt(0)
	v_mul_f64 v[86:87], v[3:4], v[81:82]
	v_mul_f64 v[81:82], v[1:2], v[81:82]
	s_waitcnt vmcnt(0)
	v_fma_f64 v[1:2], v[1:2], v[83:84], -v[86:87]
	v_fma_f64 v[3:4], v[3:4], v[83:84], v[81:82]
.LBB100_94:
	s_and_saveexec_b32 s45, s4
	s_cbranch_execz .LBB100_98
; %bb.95:
	v_subrev_nc_u32_e32 v81, 25, v0
	s_movk_i32 s46, 0x3e0
	s_mov_b32 s4, 0
	s_mov_b32 s47, s18
	.p2align	6
.LBB100_96:                             ; =>This Inner Loop Header: Depth=1
	v_mov_b32_e32 v84, s47
	v_add_nc_u32_e32 v81, -1, v81
	s_add_i32 s47, s47, 16
	s_clause 0x3
	buffer_load_dword v82, v84, s[0:3], 0 offen offset:8
	buffer_load_dword v83, v84, s[0:3], 0 offen offset:12
	buffer_load_dword v90, v84, s[0:3], 0 offen
	buffer_load_dword v91, v84, s[0:3], 0 offen offset:4
	v_mov_b32_e32 v84, s46
	v_cmp_eq_u32_e32 vcc_lo, 0, v81
	s_add_i32 s46, s46, 16
	ds_read_b128 v[86:89], v84
	s_or_b32 s4, vcc_lo, s4
	s_waitcnt vmcnt(2) lgkmcnt(0)
	v_mul_f64 v[92:93], v[88:89], v[82:83]
	v_mul_f64 v[82:83], v[86:87], v[82:83]
	s_waitcnt vmcnt(0)
	v_fma_f64 v[86:87], v[86:87], v[90:91], -v[92:93]
	v_fma_f64 v[82:83], v[88:89], v[90:91], v[82:83]
	v_add_f64 v[1:2], v[1:2], v[86:87]
	v_add_f64 v[3:4], v[3:4], v[82:83]
	s_andn2_b32 exec_lo, exec_lo, s4
	s_cbranch_execnz .LBB100_96
; %bb.97:
	s_or_b32 exec_lo, exec_lo, s4
.LBB100_98:
	s_or_b32 exec_lo, exec_lo, s45
	v_mov_b32_e32 v81, 0
	ds_read_b128 v[81:84], v81 offset:384
	s_waitcnt lgkmcnt(0)
	v_mul_f64 v[86:87], v[3:4], v[83:84]
	v_mul_f64 v[83:84], v[1:2], v[83:84]
	v_fma_f64 v[1:2], v[1:2], v[81:82], -v[86:87]
	v_fma_f64 v[3:4], v[3:4], v[81:82], v[83:84]
	buffer_store_dword v2, off, s[0:3], 0 offset:388
	buffer_store_dword v1, off, s[0:3], 0 offset:384
	;; [unrolled: 1-line block ×4, first 2 shown]
.LBB100_99:
	s_or_b32 exec_lo, exec_lo, s8
	v_mov_b32_e32 v4, s20
	v_cmp_lt_u32_e64 s4, 23, v0
	s_clause 0x3
	buffer_load_dword v1, v4, s[0:3], 0 offen
	buffer_load_dword v2, v4, s[0:3], 0 offen offset:4
	buffer_load_dword v3, v4, s[0:3], 0 offen offset:8
	;; [unrolled: 1-line block ×3, first 2 shown]
	s_waitcnt vmcnt(0)
	ds_write_b128 v80, v[1:4]
	s_waitcnt lgkmcnt(0)
	s_waitcnt_vscnt null, 0x0
	s_barrier
	buffer_gl0_inv
	s_and_saveexec_b32 s8, s4
	s_cbranch_execz .LBB100_107
; %bb.100:
	ds_read_b128 v[1:4], v80
	s_andn2_b32 vcc_lo, exec_lo, s44
	s_cbranch_vccnz .LBB100_102
; %bb.101:
	s_clause 0x3
	buffer_load_dword v81, v79, s[0:3], 0 offen offset:8
	buffer_load_dword v82, v79, s[0:3], 0 offen offset:12
	buffer_load_dword v83, v79, s[0:3], 0 offen
	buffer_load_dword v84, v79, s[0:3], 0 offen offset:4
	s_waitcnt vmcnt(2) lgkmcnt(0)
	v_mul_f64 v[86:87], v[3:4], v[81:82]
	v_mul_f64 v[81:82], v[1:2], v[81:82]
	s_waitcnt vmcnt(0)
	v_fma_f64 v[1:2], v[1:2], v[83:84], -v[86:87]
	v_fma_f64 v[3:4], v[3:4], v[83:84], v[81:82]
.LBB100_102:
	s_and_saveexec_b32 s45, s5
	s_cbranch_execz .LBB100_106
; %bb.103:
	v_subrev_nc_u32_e32 v81, 24, v0
	s_movk_i32 s46, 0x3d0
	s_mov_b32 s5, 0
	s_mov_b32 s47, s19
	.p2align	6
.LBB100_104:                            ; =>This Inner Loop Header: Depth=1
	v_mov_b32_e32 v84, s47
	v_add_nc_u32_e32 v81, -1, v81
	s_add_i32 s47, s47, 16
	s_clause 0x3
	buffer_load_dword v82, v84, s[0:3], 0 offen offset:8
	buffer_load_dword v83, v84, s[0:3], 0 offen offset:12
	buffer_load_dword v90, v84, s[0:3], 0 offen
	buffer_load_dword v91, v84, s[0:3], 0 offen offset:4
	v_mov_b32_e32 v84, s46
	v_cmp_eq_u32_e32 vcc_lo, 0, v81
	s_add_i32 s46, s46, 16
	ds_read_b128 v[86:89], v84
	s_or_b32 s5, vcc_lo, s5
	s_waitcnt vmcnt(2) lgkmcnt(0)
	v_mul_f64 v[92:93], v[88:89], v[82:83]
	v_mul_f64 v[82:83], v[86:87], v[82:83]
	s_waitcnt vmcnt(0)
	v_fma_f64 v[86:87], v[86:87], v[90:91], -v[92:93]
	v_fma_f64 v[82:83], v[88:89], v[90:91], v[82:83]
	v_add_f64 v[1:2], v[1:2], v[86:87]
	v_add_f64 v[3:4], v[3:4], v[82:83]
	s_andn2_b32 exec_lo, exec_lo, s5
	s_cbranch_execnz .LBB100_104
; %bb.105:
	s_or_b32 exec_lo, exec_lo, s5
.LBB100_106:
	s_or_b32 exec_lo, exec_lo, s45
	v_mov_b32_e32 v81, 0
	ds_read_b128 v[81:84], v81 offset:368
	s_waitcnt lgkmcnt(0)
	v_mul_f64 v[86:87], v[3:4], v[83:84]
	v_mul_f64 v[83:84], v[1:2], v[83:84]
	v_fma_f64 v[1:2], v[1:2], v[81:82], -v[86:87]
	v_fma_f64 v[3:4], v[3:4], v[81:82], v[83:84]
	buffer_store_dword v2, off, s[0:3], 0 offset:372
	buffer_store_dword v1, off, s[0:3], 0 offset:368
	;; [unrolled: 1-line block ×4, first 2 shown]
.LBB100_107:
	s_or_b32 exec_lo, exec_lo, s8
	v_mov_b32_e32 v4, s21
	v_cmp_lt_u32_e64 s5, 22, v0
	s_clause 0x3
	buffer_load_dword v1, v4, s[0:3], 0 offen
	buffer_load_dword v2, v4, s[0:3], 0 offen offset:4
	buffer_load_dword v3, v4, s[0:3], 0 offen offset:8
	buffer_load_dword v4, v4, s[0:3], 0 offen offset:12
	s_waitcnt vmcnt(0)
	ds_write_b128 v80, v[1:4]
	s_waitcnt lgkmcnt(0)
	s_waitcnt_vscnt null, 0x0
	s_barrier
	buffer_gl0_inv
	s_and_saveexec_b32 s8, s5
	s_cbranch_execz .LBB100_115
; %bb.108:
	ds_read_b128 v[1:4], v80
	s_andn2_b32 vcc_lo, exec_lo, s44
	s_cbranch_vccnz .LBB100_110
; %bb.109:
	s_clause 0x3
	buffer_load_dword v81, v79, s[0:3], 0 offen offset:8
	buffer_load_dword v82, v79, s[0:3], 0 offen offset:12
	buffer_load_dword v83, v79, s[0:3], 0 offen
	buffer_load_dword v84, v79, s[0:3], 0 offen offset:4
	s_waitcnt vmcnt(2) lgkmcnt(0)
	v_mul_f64 v[86:87], v[3:4], v[81:82]
	v_mul_f64 v[81:82], v[1:2], v[81:82]
	s_waitcnt vmcnt(0)
	v_fma_f64 v[1:2], v[1:2], v[83:84], -v[86:87]
	v_fma_f64 v[3:4], v[3:4], v[83:84], v[81:82]
.LBB100_110:
	s_and_saveexec_b32 s45, s4
	s_cbranch_execz .LBB100_114
; %bb.111:
	v_subrev_nc_u32_e32 v81, 23, v0
	s_movk_i32 s46, 0x3c0
	s_mov_b32 s4, 0
	s_mov_b32 s47, s20
	.p2align	6
.LBB100_112:                            ; =>This Inner Loop Header: Depth=1
	v_mov_b32_e32 v84, s47
	v_add_nc_u32_e32 v81, -1, v81
	s_add_i32 s47, s47, 16
	s_clause 0x3
	buffer_load_dword v82, v84, s[0:3], 0 offen offset:8
	buffer_load_dword v83, v84, s[0:3], 0 offen offset:12
	buffer_load_dword v90, v84, s[0:3], 0 offen
	buffer_load_dword v91, v84, s[0:3], 0 offen offset:4
	v_mov_b32_e32 v84, s46
	v_cmp_eq_u32_e32 vcc_lo, 0, v81
	s_add_i32 s46, s46, 16
	ds_read_b128 v[86:89], v84
	s_or_b32 s4, vcc_lo, s4
	s_waitcnt vmcnt(2) lgkmcnt(0)
	v_mul_f64 v[92:93], v[88:89], v[82:83]
	v_mul_f64 v[82:83], v[86:87], v[82:83]
	s_waitcnt vmcnt(0)
	v_fma_f64 v[86:87], v[86:87], v[90:91], -v[92:93]
	v_fma_f64 v[82:83], v[88:89], v[90:91], v[82:83]
	v_add_f64 v[1:2], v[1:2], v[86:87]
	v_add_f64 v[3:4], v[3:4], v[82:83]
	s_andn2_b32 exec_lo, exec_lo, s4
	s_cbranch_execnz .LBB100_112
; %bb.113:
	s_or_b32 exec_lo, exec_lo, s4
.LBB100_114:
	s_or_b32 exec_lo, exec_lo, s45
	v_mov_b32_e32 v81, 0
	ds_read_b128 v[81:84], v81 offset:352
	s_waitcnt lgkmcnt(0)
	v_mul_f64 v[86:87], v[3:4], v[83:84]
	v_mul_f64 v[83:84], v[1:2], v[83:84]
	v_fma_f64 v[1:2], v[1:2], v[81:82], -v[86:87]
	v_fma_f64 v[3:4], v[3:4], v[81:82], v[83:84]
	buffer_store_dword v2, off, s[0:3], 0 offset:356
	buffer_store_dword v1, off, s[0:3], 0 offset:352
	;; [unrolled: 1-line block ×4, first 2 shown]
.LBB100_115:
	s_or_b32 exec_lo, exec_lo, s8
	v_mov_b32_e32 v4, s22
	v_cmp_lt_u32_e64 s4, 21, v0
	s_clause 0x3
	buffer_load_dword v1, v4, s[0:3], 0 offen
	buffer_load_dword v2, v4, s[0:3], 0 offen offset:4
	buffer_load_dword v3, v4, s[0:3], 0 offen offset:8
	;; [unrolled: 1-line block ×3, first 2 shown]
	s_waitcnt vmcnt(0)
	ds_write_b128 v80, v[1:4]
	s_waitcnt lgkmcnt(0)
	s_waitcnt_vscnt null, 0x0
	s_barrier
	buffer_gl0_inv
	s_and_saveexec_b32 s8, s4
	s_cbranch_execz .LBB100_123
; %bb.116:
	ds_read_b128 v[1:4], v80
	s_andn2_b32 vcc_lo, exec_lo, s44
	s_cbranch_vccnz .LBB100_118
; %bb.117:
	s_clause 0x3
	buffer_load_dword v81, v79, s[0:3], 0 offen offset:8
	buffer_load_dword v82, v79, s[0:3], 0 offen offset:12
	buffer_load_dword v83, v79, s[0:3], 0 offen
	buffer_load_dword v84, v79, s[0:3], 0 offen offset:4
	s_waitcnt vmcnt(2) lgkmcnt(0)
	v_mul_f64 v[86:87], v[3:4], v[81:82]
	v_mul_f64 v[81:82], v[1:2], v[81:82]
	s_waitcnt vmcnt(0)
	v_fma_f64 v[1:2], v[1:2], v[83:84], -v[86:87]
	v_fma_f64 v[3:4], v[3:4], v[83:84], v[81:82]
.LBB100_118:
	s_and_saveexec_b32 s45, s5
	s_cbranch_execz .LBB100_122
; %bb.119:
	v_subrev_nc_u32_e32 v81, 22, v0
	s_movk_i32 s46, 0x3b0
	s_mov_b32 s5, 0
	s_mov_b32 s47, s21
	.p2align	6
.LBB100_120:                            ; =>This Inner Loop Header: Depth=1
	v_mov_b32_e32 v84, s47
	v_add_nc_u32_e32 v81, -1, v81
	s_add_i32 s47, s47, 16
	s_clause 0x3
	buffer_load_dword v82, v84, s[0:3], 0 offen offset:8
	buffer_load_dword v83, v84, s[0:3], 0 offen offset:12
	buffer_load_dword v90, v84, s[0:3], 0 offen
	buffer_load_dword v91, v84, s[0:3], 0 offen offset:4
	v_mov_b32_e32 v84, s46
	v_cmp_eq_u32_e32 vcc_lo, 0, v81
	s_add_i32 s46, s46, 16
	ds_read_b128 v[86:89], v84
	s_or_b32 s5, vcc_lo, s5
	s_waitcnt vmcnt(2) lgkmcnt(0)
	v_mul_f64 v[92:93], v[88:89], v[82:83]
	v_mul_f64 v[82:83], v[86:87], v[82:83]
	s_waitcnt vmcnt(0)
	v_fma_f64 v[86:87], v[86:87], v[90:91], -v[92:93]
	v_fma_f64 v[82:83], v[88:89], v[90:91], v[82:83]
	v_add_f64 v[1:2], v[1:2], v[86:87]
	v_add_f64 v[3:4], v[3:4], v[82:83]
	s_andn2_b32 exec_lo, exec_lo, s5
	s_cbranch_execnz .LBB100_120
; %bb.121:
	s_or_b32 exec_lo, exec_lo, s5
.LBB100_122:
	s_or_b32 exec_lo, exec_lo, s45
	v_mov_b32_e32 v81, 0
	ds_read_b128 v[81:84], v81 offset:336
	s_waitcnt lgkmcnt(0)
	v_mul_f64 v[86:87], v[3:4], v[83:84]
	v_mul_f64 v[83:84], v[1:2], v[83:84]
	v_fma_f64 v[1:2], v[1:2], v[81:82], -v[86:87]
	v_fma_f64 v[3:4], v[3:4], v[81:82], v[83:84]
	buffer_store_dword v2, off, s[0:3], 0 offset:340
	buffer_store_dword v1, off, s[0:3], 0 offset:336
	;; [unrolled: 1-line block ×4, first 2 shown]
.LBB100_123:
	s_or_b32 exec_lo, exec_lo, s8
	v_mov_b32_e32 v4, s23
	v_cmp_lt_u32_e64 s5, 20, v0
	s_clause 0x3
	buffer_load_dword v1, v4, s[0:3], 0 offen
	buffer_load_dword v2, v4, s[0:3], 0 offen offset:4
	buffer_load_dword v3, v4, s[0:3], 0 offen offset:8
	;; [unrolled: 1-line block ×3, first 2 shown]
	s_waitcnt vmcnt(0)
	ds_write_b128 v80, v[1:4]
	s_waitcnt lgkmcnt(0)
	s_waitcnt_vscnt null, 0x0
	s_barrier
	buffer_gl0_inv
	s_and_saveexec_b32 s8, s5
	s_cbranch_execz .LBB100_131
; %bb.124:
	ds_read_b128 v[1:4], v80
	s_andn2_b32 vcc_lo, exec_lo, s44
	s_cbranch_vccnz .LBB100_126
; %bb.125:
	s_clause 0x3
	buffer_load_dword v81, v79, s[0:3], 0 offen offset:8
	buffer_load_dword v82, v79, s[0:3], 0 offen offset:12
	buffer_load_dword v83, v79, s[0:3], 0 offen
	buffer_load_dword v84, v79, s[0:3], 0 offen offset:4
	s_waitcnt vmcnt(2) lgkmcnt(0)
	v_mul_f64 v[86:87], v[3:4], v[81:82]
	v_mul_f64 v[81:82], v[1:2], v[81:82]
	s_waitcnt vmcnt(0)
	v_fma_f64 v[1:2], v[1:2], v[83:84], -v[86:87]
	v_fma_f64 v[3:4], v[3:4], v[83:84], v[81:82]
.LBB100_126:
	s_and_saveexec_b32 s45, s4
	s_cbranch_execz .LBB100_130
; %bb.127:
	v_subrev_nc_u32_e32 v81, 21, v0
	s_movk_i32 s46, 0x3a0
	s_mov_b32 s4, 0
	s_mov_b32 s47, s22
	.p2align	6
.LBB100_128:                            ; =>This Inner Loop Header: Depth=1
	v_mov_b32_e32 v84, s47
	v_add_nc_u32_e32 v81, -1, v81
	s_add_i32 s47, s47, 16
	s_clause 0x3
	buffer_load_dword v82, v84, s[0:3], 0 offen offset:8
	buffer_load_dword v83, v84, s[0:3], 0 offen offset:12
	buffer_load_dword v90, v84, s[0:3], 0 offen
	buffer_load_dword v91, v84, s[0:3], 0 offen offset:4
	v_mov_b32_e32 v84, s46
	v_cmp_eq_u32_e32 vcc_lo, 0, v81
	s_add_i32 s46, s46, 16
	ds_read_b128 v[86:89], v84
	s_or_b32 s4, vcc_lo, s4
	s_waitcnt vmcnt(2) lgkmcnt(0)
	v_mul_f64 v[92:93], v[88:89], v[82:83]
	v_mul_f64 v[82:83], v[86:87], v[82:83]
	s_waitcnt vmcnt(0)
	v_fma_f64 v[86:87], v[86:87], v[90:91], -v[92:93]
	v_fma_f64 v[82:83], v[88:89], v[90:91], v[82:83]
	v_add_f64 v[1:2], v[1:2], v[86:87]
	v_add_f64 v[3:4], v[3:4], v[82:83]
	s_andn2_b32 exec_lo, exec_lo, s4
	s_cbranch_execnz .LBB100_128
; %bb.129:
	s_or_b32 exec_lo, exec_lo, s4
.LBB100_130:
	s_or_b32 exec_lo, exec_lo, s45
	v_mov_b32_e32 v81, 0
	ds_read_b128 v[81:84], v81 offset:320
	s_waitcnt lgkmcnt(0)
	v_mul_f64 v[86:87], v[3:4], v[83:84]
	v_mul_f64 v[83:84], v[1:2], v[83:84]
	v_fma_f64 v[1:2], v[1:2], v[81:82], -v[86:87]
	v_fma_f64 v[3:4], v[3:4], v[81:82], v[83:84]
	buffer_store_dword v2, off, s[0:3], 0 offset:324
	buffer_store_dword v1, off, s[0:3], 0 offset:320
	;; [unrolled: 1-line block ×4, first 2 shown]
.LBB100_131:
	s_or_b32 exec_lo, exec_lo, s8
	v_mov_b32_e32 v4, s24
	v_cmp_lt_u32_e64 s4, 19, v0
	s_clause 0x3
	buffer_load_dword v1, v4, s[0:3], 0 offen
	buffer_load_dword v2, v4, s[0:3], 0 offen offset:4
	buffer_load_dword v3, v4, s[0:3], 0 offen offset:8
	;; [unrolled: 1-line block ×3, first 2 shown]
	s_waitcnt vmcnt(0)
	ds_write_b128 v80, v[1:4]
	s_waitcnt lgkmcnt(0)
	s_waitcnt_vscnt null, 0x0
	s_barrier
	buffer_gl0_inv
	s_and_saveexec_b32 s8, s4
	s_cbranch_execz .LBB100_139
; %bb.132:
	ds_read_b128 v[1:4], v80
	s_andn2_b32 vcc_lo, exec_lo, s44
	s_cbranch_vccnz .LBB100_134
; %bb.133:
	s_clause 0x3
	buffer_load_dword v81, v79, s[0:3], 0 offen offset:8
	buffer_load_dword v82, v79, s[0:3], 0 offen offset:12
	buffer_load_dword v83, v79, s[0:3], 0 offen
	buffer_load_dword v84, v79, s[0:3], 0 offen offset:4
	s_waitcnt vmcnt(2) lgkmcnt(0)
	v_mul_f64 v[86:87], v[3:4], v[81:82]
	v_mul_f64 v[81:82], v[1:2], v[81:82]
	s_waitcnt vmcnt(0)
	v_fma_f64 v[1:2], v[1:2], v[83:84], -v[86:87]
	v_fma_f64 v[3:4], v[3:4], v[83:84], v[81:82]
.LBB100_134:
	s_and_saveexec_b32 s45, s5
	s_cbranch_execz .LBB100_138
; %bb.135:
	v_subrev_nc_u32_e32 v81, 20, v0
	s_movk_i32 s46, 0x390
	s_mov_b32 s5, 0
	s_mov_b32 s47, s23
	.p2align	6
.LBB100_136:                            ; =>This Inner Loop Header: Depth=1
	v_mov_b32_e32 v84, s47
	v_add_nc_u32_e32 v81, -1, v81
	s_add_i32 s47, s47, 16
	s_clause 0x3
	buffer_load_dword v82, v84, s[0:3], 0 offen offset:8
	buffer_load_dword v83, v84, s[0:3], 0 offen offset:12
	buffer_load_dword v90, v84, s[0:3], 0 offen
	buffer_load_dword v91, v84, s[0:3], 0 offen offset:4
	v_mov_b32_e32 v84, s46
	v_cmp_eq_u32_e32 vcc_lo, 0, v81
	s_add_i32 s46, s46, 16
	ds_read_b128 v[86:89], v84
	s_or_b32 s5, vcc_lo, s5
	s_waitcnt vmcnt(2) lgkmcnt(0)
	v_mul_f64 v[92:93], v[88:89], v[82:83]
	v_mul_f64 v[82:83], v[86:87], v[82:83]
	s_waitcnt vmcnt(0)
	v_fma_f64 v[86:87], v[86:87], v[90:91], -v[92:93]
	v_fma_f64 v[82:83], v[88:89], v[90:91], v[82:83]
	v_add_f64 v[1:2], v[1:2], v[86:87]
	v_add_f64 v[3:4], v[3:4], v[82:83]
	s_andn2_b32 exec_lo, exec_lo, s5
	s_cbranch_execnz .LBB100_136
; %bb.137:
	s_or_b32 exec_lo, exec_lo, s5
.LBB100_138:
	s_or_b32 exec_lo, exec_lo, s45
	v_mov_b32_e32 v81, 0
	ds_read_b128 v[81:84], v81 offset:304
	s_waitcnt lgkmcnt(0)
	v_mul_f64 v[86:87], v[3:4], v[83:84]
	v_mul_f64 v[83:84], v[1:2], v[83:84]
	v_fma_f64 v[1:2], v[1:2], v[81:82], -v[86:87]
	v_fma_f64 v[3:4], v[3:4], v[81:82], v[83:84]
	buffer_store_dword v2, off, s[0:3], 0 offset:308
	buffer_store_dword v1, off, s[0:3], 0 offset:304
	;; [unrolled: 1-line block ×4, first 2 shown]
.LBB100_139:
	s_or_b32 exec_lo, exec_lo, s8
	v_mov_b32_e32 v4, s25
	v_cmp_lt_u32_e64 s5, 18, v0
	s_clause 0x3
	buffer_load_dword v1, v4, s[0:3], 0 offen
	buffer_load_dword v2, v4, s[0:3], 0 offen offset:4
	buffer_load_dword v3, v4, s[0:3], 0 offen offset:8
	;; [unrolled: 1-line block ×3, first 2 shown]
	s_waitcnt vmcnt(0)
	ds_write_b128 v80, v[1:4]
	s_waitcnt lgkmcnt(0)
	s_waitcnt_vscnt null, 0x0
	s_barrier
	buffer_gl0_inv
	s_and_saveexec_b32 s8, s5
	s_cbranch_execz .LBB100_147
; %bb.140:
	ds_read_b128 v[1:4], v80
	s_andn2_b32 vcc_lo, exec_lo, s44
	s_cbranch_vccnz .LBB100_142
; %bb.141:
	s_clause 0x3
	buffer_load_dword v81, v79, s[0:3], 0 offen offset:8
	buffer_load_dword v82, v79, s[0:3], 0 offen offset:12
	buffer_load_dword v83, v79, s[0:3], 0 offen
	buffer_load_dword v84, v79, s[0:3], 0 offen offset:4
	s_waitcnt vmcnt(2) lgkmcnt(0)
	v_mul_f64 v[86:87], v[3:4], v[81:82]
	v_mul_f64 v[81:82], v[1:2], v[81:82]
	s_waitcnt vmcnt(0)
	v_fma_f64 v[1:2], v[1:2], v[83:84], -v[86:87]
	v_fma_f64 v[3:4], v[3:4], v[83:84], v[81:82]
.LBB100_142:
	s_and_saveexec_b32 s45, s4
	s_cbranch_execz .LBB100_146
; %bb.143:
	v_subrev_nc_u32_e32 v81, 19, v0
	s_movk_i32 s46, 0x380
	s_mov_b32 s4, 0
	s_mov_b32 s47, s24
	.p2align	6
.LBB100_144:                            ; =>This Inner Loop Header: Depth=1
	v_mov_b32_e32 v84, s47
	v_add_nc_u32_e32 v81, -1, v81
	s_add_i32 s47, s47, 16
	s_clause 0x3
	buffer_load_dword v82, v84, s[0:3], 0 offen offset:8
	buffer_load_dword v83, v84, s[0:3], 0 offen offset:12
	buffer_load_dword v90, v84, s[0:3], 0 offen
	buffer_load_dword v91, v84, s[0:3], 0 offen offset:4
	v_mov_b32_e32 v84, s46
	v_cmp_eq_u32_e32 vcc_lo, 0, v81
	s_add_i32 s46, s46, 16
	ds_read_b128 v[86:89], v84
	s_or_b32 s4, vcc_lo, s4
	s_waitcnt vmcnt(2) lgkmcnt(0)
	v_mul_f64 v[92:93], v[88:89], v[82:83]
	v_mul_f64 v[82:83], v[86:87], v[82:83]
	s_waitcnt vmcnt(0)
	v_fma_f64 v[86:87], v[86:87], v[90:91], -v[92:93]
	v_fma_f64 v[82:83], v[88:89], v[90:91], v[82:83]
	v_add_f64 v[1:2], v[1:2], v[86:87]
	v_add_f64 v[3:4], v[3:4], v[82:83]
	s_andn2_b32 exec_lo, exec_lo, s4
	s_cbranch_execnz .LBB100_144
; %bb.145:
	s_or_b32 exec_lo, exec_lo, s4
.LBB100_146:
	s_or_b32 exec_lo, exec_lo, s45
	v_mov_b32_e32 v81, 0
	ds_read_b128 v[81:84], v81 offset:288
	s_waitcnt lgkmcnt(0)
	v_mul_f64 v[86:87], v[3:4], v[83:84]
	v_mul_f64 v[83:84], v[1:2], v[83:84]
	v_fma_f64 v[1:2], v[1:2], v[81:82], -v[86:87]
	v_fma_f64 v[3:4], v[3:4], v[81:82], v[83:84]
	buffer_store_dword v2, off, s[0:3], 0 offset:292
	buffer_store_dword v1, off, s[0:3], 0 offset:288
	;; [unrolled: 1-line block ×4, first 2 shown]
.LBB100_147:
	s_or_b32 exec_lo, exec_lo, s8
	v_mov_b32_e32 v4, s26
	v_cmp_lt_u32_e64 s4, 17, v0
	s_clause 0x3
	buffer_load_dword v1, v4, s[0:3], 0 offen
	buffer_load_dword v2, v4, s[0:3], 0 offen offset:4
	buffer_load_dword v3, v4, s[0:3], 0 offen offset:8
	;; [unrolled: 1-line block ×3, first 2 shown]
	s_waitcnt vmcnt(0)
	ds_write_b128 v80, v[1:4]
	s_waitcnt lgkmcnt(0)
	s_waitcnt_vscnt null, 0x0
	s_barrier
	buffer_gl0_inv
	s_and_saveexec_b32 s8, s4
	s_cbranch_execz .LBB100_155
; %bb.148:
	ds_read_b128 v[1:4], v80
	s_andn2_b32 vcc_lo, exec_lo, s44
	s_cbranch_vccnz .LBB100_150
; %bb.149:
	s_clause 0x3
	buffer_load_dword v81, v79, s[0:3], 0 offen offset:8
	buffer_load_dword v82, v79, s[0:3], 0 offen offset:12
	buffer_load_dword v83, v79, s[0:3], 0 offen
	buffer_load_dword v84, v79, s[0:3], 0 offen offset:4
	s_waitcnt vmcnt(2) lgkmcnt(0)
	v_mul_f64 v[86:87], v[3:4], v[81:82]
	v_mul_f64 v[81:82], v[1:2], v[81:82]
	s_waitcnt vmcnt(0)
	v_fma_f64 v[1:2], v[1:2], v[83:84], -v[86:87]
	v_fma_f64 v[3:4], v[3:4], v[83:84], v[81:82]
.LBB100_150:
	s_and_saveexec_b32 s45, s5
	s_cbranch_execz .LBB100_154
; %bb.151:
	v_subrev_nc_u32_e32 v81, 18, v0
	s_movk_i32 s46, 0x370
	s_mov_b32 s5, 0
	s_mov_b32 s47, s25
	.p2align	6
.LBB100_152:                            ; =>This Inner Loop Header: Depth=1
	v_mov_b32_e32 v84, s47
	v_add_nc_u32_e32 v81, -1, v81
	s_add_i32 s47, s47, 16
	s_clause 0x3
	buffer_load_dword v82, v84, s[0:3], 0 offen offset:8
	buffer_load_dword v83, v84, s[0:3], 0 offen offset:12
	buffer_load_dword v90, v84, s[0:3], 0 offen
	buffer_load_dword v91, v84, s[0:3], 0 offen offset:4
	v_mov_b32_e32 v84, s46
	v_cmp_eq_u32_e32 vcc_lo, 0, v81
	s_add_i32 s46, s46, 16
	ds_read_b128 v[86:89], v84
	s_or_b32 s5, vcc_lo, s5
	s_waitcnt vmcnt(2) lgkmcnt(0)
	v_mul_f64 v[92:93], v[88:89], v[82:83]
	v_mul_f64 v[82:83], v[86:87], v[82:83]
	s_waitcnt vmcnt(0)
	v_fma_f64 v[86:87], v[86:87], v[90:91], -v[92:93]
	v_fma_f64 v[82:83], v[88:89], v[90:91], v[82:83]
	v_add_f64 v[1:2], v[1:2], v[86:87]
	v_add_f64 v[3:4], v[3:4], v[82:83]
	s_andn2_b32 exec_lo, exec_lo, s5
	s_cbranch_execnz .LBB100_152
; %bb.153:
	s_or_b32 exec_lo, exec_lo, s5
.LBB100_154:
	s_or_b32 exec_lo, exec_lo, s45
	v_mov_b32_e32 v81, 0
	ds_read_b128 v[81:84], v81 offset:272
	s_waitcnt lgkmcnt(0)
	v_mul_f64 v[86:87], v[3:4], v[83:84]
	v_mul_f64 v[83:84], v[1:2], v[83:84]
	v_fma_f64 v[1:2], v[1:2], v[81:82], -v[86:87]
	v_fma_f64 v[3:4], v[3:4], v[81:82], v[83:84]
	buffer_store_dword v2, off, s[0:3], 0 offset:276
	buffer_store_dword v1, off, s[0:3], 0 offset:272
	;; [unrolled: 1-line block ×4, first 2 shown]
.LBB100_155:
	s_or_b32 exec_lo, exec_lo, s8
	v_mov_b32_e32 v4, s27
	v_cmp_lt_u32_e64 s5, 16, v0
	s_clause 0x3
	buffer_load_dword v1, v4, s[0:3], 0 offen
	buffer_load_dword v2, v4, s[0:3], 0 offen offset:4
	buffer_load_dword v3, v4, s[0:3], 0 offen offset:8
	;; [unrolled: 1-line block ×3, first 2 shown]
	s_waitcnt vmcnt(0)
	ds_write_b128 v80, v[1:4]
	s_waitcnt lgkmcnt(0)
	s_waitcnt_vscnt null, 0x0
	s_barrier
	buffer_gl0_inv
	s_and_saveexec_b32 s8, s5
	s_cbranch_execz .LBB100_163
; %bb.156:
	ds_read_b128 v[1:4], v80
	s_andn2_b32 vcc_lo, exec_lo, s44
	s_cbranch_vccnz .LBB100_158
; %bb.157:
	s_clause 0x3
	buffer_load_dword v81, v79, s[0:3], 0 offen offset:8
	buffer_load_dword v82, v79, s[0:3], 0 offen offset:12
	buffer_load_dword v83, v79, s[0:3], 0 offen
	buffer_load_dword v84, v79, s[0:3], 0 offen offset:4
	s_waitcnt vmcnt(2) lgkmcnt(0)
	v_mul_f64 v[86:87], v[3:4], v[81:82]
	v_mul_f64 v[81:82], v[1:2], v[81:82]
	s_waitcnt vmcnt(0)
	v_fma_f64 v[1:2], v[1:2], v[83:84], -v[86:87]
	v_fma_f64 v[3:4], v[3:4], v[83:84], v[81:82]
.LBB100_158:
	s_and_saveexec_b32 s45, s4
	s_cbranch_execz .LBB100_162
; %bb.159:
	v_subrev_nc_u32_e32 v81, 17, v0
	s_movk_i32 s46, 0x360
	s_mov_b32 s4, 0
	s_mov_b32 s47, s26
	.p2align	6
.LBB100_160:                            ; =>This Inner Loop Header: Depth=1
	v_mov_b32_e32 v84, s47
	v_add_nc_u32_e32 v81, -1, v81
	s_add_i32 s47, s47, 16
	s_clause 0x3
	buffer_load_dword v82, v84, s[0:3], 0 offen offset:8
	buffer_load_dword v83, v84, s[0:3], 0 offen offset:12
	buffer_load_dword v90, v84, s[0:3], 0 offen
	buffer_load_dword v91, v84, s[0:3], 0 offen offset:4
	v_mov_b32_e32 v84, s46
	v_cmp_eq_u32_e32 vcc_lo, 0, v81
	s_add_i32 s46, s46, 16
	ds_read_b128 v[86:89], v84
	s_or_b32 s4, vcc_lo, s4
	s_waitcnt vmcnt(2) lgkmcnt(0)
	v_mul_f64 v[92:93], v[88:89], v[82:83]
	v_mul_f64 v[82:83], v[86:87], v[82:83]
	s_waitcnt vmcnt(0)
	v_fma_f64 v[86:87], v[86:87], v[90:91], -v[92:93]
	v_fma_f64 v[82:83], v[88:89], v[90:91], v[82:83]
	v_add_f64 v[1:2], v[1:2], v[86:87]
	v_add_f64 v[3:4], v[3:4], v[82:83]
	s_andn2_b32 exec_lo, exec_lo, s4
	s_cbranch_execnz .LBB100_160
; %bb.161:
	s_or_b32 exec_lo, exec_lo, s4
.LBB100_162:
	s_or_b32 exec_lo, exec_lo, s45
	v_mov_b32_e32 v81, 0
	ds_read_b128 v[81:84], v81 offset:256
	s_waitcnt lgkmcnt(0)
	v_mul_f64 v[86:87], v[3:4], v[83:84]
	v_mul_f64 v[83:84], v[1:2], v[83:84]
	v_fma_f64 v[1:2], v[1:2], v[81:82], -v[86:87]
	v_fma_f64 v[3:4], v[3:4], v[81:82], v[83:84]
	buffer_store_dword v2, off, s[0:3], 0 offset:260
	buffer_store_dword v1, off, s[0:3], 0 offset:256
	;; [unrolled: 1-line block ×4, first 2 shown]
.LBB100_163:
	s_or_b32 exec_lo, exec_lo, s8
	v_mov_b32_e32 v4, s28
	v_cmp_lt_u32_e64 s4, 15, v0
	s_clause 0x3
	buffer_load_dword v1, v4, s[0:3], 0 offen
	buffer_load_dword v2, v4, s[0:3], 0 offen offset:4
	buffer_load_dword v3, v4, s[0:3], 0 offen offset:8
	;; [unrolled: 1-line block ×3, first 2 shown]
	s_waitcnt vmcnt(0)
	ds_write_b128 v80, v[1:4]
	s_waitcnt lgkmcnt(0)
	s_waitcnt_vscnt null, 0x0
	s_barrier
	buffer_gl0_inv
	s_and_saveexec_b32 s8, s4
	s_cbranch_execz .LBB100_171
; %bb.164:
	ds_read_b128 v[1:4], v80
	s_andn2_b32 vcc_lo, exec_lo, s44
	s_cbranch_vccnz .LBB100_166
; %bb.165:
	s_clause 0x3
	buffer_load_dword v81, v79, s[0:3], 0 offen offset:8
	buffer_load_dword v82, v79, s[0:3], 0 offen offset:12
	buffer_load_dword v83, v79, s[0:3], 0 offen
	buffer_load_dword v84, v79, s[0:3], 0 offen offset:4
	s_waitcnt vmcnt(2) lgkmcnt(0)
	v_mul_f64 v[86:87], v[3:4], v[81:82]
	v_mul_f64 v[81:82], v[1:2], v[81:82]
	s_waitcnt vmcnt(0)
	v_fma_f64 v[1:2], v[1:2], v[83:84], -v[86:87]
	v_fma_f64 v[3:4], v[3:4], v[83:84], v[81:82]
.LBB100_166:
	s_and_saveexec_b32 s45, s5
	s_cbranch_execz .LBB100_170
; %bb.167:
	v_add_nc_u32_e32 v81, -16, v0
	s_movk_i32 s46, 0x350
	s_mov_b32 s5, 0
	s_mov_b32 s47, s27
	.p2align	6
.LBB100_168:                            ; =>This Inner Loop Header: Depth=1
	v_mov_b32_e32 v84, s47
	v_add_nc_u32_e32 v81, -1, v81
	s_add_i32 s47, s47, 16
	s_clause 0x3
	buffer_load_dword v82, v84, s[0:3], 0 offen offset:8
	buffer_load_dword v83, v84, s[0:3], 0 offen offset:12
	buffer_load_dword v90, v84, s[0:3], 0 offen
	buffer_load_dword v91, v84, s[0:3], 0 offen offset:4
	v_mov_b32_e32 v84, s46
	v_cmp_eq_u32_e32 vcc_lo, 0, v81
	s_add_i32 s46, s46, 16
	ds_read_b128 v[86:89], v84
	s_or_b32 s5, vcc_lo, s5
	s_waitcnt vmcnt(2) lgkmcnt(0)
	v_mul_f64 v[92:93], v[88:89], v[82:83]
	v_mul_f64 v[82:83], v[86:87], v[82:83]
	s_waitcnt vmcnt(0)
	v_fma_f64 v[86:87], v[86:87], v[90:91], -v[92:93]
	v_fma_f64 v[82:83], v[88:89], v[90:91], v[82:83]
	v_add_f64 v[1:2], v[1:2], v[86:87]
	v_add_f64 v[3:4], v[3:4], v[82:83]
	s_andn2_b32 exec_lo, exec_lo, s5
	s_cbranch_execnz .LBB100_168
; %bb.169:
	s_or_b32 exec_lo, exec_lo, s5
.LBB100_170:
	s_or_b32 exec_lo, exec_lo, s45
	v_mov_b32_e32 v81, 0
	ds_read_b128 v[81:84], v81 offset:240
	s_waitcnt lgkmcnt(0)
	v_mul_f64 v[86:87], v[3:4], v[83:84]
	v_mul_f64 v[83:84], v[1:2], v[83:84]
	v_fma_f64 v[1:2], v[1:2], v[81:82], -v[86:87]
	v_fma_f64 v[3:4], v[3:4], v[81:82], v[83:84]
	buffer_store_dword v2, off, s[0:3], 0 offset:244
	buffer_store_dword v1, off, s[0:3], 0 offset:240
	;; [unrolled: 1-line block ×4, first 2 shown]
.LBB100_171:
	s_or_b32 exec_lo, exec_lo, s8
	v_mov_b32_e32 v4, s29
	v_cmp_lt_u32_e64 s5, 14, v0
	s_clause 0x3
	buffer_load_dword v1, v4, s[0:3], 0 offen
	buffer_load_dword v2, v4, s[0:3], 0 offen offset:4
	buffer_load_dword v3, v4, s[0:3], 0 offen offset:8
	;; [unrolled: 1-line block ×3, first 2 shown]
	s_waitcnt vmcnt(0)
	ds_write_b128 v80, v[1:4]
	s_waitcnt lgkmcnt(0)
	s_waitcnt_vscnt null, 0x0
	s_barrier
	buffer_gl0_inv
	s_and_saveexec_b32 s8, s5
	s_cbranch_execz .LBB100_179
; %bb.172:
	ds_read_b128 v[1:4], v80
	s_andn2_b32 vcc_lo, exec_lo, s44
	s_cbranch_vccnz .LBB100_174
; %bb.173:
	s_clause 0x3
	buffer_load_dword v81, v79, s[0:3], 0 offen offset:8
	buffer_load_dword v82, v79, s[0:3], 0 offen offset:12
	buffer_load_dword v83, v79, s[0:3], 0 offen
	buffer_load_dword v84, v79, s[0:3], 0 offen offset:4
	s_waitcnt vmcnt(2) lgkmcnt(0)
	v_mul_f64 v[86:87], v[3:4], v[81:82]
	v_mul_f64 v[81:82], v[1:2], v[81:82]
	s_waitcnt vmcnt(0)
	v_fma_f64 v[1:2], v[1:2], v[83:84], -v[86:87]
	v_fma_f64 v[3:4], v[3:4], v[83:84], v[81:82]
.LBB100_174:
	s_and_saveexec_b32 s45, s4
	s_cbranch_execz .LBB100_178
; %bb.175:
	v_add_nc_u32_e32 v81, -15, v0
	s_movk_i32 s46, 0x340
	s_mov_b32 s4, 0
	s_mov_b32 s47, s28
	.p2align	6
.LBB100_176:                            ; =>This Inner Loop Header: Depth=1
	v_mov_b32_e32 v84, s47
	v_add_nc_u32_e32 v81, -1, v81
	s_add_i32 s47, s47, 16
	s_clause 0x3
	buffer_load_dword v82, v84, s[0:3], 0 offen offset:8
	buffer_load_dword v83, v84, s[0:3], 0 offen offset:12
	buffer_load_dword v90, v84, s[0:3], 0 offen
	buffer_load_dword v91, v84, s[0:3], 0 offen offset:4
	v_mov_b32_e32 v84, s46
	v_cmp_eq_u32_e32 vcc_lo, 0, v81
	s_add_i32 s46, s46, 16
	ds_read_b128 v[86:89], v84
	s_or_b32 s4, vcc_lo, s4
	s_waitcnt vmcnt(2) lgkmcnt(0)
	v_mul_f64 v[92:93], v[88:89], v[82:83]
	v_mul_f64 v[82:83], v[86:87], v[82:83]
	s_waitcnt vmcnt(0)
	v_fma_f64 v[86:87], v[86:87], v[90:91], -v[92:93]
	v_fma_f64 v[82:83], v[88:89], v[90:91], v[82:83]
	v_add_f64 v[1:2], v[1:2], v[86:87]
	v_add_f64 v[3:4], v[3:4], v[82:83]
	s_andn2_b32 exec_lo, exec_lo, s4
	s_cbranch_execnz .LBB100_176
; %bb.177:
	s_or_b32 exec_lo, exec_lo, s4
.LBB100_178:
	s_or_b32 exec_lo, exec_lo, s45
	v_mov_b32_e32 v81, 0
	ds_read_b128 v[81:84], v81 offset:224
	s_waitcnt lgkmcnt(0)
	v_mul_f64 v[86:87], v[3:4], v[83:84]
	v_mul_f64 v[83:84], v[1:2], v[83:84]
	v_fma_f64 v[1:2], v[1:2], v[81:82], -v[86:87]
	v_fma_f64 v[3:4], v[3:4], v[81:82], v[83:84]
	buffer_store_dword v2, off, s[0:3], 0 offset:228
	buffer_store_dword v1, off, s[0:3], 0 offset:224
	;; [unrolled: 1-line block ×4, first 2 shown]
.LBB100_179:
	s_or_b32 exec_lo, exec_lo, s8
	v_mov_b32_e32 v4, s30
	v_cmp_lt_u32_e64 s4, 13, v0
	s_clause 0x3
	buffer_load_dword v1, v4, s[0:3], 0 offen
	buffer_load_dword v2, v4, s[0:3], 0 offen offset:4
	buffer_load_dword v3, v4, s[0:3], 0 offen offset:8
	buffer_load_dword v4, v4, s[0:3], 0 offen offset:12
	s_waitcnt vmcnt(0)
	ds_write_b128 v80, v[1:4]
	s_waitcnt lgkmcnt(0)
	s_waitcnt_vscnt null, 0x0
	s_barrier
	buffer_gl0_inv
	s_and_saveexec_b32 s8, s4
	s_cbranch_execz .LBB100_187
; %bb.180:
	ds_read_b128 v[1:4], v80
	s_andn2_b32 vcc_lo, exec_lo, s44
	s_cbranch_vccnz .LBB100_182
; %bb.181:
	s_clause 0x3
	buffer_load_dword v81, v79, s[0:3], 0 offen offset:8
	buffer_load_dword v82, v79, s[0:3], 0 offen offset:12
	buffer_load_dword v83, v79, s[0:3], 0 offen
	buffer_load_dword v84, v79, s[0:3], 0 offen offset:4
	s_waitcnt vmcnt(2) lgkmcnt(0)
	v_mul_f64 v[86:87], v[3:4], v[81:82]
	v_mul_f64 v[81:82], v[1:2], v[81:82]
	s_waitcnt vmcnt(0)
	v_fma_f64 v[1:2], v[1:2], v[83:84], -v[86:87]
	v_fma_f64 v[3:4], v[3:4], v[83:84], v[81:82]
.LBB100_182:
	s_and_saveexec_b32 s45, s5
	s_cbranch_execz .LBB100_186
; %bb.183:
	v_add_nc_u32_e32 v81, -14, v0
	s_movk_i32 s46, 0x330
	s_mov_b32 s5, 0
	s_mov_b32 s47, s29
	.p2align	6
.LBB100_184:                            ; =>This Inner Loop Header: Depth=1
	v_mov_b32_e32 v84, s47
	v_add_nc_u32_e32 v81, -1, v81
	s_add_i32 s47, s47, 16
	s_clause 0x3
	buffer_load_dword v82, v84, s[0:3], 0 offen offset:8
	buffer_load_dword v83, v84, s[0:3], 0 offen offset:12
	buffer_load_dword v90, v84, s[0:3], 0 offen
	buffer_load_dword v91, v84, s[0:3], 0 offen offset:4
	v_mov_b32_e32 v84, s46
	v_cmp_eq_u32_e32 vcc_lo, 0, v81
	s_add_i32 s46, s46, 16
	ds_read_b128 v[86:89], v84
	s_or_b32 s5, vcc_lo, s5
	s_waitcnt vmcnt(2) lgkmcnt(0)
	v_mul_f64 v[92:93], v[88:89], v[82:83]
	v_mul_f64 v[82:83], v[86:87], v[82:83]
	s_waitcnt vmcnt(0)
	v_fma_f64 v[86:87], v[86:87], v[90:91], -v[92:93]
	v_fma_f64 v[82:83], v[88:89], v[90:91], v[82:83]
	v_add_f64 v[1:2], v[1:2], v[86:87]
	v_add_f64 v[3:4], v[3:4], v[82:83]
	s_andn2_b32 exec_lo, exec_lo, s5
	s_cbranch_execnz .LBB100_184
; %bb.185:
	s_or_b32 exec_lo, exec_lo, s5
.LBB100_186:
	s_or_b32 exec_lo, exec_lo, s45
	v_mov_b32_e32 v81, 0
	ds_read_b128 v[81:84], v81 offset:208
	s_waitcnt lgkmcnt(0)
	v_mul_f64 v[86:87], v[3:4], v[83:84]
	v_mul_f64 v[83:84], v[1:2], v[83:84]
	v_fma_f64 v[1:2], v[1:2], v[81:82], -v[86:87]
	v_fma_f64 v[3:4], v[3:4], v[81:82], v[83:84]
	buffer_store_dword v2, off, s[0:3], 0 offset:212
	buffer_store_dword v1, off, s[0:3], 0 offset:208
	;; [unrolled: 1-line block ×4, first 2 shown]
.LBB100_187:
	s_or_b32 exec_lo, exec_lo, s8
	v_mov_b32_e32 v4, s31
	v_cmp_lt_u32_e64 s5, 12, v0
	s_clause 0x3
	buffer_load_dword v1, v4, s[0:3], 0 offen
	buffer_load_dword v2, v4, s[0:3], 0 offen offset:4
	buffer_load_dword v3, v4, s[0:3], 0 offen offset:8
	;; [unrolled: 1-line block ×3, first 2 shown]
	s_waitcnt vmcnt(0)
	ds_write_b128 v80, v[1:4]
	s_waitcnt lgkmcnt(0)
	s_waitcnt_vscnt null, 0x0
	s_barrier
	buffer_gl0_inv
	s_and_saveexec_b32 s8, s5
	s_cbranch_execz .LBB100_195
; %bb.188:
	ds_read_b128 v[1:4], v80
	s_andn2_b32 vcc_lo, exec_lo, s44
	s_cbranch_vccnz .LBB100_190
; %bb.189:
	s_clause 0x3
	buffer_load_dword v81, v79, s[0:3], 0 offen offset:8
	buffer_load_dword v82, v79, s[0:3], 0 offen offset:12
	buffer_load_dword v83, v79, s[0:3], 0 offen
	buffer_load_dword v84, v79, s[0:3], 0 offen offset:4
	s_waitcnt vmcnt(2) lgkmcnt(0)
	v_mul_f64 v[86:87], v[3:4], v[81:82]
	v_mul_f64 v[81:82], v[1:2], v[81:82]
	s_waitcnt vmcnt(0)
	v_fma_f64 v[1:2], v[1:2], v[83:84], -v[86:87]
	v_fma_f64 v[3:4], v[3:4], v[83:84], v[81:82]
.LBB100_190:
	s_and_saveexec_b32 s45, s4
	s_cbranch_execz .LBB100_194
; %bb.191:
	v_add_nc_u32_e32 v81, -13, v0
	s_movk_i32 s46, 0x320
	s_mov_b32 s4, 0
	s_mov_b32 s47, s30
	.p2align	6
.LBB100_192:                            ; =>This Inner Loop Header: Depth=1
	v_mov_b32_e32 v84, s47
	v_add_nc_u32_e32 v81, -1, v81
	s_add_i32 s47, s47, 16
	s_clause 0x3
	buffer_load_dword v82, v84, s[0:3], 0 offen offset:8
	buffer_load_dword v83, v84, s[0:3], 0 offen offset:12
	buffer_load_dword v90, v84, s[0:3], 0 offen
	buffer_load_dword v91, v84, s[0:3], 0 offen offset:4
	v_mov_b32_e32 v84, s46
	v_cmp_eq_u32_e32 vcc_lo, 0, v81
	s_add_i32 s46, s46, 16
	ds_read_b128 v[86:89], v84
	s_or_b32 s4, vcc_lo, s4
	s_waitcnt vmcnt(2) lgkmcnt(0)
	v_mul_f64 v[92:93], v[88:89], v[82:83]
	v_mul_f64 v[82:83], v[86:87], v[82:83]
	s_waitcnt vmcnt(0)
	v_fma_f64 v[86:87], v[86:87], v[90:91], -v[92:93]
	v_fma_f64 v[82:83], v[88:89], v[90:91], v[82:83]
	v_add_f64 v[1:2], v[1:2], v[86:87]
	v_add_f64 v[3:4], v[3:4], v[82:83]
	s_andn2_b32 exec_lo, exec_lo, s4
	s_cbranch_execnz .LBB100_192
; %bb.193:
	s_or_b32 exec_lo, exec_lo, s4
.LBB100_194:
	s_or_b32 exec_lo, exec_lo, s45
	v_mov_b32_e32 v81, 0
	ds_read_b128 v[81:84], v81 offset:192
	s_waitcnt lgkmcnt(0)
	v_mul_f64 v[86:87], v[3:4], v[83:84]
	v_mul_f64 v[83:84], v[1:2], v[83:84]
	v_fma_f64 v[1:2], v[1:2], v[81:82], -v[86:87]
	v_fma_f64 v[3:4], v[3:4], v[81:82], v[83:84]
	buffer_store_dword v2, off, s[0:3], 0 offset:196
	buffer_store_dword v1, off, s[0:3], 0 offset:192
	;; [unrolled: 1-line block ×4, first 2 shown]
.LBB100_195:
	s_or_b32 exec_lo, exec_lo, s8
	v_mov_b32_e32 v4, s33
	v_cmp_lt_u32_e64 s4, 11, v0
	s_clause 0x3
	buffer_load_dword v1, v4, s[0:3], 0 offen
	buffer_load_dword v2, v4, s[0:3], 0 offen offset:4
	buffer_load_dword v3, v4, s[0:3], 0 offen offset:8
	;; [unrolled: 1-line block ×3, first 2 shown]
	s_waitcnt vmcnt(0)
	ds_write_b128 v80, v[1:4]
	s_waitcnt lgkmcnt(0)
	s_waitcnt_vscnt null, 0x0
	s_barrier
	buffer_gl0_inv
	s_and_saveexec_b32 s8, s4
	s_cbranch_execz .LBB100_203
; %bb.196:
	ds_read_b128 v[1:4], v80
	s_andn2_b32 vcc_lo, exec_lo, s44
	s_cbranch_vccnz .LBB100_198
; %bb.197:
	s_clause 0x3
	buffer_load_dword v81, v79, s[0:3], 0 offen offset:8
	buffer_load_dword v82, v79, s[0:3], 0 offen offset:12
	buffer_load_dword v83, v79, s[0:3], 0 offen
	buffer_load_dword v84, v79, s[0:3], 0 offen offset:4
	s_waitcnt vmcnt(2) lgkmcnt(0)
	v_mul_f64 v[86:87], v[3:4], v[81:82]
	v_mul_f64 v[81:82], v[1:2], v[81:82]
	s_waitcnt vmcnt(0)
	v_fma_f64 v[1:2], v[1:2], v[83:84], -v[86:87]
	v_fma_f64 v[3:4], v[3:4], v[83:84], v[81:82]
.LBB100_198:
	s_and_saveexec_b32 s45, s5
	s_cbranch_execz .LBB100_202
; %bb.199:
	v_add_nc_u32_e32 v81, -12, v0
	s_movk_i32 s46, 0x310
	s_mov_b32 s5, 0
	s_mov_b32 s47, s31
	.p2align	6
.LBB100_200:                            ; =>This Inner Loop Header: Depth=1
	v_mov_b32_e32 v84, s47
	v_add_nc_u32_e32 v81, -1, v81
	s_add_i32 s47, s47, 16
	s_clause 0x3
	buffer_load_dword v82, v84, s[0:3], 0 offen offset:8
	buffer_load_dword v83, v84, s[0:3], 0 offen offset:12
	buffer_load_dword v90, v84, s[0:3], 0 offen
	buffer_load_dword v91, v84, s[0:3], 0 offen offset:4
	v_mov_b32_e32 v84, s46
	v_cmp_eq_u32_e32 vcc_lo, 0, v81
	s_add_i32 s46, s46, 16
	ds_read_b128 v[86:89], v84
	s_or_b32 s5, vcc_lo, s5
	s_waitcnt vmcnt(2) lgkmcnt(0)
	v_mul_f64 v[92:93], v[88:89], v[82:83]
	v_mul_f64 v[82:83], v[86:87], v[82:83]
	s_waitcnt vmcnt(0)
	v_fma_f64 v[86:87], v[86:87], v[90:91], -v[92:93]
	v_fma_f64 v[82:83], v[88:89], v[90:91], v[82:83]
	v_add_f64 v[1:2], v[1:2], v[86:87]
	v_add_f64 v[3:4], v[3:4], v[82:83]
	s_andn2_b32 exec_lo, exec_lo, s5
	s_cbranch_execnz .LBB100_200
; %bb.201:
	s_or_b32 exec_lo, exec_lo, s5
.LBB100_202:
	s_or_b32 exec_lo, exec_lo, s45
	v_mov_b32_e32 v81, 0
	ds_read_b128 v[81:84], v81 offset:176
	s_waitcnt lgkmcnt(0)
	v_mul_f64 v[86:87], v[3:4], v[83:84]
	v_mul_f64 v[83:84], v[1:2], v[83:84]
	v_fma_f64 v[1:2], v[1:2], v[81:82], -v[86:87]
	v_fma_f64 v[3:4], v[3:4], v[81:82], v[83:84]
	buffer_store_dword v2, off, s[0:3], 0 offset:180
	buffer_store_dword v1, off, s[0:3], 0 offset:176
	;; [unrolled: 1-line block ×4, first 2 shown]
.LBB100_203:
	s_or_b32 exec_lo, exec_lo, s8
	v_mov_b32_e32 v4, s34
	v_cmp_lt_u32_e64 s5, 10, v0
	s_clause 0x3
	buffer_load_dword v1, v4, s[0:3], 0 offen
	buffer_load_dword v2, v4, s[0:3], 0 offen offset:4
	buffer_load_dword v3, v4, s[0:3], 0 offen offset:8
	;; [unrolled: 1-line block ×3, first 2 shown]
	s_waitcnt vmcnt(0)
	ds_write_b128 v80, v[1:4]
	s_waitcnt lgkmcnt(0)
	s_waitcnt_vscnt null, 0x0
	s_barrier
	buffer_gl0_inv
	s_and_saveexec_b32 s8, s5
	s_cbranch_execz .LBB100_211
; %bb.204:
	ds_read_b128 v[1:4], v80
	s_andn2_b32 vcc_lo, exec_lo, s44
	s_cbranch_vccnz .LBB100_206
; %bb.205:
	s_clause 0x3
	buffer_load_dword v81, v79, s[0:3], 0 offen offset:8
	buffer_load_dword v82, v79, s[0:3], 0 offen offset:12
	buffer_load_dword v83, v79, s[0:3], 0 offen
	buffer_load_dword v84, v79, s[0:3], 0 offen offset:4
	s_waitcnt vmcnt(2) lgkmcnt(0)
	v_mul_f64 v[86:87], v[3:4], v[81:82]
	v_mul_f64 v[81:82], v[1:2], v[81:82]
	s_waitcnt vmcnt(0)
	v_fma_f64 v[1:2], v[1:2], v[83:84], -v[86:87]
	v_fma_f64 v[3:4], v[3:4], v[83:84], v[81:82]
.LBB100_206:
	s_and_saveexec_b32 s45, s4
	s_cbranch_execz .LBB100_210
; %bb.207:
	v_add_nc_u32_e32 v81, -11, v0
	s_movk_i32 s46, 0x300
	s_mov_b32 s4, 0
	s_mov_b32 s47, s33
	.p2align	6
.LBB100_208:                            ; =>This Inner Loop Header: Depth=1
	v_mov_b32_e32 v84, s47
	v_add_nc_u32_e32 v81, -1, v81
	s_add_i32 s47, s47, 16
	s_clause 0x3
	buffer_load_dword v82, v84, s[0:3], 0 offen offset:8
	buffer_load_dword v83, v84, s[0:3], 0 offen offset:12
	buffer_load_dword v90, v84, s[0:3], 0 offen
	buffer_load_dword v91, v84, s[0:3], 0 offen offset:4
	v_mov_b32_e32 v84, s46
	v_cmp_eq_u32_e32 vcc_lo, 0, v81
	s_add_i32 s46, s46, 16
	ds_read_b128 v[86:89], v84
	s_or_b32 s4, vcc_lo, s4
	s_waitcnt vmcnt(2) lgkmcnt(0)
	v_mul_f64 v[92:93], v[88:89], v[82:83]
	v_mul_f64 v[82:83], v[86:87], v[82:83]
	s_waitcnt vmcnt(0)
	v_fma_f64 v[86:87], v[86:87], v[90:91], -v[92:93]
	v_fma_f64 v[82:83], v[88:89], v[90:91], v[82:83]
	v_add_f64 v[1:2], v[1:2], v[86:87]
	v_add_f64 v[3:4], v[3:4], v[82:83]
	s_andn2_b32 exec_lo, exec_lo, s4
	s_cbranch_execnz .LBB100_208
; %bb.209:
	s_or_b32 exec_lo, exec_lo, s4
.LBB100_210:
	s_or_b32 exec_lo, exec_lo, s45
	v_mov_b32_e32 v81, 0
	ds_read_b128 v[81:84], v81 offset:160
	s_waitcnt lgkmcnt(0)
	v_mul_f64 v[86:87], v[3:4], v[83:84]
	v_mul_f64 v[83:84], v[1:2], v[83:84]
	v_fma_f64 v[1:2], v[1:2], v[81:82], -v[86:87]
	v_fma_f64 v[3:4], v[3:4], v[81:82], v[83:84]
	buffer_store_dword v2, off, s[0:3], 0 offset:164
	buffer_store_dword v1, off, s[0:3], 0 offset:160
	;; [unrolled: 1-line block ×4, first 2 shown]
.LBB100_211:
	s_or_b32 exec_lo, exec_lo, s8
	v_mov_b32_e32 v4, s35
	v_cmp_lt_u32_e64 s4, 9, v0
	s_clause 0x3
	buffer_load_dword v1, v4, s[0:3], 0 offen
	buffer_load_dword v2, v4, s[0:3], 0 offen offset:4
	buffer_load_dword v3, v4, s[0:3], 0 offen offset:8
	;; [unrolled: 1-line block ×3, first 2 shown]
	s_waitcnt vmcnt(0)
	ds_write_b128 v80, v[1:4]
	s_waitcnt lgkmcnt(0)
	s_waitcnt_vscnt null, 0x0
	s_barrier
	buffer_gl0_inv
	s_and_saveexec_b32 s8, s4
	s_cbranch_execz .LBB100_219
; %bb.212:
	ds_read_b128 v[1:4], v80
	s_andn2_b32 vcc_lo, exec_lo, s44
	s_cbranch_vccnz .LBB100_214
; %bb.213:
	s_clause 0x3
	buffer_load_dword v81, v79, s[0:3], 0 offen offset:8
	buffer_load_dword v82, v79, s[0:3], 0 offen offset:12
	buffer_load_dword v83, v79, s[0:3], 0 offen
	buffer_load_dword v84, v79, s[0:3], 0 offen offset:4
	s_waitcnt vmcnt(2) lgkmcnt(0)
	v_mul_f64 v[86:87], v[3:4], v[81:82]
	v_mul_f64 v[81:82], v[1:2], v[81:82]
	s_waitcnt vmcnt(0)
	v_fma_f64 v[1:2], v[1:2], v[83:84], -v[86:87]
	v_fma_f64 v[3:4], v[3:4], v[83:84], v[81:82]
.LBB100_214:
	s_and_saveexec_b32 s45, s5
	s_cbranch_execz .LBB100_218
; %bb.215:
	v_add_nc_u32_e32 v81, -10, v0
	s_movk_i32 s46, 0x2f0
	s_mov_b32 s5, 0
	s_mov_b32 s47, s34
	.p2align	6
.LBB100_216:                            ; =>This Inner Loop Header: Depth=1
	v_mov_b32_e32 v84, s47
	v_add_nc_u32_e32 v81, -1, v81
	s_add_i32 s47, s47, 16
	s_clause 0x3
	buffer_load_dword v82, v84, s[0:3], 0 offen offset:8
	buffer_load_dword v83, v84, s[0:3], 0 offen offset:12
	buffer_load_dword v90, v84, s[0:3], 0 offen
	buffer_load_dword v91, v84, s[0:3], 0 offen offset:4
	v_mov_b32_e32 v84, s46
	v_cmp_eq_u32_e32 vcc_lo, 0, v81
	s_add_i32 s46, s46, 16
	ds_read_b128 v[86:89], v84
	s_or_b32 s5, vcc_lo, s5
	s_waitcnt vmcnt(2) lgkmcnt(0)
	v_mul_f64 v[92:93], v[88:89], v[82:83]
	v_mul_f64 v[82:83], v[86:87], v[82:83]
	s_waitcnt vmcnt(0)
	v_fma_f64 v[86:87], v[86:87], v[90:91], -v[92:93]
	v_fma_f64 v[82:83], v[88:89], v[90:91], v[82:83]
	v_add_f64 v[1:2], v[1:2], v[86:87]
	v_add_f64 v[3:4], v[3:4], v[82:83]
	s_andn2_b32 exec_lo, exec_lo, s5
	s_cbranch_execnz .LBB100_216
; %bb.217:
	s_or_b32 exec_lo, exec_lo, s5
.LBB100_218:
	s_or_b32 exec_lo, exec_lo, s45
	v_mov_b32_e32 v81, 0
	ds_read_b128 v[81:84], v81 offset:144
	s_waitcnt lgkmcnt(0)
	v_mul_f64 v[86:87], v[3:4], v[83:84]
	v_mul_f64 v[83:84], v[1:2], v[83:84]
	v_fma_f64 v[1:2], v[1:2], v[81:82], -v[86:87]
	v_fma_f64 v[3:4], v[3:4], v[81:82], v[83:84]
	buffer_store_dword v2, off, s[0:3], 0 offset:148
	buffer_store_dword v1, off, s[0:3], 0 offset:144
	;; [unrolled: 1-line block ×4, first 2 shown]
.LBB100_219:
	s_or_b32 exec_lo, exec_lo, s8
	v_mov_b32_e32 v4, s36
	v_cmp_lt_u32_e64 s5, 8, v0
	s_clause 0x3
	buffer_load_dword v1, v4, s[0:3], 0 offen
	buffer_load_dword v2, v4, s[0:3], 0 offen offset:4
	buffer_load_dword v3, v4, s[0:3], 0 offen offset:8
	;; [unrolled: 1-line block ×3, first 2 shown]
	s_waitcnt vmcnt(0)
	ds_write_b128 v80, v[1:4]
	s_waitcnt lgkmcnt(0)
	s_waitcnt_vscnt null, 0x0
	s_barrier
	buffer_gl0_inv
	s_and_saveexec_b32 s8, s5
	s_cbranch_execz .LBB100_227
; %bb.220:
	ds_read_b128 v[1:4], v80
	s_andn2_b32 vcc_lo, exec_lo, s44
	s_cbranch_vccnz .LBB100_222
; %bb.221:
	s_clause 0x3
	buffer_load_dword v81, v79, s[0:3], 0 offen offset:8
	buffer_load_dword v82, v79, s[0:3], 0 offen offset:12
	buffer_load_dword v83, v79, s[0:3], 0 offen
	buffer_load_dword v84, v79, s[0:3], 0 offen offset:4
	s_waitcnt vmcnt(2) lgkmcnt(0)
	v_mul_f64 v[86:87], v[3:4], v[81:82]
	v_mul_f64 v[81:82], v[1:2], v[81:82]
	s_waitcnt vmcnt(0)
	v_fma_f64 v[1:2], v[1:2], v[83:84], -v[86:87]
	v_fma_f64 v[3:4], v[3:4], v[83:84], v[81:82]
.LBB100_222:
	s_and_saveexec_b32 s45, s4
	s_cbranch_execz .LBB100_226
; %bb.223:
	v_add_nc_u32_e32 v81, -9, v0
	s_movk_i32 s46, 0x2e0
	s_mov_b32 s4, 0
	s_mov_b32 s47, s35
	.p2align	6
.LBB100_224:                            ; =>This Inner Loop Header: Depth=1
	v_mov_b32_e32 v84, s47
	v_add_nc_u32_e32 v81, -1, v81
	s_add_i32 s47, s47, 16
	s_clause 0x3
	buffer_load_dword v82, v84, s[0:3], 0 offen offset:8
	buffer_load_dword v83, v84, s[0:3], 0 offen offset:12
	buffer_load_dword v90, v84, s[0:3], 0 offen
	buffer_load_dword v91, v84, s[0:3], 0 offen offset:4
	v_mov_b32_e32 v84, s46
	v_cmp_eq_u32_e32 vcc_lo, 0, v81
	s_add_i32 s46, s46, 16
	ds_read_b128 v[86:89], v84
	s_or_b32 s4, vcc_lo, s4
	s_waitcnt vmcnt(2) lgkmcnt(0)
	v_mul_f64 v[92:93], v[88:89], v[82:83]
	v_mul_f64 v[82:83], v[86:87], v[82:83]
	s_waitcnt vmcnt(0)
	v_fma_f64 v[86:87], v[86:87], v[90:91], -v[92:93]
	v_fma_f64 v[82:83], v[88:89], v[90:91], v[82:83]
	v_add_f64 v[1:2], v[1:2], v[86:87]
	v_add_f64 v[3:4], v[3:4], v[82:83]
	s_andn2_b32 exec_lo, exec_lo, s4
	s_cbranch_execnz .LBB100_224
; %bb.225:
	s_or_b32 exec_lo, exec_lo, s4
.LBB100_226:
	s_or_b32 exec_lo, exec_lo, s45
	v_mov_b32_e32 v81, 0
	ds_read_b128 v[81:84], v81 offset:128
	s_waitcnt lgkmcnt(0)
	v_mul_f64 v[86:87], v[3:4], v[83:84]
	v_mul_f64 v[83:84], v[1:2], v[83:84]
	v_fma_f64 v[1:2], v[1:2], v[81:82], -v[86:87]
	v_fma_f64 v[3:4], v[3:4], v[81:82], v[83:84]
	buffer_store_dword v2, off, s[0:3], 0 offset:132
	buffer_store_dword v1, off, s[0:3], 0 offset:128
	buffer_store_dword v4, off, s[0:3], 0 offset:140
	buffer_store_dword v3, off, s[0:3], 0 offset:136
.LBB100_227:
	s_or_b32 exec_lo, exec_lo, s8
	v_mov_b32_e32 v4, s37
	v_cmp_lt_u32_e64 s4, 7, v0
	s_clause 0x3
	buffer_load_dword v1, v4, s[0:3], 0 offen
	buffer_load_dword v2, v4, s[0:3], 0 offen offset:4
	buffer_load_dword v3, v4, s[0:3], 0 offen offset:8
	;; [unrolled: 1-line block ×3, first 2 shown]
	s_waitcnt vmcnt(0)
	ds_write_b128 v80, v[1:4]
	s_waitcnt lgkmcnt(0)
	s_waitcnt_vscnt null, 0x0
	s_barrier
	buffer_gl0_inv
	s_and_saveexec_b32 s8, s4
	s_cbranch_execz .LBB100_235
; %bb.228:
	ds_read_b128 v[1:4], v80
	s_andn2_b32 vcc_lo, exec_lo, s44
	s_cbranch_vccnz .LBB100_230
; %bb.229:
	s_clause 0x3
	buffer_load_dword v81, v79, s[0:3], 0 offen offset:8
	buffer_load_dword v82, v79, s[0:3], 0 offen offset:12
	buffer_load_dword v83, v79, s[0:3], 0 offen
	buffer_load_dword v84, v79, s[0:3], 0 offen offset:4
	s_waitcnt vmcnt(2) lgkmcnt(0)
	v_mul_f64 v[86:87], v[3:4], v[81:82]
	v_mul_f64 v[81:82], v[1:2], v[81:82]
	s_waitcnt vmcnt(0)
	v_fma_f64 v[1:2], v[1:2], v[83:84], -v[86:87]
	v_fma_f64 v[3:4], v[3:4], v[83:84], v[81:82]
.LBB100_230:
	s_and_saveexec_b32 s45, s5
	s_cbranch_execz .LBB100_234
; %bb.231:
	v_add_nc_u32_e32 v81, -8, v0
	s_movk_i32 s46, 0x2d0
	s_mov_b32 s5, 0
	s_mov_b32 s47, s36
	.p2align	6
.LBB100_232:                            ; =>This Inner Loop Header: Depth=1
	v_mov_b32_e32 v84, s47
	v_add_nc_u32_e32 v81, -1, v81
	s_add_i32 s47, s47, 16
	s_clause 0x3
	buffer_load_dword v82, v84, s[0:3], 0 offen offset:8
	buffer_load_dword v83, v84, s[0:3], 0 offen offset:12
	buffer_load_dword v90, v84, s[0:3], 0 offen
	buffer_load_dword v91, v84, s[0:3], 0 offen offset:4
	v_mov_b32_e32 v84, s46
	v_cmp_eq_u32_e32 vcc_lo, 0, v81
	s_add_i32 s46, s46, 16
	ds_read_b128 v[86:89], v84
	s_or_b32 s5, vcc_lo, s5
	s_waitcnt vmcnt(2) lgkmcnt(0)
	v_mul_f64 v[92:93], v[88:89], v[82:83]
	v_mul_f64 v[82:83], v[86:87], v[82:83]
	s_waitcnt vmcnt(0)
	v_fma_f64 v[86:87], v[86:87], v[90:91], -v[92:93]
	v_fma_f64 v[82:83], v[88:89], v[90:91], v[82:83]
	v_add_f64 v[1:2], v[1:2], v[86:87]
	v_add_f64 v[3:4], v[3:4], v[82:83]
	s_andn2_b32 exec_lo, exec_lo, s5
	s_cbranch_execnz .LBB100_232
; %bb.233:
	s_or_b32 exec_lo, exec_lo, s5
.LBB100_234:
	s_or_b32 exec_lo, exec_lo, s45
	v_mov_b32_e32 v81, 0
	ds_read_b128 v[81:84], v81 offset:112
	s_waitcnt lgkmcnt(0)
	v_mul_f64 v[86:87], v[3:4], v[83:84]
	v_mul_f64 v[83:84], v[1:2], v[83:84]
	v_fma_f64 v[1:2], v[1:2], v[81:82], -v[86:87]
	v_fma_f64 v[3:4], v[3:4], v[81:82], v[83:84]
	buffer_store_dword v2, off, s[0:3], 0 offset:116
	buffer_store_dword v1, off, s[0:3], 0 offset:112
	;; [unrolled: 1-line block ×4, first 2 shown]
.LBB100_235:
	s_or_b32 exec_lo, exec_lo, s8
	v_mov_b32_e32 v4, s38
	v_cmp_lt_u32_e64 s5, 6, v0
	s_clause 0x3
	buffer_load_dword v1, v4, s[0:3], 0 offen
	buffer_load_dword v2, v4, s[0:3], 0 offen offset:4
	buffer_load_dword v3, v4, s[0:3], 0 offen offset:8
	;; [unrolled: 1-line block ×3, first 2 shown]
	s_waitcnt vmcnt(0)
	ds_write_b128 v80, v[1:4]
	s_waitcnt lgkmcnt(0)
	s_waitcnt_vscnt null, 0x0
	s_barrier
	buffer_gl0_inv
	s_and_saveexec_b32 s8, s5
	s_cbranch_execz .LBB100_243
; %bb.236:
	ds_read_b128 v[1:4], v80
	s_andn2_b32 vcc_lo, exec_lo, s44
	s_cbranch_vccnz .LBB100_238
; %bb.237:
	s_clause 0x3
	buffer_load_dword v81, v79, s[0:3], 0 offen offset:8
	buffer_load_dword v82, v79, s[0:3], 0 offen offset:12
	buffer_load_dword v83, v79, s[0:3], 0 offen
	buffer_load_dword v84, v79, s[0:3], 0 offen offset:4
	s_waitcnt vmcnt(2) lgkmcnt(0)
	v_mul_f64 v[86:87], v[3:4], v[81:82]
	v_mul_f64 v[81:82], v[1:2], v[81:82]
	s_waitcnt vmcnt(0)
	v_fma_f64 v[1:2], v[1:2], v[83:84], -v[86:87]
	v_fma_f64 v[3:4], v[3:4], v[83:84], v[81:82]
.LBB100_238:
	s_and_saveexec_b32 s45, s4
	s_cbranch_execz .LBB100_242
; %bb.239:
	v_add_nc_u32_e32 v81, -7, v0
	s_movk_i32 s46, 0x2c0
	s_mov_b32 s4, 0
	s_mov_b32 s47, s37
	.p2align	6
.LBB100_240:                            ; =>This Inner Loop Header: Depth=1
	v_mov_b32_e32 v84, s47
	v_add_nc_u32_e32 v81, -1, v81
	s_add_i32 s47, s47, 16
	s_clause 0x3
	buffer_load_dword v82, v84, s[0:3], 0 offen offset:8
	buffer_load_dword v83, v84, s[0:3], 0 offen offset:12
	buffer_load_dword v90, v84, s[0:3], 0 offen
	buffer_load_dword v91, v84, s[0:3], 0 offen offset:4
	v_mov_b32_e32 v84, s46
	v_cmp_eq_u32_e32 vcc_lo, 0, v81
	s_add_i32 s46, s46, 16
	ds_read_b128 v[86:89], v84
	s_or_b32 s4, vcc_lo, s4
	s_waitcnt vmcnt(2) lgkmcnt(0)
	v_mul_f64 v[92:93], v[88:89], v[82:83]
	v_mul_f64 v[82:83], v[86:87], v[82:83]
	s_waitcnt vmcnt(0)
	v_fma_f64 v[86:87], v[86:87], v[90:91], -v[92:93]
	v_fma_f64 v[82:83], v[88:89], v[90:91], v[82:83]
	v_add_f64 v[1:2], v[1:2], v[86:87]
	v_add_f64 v[3:4], v[3:4], v[82:83]
	s_andn2_b32 exec_lo, exec_lo, s4
	s_cbranch_execnz .LBB100_240
; %bb.241:
	s_or_b32 exec_lo, exec_lo, s4
.LBB100_242:
	s_or_b32 exec_lo, exec_lo, s45
	v_mov_b32_e32 v81, 0
	ds_read_b128 v[81:84], v81 offset:96
	s_waitcnt lgkmcnt(0)
	v_mul_f64 v[86:87], v[3:4], v[83:84]
	v_mul_f64 v[83:84], v[1:2], v[83:84]
	v_fma_f64 v[1:2], v[1:2], v[81:82], -v[86:87]
	v_fma_f64 v[3:4], v[3:4], v[81:82], v[83:84]
	buffer_store_dword v2, off, s[0:3], 0 offset:100
	buffer_store_dword v1, off, s[0:3], 0 offset:96
	;; [unrolled: 1-line block ×4, first 2 shown]
.LBB100_243:
	s_or_b32 exec_lo, exec_lo, s8
	v_mov_b32_e32 v4, s39
	v_cmp_lt_u32_e64 s4, 5, v0
	s_clause 0x3
	buffer_load_dword v1, v4, s[0:3], 0 offen
	buffer_load_dword v2, v4, s[0:3], 0 offen offset:4
	buffer_load_dword v3, v4, s[0:3], 0 offen offset:8
	;; [unrolled: 1-line block ×3, first 2 shown]
	s_waitcnt vmcnt(0)
	ds_write_b128 v80, v[1:4]
	s_waitcnt lgkmcnt(0)
	s_waitcnt_vscnt null, 0x0
	s_barrier
	buffer_gl0_inv
	s_and_saveexec_b32 s8, s4
	s_cbranch_execz .LBB100_251
; %bb.244:
	ds_read_b128 v[1:4], v80
	s_andn2_b32 vcc_lo, exec_lo, s44
	s_cbranch_vccnz .LBB100_246
; %bb.245:
	s_clause 0x3
	buffer_load_dword v81, v79, s[0:3], 0 offen offset:8
	buffer_load_dword v82, v79, s[0:3], 0 offen offset:12
	buffer_load_dword v83, v79, s[0:3], 0 offen
	buffer_load_dword v84, v79, s[0:3], 0 offen offset:4
	s_waitcnt vmcnt(2) lgkmcnt(0)
	v_mul_f64 v[86:87], v[3:4], v[81:82]
	v_mul_f64 v[81:82], v[1:2], v[81:82]
	s_waitcnt vmcnt(0)
	v_fma_f64 v[1:2], v[1:2], v[83:84], -v[86:87]
	v_fma_f64 v[3:4], v[3:4], v[83:84], v[81:82]
.LBB100_246:
	s_and_saveexec_b32 s45, s5
	s_cbranch_execz .LBB100_250
; %bb.247:
	v_add_nc_u32_e32 v81, -6, v0
	s_movk_i32 s46, 0x2b0
	s_mov_b32 s5, 0
	s_mov_b32 s47, s38
	.p2align	6
.LBB100_248:                            ; =>This Inner Loop Header: Depth=1
	v_mov_b32_e32 v84, s47
	v_add_nc_u32_e32 v81, -1, v81
	s_add_i32 s47, s47, 16
	s_clause 0x3
	buffer_load_dword v82, v84, s[0:3], 0 offen offset:8
	buffer_load_dword v83, v84, s[0:3], 0 offen offset:12
	buffer_load_dword v90, v84, s[0:3], 0 offen
	buffer_load_dword v91, v84, s[0:3], 0 offen offset:4
	v_mov_b32_e32 v84, s46
	v_cmp_eq_u32_e32 vcc_lo, 0, v81
	s_add_i32 s46, s46, 16
	ds_read_b128 v[86:89], v84
	s_or_b32 s5, vcc_lo, s5
	s_waitcnt vmcnt(2) lgkmcnt(0)
	v_mul_f64 v[92:93], v[88:89], v[82:83]
	v_mul_f64 v[82:83], v[86:87], v[82:83]
	s_waitcnt vmcnt(0)
	v_fma_f64 v[86:87], v[86:87], v[90:91], -v[92:93]
	v_fma_f64 v[82:83], v[88:89], v[90:91], v[82:83]
	v_add_f64 v[1:2], v[1:2], v[86:87]
	v_add_f64 v[3:4], v[3:4], v[82:83]
	s_andn2_b32 exec_lo, exec_lo, s5
	s_cbranch_execnz .LBB100_248
; %bb.249:
	s_or_b32 exec_lo, exec_lo, s5
.LBB100_250:
	s_or_b32 exec_lo, exec_lo, s45
	v_mov_b32_e32 v81, 0
	ds_read_b128 v[81:84], v81 offset:80
	s_waitcnt lgkmcnt(0)
	v_mul_f64 v[86:87], v[3:4], v[83:84]
	v_mul_f64 v[83:84], v[1:2], v[83:84]
	v_fma_f64 v[1:2], v[1:2], v[81:82], -v[86:87]
	v_fma_f64 v[3:4], v[3:4], v[81:82], v[83:84]
	buffer_store_dword v2, off, s[0:3], 0 offset:84
	buffer_store_dword v1, off, s[0:3], 0 offset:80
	;; [unrolled: 1-line block ×4, first 2 shown]
.LBB100_251:
	s_or_b32 exec_lo, exec_lo, s8
	v_mov_b32_e32 v4, s40
	v_cmp_lt_u32_e64 s5, 4, v0
	s_clause 0x3
	buffer_load_dword v1, v4, s[0:3], 0 offen
	buffer_load_dword v2, v4, s[0:3], 0 offen offset:4
	buffer_load_dword v3, v4, s[0:3], 0 offen offset:8
	;; [unrolled: 1-line block ×3, first 2 shown]
	s_waitcnt vmcnt(0)
	ds_write_b128 v80, v[1:4]
	s_waitcnt lgkmcnt(0)
	s_waitcnt_vscnt null, 0x0
	s_barrier
	buffer_gl0_inv
	s_and_saveexec_b32 s8, s5
	s_cbranch_execz .LBB100_259
; %bb.252:
	ds_read_b128 v[1:4], v80
	s_andn2_b32 vcc_lo, exec_lo, s44
	s_cbranch_vccnz .LBB100_254
; %bb.253:
	s_clause 0x3
	buffer_load_dword v81, v79, s[0:3], 0 offen offset:8
	buffer_load_dword v82, v79, s[0:3], 0 offen offset:12
	buffer_load_dword v83, v79, s[0:3], 0 offen
	buffer_load_dword v84, v79, s[0:3], 0 offen offset:4
	s_waitcnt vmcnt(2) lgkmcnt(0)
	v_mul_f64 v[86:87], v[3:4], v[81:82]
	v_mul_f64 v[81:82], v[1:2], v[81:82]
	s_waitcnt vmcnt(0)
	v_fma_f64 v[1:2], v[1:2], v[83:84], -v[86:87]
	v_fma_f64 v[3:4], v[3:4], v[83:84], v[81:82]
.LBB100_254:
	s_and_saveexec_b32 s45, s4
	s_cbranch_execz .LBB100_258
; %bb.255:
	v_add_nc_u32_e32 v81, -5, v0
	s_movk_i32 s46, 0x2a0
	s_mov_b32 s4, 0
	s_mov_b32 s47, s39
	.p2align	6
.LBB100_256:                            ; =>This Inner Loop Header: Depth=1
	v_mov_b32_e32 v84, s47
	v_add_nc_u32_e32 v81, -1, v81
	s_add_i32 s47, s47, 16
	s_clause 0x3
	buffer_load_dword v82, v84, s[0:3], 0 offen offset:8
	buffer_load_dword v83, v84, s[0:3], 0 offen offset:12
	buffer_load_dword v90, v84, s[0:3], 0 offen
	buffer_load_dword v91, v84, s[0:3], 0 offen offset:4
	v_mov_b32_e32 v84, s46
	v_cmp_eq_u32_e32 vcc_lo, 0, v81
	s_add_i32 s46, s46, 16
	ds_read_b128 v[86:89], v84
	s_or_b32 s4, vcc_lo, s4
	s_waitcnt vmcnt(2) lgkmcnt(0)
	v_mul_f64 v[92:93], v[88:89], v[82:83]
	v_mul_f64 v[82:83], v[86:87], v[82:83]
	s_waitcnt vmcnt(0)
	v_fma_f64 v[86:87], v[86:87], v[90:91], -v[92:93]
	v_fma_f64 v[82:83], v[88:89], v[90:91], v[82:83]
	v_add_f64 v[1:2], v[1:2], v[86:87]
	v_add_f64 v[3:4], v[3:4], v[82:83]
	s_andn2_b32 exec_lo, exec_lo, s4
	s_cbranch_execnz .LBB100_256
; %bb.257:
	s_or_b32 exec_lo, exec_lo, s4
.LBB100_258:
	s_or_b32 exec_lo, exec_lo, s45
	v_mov_b32_e32 v81, 0
	ds_read_b128 v[81:84], v81 offset:64
	s_waitcnt lgkmcnt(0)
	v_mul_f64 v[86:87], v[3:4], v[83:84]
	v_mul_f64 v[83:84], v[1:2], v[83:84]
	v_fma_f64 v[1:2], v[1:2], v[81:82], -v[86:87]
	v_fma_f64 v[3:4], v[3:4], v[81:82], v[83:84]
	buffer_store_dword v2, off, s[0:3], 0 offset:68
	buffer_store_dword v1, off, s[0:3], 0 offset:64
	;; [unrolled: 1-line block ×4, first 2 shown]
.LBB100_259:
	s_or_b32 exec_lo, exec_lo, s8
	v_mov_b32_e32 v4, s41
	v_cmp_lt_u32_e64 s4, 3, v0
	s_clause 0x3
	buffer_load_dword v1, v4, s[0:3], 0 offen
	buffer_load_dword v2, v4, s[0:3], 0 offen offset:4
	buffer_load_dword v3, v4, s[0:3], 0 offen offset:8
	;; [unrolled: 1-line block ×3, first 2 shown]
	s_waitcnt vmcnt(0)
	ds_write_b128 v80, v[1:4]
	s_waitcnt lgkmcnt(0)
	s_waitcnt_vscnt null, 0x0
	s_barrier
	buffer_gl0_inv
	s_and_saveexec_b32 s8, s4
	s_cbranch_execz .LBB100_267
; %bb.260:
	ds_read_b128 v[1:4], v80
	s_andn2_b32 vcc_lo, exec_lo, s44
	s_cbranch_vccnz .LBB100_262
; %bb.261:
	s_clause 0x3
	buffer_load_dword v81, v79, s[0:3], 0 offen offset:8
	buffer_load_dword v82, v79, s[0:3], 0 offen offset:12
	buffer_load_dword v83, v79, s[0:3], 0 offen
	buffer_load_dword v84, v79, s[0:3], 0 offen offset:4
	s_waitcnt vmcnt(2) lgkmcnt(0)
	v_mul_f64 v[86:87], v[3:4], v[81:82]
	v_mul_f64 v[81:82], v[1:2], v[81:82]
	s_waitcnt vmcnt(0)
	v_fma_f64 v[1:2], v[1:2], v[83:84], -v[86:87]
	v_fma_f64 v[3:4], v[3:4], v[83:84], v[81:82]
.LBB100_262:
	s_and_saveexec_b32 s45, s5
	s_cbranch_execz .LBB100_266
; %bb.263:
	v_add_nc_u32_e32 v81, -4, v0
	s_movk_i32 s46, 0x290
	s_mov_b32 s5, 0
	s_mov_b32 s47, s40
	.p2align	6
.LBB100_264:                            ; =>This Inner Loop Header: Depth=1
	v_mov_b32_e32 v84, s47
	v_add_nc_u32_e32 v81, -1, v81
	s_add_i32 s47, s47, 16
	s_clause 0x3
	buffer_load_dword v82, v84, s[0:3], 0 offen offset:8
	buffer_load_dword v83, v84, s[0:3], 0 offen offset:12
	buffer_load_dword v90, v84, s[0:3], 0 offen
	buffer_load_dword v91, v84, s[0:3], 0 offen offset:4
	v_mov_b32_e32 v84, s46
	v_cmp_eq_u32_e32 vcc_lo, 0, v81
	s_add_i32 s46, s46, 16
	ds_read_b128 v[86:89], v84
	s_or_b32 s5, vcc_lo, s5
	s_waitcnt vmcnt(2) lgkmcnt(0)
	v_mul_f64 v[92:93], v[88:89], v[82:83]
	v_mul_f64 v[82:83], v[86:87], v[82:83]
	s_waitcnt vmcnt(0)
	v_fma_f64 v[86:87], v[86:87], v[90:91], -v[92:93]
	v_fma_f64 v[82:83], v[88:89], v[90:91], v[82:83]
	v_add_f64 v[1:2], v[1:2], v[86:87]
	v_add_f64 v[3:4], v[3:4], v[82:83]
	s_andn2_b32 exec_lo, exec_lo, s5
	s_cbranch_execnz .LBB100_264
; %bb.265:
	s_or_b32 exec_lo, exec_lo, s5
.LBB100_266:
	s_or_b32 exec_lo, exec_lo, s45
	v_mov_b32_e32 v81, 0
	ds_read_b128 v[81:84], v81 offset:48
	s_waitcnt lgkmcnt(0)
	v_mul_f64 v[86:87], v[3:4], v[83:84]
	v_mul_f64 v[83:84], v[1:2], v[83:84]
	v_fma_f64 v[1:2], v[1:2], v[81:82], -v[86:87]
	v_fma_f64 v[3:4], v[3:4], v[81:82], v[83:84]
	buffer_store_dword v2, off, s[0:3], 0 offset:52
	buffer_store_dword v1, off, s[0:3], 0 offset:48
	;; [unrolled: 1-line block ×4, first 2 shown]
.LBB100_267:
	s_or_b32 exec_lo, exec_lo, s8
	v_mov_b32_e32 v4, s42
	v_cmp_lt_u32_e64 s5, 2, v0
	s_clause 0x3
	buffer_load_dword v1, v4, s[0:3], 0 offen
	buffer_load_dword v2, v4, s[0:3], 0 offen offset:4
	buffer_load_dword v3, v4, s[0:3], 0 offen offset:8
	;; [unrolled: 1-line block ×3, first 2 shown]
	s_waitcnt vmcnt(0)
	ds_write_b128 v80, v[1:4]
	s_waitcnt lgkmcnt(0)
	s_waitcnt_vscnt null, 0x0
	s_barrier
	buffer_gl0_inv
	s_and_saveexec_b32 s8, s5
	s_cbranch_execz .LBB100_275
; %bb.268:
	ds_read_b128 v[1:4], v80
	s_andn2_b32 vcc_lo, exec_lo, s44
	s_cbranch_vccnz .LBB100_270
; %bb.269:
	s_clause 0x3
	buffer_load_dword v81, v79, s[0:3], 0 offen offset:8
	buffer_load_dword v82, v79, s[0:3], 0 offen offset:12
	buffer_load_dword v83, v79, s[0:3], 0 offen
	buffer_load_dword v84, v79, s[0:3], 0 offen offset:4
	s_waitcnt vmcnt(2) lgkmcnt(0)
	v_mul_f64 v[86:87], v[3:4], v[81:82]
	v_mul_f64 v[81:82], v[1:2], v[81:82]
	s_waitcnt vmcnt(0)
	v_fma_f64 v[1:2], v[1:2], v[83:84], -v[86:87]
	v_fma_f64 v[3:4], v[3:4], v[83:84], v[81:82]
.LBB100_270:
	s_and_saveexec_b32 s45, s4
	s_cbranch_execz .LBB100_274
; %bb.271:
	v_add_nc_u32_e32 v81, -3, v0
	s_movk_i32 s46, 0x280
	s_mov_b32 s4, 0
	s_mov_b32 s47, s41
	.p2align	6
.LBB100_272:                            ; =>This Inner Loop Header: Depth=1
	v_mov_b32_e32 v84, s47
	v_add_nc_u32_e32 v81, -1, v81
	s_add_i32 s47, s47, 16
	s_clause 0x3
	buffer_load_dword v82, v84, s[0:3], 0 offen offset:8
	buffer_load_dword v83, v84, s[0:3], 0 offen offset:12
	buffer_load_dword v90, v84, s[0:3], 0 offen
	buffer_load_dword v91, v84, s[0:3], 0 offen offset:4
	v_mov_b32_e32 v84, s46
	v_cmp_eq_u32_e32 vcc_lo, 0, v81
	s_add_i32 s46, s46, 16
	ds_read_b128 v[86:89], v84
	s_or_b32 s4, vcc_lo, s4
	s_waitcnt vmcnt(2) lgkmcnt(0)
	v_mul_f64 v[92:93], v[88:89], v[82:83]
	v_mul_f64 v[82:83], v[86:87], v[82:83]
	s_waitcnt vmcnt(0)
	v_fma_f64 v[86:87], v[86:87], v[90:91], -v[92:93]
	v_fma_f64 v[82:83], v[88:89], v[90:91], v[82:83]
	v_add_f64 v[1:2], v[1:2], v[86:87]
	v_add_f64 v[3:4], v[3:4], v[82:83]
	s_andn2_b32 exec_lo, exec_lo, s4
	s_cbranch_execnz .LBB100_272
; %bb.273:
	s_or_b32 exec_lo, exec_lo, s4
.LBB100_274:
	s_or_b32 exec_lo, exec_lo, s45
	v_mov_b32_e32 v81, 0
	ds_read_b128 v[81:84], v81 offset:32
	s_waitcnt lgkmcnt(0)
	v_mul_f64 v[86:87], v[3:4], v[83:84]
	v_mul_f64 v[83:84], v[1:2], v[83:84]
	v_fma_f64 v[1:2], v[1:2], v[81:82], -v[86:87]
	v_fma_f64 v[3:4], v[3:4], v[81:82], v[83:84]
	buffer_store_dword v2, off, s[0:3], 0 offset:36
	buffer_store_dword v1, off, s[0:3], 0 offset:32
	;; [unrolled: 1-line block ×4, first 2 shown]
.LBB100_275:
	s_or_b32 exec_lo, exec_lo, s8
	v_mov_b32_e32 v4, s43
	v_cmp_lt_u32_e64 s4, 1, v0
	s_clause 0x3
	buffer_load_dword v1, v4, s[0:3], 0 offen
	buffer_load_dword v2, v4, s[0:3], 0 offen offset:4
	buffer_load_dword v3, v4, s[0:3], 0 offen offset:8
	;; [unrolled: 1-line block ×3, first 2 shown]
	s_waitcnt vmcnt(0)
	ds_write_b128 v80, v[1:4]
	s_waitcnt lgkmcnt(0)
	s_waitcnt_vscnt null, 0x0
	s_barrier
	buffer_gl0_inv
	s_and_saveexec_b32 s8, s4
	s_cbranch_execz .LBB100_283
; %bb.276:
	ds_read_b128 v[1:4], v80
	s_andn2_b32 vcc_lo, exec_lo, s44
	s_cbranch_vccnz .LBB100_278
; %bb.277:
	s_clause 0x3
	buffer_load_dword v81, v79, s[0:3], 0 offen offset:8
	buffer_load_dword v82, v79, s[0:3], 0 offen offset:12
	buffer_load_dword v83, v79, s[0:3], 0 offen
	buffer_load_dword v84, v79, s[0:3], 0 offen offset:4
	s_waitcnt vmcnt(2) lgkmcnt(0)
	v_mul_f64 v[86:87], v[3:4], v[81:82]
	v_mul_f64 v[81:82], v[1:2], v[81:82]
	s_waitcnt vmcnt(0)
	v_fma_f64 v[1:2], v[1:2], v[83:84], -v[86:87]
	v_fma_f64 v[3:4], v[3:4], v[83:84], v[81:82]
.LBB100_278:
	s_and_saveexec_b32 s45, s5
	s_cbranch_execz .LBB100_282
; %bb.279:
	v_add_nc_u32_e32 v81, -2, v0
	s_movk_i32 s46, 0x270
	s_mov_b32 s5, 0
	s_mov_b32 s47, s42
	.p2align	6
.LBB100_280:                            ; =>This Inner Loop Header: Depth=1
	v_mov_b32_e32 v84, s47
	v_add_nc_u32_e32 v81, -1, v81
	s_add_i32 s47, s47, 16
	s_clause 0x3
	buffer_load_dword v82, v84, s[0:3], 0 offen offset:8
	buffer_load_dword v83, v84, s[0:3], 0 offen offset:12
	buffer_load_dword v90, v84, s[0:3], 0 offen
	buffer_load_dword v91, v84, s[0:3], 0 offen offset:4
	v_mov_b32_e32 v84, s46
	v_cmp_eq_u32_e32 vcc_lo, 0, v81
	s_add_i32 s46, s46, 16
	ds_read_b128 v[86:89], v84
	s_or_b32 s5, vcc_lo, s5
	s_waitcnt vmcnt(2) lgkmcnt(0)
	v_mul_f64 v[92:93], v[88:89], v[82:83]
	v_mul_f64 v[82:83], v[86:87], v[82:83]
	s_waitcnt vmcnt(0)
	v_fma_f64 v[86:87], v[86:87], v[90:91], -v[92:93]
	v_fma_f64 v[82:83], v[88:89], v[90:91], v[82:83]
	v_add_f64 v[1:2], v[1:2], v[86:87]
	v_add_f64 v[3:4], v[3:4], v[82:83]
	s_andn2_b32 exec_lo, exec_lo, s5
	s_cbranch_execnz .LBB100_280
; %bb.281:
	s_or_b32 exec_lo, exec_lo, s5
.LBB100_282:
	s_or_b32 exec_lo, exec_lo, s45
	v_mov_b32_e32 v81, 0
	ds_read_b128 v[81:84], v81 offset:16
	s_waitcnt lgkmcnt(0)
	v_mul_f64 v[86:87], v[3:4], v[83:84]
	v_mul_f64 v[83:84], v[1:2], v[83:84]
	v_fma_f64 v[1:2], v[1:2], v[81:82], -v[86:87]
	v_fma_f64 v[3:4], v[3:4], v[81:82], v[83:84]
	buffer_store_dword v2, off, s[0:3], 0 offset:20
	buffer_store_dword v1, off, s[0:3], 0 offset:16
	;; [unrolled: 1-line block ×4, first 2 shown]
.LBB100_283:
	s_or_b32 exec_lo, exec_lo, s8
	s_clause 0x3
	buffer_load_dword v1, off, s[0:3], 0
	buffer_load_dword v2, off, s[0:3], 0 offset:4
	buffer_load_dword v3, off, s[0:3], 0 offset:8
	;; [unrolled: 1-line block ×3, first 2 shown]
	s_mov_b32 s8, 0
	s_mov_b32 s5, 0
	s_mov_b32 s45, exec_lo
                                        ; implicit-def: $sgpr46
	s_waitcnt vmcnt(0)
	ds_write_b128 v80, v[1:4]
	s_waitcnt lgkmcnt(0)
	s_waitcnt_vscnt null, 0x0
	s_barrier
	buffer_gl0_inv
                                        ; implicit-def: $vgpr1_vgpr2
	v_cmpx_ne_u32_e32 0, v0
	s_cbranch_execz .LBB100_291
; %bb.284:
	ds_read_b128 v[1:4], v80
	s_andn2_b32 vcc_lo, exec_lo, s44
	s_cbranch_vccnz .LBB100_286
; %bb.285:
	s_clause 0x3
	buffer_load_dword v81, v79, s[0:3], 0 offen offset:8
	buffer_load_dword v82, v79, s[0:3], 0 offen offset:12
	buffer_load_dword v83, v79, s[0:3], 0 offen
	buffer_load_dword v84, v79, s[0:3], 0 offen offset:4
	s_waitcnt vmcnt(2) lgkmcnt(0)
	v_mul_f64 v[86:87], v[3:4], v[81:82]
	v_mul_f64 v[81:82], v[1:2], v[81:82]
	s_waitcnt vmcnt(0)
	v_fma_f64 v[1:2], v[1:2], v[83:84], -v[86:87]
	v_fma_f64 v[3:4], v[3:4], v[83:84], v[81:82]
.LBB100_286:
	s_and_saveexec_b32 s5, s4
	s_cbranch_execz .LBB100_290
; %bb.287:
	v_add_nc_u32_e32 v81, -1, v0
	s_movk_i32 s46, 0x260
	s_mov_b32 s4, 0
	s_mov_b32 s47, s43
	.p2align	6
.LBB100_288:                            ; =>This Inner Loop Header: Depth=1
	v_mov_b32_e32 v84, s47
	v_add_nc_u32_e32 v81, -1, v81
	s_add_i32 s47, s47, 16
	s_clause 0x3
	buffer_load_dword v82, v84, s[0:3], 0 offen offset:8
	buffer_load_dword v83, v84, s[0:3], 0 offen offset:12
	buffer_load_dword v90, v84, s[0:3], 0 offen
	buffer_load_dword v91, v84, s[0:3], 0 offen offset:4
	v_mov_b32_e32 v84, s46
	v_cmp_eq_u32_e32 vcc_lo, 0, v81
	s_add_i32 s46, s46, 16
	ds_read_b128 v[86:89], v84
	s_or_b32 s4, vcc_lo, s4
	s_waitcnt vmcnt(2) lgkmcnt(0)
	v_mul_f64 v[92:93], v[88:89], v[82:83]
	v_mul_f64 v[82:83], v[86:87], v[82:83]
	s_waitcnt vmcnt(0)
	v_fma_f64 v[86:87], v[86:87], v[90:91], -v[92:93]
	v_fma_f64 v[82:83], v[88:89], v[90:91], v[82:83]
	v_add_f64 v[1:2], v[1:2], v[86:87]
	v_add_f64 v[3:4], v[3:4], v[82:83]
	s_andn2_b32 exec_lo, exec_lo, s4
	s_cbranch_execnz .LBB100_288
; %bb.289:
	s_or_b32 exec_lo, exec_lo, s4
.LBB100_290:
	s_or_b32 exec_lo, exec_lo, s5
	v_mov_b32_e32 v81, 0
	s_mov_b32 s5, exec_lo
	s_or_b32 s46, 0, 8
	ds_read_b128 v[81:84], v81
	s_waitcnt lgkmcnt(0)
	v_mul_f64 v[86:87], v[3:4], v[83:84]
	v_mul_f64 v[83:84], v[1:2], v[83:84]
	v_fma_f64 v[86:87], v[1:2], v[81:82], -v[86:87]
	v_fma_f64 v[1:2], v[3:4], v[81:82], v[83:84]
	buffer_store_dword v87, off, s[0:3], 0 offset:4
	buffer_store_dword v86, off, s[0:3], 0
.LBB100_291:
	s_or_b32 exec_lo, exec_lo, s45
	s_and_b32 vcc_lo, exec_lo, s8
	s_cbranch_vccnz .LBB100_293
	s_branch .LBB100_576
.LBB100_292:
	s_mov_b32 s5, 0
                                        ; implicit-def: $vgpr1_vgpr2
                                        ; implicit-def: $sgpr46
	s_cbranch_execz .LBB100_576
.LBB100_293:
	v_mov_b32_e32 v4, s43
	v_cmp_eq_u32_e64 s4, 0, v0
	v_cndmask_b32_e64 v81, 0, 1, s44
	s_clause 0x3
	buffer_load_dword v1, v4, s[0:3], 0 offen
	buffer_load_dword v2, v4, s[0:3], 0 offen offset:4
	buffer_load_dword v3, v4, s[0:3], 0 offen offset:8
	;; [unrolled: 1-line block ×3, first 2 shown]
	s_waitcnt vmcnt(0)
	ds_write_b128 v80, v[1:4]
	s_waitcnt lgkmcnt(0)
	s_waitcnt_vscnt null, 0x0
	s_barrier
	buffer_gl0_inv
	s_and_saveexec_b32 s8, s4
	s_cbranch_execz .LBB100_297
; %bb.294:
	ds_read_b128 v[1:4], v80
	s_andn2_b32 vcc_lo, exec_lo, s44
	s_cbranch_vccnz .LBB100_296
; %bb.295:
	s_clause 0x3
	buffer_load_dword v82, v79, s[0:3], 0 offen offset:8
	buffer_load_dword v83, v79, s[0:3], 0 offen offset:12
	buffer_load_dword v86, v79, s[0:3], 0 offen
	buffer_load_dword v87, v79, s[0:3], 0 offen offset:4
	s_waitcnt vmcnt(2) lgkmcnt(0)
	v_mul_f64 v[88:89], v[3:4], v[82:83]
	v_mul_f64 v[82:83], v[1:2], v[82:83]
	s_waitcnt vmcnt(0)
	v_fma_f64 v[1:2], v[1:2], v[86:87], -v[88:89]
	v_fma_f64 v[3:4], v[3:4], v[86:87], v[82:83]
.LBB100_296:
	v_mov_b32_e32 v82, 0
	ds_read_b128 v[86:89], v82 offset:16
	s_waitcnt lgkmcnt(0)
	v_mul_f64 v[82:83], v[3:4], v[88:89]
	v_mul_f64 v[88:89], v[1:2], v[88:89]
	v_fma_f64 v[1:2], v[1:2], v[86:87], -v[82:83]
	v_fma_f64 v[3:4], v[3:4], v[86:87], v[88:89]
	buffer_store_dword v2, off, s[0:3], 0 offset:20
	buffer_store_dword v1, off, s[0:3], 0 offset:16
	;; [unrolled: 1-line block ×4, first 2 shown]
.LBB100_297:
	s_or_b32 exec_lo, exec_lo, s8
	v_mov_b32_e32 v4, s42
	s_mov_b32 s8, exec_lo
	s_clause 0x3
	buffer_load_dword v1, v4, s[0:3], 0 offen
	buffer_load_dword v2, v4, s[0:3], 0 offen offset:4
	buffer_load_dword v3, v4, s[0:3], 0 offen offset:8
	;; [unrolled: 1-line block ×3, first 2 shown]
	s_waitcnt vmcnt(0)
	ds_write_b128 v80, v[1:4]
	s_waitcnt lgkmcnt(0)
	s_waitcnt_vscnt null, 0x0
	s_barrier
	buffer_gl0_inv
	v_cmpx_gt_u32_e32 2, v0
	s_cbranch_execz .LBB100_303
; %bb.298:
	ds_read_b128 v[1:4], v80
	v_cmp_ne_u32_e32 vcc_lo, 1, v81
	s_cbranch_vccnz .LBB100_300
; %bb.299:
	s_clause 0x3
	buffer_load_dword v82, v79, s[0:3], 0 offen offset:8
	buffer_load_dword v83, v79, s[0:3], 0 offen offset:12
	buffer_load_dword v86, v79, s[0:3], 0 offen
	buffer_load_dword v87, v79, s[0:3], 0 offen offset:4
	s_waitcnt vmcnt(2) lgkmcnt(0)
	v_mul_f64 v[88:89], v[3:4], v[82:83]
	v_mul_f64 v[82:83], v[1:2], v[82:83]
	s_waitcnt vmcnt(0)
	v_fma_f64 v[1:2], v[1:2], v[86:87], -v[88:89]
	v_fma_f64 v[3:4], v[3:4], v[86:87], v[82:83]
.LBB100_300:
	s_and_saveexec_b32 s44, s4
	s_cbranch_execz .LBB100_302
; %bb.301:
	s_clause 0x3
	buffer_load_dword v82, off, s[0:3], 0 offset:24
	buffer_load_dword v83, off, s[0:3], 0 offset:28
	;; [unrolled: 1-line block ×4, first 2 shown]
	v_mov_b32_e32 v84, 0
	ds_read_b128 v[86:89], v84 offset:608
	s_waitcnt vmcnt(2) lgkmcnt(0)
	v_mul_f64 v[92:93], v[88:89], v[82:83]
	v_mul_f64 v[82:83], v[86:87], v[82:83]
	s_waitcnt vmcnt(0)
	v_fma_f64 v[86:87], v[86:87], v[90:91], -v[92:93]
	v_fma_f64 v[82:83], v[88:89], v[90:91], v[82:83]
	v_add_f64 v[1:2], v[1:2], v[86:87]
	v_add_f64 v[3:4], v[3:4], v[82:83]
.LBB100_302:
	s_or_b32 exec_lo, exec_lo, s44
	v_mov_b32_e32 v82, 0
	ds_read_b128 v[86:89], v82 offset:32
	s_waitcnt lgkmcnt(0)
	v_mul_f64 v[82:83], v[3:4], v[88:89]
	v_mul_f64 v[88:89], v[1:2], v[88:89]
	v_fma_f64 v[1:2], v[1:2], v[86:87], -v[82:83]
	v_fma_f64 v[3:4], v[3:4], v[86:87], v[88:89]
	buffer_store_dword v2, off, s[0:3], 0 offset:36
	buffer_store_dword v1, off, s[0:3], 0 offset:32
	;; [unrolled: 1-line block ×4, first 2 shown]
.LBB100_303:
	s_or_b32 exec_lo, exec_lo, s8
	v_mov_b32_e32 v4, s41
	s_mov_b32 s8, exec_lo
	s_clause 0x3
	buffer_load_dword v1, v4, s[0:3], 0 offen
	buffer_load_dword v2, v4, s[0:3], 0 offen offset:4
	buffer_load_dword v3, v4, s[0:3], 0 offen offset:8
	;; [unrolled: 1-line block ×3, first 2 shown]
	s_waitcnt vmcnt(0)
	ds_write_b128 v80, v[1:4]
	s_waitcnt lgkmcnt(0)
	s_waitcnt_vscnt null, 0x0
	s_barrier
	buffer_gl0_inv
	v_cmpx_gt_u32_e32 3, v0
	s_cbranch_execz .LBB100_311
; %bb.304:
	ds_read_b128 v[1:4], v80
	v_cmp_ne_u32_e32 vcc_lo, 1, v81
	s_cbranch_vccnz .LBB100_306
; %bb.305:
	s_clause 0x3
	buffer_load_dword v82, v79, s[0:3], 0 offen offset:8
	buffer_load_dword v83, v79, s[0:3], 0 offen offset:12
	buffer_load_dword v86, v79, s[0:3], 0 offen
	buffer_load_dword v87, v79, s[0:3], 0 offen offset:4
	s_waitcnt vmcnt(2) lgkmcnt(0)
	v_mul_f64 v[88:89], v[3:4], v[82:83]
	v_mul_f64 v[82:83], v[1:2], v[82:83]
	s_waitcnt vmcnt(0)
	v_fma_f64 v[1:2], v[1:2], v[86:87], -v[88:89]
	v_fma_f64 v[3:4], v[3:4], v[86:87], v[82:83]
.LBB100_306:
	s_mov_b32 s44, exec_lo
	v_cmpx_ne_u32_e32 2, v0
	s_cbranch_execz .LBB100_310
; %bb.307:
	s_clause 0x3
	buffer_load_dword v82, v79, s[0:3], 0 offen offset:24
	buffer_load_dword v83, v79, s[0:3], 0 offen offset:28
	;; [unrolled: 1-line block ×4, first 2 shown]
	ds_read_b128 v[86:89], v80 offset:16
	s_waitcnt vmcnt(2) lgkmcnt(0)
	v_mul_f64 v[92:93], v[88:89], v[82:83]
	v_mul_f64 v[82:83], v[86:87], v[82:83]
	s_waitcnt vmcnt(0)
	v_fma_f64 v[86:87], v[86:87], v[90:91], -v[92:93]
	v_fma_f64 v[82:83], v[88:89], v[90:91], v[82:83]
	v_add_f64 v[1:2], v[1:2], v[86:87]
	v_add_f64 v[3:4], v[3:4], v[82:83]
	s_and_saveexec_b32 s45, s4
	s_cbranch_execz .LBB100_309
; %bb.308:
	s_clause 0x3
	buffer_load_dword v82, off, s[0:3], 0 offset:40
	buffer_load_dword v83, off, s[0:3], 0 offset:44
	;; [unrolled: 1-line block ×4, first 2 shown]
	v_mov_b32_e32 v84, 0
	ds_read_b128 v[86:89], v84 offset:624
	s_waitcnt vmcnt(2) lgkmcnt(0)
	v_mul_f64 v[92:93], v[86:87], v[82:83]
	v_mul_f64 v[82:83], v[88:89], v[82:83]
	s_waitcnt vmcnt(0)
	v_fma_f64 v[88:89], v[88:89], v[90:91], v[92:93]
	v_fma_f64 v[82:83], v[86:87], v[90:91], -v[82:83]
	v_add_f64 v[3:4], v[3:4], v[88:89]
	v_add_f64 v[1:2], v[1:2], v[82:83]
.LBB100_309:
	s_or_b32 exec_lo, exec_lo, s45
.LBB100_310:
	s_or_b32 exec_lo, exec_lo, s44
	v_mov_b32_e32 v82, 0
	ds_read_b128 v[86:89], v82 offset:48
	s_waitcnt lgkmcnt(0)
	v_mul_f64 v[82:83], v[3:4], v[88:89]
	v_mul_f64 v[88:89], v[1:2], v[88:89]
	v_fma_f64 v[1:2], v[1:2], v[86:87], -v[82:83]
	v_fma_f64 v[3:4], v[3:4], v[86:87], v[88:89]
	buffer_store_dword v2, off, s[0:3], 0 offset:52
	buffer_store_dword v1, off, s[0:3], 0 offset:48
	;; [unrolled: 1-line block ×4, first 2 shown]
.LBB100_311:
	s_or_b32 exec_lo, exec_lo, s8
	v_mov_b32_e32 v4, s40
	s_mov_b32 s4, exec_lo
	s_clause 0x3
	buffer_load_dword v1, v4, s[0:3], 0 offen
	buffer_load_dword v2, v4, s[0:3], 0 offen offset:4
	buffer_load_dword v3, v4, s[0:3], 0 offen offset:8
	;; [unrolled: 1-line block ×3, first 2 shown]
	s_waitcnt vmcnt(0)
	ds_write_b128 v80, v[1:4]
	s_waitcnt lgkmcnt(0)
	s_waitcnt_vscnt null, 0x0
	s_barrier
	buffer_gl0_inv
	v_cmpx_gt_u32_e32 4, v0
	s_cbranch_execz .LBB100_319
; %bb.312:
	ds_read_b128 v[1:4], v80
	v_cmp_ne_u32_e32 vcc_lo, 1, v81
	s_cbranch_vccnz .LBB100_314
; %bb.313:
	s_clause 0x3
	buffer_load_dword v82, v79, s[0:3], 0 offen offset:8
	buffer_load_dword v83, v79, s[0:3], 0 offen offset:12
	buffer_load_dword v86, v79, s[0:3], 0 offen
	buffer_load_dword v87, v79, s[0:3], 0 offen offset:4
	s_waitcnt vmcnt(2) lgkmcnt(0)
	v_mul_f64 v[88:89], v[3:4], v[82:83]
	v_mul_f64 v[82:83], v[1:2], v[82:83]
	s_waitcnt vmcnt(0)
	v_fma_f64 v[1:2], v[1:2], v[86:87], -v[88:89]
	v_fma_f64 v[3:4], v[3:4], v[86:87], v[82:83]
.LBB100_314:
	s_mov_b32 s8, exec_lo
	v_cmpx_ne_u32_e32 3, v0
	s_cbranch_execz .LBB100_318
; %bb.315:
	v_add_nc_u32_e32 v82, 0x260, v85
	v_add3_u32 v83, 0, v85, 16
	v_mov_b32_e32 v84, v0
	s_mov_b32 s44, 0
	.p2align	6
.LBB100_316:                            ; =>This Inner Loop Header: Depth=1
	s_clause 0x3
	buffer_load_dword v90, v83, s[0:3], 0 offen offset:8
	buffer_load_dword v91, v83, s[0:3], 0 offen offset:12
	buffer_load_dword v92, v83, s[0:3], 0 offen
	buffer_load_dword v93, v83, s[0:3], 0 offen offset:4
	ds_read_b128 v[86:89], v82
	v_add_nc_u32_e32 v84, 1, v84
	v_add_nc_u32_e32 v82, 16, v82
	;; [unrolled: 1-line block ×3, first 2 shown]
	v_cmp_lt_u32_e32 vcc_lo, 2, v84
	s_or_b32 s44, vcc_lo, s44
	s_waitcnt vmcnt(2) lgkmcnt(0)
	v_mul_f64 v[94:95], v[88:89], v[90:91]
	v_mul_f64 v[90:91], v[86:87], v[90:91]
	s_waitcnt vmcnt(0)
	v_fma_f64 v[86:87], v[86:87], v[92:93], -v[94:95]
	v_fma_f64 v[88:89], v[88:89], v[92:93], v[90:91]
	v_add_f64 v[1:2], v[1:2], v[86:87]
	v_add_f64 v[3:4], v[3:4], v[88:89]
	s_andn2_b32 exec_lo, exec_lo, s44
	s_cbranch_execnz .LBB100_316
; %bb.317:
	s_or_b32 exec_lo, exec_lo, s44
.LBB100_318:
	s_or_b32 exec_lo, exec_lo, s8
	v_mov_b32_e32 v82, 0
	ds_read_b128 v[86:89], v82 offset:64
	s_waitcnt lgkmcnt(0)
	v_mul_f64 v[82:83], v[3:4], v[88:89]
	v_mul_f64 v[88:89], v[1:2], v[88:89]
	v_fma_f64 v[1:2], v[1:2], v[86:87], -v[82:83]
	v_fma_f64 v[3:4], v[3:4], v[86:87], v[88:89]
	buffer_store_dword v2, off, s[0:3], 0 offset:68
	buffer_store_dword v1, off, s[0:3], 0 offset:64
	;; [unrolled: 1-line block ×4, first 2 shown]
.LBB100_319:
	s_or_b32 exec_lo, exec_lo, s4
	v_mov_b32_e32 v4, s39
	s_mov_b32 s4, exec_lo
	s_clause 0x3
	buffer_load_dword v1, v4, s[0:3], 0 offen
	buffer_load_dword v2, v4, s[0:3], 0 offen offset:4
	buffer_load_dword v3, v4, s[0:3], 0 offen offset:8
	;; [unrolled: 1-line block ×3, first 2 shown]
	s_waitcnt vmcnt(0)
	ds_write_b128 v80, v[1:4]
	s_waitcnt lgkmcnt(0)
	s_waitcnt_vscnt null, 0x0
	s_barrier
	buffer_gl0_inv
	v_cmpx_gt_u32_e32 5, v0
	s_cbranch_execz .LBB100_327
; %bb.320:
	ds_read_b128 v[1:4], v80
	v_cmp_ne_u32_e32 vcc_lo, 1, v81
	s_cbranch_vccnz .LBB100_322
; %bb.321:
	s_clause 0x3
	buffer_load_dword v82, v79, s[0:3], 0 offen offset:8
	buffer_load_dword v83, v79, s[0:3], 0 offen offset:12
	buffer_load_dword v86, v79, s[0:3], 0 offen
	buffer_load_dword v87, v79, s[0:3], 0 offen offset:4
	s_waitcnt vmcnt(2) lgkmcnt(0)
	v_mul_f64 v[88:89], v[3:4], v[82:83]
	v_mul_f64 v[82:83], v[1:2], v[82:83]
	s_waitcnt vmcnt(0)
	v_fma_f64 v[1:2], v[1:2], v[86:87], -v[88:89]
	v_fma_f64 v[3:4], v[3:4], v[86:87], v[82:83]
.LBB100_322:
	s_mov_b32 s8, exec_lo
	v_cmpx_ne_u32_e32 4, v0
	s_cbranch_execz .LBB100_326
; %bb.323:
	v_add_nc_u32_e32 v82, 0x260, v85
	v_add3_u32 v83, 0, v85, 16
	v_mov_b32_e32 v84, v0
	s_mov_b32 s44, 0
	.p2align	6
.LBB100_324:                            ; =>This Inner Loop Header: Depth=1
	s_clause 0x3
	buffer_load_dword v90, v83, s[0:3], 0 offen offset:8
	buffer_load_dword v91, v83, s[0:3], 0 offen offset:12
	buffer_load_dword v92, v83, s[0:3], 0 offen
	buffer_load_dword v93, v83, s[0:3], 0 offen offset:4
	ds_read_b128 v[86:89], v82
	v_add_nc_u32_e32 v84, 1, v84
	v_add_nc_u32_e32 v82, 16, v82
	;; [unrolled: 1-line block ×3, first 2 shown]
	v_cmp_lt_u32_e32 vcc_lo, 3, v84
	s_or_b32 s44, vcc_lo, s44
	s_waitcnt vmcnt(2) lgkmcnt(0)
	v_mul_f64 v[94:95], v[88:89], v[90:91]
	v_mul_f64 v[90:91], v[86:87], v[90:91]
	s_waitcnt vmcnt(0)
	v_fma_f64 v[86:87], v[86:87], v[92:93], -v[94:95]
	v_fma_f64 v[88:89], v[88:89], v[92:93], v[90:91]
	v_add_f64 v[1:2], v[1:2], v[86:87]
	v_add_f64 v[3:4], v[3:4], v[88:89]
	s_andn2_b32 exec_lo, exec_lo, s44
	s_cbranch_execnz .LBB100_324
; %bb.325:
	s_or_b32 exec_lo, exec_lo, s44
.LBB100_326:
	s_or_b32 exec_lo, exec_lo, s8
	v_mov_b32_e32 v82, 0
	ds_read_b128 v[86:89], v82 offset:80
	s_waitcnt lgkmcnt(0)
	v_mul_f64 v[82:83], v[3:4], v[88:89]
	v_mul_f64 v[88:89], v[1:2], v[88:89]
	v_fma_f64 v[1:2], v[1:2], v[86:87], -v[82:83]
	v_fma_f64 v[3:4], v[3:4], v[86:87], v[88:89]
	buffer_store_dword v2, off, s[0:3], 0 offset:84
	buffer_store_dword v1, off, s[0:3], 0 offset:80
	;; [unrolled: 1-line block ×4, first 2 shown]
.LBB100_327:
	s_or_b32 exec_lo, exec_lo, s4
	v_mov_b32_e32 v4, s38
	s_mov_b32 s4, exec_lo
	s_clause 0x3
	buffer_load_dword v1, v4, s[0:3], 0 offen
	buffer_load_dword v2, v4, s[0:3], 0 offen offset:4
	buffer_load_dword v3, v4, s[0:3], 0 offen offset:8
	;; [unrolled: 1-line block ×3, first 2 shown]
	s_waitcnt vmcnt(0)
	ds_write_b128 v80, v[1:4]
	s_waitcnt lgkmcnt(0)
	s_waitcnt_vscnt null, 0x0
	s_barrier
	buffer_gl0_inv
	v_cmpx_gt_u32_e32 6, v0
	s_cbranch_execz .LBB100_335
; %bb.328:
	ds_read_b128 v[1:4], v80
	v_cmp_ne_u32_e32 vcc_lo, 1, v81
	s_cbranch_vccnz .LBB100_330
; %bb.329:
	s_clause 0x3
	buffer_load_dword v82, v79, s[0:3], 0 offen offset:8
	buffer_load_dword v83, v79, s[0:3], 0 offen offset:12
	buffer_load_dword v86, v79, s[0:3], 0 offen
	buffer_load_dword v87, v79, s[0:3], 0 offen offset:4
	s_waitcnt vmcnt(2) lgkmcnt(0)
	v_mul_f64 v[88:89], v[3:4], v[82:83]
	v_mul_f64 v[82:83], v[1:2], v[82:83]
	s_waitcnt vmcnt(0)
	v_fma_f64 v[1:2], v[1:2], v[86:87], -v[88:89]
	v_fma_f64 v[3:4], v[3:4], v[86:87], v[82:83]
.LBB100_330:
	s_mov_b32 s8, exec_lo
	v_cmpx_ne_u32_e32 5, v0
	s_cbranch_execz .LBB100_334
; %bb.331:
	v_add_nc_u32_e32 v82, 0x260, v85
	v_add3_u32 v83, 0, v85, 16
	v_mov_b32_e32 v84, v0
	s_mov_b32 s44, 0
	.p2align	6
.LBB100_332:                            ; =>This Inner Loop Header: Depth=1
	s_clause 0x3
	buffer_load_dword v90, v83, s[0:3], 0 offen offset:8
	buffer_load_dword v91, v83, s[0:3], 0 offen offset:12
	buffer_load_dword v92, v83, s[0:3], 0 offen
	buffer_load_dword v93, v83, s[0:3], 0 offen offset:4
	ds_read_b128 v[86:89], v82
	v_add_nc_u32_e32 v84, 1, v84
	v_add_nc_u32_e32 v82, 16, v82
	v_add_nc_u32_e32 v83, 16, v83
	v_cmp_lt_u32_e32 vcc_lo, 4, v84
	s_or_b32 s44, vcc_lo, s44
	s_waitcnt vmcnt(2) lgkmcnt(0)
	v_mul_f64 v[94:95], v[88:89], v[90:91]
	v_mul_f64 v[90:91], v[86:87], v[90:91]
	s_waitcnt vmcnt(0)
	v_fma_f64 v[86:87], v[86:87], v[92:93], -v[94:95]
	v_fma_f64 v[88:89], v[88:89], v[92:93], v[90:91]
	v_add_f64 v[1:2], v[1:2], v[86:87]
	v_add_f64 v[3:4], v[3:4], v[88:89]
	s_andn2_b32 exec_lo, exec_lo, s44
	s_cbranch_execnz .LBB100_332
; %bb.333:
	s_or_b32 exec_lo, exec_lo, s44
.LBB100_334:
	s_or_b32 exec_lo, exec_lo, s8
	v_mov_b32_e32 v82, 0
	ds_read_b128 v[86:89], v82 offset:96
	s_waitcnt lgkmcnt(0)
	v_mul_f64 v[82:83], v[3:4], v[88:89]
	v_mul_f64 v[88:89], v[1:2], v[88:89]
	v_fma_f64 v[1:2], v[1:2], v[86:87], -v[82:83]
	v_fma_f64 v[3:4], v[3:4], v[86:87], v[88:89]
	buffer_store_dword v2, off, s[0:3], 0 offset:100
	buffer_store_dword v1, off, s[0:3], 0 offset:96
	;; [unrolled: 1-line block ×4, first 2 shown]
.LBB100_335:
	s_or_b32 exec_lo, exec_lo, s4
	v_mov_b32_e32 v4, s37
	s_mov_b32 s4, exec_lo
	s_clause 0x3
	buffer_load_dword v1, v4, s[0:3], 0 offen
	buffer_load_dword v2, v4, s[0:3], 0 offen offset:4
	buffer_load_dword v3, v4, s[0:3], 0 offen offset:8
	;; [unrolled: 1-line block ×3, first 2 shown]
	s_waitcnt vmcnt(0)
	ds_write_b128 v80, v[1:4]
	s_waitcnt lgkmcnt(0)
	s_waitcnt_vscnt null, 0x0
	s_barrier
	buffer_gl0_inv
	v_cmpx_gt_u32_e32 7, v0
	s_cbranch_execz .LBB100_343
; %bb.336:
	ds_read_b128 v[1:4], v80
	v_cmp_ne_u32_e32 vcc_lo, 1, v81
	s_cbranch_vccnz .LBB100_338
; %bb.337:
	s_clause 0x3
	buffer_load_dword v82, v79, s[0:3], 0 offen offset:8
	buffer_load_dword v83, v79, s[0:3], 0 offen offset:12
	buffer_load_dword v86, v79, s[0:3], 0 offen
	buffer_load_dword v87, v79, s[0:3], 0 offen offset:4
	s_waitcnt vmcnt(2) lgkmcnt(0)
	v_mul_f64 v[88:89], v[3:4], v[82:83]
	v_mul_f64 v[82:83], v[1:2], v[82:83]
	s_waitcnt vmcnt(0)
	v_fma_f64 v[1:2], v[1:2], v[86:87], -v[88:89]
	v_fma_f64 v[3:4], v[3:4], v[86:87], v[82:83]
.LBB100_338:
	s_mov_b32 s8, exec_lo
	v_cmpx_ne_u32_e32 6, v0
	s_cbranch_execz .LBB100_342
; %bb.339:
	v_add_nc_u32_e32 v82, 0x260, v85
	v_add3_u32 v83, 0, v85, 16
	v_mov_b32_e32 v84, v0
	s_mov_b32 s44, 0
	.p2align	6
.LBB100_340:                            ; =>This Inner Loop Header: Depth=1
	s_clause 0x3
	buffer_load_dword v90, v83, s[0:3], 0 offen offset:8
	buffer_load_dword v91, v83, s[0:3], 0 offen offset:12
	buffer_load_dword v92, v83, s[0:3], 0 offen
	buffer_load_dword v93, v83, s[0:3], 0 offen offset:4
	ds_read_b128 v[86:89], v82
	v_add_nc_u32_e32 v84, 1, v84
	v_add_nc_u32_e32 v82, 16, v82
	;; [unrolled: 1-line block ×3, first 2 shown]
	v_cmp_lt_u32_e32 vcc_lo, 5, v84
	s_or_b32 s44, vcc_lo, s44
	s_waitcnt vmcnt(2) lgkmcnt(0)
	v_mul_f64 v[94:95], v[88:89], v[90:91]
	v_mul_f64 v[90:91], v[86:87], v[90:91]
	s_waitcnt vmcnt(0)
	v_fma_f64 v[86:87], v[86:87], v[92:93], -v[94:95]
	v_fma_f64 v[88:89], v[88:89], v[92:93], v[90:91]
	v_add_f64 v[1:2], v[1:2], v[86:87]
	v_add_f64 v[3:4], v[3:4], v[88:89]
	s_andn2_b32 exec_lo, exec_lo, s44
	s_cbranch_execnz .LBB100_340
; %bb.341:
	s_or_b32 exec_lo, exec_lo, s44
.LBB100_342:
	s_or_b32 exec_lo, exec_lo, s8
	v_mov_b32_e32 v82, 0
	ds_read_b128 v[86:89], v82 offset:112
	s_waitcnt lgkmcnt(0)
	v_mul_f64 v[82:83], v[3:4], v[88:89]
	v_mul_f64 v[88:89], v[1:2], v[88:89]
	v_fma_f64 v[1:2], v[1:2], v[86:87], -v[82:83]
	v_fma_f64 v[3:4], v[3:4], v[86:87], v[88:89]
	buffer_store_dword v2, off, s[0:3], 0 offset:116
	buffer_store_dword v1, off, s[0:3], 0 offset:112
	;; [unrolled: 1-line block ×4, first 2 shown]
.LBB100_343:
	s_or_b32 exec_lo, exec_lo, s4
	v_mov_b32_e32 v4, s36
	s_mov_b32 s4, exec_lo
	s_clause 0x3
	buffer_load_dword v1, v4, s[0:3], 0 offen
	buffer_load_dword v2, v4, s[0:3], 0 offen offset:4
	buffer_load_dword v3, v4, s[0:3], 0 offen offset:8
	;; [unrolled: 1-line block ×3, first 2 shown]
	s_waitcnt vmcnt(0)
	ds_write_b128 v80, v[1:4]
	s_waitcnt lgkmcnt(0)
	s_waitcnt_vscnt null, 0x0
	s_barrier
	buffer_gl0_inv
	v_cmpx_gt_u32_e32 8, v0
	s_cbranch_execz .LBB100_351
; %bb.344:
	ds_read_b128 v[1:4], v80
	v_cmp_ne_u32_e32 vcc_lo, 1, v81
	s_cbranch_vccnz .LBB100_346
; %bb.345:
	s_clause 0x3
	buffer_load_dword v82, v79, s[0:3], 0 offen offset:8
	buffer_load_dword v83, v79, s[0:3], 0 offen offset:12
	buffer_load_dword v86, v79, s[0:3], 0 offen
	buffer_load_dword v87, v79, s[0:3], 0 offen offset:4
	s_waitcnt vmcnt(2) lgkmcnt(0)
	v_mul_f64 v[88:89], v[3:4], v[82:83]
	v_mul_f64 v[82:83], v[1:2], v[82:83]
	s_waitcnt vmcnt(0)
	v_fma_f64 v[1:2], v[1:2], v[86:87], -v[88:89]
	v_fma_f64 v[3:4], v[3:4], v[86:87], v[82:83]
.LBB100_346:
	s_mov_b32 s8, exec_lo
	v_cmpx_ne_u32_e32 7, v0
	s_cbranch_execz .LBB100_350
; %bb.347:
	v_add_nc_u32_e32 v82, 0x260, v85
	v_add3_u32 v83, 0, v85, 16
	v_mov_b32_e32 v84, v0
	s_mov_b32 s44, 0
	.p2align	6
.LBB100_348:                            ; =>This Inner Loop Header: Depth=1
	s_clause 0x3
	buffer_load_dword v90, v83, s[0:3], 0 offen offset:8
	buffer_load_dword v91, v83, s[0:3], 0 offen offset:12
	buffer_load_dword v92, v83, s[0:3], 0 offen
	buffer_load_dword v93, v83, s[0:3], 0 offen offset:4
	ds_read_b128 v[86:89], v82
	v_add_nc_u32_e32 v84, 1, v84
	v_add_nc_u32_e32 v82, 16, v82
	;; [unrolled: 1-line block ×3, first 2 shown]
	v_cmp_lt_u32_e32 vcc_lo, 6, v84
	s_or_b32 s44, vcc_lo, s44
	s_waitcnt vmcnt(2) lgkmcnt(0)
	v_mul_f64 v[94:95], v[88:89], v[90:91]
	v_mul_f64 v[90:91], v[86:87], v[90:91]
	s_waitcnt vmcnt(0)
	v_fma_f64 v[86:87], v[86:87], v[92:93], -v[94:95]
	v_fma_f64 v[88:89], v[88:89], v[92:93], v[90:91]
	v_add_f64 v[1:2], v[1:2], v[86:87]
	v_add_f64 v[3:4], v[3:4], v[88:89]
	s_andn2_b32 exec_lo, exec_lo, s44
	s_cbranch_execnz .LBB100_348
; %bb.349:
	s_or_b32 exec_lo, exec_lo, s44
.LBB100_350:
	s_or_b32 exec_lo, exec_lo, s8
	v_mov_b32_e32 v82, 0
	ds_read_b128 v[86:89], v82 offset:128
	s_waitcnt lgkmcnt(0)
	v_mul_f64 v[82:83], v[3:4], v[88:89]
	v_mul_f64 v[88:89], v[1:2], v[88:89]
	v_fma_f64 v[1:2], v[1:2], v[86:87], -v[82:83]
	v_fma_f64 v[3:4], v[3:4], v[86:87], v[88:89]
	buffer_store_dword v2, off, s[0:3], 0 offset:132
	buffer_store_dword v1, off, s[0:3], 0 offset:128
	;; [unrolled: 1-line block ×4, first 2 shown]
.LBB100_351:
	s_or_b32 exec_lo, exec_lo, s4
	v_mov_b32_e32 v4, s35
	s_mov_b32 s4, exec_lo
	s_clause 0x3
	buffer_load_dword v1, v4, s[0:3], 0 offen
	buffer_load_dword v2, v4, s[0:3], 0 offen offset:4
	buffer_load_dword v3, v4, s[0:3], 0 offen offset:8
	buffer_load_dword v4, v4, s[0:3], 0 offen offset:12
	s_waitcnt vmcnt(0)
	ds_write_b128 v80, v[1:4]
	s_waitcnt lgkmcnt(0)
	s_waitcnt_vscnt null, 0x0
	s_barrier
	buffer_gl0_inv
	v_cmpx_gt_u32_e32 9, v0
	s_cbranch_execz .LBB100_359
; %bb.352:
	ds_read_b128 v[1:4], v80
	v_cmp_ne_u32_e32 vcc_lo, 1, v81
	s_cbranch_vccnz .LBB100_354
; %bb.353:
	s_clause 0x3
	buffer_load_dword v82, v79, s[0:3], 0 offen offset:8
	buffer_load_dword v83, v79, s[0:3], 0 offen offset:12
	buffer_load_dword v86, v79, s[0:3], 0 offen
	buffer_load_dword v87, v79, s[0:3], 0 offen offset:4
	s_waitcnt vmcnt(2) lgkmcnt(0)
	v_mul_f64 v[88:89], v[3:4], v[82:83]
	v_mul_f64 v[82:83], v[1:2], v[82:83]
	s_waitcnt vmcnt(0)
	v_fma_f64 v[1:2], v[1:2], v[86:87], -v[88:89]
	v_fma_f64 v[3:4], v[3:4], v[86:87], v[82:83]
.LBB100_354:
	s_mov_b32 s8, exec_lo
	v_cmpx_ne_u32_e32 8, v0
	s_cbranch_execz .LBB100_358
; %bb.355:
	v_add_nc_u32_e32 v82, 0x260, v85
	v_add3_u32 v83, 0, v85, 16
	v_mov_b32_e32 v84, v0
	s_mov_b32 s44, 0
	.p2align	6
.LBB100_356:                            ; =>This Inner Loop Header: Depth=1
	s_clause 0x3
	buffer_load_dword v90, v83, s[0:3], 0 offen offset:8
	buffer_load_dword v91, v83, s[0:3], 0 offen offset:12
	buffer_load_dword v92, v83, s[0:3], 0 offen
	buffer_load_dword v93, v83, s[0:3], 0 offen offset:4
	ds_read_b128 v[86:89], v82
	v_add_nc_u32_e32 v84, 1, v84
	v_add_nc_u32_e32 v82, 16, v82
	;; [unrolled: 1-line block ×3, first 2 shown]
	v_cmp_lt_u32_e32 vcc_lo, 7, v84
	s_or_b32 s44, vcc_lo, s44
	s_waitcnt vmcnt(2) lgkmcnt(0)
	v_mul_f64 v[94:95], v[88:89], v[90:91]
	v_mul_f64 v[90:91], v[86:87], v[90:91]
	s_waitcnt vmcnt(0)
	v_fma_f64 v[86:87], v[86:87], v[92:93], -v[94:95]
	v_fma_f64 v[88:89], v[88:89], v[92:93], v[90:91]
	v_add_f64 v[1:2], v[1:2], v[86:87]
	v_add_f64 v[3:4], v[3:4], v[88:89]
	s_andn2_b32 exec_lo, exec_lo, s44
	s_cbranch_execnz .LBB100_356
; %bb.357:
	s_or_b32 exec_lo, exec_lo, s44
.LBB100_358:
	s_or_b32 exec_lo, exec_lo, s8
	v_mov_b32_e32 v82, 0
	ds_read_b128 v[86:89], v82 offset:144
	s_waitcnt lgkmcnt(0)
	v_mul_f64 v[82:83], v[3:4], v[88:89]
	v_mul_f64 v[88:89], v[1:2], v[88:89]
	v_fma_f64 v[1:2], v[1:2], v[86:87], -v[82:83]
	v_fma_f64 v[3:4], v[3:4], v[86:87], v[88:89]
	buffer_store_dword v2, off, s[0:3], 0 offset:148
	buffer_store_dword v1, off, s[0:3], 0 offset:144
	;; [unrolled: 1-line block ×4, first 2 shown]
.LBB100_359:
	s_or_b32 exec_lo, exec_lo, s4
	v_mov_b32_e32 v4, s34
	s_mov_b32 s4, exec_lo
	s_clause 0x3
	buffer_load_dword v1, v4, s[0:3], 0 offen
	buffer_load_dword v2, v4, s[0:3], 0 offen offset:4
	buffer_load_dword v3, v4, s[0:3], 0 offen offset:8
	buffer_load_dword v4, v4, s[0:3], 0 offen offset:12
	s_waitcnt vmcnt(0)
	ds_write_b128 v80, v[1:4]
	s_waitcnt lgkmcnt(0)
	s_waitcnt_vscnt null, 0x0
	s_barrier
	buffer_gl0_inv
	v_cmpx_gt_u32_e32 10, v0
	s_cbranch_execz .LBB100_367
; %bb.360:
	ds_read_b128 v[1:4], v80
	v_cmp_ne_u32_e32 vcc_lo, 1, v81
	s_cbranch_vccnz .LBB100_362
; %bb.361:
	s_clause 0x3
	buffer_load_dword v82, v79, s[0:3], 0 offen offset:8
	buffer_load_dword v83, v79, s[0:3], 0 offen offset:12
	buffer_load_dword v86, v79, s[0:3], 0 offen
	buffer_load_dword v87, v79, s[0:3], 0 offen offset:4
	s_waitcnt vmcnt(2) lgkmcnt(0)
	v_mul_f64 v[88:89], v[3:4], v[82:83]
	v_mul_f64 v[82:83], v[1:2], v[82:83]
	s_waitcnt vmcnt(0)
	v_fma_f64 v[1:2], v[1:2], v[86:87], -v[88:89]
	v_fma_f64 v[3:4], v[3:4], v[86:87], v[82:83]
.LBB100_362:
	s_mov_b32 s8, exec_lo
	v_cmpx_ne_u32_e32 9, v0
	s_cbranch_execz .LBB100_366
; %bb.363:
	v_add_nc_u32_e32 v82, 0x260, v85
	v_add3_u32 v83, 0, v85, 16
	v_mov_b32_e32 v84, v0
	s_mov_b32 s44, 0
	.p2align	6
.LBB100_364:                            ; =>This Inner Loop Header: Depth=1
	s_clause 0x3
	buffer_load_dword v90, v83, s[0:3], 0 offen offset:8
	buffer_load_dword v91, v83, s[0:3], 0 offen offset:12
	buffer_load_dword v92, v83, s[0:3], 0 offen
	buffer_load_dword v93, v83, s[0:3], 0 offen offset:4
	ds_read_b128 v[86:89], v82
	v_add_nc_u32_e32 v84, 1, v84
	v_add_nc_u32_e32 v82, 16, v82
	;; [unrolled: 1-line block ×3, first 2 shown]
	v_cmp_lt_u32_e32 vcc_lo, 8, v84
	s_or_b32 s44, vcc_lo, s44
	s_waitcnt vmcnt(2) lgkmcnt(0)
	v_mul_f64 v[94:95], v[88:89], v[90:91]
	v_mul_f64 v[90:91], v[86:87], v[90:91]
	s_waitcnt vmcnt(0)
	v_fma_f64 v[86:87], v[86:87], v[92:93], -v[94:95]
	v_fma_f64 v[88:89], v[88:89], v[92:93], v[90:91]
	v_add_f64 v[1:2], v[1:2], v[86:87]
	v_add_f64 v[3:4], v[3:4], v[88:89]
	s_andn2_b32 exec_lo, exec_lo, s44
	s_cbranch_execnz .LBB100_364
; %bb.365:
	s_or_b32 exec_lo, exec_lo, s44
.LBB100_366:
	s_or_b32 exec_lo, exec_lo, s8
	v_mov_b32_e32 v82, 0
	ds_read_b128 v[86:89], v82 offset:160
	s_waitcnt lgkmcnt(0)
	v_mul_f64 v[82:83], v[3:4], v[88:89]
	v_mul_f64 v[88:89], v[1:2], v[88:89]
	v_fma_f64 v[1:2], v[1:2], v[86:87], -v[82:83]
	v_fma_f64 v[3:4], v[3:4], v[86:87], v[88:89]
	buffer_store_dword v2, off, s[0:3], 0 offset:164
	buffer_store_dword v1, off, s[0:3], 0 offset:160
	;; [unrolled: 1-line block ×4, first 2 shown]
.LBB100_367:
	s_or_b32 exec_lo, exec_lo, s4
	v_mov_b32_e32 v4, s33
	s_mov_b32 s4, exec_lo
	s_clause 0x3
	buffer_load_dword v1, v4, s[0:3], 0 offen
	buffer_load_dword v2, v4, s[0:3], 0 offen offset:4
	buffer_load_dword v3, v4, s[0:3], 0 offen offset:8
	;; [unrolled: 1-line block ×3, first 2 shown]
	s_waitcnt vmcnt(0)
	ds_write_b128 v80, v[1:4]
	s_waitcnt lgkmcnt(0)
	s_waitcnt_vscnt null, 0x0
	s_barrier
	buffer_gl0_inv
	v_cmpx_gt_u32_e32 11, v0
	s_cbranch_execz .LBB100_375
; %bb.368:
	ds_read_b128 v[1:4], v80
	v_cmp_ne_u32_e32 vcc_lo, 1, v81
	s_cbranch_vccnz .LBB100_370
; %bb.369:
	s_clause 0x3
	buffer_load_dword v82, v79, s[0:3], 0 offen offset:8
	buffer_load_dword v83, v79, s[0:3], 0 offen offset:12
	buffer_load_dword v86, v79, s[0:3], 0 offen
	buffer_load_dword v87, v79, s[0:3], 0 offen offset:4
	s_waitcnt vmcnt(2) lgkmcnt(0)
	v_mul_f64 v[88:89], v[3:4], v[82:83]
	v_mul_f64 v[82:83], v[1:2], v[82:83]
	s_waitcnt vmcnt(0)
	v_fma_f64 v[1:2], v[1:2], v[86:87], -v[88:89]
	v_fma_f64 v[3:4], v[3:4], v[86:87], v[82:83]
.LBB100_370:
	s_mov_b32 s8, exec_lo
	v_cmpx_ne_u32_e32 10, v0
	s_cbranch_execz .LBB100_374
; %bb.371:
	v_add_nc_u32_e32 v82, 0x260, v85
	v_add3_u32 v83, 0, v85, 16
	v_mov_b32_e32 v84, v0
	s_mov_b32 s44, 0
	.p2align	6
.LBB100_372:                            ; =>This Inner Loop Header: Depth=1
	s_clause 0x3
	buffer_load_dword v90, v83, s[0:3], 0 offen offset:8
	buffer_load_dword v91, v83, s[0:3], 0 offen offset:12
	buffer_load_dword v92, v83, s[0:3], 0 offen
	buffer_load_dword v93, v83, s[0:3], 0 offen offset:4
	ds_read_b128 v[86:89], v82
	v_add_nc_u32_e32 v84, 1, v84
	v_add_nc_u32_e32 v82, 16, v82
	;; [unrolled: 1-line block ×3, first 2 shown]
	v_cmp_lt_u32_e32 vcc_lo, 9, v84
	s_or_b32 s44, vcc_lo, s44
	s_waitcnt vmcnt(2) lgkmcnt(0)
	v_mul_f64 v[94:95], v[88:89], v[90:91]
	v_mul_f64 v[90:91], v[86:87], v[90:91]
	s_waitcnt vmcnt(0)
	v_fma_f64 v[86:87], v[86:87], v[92:93], -v[94:95]
	v_fma_f64 v[88:89], v[88:89], v[92:93], v[90:91]
	v_add_f64 v[1:2], v[1:2], v[86:87]
	v_add_f64 v[3:4], v[3:4], v[88:89]
	s_andn2_b32 exec_lo, exec_lo, s44
	s_cbranch_execnz .LBB100_372
; %bb.373:
	s_or_b32 exec_lo, exec_lo, s44
.LBB100_374:
	s_or_b32 exec_lo, exec_lo, s8
	v_mov_b32_e32 v82, 0
	ds_read_b128 v[86:89], v82 offset:176
	s_waitcnt lgkmcnt(0)
	v_mul_f64 v[82:83], v[3:4], v[88:89]
	v_mul_f64 v[88:89], v[1:2], v[88:89]
	v_fma_f64 v[1:2], v[1:2], v[86:87], -v[82:83]
	v_fma_f64 v[3:4], v[3:4], v[86:87], v[88:89]
	buffer_store_dword v2, off, s[0:3], 0 offset:180
	buffer_store_dword v1, off, s[0:3], 0 offset:176
	buffer_store_dword v4, off, s[0:3], 0 offset:188
	buffer_store_dword v3, off, s[0:3], 0 offset:184
.LBB100_375:
	s_or_b32 exec_lo, exec_lo, s4
	v_mov_b32_e32 v4, s31
	s_mov_b32 s4, exec_lo
	s_clause 0x3
	buffer_load_dword v1, v4, s[0:3], 0 offen
	buffer_load_dword v2, v4, s[0:3], 0 offen offset:4
	buffer_load_dword v3, v4, s[0:3], 0 offen offset:8
	;; [unrolled: 1-line block ×3, first 2 shown]
	s_waitcnt vmcnt(0)
	ds_write_b128 v80, v[1:4]
	s_waitcnt lgkmcnt(0)
	s_waitcnt_vscnt null, 0x0
	s_barrier
	buffer_gl0_inv
	v_cmpx_gt_u32_e32 12, v0
	s_cbranch_execz .LBB100_383
; %bb.376:
	ds_read_b128 v[1:4], v80
	v_cmp_ne_u32_e32 vcc_lo, 1, v81
	s_cbranch_vccnz .LBB100_378
; %bb.377:
	s_clause 0x3
	buffer_load_dword v82, v79, s[0:3], 0 offen offset:8
	buffer_load_dword v83, v79, s[0:3], 0 offen offset:12
	buffer_load_dword v86, v79, s[0:3], 0 offen
	buffer_load_dword v87, v79, s[0:3], 0 offen offset:4
	s_waitcnt vmcnt(2) lgkmcnt(0)
	v_mul_f64 v[88:89], v[3:4], v[82:83]
	v_mul_f64 v[82:83], v[1:2], v[82:83]
	s_waitcnt vmcnt(0)
	v_fma_f64 v[1:2], v[1:2], v[86:87], -v[88:89]
	v_fma_f64 v[3:4], v[3:4], v[86:87], v[82:83]
.LBB100_378:
	s_mov_b32 s8, exec_lo
	v_cmpx_ne_u32_e32 11, v0
	s_cbranch_execz .LBB100_382
; %bb.379:
	v_add_nc_u32_e32 v82, 0x260, v85
	v_add3_u32 v83, 0, v85, 16
	v_mov_b32_e32 v84, v0
	s_mov_b32 s44, 0
	.p2align	6
.LBB100_380:                            ; =>This Inner Loop Header: Depth=1
	s_clause 0x3
	buffer_load_dword v90, v83, s[0:3], 0 offen offset:8
	buffer_load_dword v91, v83, s[0:3], 0 offen offset:12
	buffer_load_dword v92, v83, s[0:3], 0 offen
	buffer_load_dword v93, v83, s[0:3], 0 offen offset:4
	ds_read_b128 v[86:89], v82
	v_add_nc_u32_e32 v84, 1, v84
	v_add_nc_u32_e32 v82, 16, v82
	;; [unrolled: 1-line block ×3, first 2 shown]
	v_cmp_lt_u32_e32 vcc_lo, 10, v84
	s_or_b32 s44, vcc_lo, s44
	s_waitcnt vmcnt(2) lgkmcnt(0)
	v_mul_f64 v[94:95], v[88:89], v[90:91]
	v_mul_f64 v[90:91], v[86:87], v[90:91]
	s_waitcnt vmcnt(0)
	v_fma_f64 v[86:87], v[86:87], v[92:93], -v[94:95]
	v_fma_f64 v[88:89], v[88:89], v[92:93], v[90:91]
	v_add_f64 v[1:2], v[1:2], v[86:87]
	v_add_f64 v[3:4], v[3:4], v[88:89]
	s_andn2_b32 exec_lo, exec_lo, s44
	s_cbranch_execnz .LBB100_380
; %bb.381:
	s_or_b32 exec_lo, exec_lo, s44
.LBB100_382:
	s_or_b32 exec_lo, exec_lo, s8
	v_mov_b32_e32 v82, 0
	ds_read_b128 v[86:89], v82 offset:192
	s_waitcnt lgkmcnt(0)
	v_mul_f64 v[82:83], v[3:4], v[88:89]
	v_mul_f64 v[88:89], v[1:2], v[88:89]
	v_fma_f64 v[1:2], v[1:2], v[86:87], -v[82:83]
	v_fma_f64 v[3:4], v[3:4], v[86:87], v[88:89]
	buffer_store_dword v2, off, s[0:3], 0 offset:196
	buffer_store_dword v1, off, s[0:3], 0 offset:192
	;; [unrolled: 1-line block ×4, first 2 shown]
.LBB100_383:
	s_or_b32 exec_lo, exec_lo, s4
	v_mov_b32_e32 v4, s30
	s_mov_b32 s4, exec_lo
	s_clause 0x3
	buffer_load_dword v1, v4, s[0:3], 0 offen
	buffer_load_dword v2, v4, s[0:3], 0 offen offset:4
	buffer_load_dword v3, v4, s[0:3], 0 offen offset:8
	;; [unrolled: 1-line block ×3, first 2 shown]
	s_waitcnt vmcnt(0)
	ds_write_b128 v80, v[1:4]
	s_waitcnt lgkmcnt(0)
	s_waitcnt_vscnt null, 0x0
	s_barrier
	buffer_gl0_inv
	v_cmpx_gt_u32_e32 13, v0
	s_cbranch_execz .LBB100_391
; %bb.384:
	ds_read_b128 v[1:4], v80
	v_cmp_ne_u32_e32 vcc_lo, 1, v81
	s_cbranch_vccnz .LBB100_386
; %bb.385:
	s_clause 0x3
	buffer_load_dword v82, v79, s[0:3], 0 offen offset:8
	buffer_load_dword v83, v79, s[0:3], 0 offen offset:12
	buffer_load_dword v86, v79, s[0:3], 0 offen
	buffer_load_dword v87, v79, s[0:3], 0 offen offset:4
	s_waitcnt vmcnt(2) lgkmcnt(0)
	v_mul_f64 v[88:89], v[3:4], v[82:83]
	v_mul_f64 v[82:83], v[1:2], v[82:83]
	s_waitcnt vmcnt(0)
	v_fma_f64 v[1:2], v[1:2], v[86:87], -v[88:89]
	v_fma_f64 v[3:4], v[3:4], v[86:87], v[82:83]
.LBB100_386:
	s_mov_b32 s8, exec_lo
	v_cmpx_ne_u32_e32 12, v0
	s_cbranch_execz .LBB100_390
; %bb.387:
	v_add_nc_u32_e32 v82, 0x260, v85
	v_add3_u32 v83, 0, v85, 16
	v_mov_b32_e32 v84, v0
	s_mov_b32 s44, 0
	.p2align	6
.LBB100_388:                            ; =>This Inner Loop Header: Depth=1
	s_clause 0x3
	buffer_load_dword v90, v83, s[0:3], 0 offen offset:8
	buffer_load_dword v91, v83, s[0:3], 0 offen offset:12
	buffer_load_dword v92, v83, s[0:3], 0 offen
	buffer_load_dword v93, v83, s[0:3], 0 offen offset:4
	ds_read_b128 v[86:89], v82
	v_add_nc_u32_e32 v84, 1, v84
	v_add_nc_u32_e32 v82, 16, v82
	;; [unrolled: 1-line block ×3, first 2 shown]
	v_cmp_lt_u32_e32 vcc_lo, 11, v84
	s_or_b32 s44, vcc_lo, s44
	s_waitcnt vmcnt(2) lgkmcnt(0)
	v_mul_f64 v[94:95], v[88:89], v[90:91]
	v_mul_f64 v[90:91], v[86:87], v[90:91]
	s_waitcnt vmcnt(0)
	v_fma_f64 v[86:87], v[86:87], v[92:93], -v[94:95]
	v_fma_f64 v[88:89], v[88:89], v[92:93], v[90:91]
	v_add_f64 v[1:2], v[1:2], v[86:87]
	v_add_f64 v[3:4], v[3:4], v[88:89]
	s_andn2_b32 exec_lo, exec_lo, s44
	s_cbranch_execnz .LBB100_388
; %bb.389:
	s_or_b32 exec_lo, exec_lo, s44
.LBB100_390:
	s_or_b32 exec_lo, exec_lo, s8
	v_mov_b32_e32 v82, 0
	ds_read_b128 v[86:89], v82 offset:208
	s_waitcnt lgkmcnt(0)
	v_mul_f64 v[82:83], v[3:4], v[88:89]
	v_mul_f64 v[88:89], v[1:2], v[88:89]
	v_fma_f64 v[1:2], v[1:2], v[86:87], -v[82:83]
	v_fma_f64 v[3:4], v[3:4], v[86:87], v[88:89]
	buffer_store_dword v2, off, s[0:3], 0 offset:212
	buffer_store_dword v1, off, s[0:3], 0 offset:208
	;; [unrolled: 1-line block ×4, first 2 shown]
.LBB100_391:
	s_or_b32 exec_lo, exec_lo, s4
	v_mov_b32_e32 v4, s29
	s_mov_b32 s4, exec_lo
	s_clause 0x3
	buffer_load_dword v1, v4, s[0:3], 0 offen
	buffer_load_dword v2, v4, s[0:3], 0 offen offset:4
	buffer_load_dword v3, v4, s[0:3], 0 offen offset:8
	;; [unrolled: 1-line block ×3, first 2 shown]
	s_waitcnt vmcnt(0)
	ds_write_b128 v80, v[1:4]
	s_waitcnt lgkmcnt(0)
	s_waitcnt_vscnt null, 0x0
	s_barrier
	buffer_gl0_inv
	v_cmpx_gt_u32_e32 14, v0
	s_cbranch_execz .LBB100_399
; %bb.392:
	ds_read_b128 v[1:4], v80
	v_cmp_ne_u32_e32 vcc_lo, 1, v81
	s_cbranch_vccnz .LBB100_394
; %bb.393:
	s_clause 0x3
	buffer_load_dword v82, v79, s[0:3], 0 offen offset:8
	buffer_load_dword v83, v79, s[0:3], 0 offen offset:12
	buffer_load_dword v86, v79, s[0:3], 0 offen
	buffer_load_dword v87, v79, s[0:3], 0 offen offset:4
	s_waitcnt vmcnt(2) lgkmcnt(0)
	v_mul_f64 v[88:89], v[3:4], v[82:83]
	v_mul_f64 v[82:83], v[1:2], v[82:83]
	s_waitcnt vmcnt(0)
	v_fma_f64 v[1:2], v[1:2], v[86:87], -v[88:89]
	v_fma_f64 v[3:4], v[3:4], v[86:87], v[82:83]
.LBB100_394:
	s_mov_b32 s8, exec_lo
	v_cmpx_ne_u32_e32 13, v0
	s_cbranch_execz .LBB100_398
; %bb.395:
	v_add_nc_u32_e32 v82, 0x260, v85
	v_add3_u32 v83, 0, v85, 16
	v_mov_b32_e32 v84, v0
	s_mov_b32 s44, 0
	.p2align	6
.LBB100_396:                            ; =>This Inner Loop Header: Depth=1
	s_clause 0x3
	buffer_load_dword v90, v83, s[0:3], 0 offen offset:8
	buffer_load_dword v91, v83, s[0:3], 0 offen offset:12
	buffer_load_dword v92, v83, s[0:3], 0 offen
	buffer_load_dword v93, v83, s[0:3], 0 offen offset:4
	ds_read_b128 v[86:89], v82
	v_add_nc_u32_e32 v84, 1, v84
	v_add_nc_u32_e32 v82, 16, v82
	;; [unrolled: 1-line block ×3, first 2 shown]
	v_cmp_lt_u32_e32 vcc_lo, 12, v84
	s_or_b32 s44, vcc_lo, s44
	s_waitcnt vmcnt(2) lgkmcnt(0)
	v_mul_f64 v[94:95], v[88:89], v[90:91]
	v_mul_f64 v[90:91], v[86:87], v[90:91]
	s_waitcnt vmcnt(0)
	v_fma_f64 v[86:87], v[86:87], v[92:93], -v[94:95]
	v_fma_f64 v[88:89], v[88:89], v[92:93], v[90:91]
	v_add_f64 v[1:2], v[1:2], v[86:87]
	v_add_f64 v[3:4], v[3:4], v[88:89]
	s_andn2_b32 exec_lo, exec_lo, s44
	s_cbranch_execnz .LBB100_396
; %bb.397:
	s_or_b32 exec_lo, exec_lo, s44
.LBB100_398:
	s_or_b32 exec_lo, exec_lo, s8
	v_mov_b32_e32 v82, 0
	ds_read_b128 v[86:89], v82 offset:224
	s_waitcnt lgkmcnt(0)
	v_mul_f64 v[82:83], v[3:4], v[88:89]
	v_mul_f64 v[88:89], v[1:2], v[88:89]
	v_fma_f64 v[1:2], v[1:2], v[86:87], -v[82:83]
	v_fma_f64 v[3:4], v[3:4], v[86:87], v[88:89]
	buffer_store_dword v2, off, s[0:3], 0 offset:228
	buffer_store_dword v1, off, s[0:3], 0 offset:224
	;; [unrolled: 1-line block ×4, first 2 shown]
.LBB100_399:
	s_or_b32 exec_lo, exec_lo, s4
	v_mov_b32_e32 v4, s28
	s_mov_b32 s4, exec_lo
	s_clause 0x3
	buffer_load_dword v1, v4, s[0:3], 0 offen
	buffer_load_dword v2, v4, s[0:3], 0 offen offset:4
	buffer_load_dword v3, v4, s[0:3], 0 offen offset:8
	;; [unrolled: 1-line block ×3, first 2 shown]
	s_waitcnt vmcnt(0)
	ds_write_b128 v80, v[1:4]
	s_waitcnt lgkmcnt(0)
	s_waitcnt_vscnt null, 0x0
	s_barrier
	buffer_gl0_inv
	v_cmpx_gt_u32_e32 15, v0
	s_cbranch_execz .LBB100_407
; %bb.400:
	ds_read_b128 v[1:4], v80
	v_cmp_ne_u32_e32 vcc_lo, 1, v81
	s_cbranch_vccnz .LBB100_402
; %bb.401:
	s_clause 0x3
	buffer_load_dword v82, v79, s[0:3], 0 offen offset:8
	buffer_load_dword v83, v79, s[0:3], 0 offen offset:12
	buffer_load_dword v86, v79, s[0:3], 0 offen
	buffer_load_dword v87, v79, s[0:3], 0 offen offset:4
	s_waitcnt vmcnt(2) lgkmcnt(0)
	v_mul_f64 v[88:89], v[3:4], v[82:83]
	v_mul_f64 v[82:83], v[1:2], v[82:83]
	s_waitcnt vmcnt(0)
	v_fma_f64 v[1:2], v[1:2], v[86:87], -v[88:89]
	v_fma_f64 v[3:4], v[3:4], v[86:87], v[82:83]
.LBB100_402:
	s_mov_b32 s8, exec_lo
	v_cmpx_ne_u32_e32 14, v0
	s_cbranch_execz .LBB100_406
; %bb.403:
	v_add_nc_u32_e32 v82, 0x260, v85
	v_add3_u32 v83, 0, v85, 16
	v_mov_b32_e32 v84, v0
	s_mov_b32 s44, 0
	.p2align	6
.LBB100_404:                            ; =>This Inner Loop Header: Depth=1
	s_clause 0x3
	buffer_load_dword v90, v83, s[0:3], 0 offen offset:8
	buffer_load_dword v91, v83, s[0:3], 0 offen offset:12
	buffer_load_dword v92, v83, s[0:3], 0 offen
	buffer_load_dword v93, v83, s[0:3], 0 offen offset:4
	ds_read_b128 v[86:89], v82
	v_add_nc_u32_e32 v84, 1, v84
	v_add_nc_u32_e32 v82, 16, v82
	;; [unrolled: 1-line block ×3, first 2 shown]
	v_cmp_lt_u32_e32 vcc_lo, 13, v84
	s_or_b32 s44, vcc_lo, s44
	s_waitcnt vmcnt(2) lgkmcnt(0)
	v_mul_f64 v[94:95], v[88:89], v[90:91]
	v_mul_f64 v[90:91], v[86:87], v[90:91]
	s_waitcnt vmcnt(0)
	v_fma_f64 v[86:87], v[86:87], v[92:93], -v[94:95]
	v_fma_f64 v[88:89], v[88:89], v[92:93], v[90:91]
	v_add_f64 v[1:2], v[1:2], v[86:87]
	v_add_f64 v[3:4], v[3:4], v[88:89]
	s_andn2_b32 exec_lo, exec_lo, s44
	s_cbranch_execnz .LBB100_404
; %bb.405:
	s_or_b32 exec_lo, exec_lo, s44
.LBB100_406:
	s_or_b32 exec_lo, exec_lo, s8
	v_mov_b32_e32 v82, 0
	ds_read_b128 v[86:89], v82 offset:240
	s_waitcnt lgkmcnt(0)
	v_mul_f64 v[82:83], v[3:4], v[88:89]
	v_mul_f64 v[88:89], v[1:2], v[88:89]
	v_fma_f64 v[1:2], v[1:2], v[86:87], -v[82:83]
	v_fma_f64 v[3:4], v[3:4], v[86:87], v[88:89]
	buffer_store_dword v2, off, s[0:3], 0 offset:244
	buffer_store_dword v1, off, s[0:3], 0 offset:240
	;; [unrolled: 1-line block ×4, first 2 shown]
.LBB100_407:
	s_or_b32 exec_lo, exec_lo, s4
	v_mov_b32_e32 v4, s27
	s_mov_b32 s4, exec_lo
	s_clause 0x3
	buffer_load_dword v1, v4, s[0:3], 0 offen
	buffer_load_dword v2, v4, s[0:3], 0 offen offset:4
	buffer_load_dword v3, v4, s[0:3], 0 offen offset:8
	;; [unrolled: 1-line block ×3, first 2 shown]
	s_waitcnt vmcnt(0)
	ds_write_b128 v80, v[1:4]
	s_waitcnt lgkmcnt(0)
	s_waitcnt_vscnt null, 0x0
	s_barrier
	buffer_gl0_inv
	v_cmpx_gt_u32_e32 16, v0
	s_cbranch_execz .LBB100_415
; %bb.408:
	ds_read_b128 v[1:4], v80
	v_cmp_ne_u32_e32 vcc_lo, 1, v81
	s_cbranch_vccnz .LBB100_410
; %bb.409:
	s_clause 0x3
	buffer_load_dword v82, v79, s[0:3], 0 offen offset:8
	buffer_load_dword v83, v79, s[0:3], 0 offen offset:12
	buffer_load_dword v86, v79, s[0:3], 0 offen
	buffer_load_dword v87, v79, s[0:3], 0 offen offset:4
	s_waitcnt vmcnt(2) lgkmcnt(0)
	v_mul_f64 v[88:89], v[3:4], v[82:83]
	v_mul_f64 v[82:83], v[1:2], v[82:83]
	s_waitcnt vmcnt(0)
	v_fma_f64 v[1:2], v[1:2], v[86:87], -v[88:89]
	v_fma_f64 v[3:4], v[3:4], v[86:87], v[82:83]
.LBB100_410:
	s_mov_b32 s8, exec_lo
	v_cmpx_ne_u32_e32 15, v0
	s_cbranch_execz .LBB100_414
; %bb.411:
	v_add_nc_u32_e32 v82, 0x260, v85
	v_add3_u32 v83, 0, v85, 16
	v_mov_b32_e32 v84, v0
	s_mov_b32 s44, 0
	.p2align	6
.LBB100_412:                            ; =>This Inner Loop Header: Depth=1
	s_clause 0x3
	buffer_load_dword v90, v83, s[0:3], 0 offen offset:8
	buffer_load_dword v91, v83, s[0:3], 0 offen offset:12
	buffer_load_dword v92, v83, s[0:3], 0 offen
	buffer_load_dword v93, v83, s[0:3], 0 offen offset:4
	ds_read_b128 v[86:89], v82
	v_add_nc_u32_e32 v84, 1, v84
	v_add_nc_u32_e32 v82, 16, v82
	;; [unrolled: 1-line block ×3, first 2 shown]
	v_cmp_lt_u32_e32 vcc_lo, 14, v84
	s_or_b32 s44, vcc_lo, s44
	s_waitcnt vmcnt(2) lgkmcnt(0)
	v_mul_f64 v[94:95], v[88:89], v[90:91]
	v_mul_f64 v[90:91], v[86:87], v[90:91]
	s_waitcnt vmcnt(0)
	v_fma_f64 v[86:87], v[86:87], v[92:93], -v[94:95]
	v_fma_f64 v[88:89], v[88:89], v[92:93], v[90:91]
	v_add_f64 v[1:2], v[1:2], v[86:87]
	v_add_f64 v[3:4], v[3:4], v[88:89]
	s_andn2_b32 exec_lo, exec_lo, s44
	s_cbranch_execnz .LBB100_412
; %bb.413:
	s_or_b32 exec_lo, exec_lo, s44
.LBB100_414:
	s_or_b32 exec_lo, exec_lo, s8
	v_mov_b32_e32 v82, 0
	ds_read_b128 v[86:89], v82 offset:256
	s_waitcnt lgkmcnt(0)
	v_mul_f64 v[82:83], v[3:4], v[88:89]
	v_mul_f64 v[88:89], v[1:2], v[88:89]
	v_fma_f64 v[1:2], v[1:2], v[86:87], -v[82:83]
	v_fma_f64 v[3:4], v[3:4], v[86:87], v[88:89]
	buffer_store_dword v2, off, s[0:3], 0 offset:260
	buffer_store_dword v1, off, s[0:3], 0 offset:256
	buffer_store_dword v4, off, s[0:3], 0 offset:268
	buffer_store_dword v3, off, s[0:3], 0 offset:264
.LBB100_415:
	s_or_b32 exec_lo, exec_lo, s4
	v_mov_b32_e32 v4, s26
	s_mov_b32 s4, exec_lo
	s_clause 0x3
	buffer_load_dword v1, v4, s[0:3], 0 offen
	buffer_load_dword v2, v4, s[0:3], 0 offen offset:4
	buffer_load_dword v3, v4, s[0:3], 0 offen offset:8
	buffer_load_dword v4, v4, s[0:3], 0 offen offset:12
	s_waitcnt vmcnt(0)
	ds_write_b128 v80, v[1:4]
	s_waitcnt lgkmcnt(0)
	s_waitcnt_vscnt null, 0x0
	s_barrier
	buffer_gl0_inv
	v_cmpx_gt_u32_e32 17, v0
	s_cbranch_execz .LBB100_423
; %bb.416:
	ds_read_b128 v[1:4], v80
	v_cmp_ne_u32_e32 vcc_lo, 1, v81
	s_cbranch_vccnz .LBB100_418
; %bb.417:
	s_clause 0x3
	buffer_load_dword v82, v79, s[0:3], 0 offen offset:8
	buffer_load_dword v83, v79, s[0:3], 0 offen offset:12
	buffer_load_dword v86, v79, s[0:3], 0 offen
	buffer_load_dword v87, v79, s[0:3], 0 offen offset:4
	s_waitcnt vmcnt(2) lgkmcnt(0)
	v_mul_f64 v[88:89], v[3:4], v[82:83]
	v_mul_f64 v[82:83], v[1:2], v[82:83]
	s_waitcnt vmcnt(0)
	v_fma_f64 v[1:2], v[1:2], v[86:87], -v[88:89]
	v_fma_f64 v[3:4], v[3:4], v[86:87], v[82:83]
.LBB100_418:
	s_mov_b32 s8, exec_lo
	v_cmpx_ne_u32_e32 16, v0
	s_cbranch_execz .LBB100_422
; %bb.419:
	v_add_nc_u32_e32 v82, 0x260, v85
	v_add3_u32 v83, 0, v85, 16
	v_mov_b32_e32 v84, v0
	s_mov_b32 s44, 0
	.p2align	6
.LBB100_420:                            ; =>This Inner Loop Header: Depth=1
	s_clause 0x3
	buffer_load_dword v90, v83, s[0:3], 0 offen offset:8
	buffer_load_dword v91, v83, s[0:3], 0 offen offset:12
	buffer_load_dword v92, v83, s[0:3], 0 offen
	buffer_load_dword v93, v83, s[0:3], 0 offen offset:4
	ds_read_b128 v[86:89], v82
	v_add_nc_u32_e32 v84, 1, v84
	v_add_nc_u32_e32 v82, 16, v82
	;; [unrolled: 1-line block ×3, first 2 shown]
	v_cmp_lt_u32_e32 vcc_lo, 15, v84
	s_or_b32 s44, vcc_lo, s44
	s_waitcnt vmcnt(2) lgkmcnt(0)
	v_mul_f64 v[94:95], v[88:89], v[90:91]
	v_mul_f64 v[90:91], v[86:87], v[90:91]
	s_waitcnt vmcnt(0)
	v_fma_f64 v[86:87], v[86:87], v[92:93], -v[94:95]
	v_fma_f64 v[88:89], v[88:89], v[92:93], v[90:91]
	v_add_f64 v[1:2], v[1:2], v[86:87]
	v_add_f64 v[3:4], v[3:4], v[88:89]
	s_andn2_b32 exec_lo, exec_lo, s44
	s_cbranch_execnz .LBB100_420
; %bb.421:
	s_or_b32 exec_lo, exec_lo, s44
.LBB100_422:
	s_or_b32 exec_lo, exec_lo, s8
	v_mov_b32_e32 v82, 0
	ds_read_b128 v[86:89], v82 offset:272
	s_waitcnt lgkmcnt(0)
	v_mul_f64 v[82:83], v[3:4], v[88:89]
	v_mul_f64 v[88:89], v[1:2], v[88:89]
	v_fma_f64 v[1:2], v[1:2], v[86:87], -v[82:83]
	v_fma_f64 v[3:4], v[3:4], v[86:87], v[88:89]
	buffer_store_dword v2, off, s[0:3], 0 offset:276
	buffer_store_dword v1, off, s[0:3], 0 offset:272
	;; [unrolled: 1-line block ×4, first 2 shown]
.LBB100_423:
	s_or_b32 exec_lo, exec_lo, s4
	v_mov_b32_e32 v4, s25
	s_mov_b32 s4, exec_lo
	s_clause 0x3
	buffer_load_dword v1, v4, s[0:3], 0 offen
	buffer_load_dword v2, v4, s[0:3], 0 offen offset:4
	buffer_load_dword v3, v4, s[0:3], 0 offen offset:8
	;; [unrolled: 1-line block ×3, first 2 shown]
	s_waitcnt vmcnt(0)
	ds_write_b128 v80, v[1:4]
	s_waitcnt lgkmcnt(0)
	s_waitcnt_vscnt null, 0x0
	s_barrier
	buffer_gl0_inv
	v_cmpx_gt_u32_e32 18, v0
	s_cbranch_execz .LBB100_431
; %bb.424:
	ds_read_b128 v[1:4], v80
	v_cmp_ne_u32_e32 vcc_lo, 1, v81
	s_cbranch_vccnz .LBB100_426
; %bb.425:
	s_clause 0x3
	buffer_load_dword v82, v79, s[0:3], 0 offen offset:8
	buffer_load_dword v83, v79, s[0:3], 0 offen offset:12
	buffer_load_dword v86, v79, s[0:3], 0 offen
	buffer_load_dword v87, v79, s[0:3], 0 offen offset:4
	s_waitcnt vmcnt(2) lgkmcnt(0)
	v_mul_f64 v[88:89], v[3:4], v[82:83]
	v_mul_f64 v[82:83], v[1:2], v[82:83]
	s_waitcnt vmcnt(0)
	v_fma_f64 v[1:2], v[1:2], v[86:87], -v[88:89]
	v_fma_f64 v[3:4], v[3:4], v[86:87], v[82:83]
.LBB100_426:
	s_mov_b32 s8, exec_lo
	v_cmpx_ne_u32_e32 17, v0
	s_cbranch_execz .LBB100_430
; %bb.427:
	v_add_nc_u32_e32 v82, 0x260, v85
	v_add3_u32 v83, 0, v85, 16
	v_mov_b32_e32 v84, v0
	s_mov_b32 s44, 0
	.p2align	6
.LBB100_428:                            ; =>This Inner Loop Header: Depth=1
	s_clause 0x3
	buffer_load_dword v90, v83, s[0:3], 0 offen offset:8
	buffer_load_dword v91, v83, s[0:3], 0 offen offset:12
	buffer_load_dword v92, v83, s[0:3], 0 offen
	buffer_load_dword v93, v83, s[0:3], 0 offen offset:4
	ds_read_b128 v[86:89], v82
	v_add_nc_u32_e32 v84, 1, v84
	v_add_nc_u32_e32 v82, 16, v82
	;; [unrolled: 1-line block ×3, first 2 shown]
	v_cmp_lt_u32_e32 vcc_lo, 16, v84
	s_or_b32 s44, vcc_lo, s44
	s_waitcnt vmcnt(2) lgkmcnt(0)
	v_mul_f64 v[94:95], v[88:89], v[90:91]
	v_mul_f64 v[90:91], v[86:87], v[90:91]
	s_waitcnt vmcnt(0)
	v_fma_f64 v[86:87], v[86:87], v[92:93], -v[94:95]
	v_fma_f64 v[88:89], v[88:89], v[92:93], v[90:91]
	v_add_f64 v[1:2], v[1:2], v[86:87]
	v_add_f64 v[3:4], v[3:4], v[88:89]
	s_andn2_b32 exec_lo, exec_lo, s44
	s_cbranch_execnz .LBB100_428
; %bb.429:
	s_or_b32 exec_lo, exec_lo, s44
.LBB100_430:
	s_or_b32 exec_lo, exec_lo, s8
	v_mov_b32_e32 v82, 0
	ds_read_b128 v[86:89], v82 offset:288
	s_waitcnt lgkmcnt(0)
	v_mul_f64 v[82:83], v[3:4], v[88:89]
	v_mul_f64 v[88:89], v[1:2], v[88:89]
	v_fma_f64 v[1:2], v[1:2], v[86:87], -v[82:83]
	v_fma_f64 v[3:4], v[3:4], v[86:87], v[88:89]
	buffer_store_dword v2, off, s[0:3], 0 offset:292
	buffer_store_dword v1, off, s[0:3], 0 offset:288
	;; [unrolled: 1-line block ×4, first 2 shown]
.LBB100_431:
	s_or_b32 exec_lo, exec_lo, s4
	v_mov_b32_e32 v4, s24
	s_mov_b32 s4, exec_lo
	s_clause 0x3
	buffer_load_dword v1, v4, s[0:3], 0 offen
	buffer_load_dword v2, v4, s[0:3], 0 offen offset:4
	buffer_load_dword v3, v4, s[0:3], 0 offen offset:8
	;; [unrolled: 1-line block ×3, first 2 shown]
	s_waitcnt vmcnt(0)
	ds_write_b128 v80, v[1:4]
	s_waitcnt lgkmcnt(0)
	s_waitcnt_vscnt null, 0x0
	s_barrier
	buffer_gl0_inv
	v_cmpx_gt_u32_e32 19, v0
	s_cbranch_execz .LBB100_439
; %bb.432:
	ds_read_b128 v[1:4], v80
	v_cmp_ne_u32_e32 vcc_lo, 1, v81
	s_cbranch_vccnz .LBB100_434
; %bb.433:
	s_clause 0x3
	buffer_load_dword v82, v79, s[0:3], 0 offen offset:8
	buffer_load_dword v83, v79, s[0:3], 0 offen offset:12
	buffer_load_dword v86, v79, s[0:3], 0 offen
	buffer_load_dword v87, v79, s[0:3], 0 offen offset:4
	s_waitcnt vmcnt(2) lgkmcnt(0)
	v_mul_f64 v[88:89], v[3:4], v[82:83]
	v_mul_f64 v[82:83], v[1:2], v[82:83]
	s_waitcnt vmcnt(0)
	v_fma_f64 v[1:2], v[1:2], v[86:87], -v[88:89]
	v_fma_f64 v[3:4], v[3:4], v[86:87], v[82:83]
.LBB100_434:
	s_mov_b32 s8, exec_lo
	v_cmpx_ne_u32_e32 18, v0
	s_cbranch_execz .LBB100_438
; %bb.435:
	v_add_nc_u32_e32 v82, 0x260, v85
	v_add3_u32 v83, 0, v85, 16
	v_mov_b32_e32 v84, v0
	s_mov_b32 s44, 0
	.p2align	6
.LBB100_436:                            ; =>This Inner Loop Header: Depth=1
	s_clause 0x3
	buffer_load_dword v90, v83, s[0:3], 0 offen offset:8
	buffer_load_dword v91, v83, s[0:3], 0 offen offset:12
	buffer_load_dword v92, v83, s[0:3], 0 offen
	buffer_load_dword v93, v83, s[0:3], 0 offen offset:4
	ds_read_b128 v[86:89], v82
	v_add_nc_u32_e32 v84, 1, v84
	v_add_nc_u32_e32 v82, 16, v82
	;; [unrolled: 1-line block ×3, first 2 shown]
	v_cmp_lt_u32_e32 vcc_lo, 17, v84
	s_or_b32 s44, vcc_lo, s44
	s_waitcnt vmcnt(2) lgkmcnt(0)
	v_mul_f64 v[94:95], v[88:89], v[90:91]
	v_mul_f64 v[90:91], v[86:87], v[90:91]
	s_waitcnt vmcnt(0)
	v_fma_f64 v[86:87], v[86:87], v[92:93], -v[94:95]
	v_fma_f64 v[88:89], v[88:89], v[92:93], v[90:91]
	v_add_f64 v[1:2], v[1:2], v[86:87]
	v_add_f64 v[3:4], v[3:4], v[88:89]
	s_andn2_b32 exec_lo, exec_lo, s44
	s_cbranch_execnz .LBB100_436
; %bb.437:
	s_or_b32 exec_lo, exec_lo, s44
.LBB100_438:
	s_or_b32 exec_lo, exec_lo, s8
	v_mov_b32_e32 v82, 0
	ds_read_b128 v[86:89], v82 offset:304
	s_waitcnt lgkmcnt(0)
	v_mul_f64 v[82:83], v[3:4], v[88:89]
	v_mul_f64 v[88:89], v[1:2], v[88:89]
	v_fma_f64 v[1:2], v[1:2], v[86:87], -v[82:83]
	v_fma_f64 v[3:4], v[3:4], v[86:87], v[88:89]
	buffer_store_dword v2, off, s[0:3], 0 offset:308
	buffer_store_dword v1, off, s[0:3], 0 offset:304
	;; [unrolled: 1-line block ×4, first 2 shown]
.LBB100_439:
	s_or_b32 exec_lo, exec_lo, s4
	v_mov_b32_e32 v4, s23
	s_mov_b32 s4, exec_lo
	s_clause 0x3
	buffer_load_dword v1, v4, s[0:3], 0 offen
	buffer_load_dword v2, v4, s[0:3], 0 offen offset:4
	buffer_load_dword v3, v4, s[0:3], 0 offen offset:8
	;; [unrolled: 1-line block ×3, first 2 shown]
	s_waitcnt vmcnt(0)
	ds_write_b128 v80, v[1:4]
	s_waitcnt lgkmcnt(0)
	s_waitcnt_vscnt null, 0x0
	s_barrier
	buffer_gl0_inv
	v_cmpx_gt_u32_e32 20, v0
	s_cbranch_execz .LBB100_447
; %bb.440:
	ds_read_b128 v[1:4], v80
	v_cmp_ne_u32_e32 vcc_lo, 1, v81
	s_cbranch_vccnz .LBB100_442
; %bb.441:
	s_clause 0x3
	buffer_load_dword v82, v79, s[0:3], 0 offen offset:8
	buffer_load_dword v83, v79, s[0:3], 0 offen offset:12
	buffer_load_dword v86, v79, s[0:3], 0 offen
	buffer_load_dword v87, v79, s[0:3], 0 offen offset:4
	s_waitcnt vmcnt(2) lgkmcnt(0)
	v_mul_f64 v[88:89], v[3:4], v[82:83]
	v_mul_f64 v[82:83], v[1:2], v[82:83]
	s_waitcnt vmcnt(0)
	v_fma_f64 v[1:2], v[1:2], v[86:87], -v[88:89]
	v_fma_f64 v[3:4], v[3:4], v[86:87], v[82:83]
.LBB100_442:
	s_mov_b32 s8, exec_lo
	v_cmpx_ne_u32_e32 19, v0
	s_cbranch_execz .LBB100_446
; %bb.443:
	v_add_nc_u32_e32 v82, 0x260, v85
	v_add3_u32 v83, 0, v85, 16
	v_mov_b32_e32 v84, v0
	s_mov_b32 s44, 0
	.p2align	6
.LBB100_444:                            ; =>This Inner Loop Header: Depth=1
	s_clause 0x3
	buffer_load_dword v90, v83, s[0:3], 0 offen offset:8
	buffer_load_dword v91, v83, s[0:3], 0 offen offset:12
	buffer_load_dword v92, v83, s[0:3], 0 offen
	buffer_load_dword v93, v83, s[0:3], 0 offen offset:4
	ds_read_b128 v[86:89], v82
	v_add_nc_u32_e32 v84, 1, v84
	v_add_nc_u32_e32 v82, 16, v82
	;; [unrolled: 1-line block ×3, first 2 shown]
	v_cmp_lt_u32_e32 vcc_lo, 18, v84
	s_or_b32 s44, vcc_lo, s44
	s_waitcnt vmcnt(2) lgkmcnt(0)
	v_mul_f64 v[94:95], v[88:89], v[90:91]
	v_mul_f64 v[90:91], v[86:87], v[90:91]
	s_waitcnt vmcnt(0)
	v_fma_f64 v[86:87], v[86:87], v[92:93], -v[94:95]
	v_fma_f64 v[88:89], v[88:89], v[92:93], v[90:91]
	v_add_f64 v[1:2], v[1:2], v[86:87]
	v_add_f64 v[3:4], v[3:4], v[88:89]
	s_andn2_b32 exec_lo, exec_lo, s44
	s_cbranch_execnz .LBB100_444
; %bb.445:
	s_or_b32 exec_lo, exec_lo, s44
.LBB100_446:
	s_or_b32 exec_lo, exec_lo, s8
	v_mov_b32_e32 v82, 0
	ds_read_b128 v[86:89], v82 offset:320
	s_waitcnt lgkmcnt(0)
	v_mul_f64 v[82:83], v[3:4], v[88:89]
	v_mul_f64 v[88:89], v[1:2], v[88:89]
	v_fma_f64 v[1:2], v[1:2], v[86:87], -v[82:83]
	v_fma_f64 v[3:4], v[3:4], v[86:87], v[88:89]
	buffer_store_dword v2, off, s[0:3], 0 offset:324
	buffer_store_dword v1, off, s[0:3], 0 offset:320
	;; [unrolled: 1-line block ×4, first 2 shown]
.LBB100_447:
	s_or_b32 exec_lo, exec_lo, s4
	v_mov_b32_e32 v4, s22
	s_mov_b32 s4, exec_lo
	s_clause 0x3
	buffer_load_dword v1, v4, s[0:3], 0 offen
	buffer_load_dword v2, v4, s[0:3], 0 offen offset:4
	buffer_load_dword v3, v4, s[0:3], 0 offen offset:8
	;; [unrolled: 1-line block ×3, first 2 shown]
	s_waitcnt vmcnt(0)
	ds_write_b128 v80, v[1:4]
	s_waitcnt lgkmcnt(0)
	s_waitcnt_vscnt null, 0x0
	s_barrier
	buffer_gl0_inv
	v_cmpx_gt_u32_e32 21, v0
	s_cbranch_execz .LBB100_455
; %bb.448:
	ds_read_b128 v[1:4], v80
	v_cmp_ne_u32_e32 vcc_lo, 1, v81
	s_cbranch_vccnz .LBB100_450
; %bb.449:
	s_clause 0x3
	buffer_load_dword v82, v79, s[0:3], 0 offen offset:8
	buffer_load_dword v83, v79, s[0:3], 0 offen offset:12
	buffer_load_dword v86, v79, s[0:3], 0 offen
	buffer_load_dword v87, v79, s[0:3], 0 offen offset:4
	s_waitcnt vmcnt(2) lgkmcnt(0)
	v_mul_f64 v[88:89], v[3:4], v[82:83]
	v_mul_f64 v[82:83], v[1:2], v[82:83]
	s_waitcnt vmcnt(0)
	v_fma_f64 v[1:2], v[1:2], v[86:87], -v[88:89]
	v_fma_f64 v[3:4], v[3:4], v[86:87], v[82:83]
.LBB100_450:
	s_mov_b32 s8, exec_lo
	v_cmpx_ne_u32_e32 20, v0
	s_cbranch_execz .LBB100_454
; %bb.451:
	v_add_nc_u32_e32 v82, 0x260, v85
	v_add3_u32 v83, 0, v85, 16
	v_mov_b32_e32 v84, v0
	s_mov_b32 s44, 0
	.p2align	6
.LBB100_452:                            ; =>This Inner Loop Header: Depth=1
	s_clause 0x3
	buffer_load_dword v90, v83, s[0:3], 0 offen offset:8
	buffer_load_dword v91, v83, s[0:3], 0 offen offset:12
	buffer_load_dword v92, v83, s[0:3], 0 offen
	buffer_load_dword v93, v83, s[0:3], 0 offen offset:4
	ds_read_b128 v[86:89], v82
	v_add_nc_u32_e32 v84, 1, v84
	v_add_nc_u32_e32 v82, 16, v82
	;; [unrolled: 1-line block ×3, first 2 shown]
	v_cmp_lt_u32_e32 vcc_lo, 19, v84
	s_or_b32 s44, vcc_lo, s44
	s_waitcnt vmcnt(2) lgkmcnt(0)
	v_mul_f64 v[94:95], v[88:89], v[90:91]
	v_mul_f64 v[90:91], v[86:87], v[90:91]
	s_waitcnt vmcnt(0)
	v_fma_f64 v[86:87], v[86:87], v[92:93], -v[94:95]
	v_fma_f64 v[88:89], v[88:89], v[92:93], v[90:91]
	v_add_f64 v[1:2], v[1:2], v[86:87]
	v_add_f64 v[3:4], v[3:4], v[88:89]
	s_andn2_b32 exec_lo, exec_lo, s44
	s_cbranch_execnz .LBB100_452
; %bb.453:
	s_or_b32 exec_lo, exec_lo, s44
.LBB100_454:
	s_or_b32 exec_lo, exec_lo, s8
	v_mov_b32_e32 v82, 0
	ds_read_b128 v[86:89], v82 offset:336
	s_waitcnt lgkmcnt(0)
	v_mul_f64 v[82:83], v[3:4], v[88:89]
	v_mul_f64 v[88:89], v[1:2], v[88:89]
	v_fma_f64 v[1:2], v[1:2], v[86:87], -v[82:83]
	v_fma_f64 v[3:4], v[3:4], v[86:87], v[88:89]
	buffer_store_dword v2, off, s[0:3], 0 offset:340
	buffer_store_dword v1, off, s[0:3], 0 offset:336
	;; [unrolled: 1-line block ×4, first 2 shown]
.LBB100_455:
	s_or_b32 exec_lo, exec_lo, s4
	v_mov_b32_e32 v4, s21
	s_mov_b32 s4, exec_lo
	s_clause 0x3
	buffer_load_dword v1, v4, s[0:3], 0 offen
	buffer_load_dword v2, v4, s[0:3], 0 offen offset:4
	buffer_load_dword v3, v4, s[0:3], 0 offen offset:8
	;; [unrolled: 1-line block ×3, first 2 shown]
	s_waitcnt vmcnt(0)
	ds_write_b128 v80, v[1:4]
	s_waitcnt lgkmcnt(0)
	s_waitcnt_vscnt null, 0x0
	s_barrier
	buffer_gl0_inv
	v_cmpx_gt_u32_e32 22, v0
	s_cbranch_execz .LBB100_463
; %bb.456:
	ds_read_b128 v[1:4], v80
	v_cmp_ne_u32_e32 vcc_lo, 1, v81
	s_cbranch_vccnz .LBB100_458
; %bb.457:
	s_clause 0x3
	buffer_load_dword v82, v79, s[0:3], 0 offen offset:8
	buffer_load_dword v83, v79, s[0:3], 0 offen offset:12
	buffer_load_dword v86, v79, s[0:3], 0 offen
	buffer_load_dword v87, v79, s[0:3], 0 offen offset:4
	s_waitcnt vmcnt(2) lgkmcnt(0)
	v_mul_f64 v[88:89], v[3:4], v[82:83]
	v_mul_f64 v[82:83], v[1:2], v[82:83]
	s_waitcnt vmcnt(0)
	v_fma_f64 v[1:2], v[1:2], v[86:87], -v[88:89]
	v_fma_f64 v[3:4], v[3:4], v[86:87], v[82:83]
.LBB100_458:
	s_mov_b32 s8, exec_lo
	v_cmpx_ne_u32_e32 21, v0
	s_cbranch_execz .LBB100_462
; %bb.459:
	v_add_nc_u32_e32 v82, 0x260, v85
	v_add3_u32 v83, 0, v85, 16
	v_mov_b32_e32 v84, v0
	s_mov_b32 s44, 0
	.p2align	6
.LBB100_460:                            ; =>This Inner Loop Header: Depth=1
	s_clause 0x3
	buffer_load_dword v90, v83, s[0:3], 0 offen offset:8
	buffer_load_dword v91, v83, s[0:3], 0 offen offset:12
	buffer_load_dword v92, v83, s[0:3], 0 offen
	buffer_load_dword v93, v83, s[0:3], 0 offen offset:4
	ds_read_b128 v[86:89], v82
	v_add_nc_u32_e32 v84, 1, v84
	v_add_nc_u32_e32 v82, 16, v82
	;; [unrolled: 1-line block ×3, first 2 shown]
	v_cmp_lt_u32_e32 vcc_lo, 20, v84
	s_or_b32 s44, vcc_lo, s44
	s_waitcnt vmcnt(2) lgkmcnt(0)
	v_mul_f64 v[94:95], v[88:89], v[90:91]
	v_mul_f64 v[90:91], v[86:87], v[90:91]
	s_waitcnt vmcnt(0)
	v_fma_f64 v[86:87], v[86:87], v[92:93], -v[94:95]
	v_fma_f64 v[88:89], v[88:89], v[92:93], v[90:91]
	v_add_f64 v[1:2], v[1:2], v[86:87]
	v_add_f64 v[3:4], v[3:4], v[88:89]
	s_andn2_b32 exec_lo, exec_lo, s44
	s_cbranch_execnz .LBB100_460
; %bb.461:
	s_or_b32 exec_lo, exec_lo, s44
.LBB100_462:
	s_or_b32 exec_lo, exec_lo, s8
	v_mov_b32_e32 v82, 0
	ds_read_b128 v[86:89], v82 offset:352
	s_waitcnt lgkmcnt(0)
	v_mul_f64 v[82:83], v[3:4], v[88:89]
	v_mul_f64 v[88:89], v[1:2], v[88:89]
	v_fma_f64 v[1:2], v[1:2], v[86:87], -v[82:83]
	v_fma_f64 v[3:4], v[3:4], v[86:87], v[88:89]
	buffer_store_dword v2, off, s[0:3], 0 offset:356
	buffer_store_dword v1, off, s[0:3], 0 offset:352
	buffer_store_dword v4, off, s[0:3], 0 offset:364
	buffer_store_dword v3, off, s[0:3], 0 offset:360
.LBB100_463:
	s_or_b32 exec_lo, exec_lo, s4
	v_mov_b32_e32 v4, s20
	s_mov_b32 s4, exec_lo
	s_clause 0x3
	buffer_load_dword v1, v4, s[0:3], 0 offen
	buffer_load_dword v2, v4, s[0:3], 0 offen offset:4
	buffer_load_dword v3, v4, s[0:3], 0 offen offset:8
	;; [unrolled: 1-line block ×3, first 2 shown]
	s_waitcnt vmcnt(0)
	ds_write_b128 v80, v[1:4]
	s_waitcnt lgkmcnt(0)
	s_waitcnt_vscnt null, 0x0
	s_barrier
	buffer_gl0_inv
	v_cmpx_gt_u32_e32 23, v0
	s_cbranch_execz .LBB100_471
; %bb.464:
	ds_read_b128 v[1:4], v80
	v_cmp_ne_u32_e32 vcc_lo, 1, v81
	s_cbranch_vccnz .LBB100_466
; %bb.465:
	s_clause 0x3
	buffer_load_dword v82, v79, s[0:3], 0 offen offset:8
	buffer_load_dword v83, v79, s[0:3], 0 offen offset:12
	buffer_load_dword v86, v79, s[0:3], 0 offen
	buffer_load_dword v87, v79, s[0:3], 0 offen offset:4
	s_waitcnt vmcnt(2) lgkmcnt(0)
	v_mul_f64 v[88:89], v[3:4], v[82:83]
	v_mul_f64 v[82:83], v[1:2], v[82:83]
	s_waitcnt vmcnt(0)
	v_fma_f64 v[1:2], v[1:2], v[86:87], -v[88:89]
	v_fma_f64 v[3:4], v[3:4], v[86:87], v[82:83]
.LBB100_466:
	s_mov_b32 s8, exec_lo
	v_cmpx_ne_u32_e32 22, v0
	s_cbranch_execz .LBB100_470
; %bb.467:
	v_add_nc_u32_e32 v82, 0x260, v85
	v_add3_u32 v83, 0, v85, 16
	v_mov_b32_e32 v84, v0
	s_mov_b32 s44, 0
	.p2align	6
.LBB100_468:                            ; =>This Inner Loop Header: Depth=1
	s_clause 0x3
	buffer_load_dword v90, v83, s[0:3], 0 offen offset:8
	buffer_load_dword v91, v83, s[0:3], 0 offen offset:12
	buffer_load_dword v92, v83, s[0:3], 0 offen
	buffer_load_dword v93, v83, s[0:3], 0 offen offset:4
	ds_read_b128 v[86:89], v82
	v_add_nc_u32_e32 v84, 1, v84
	v_add_nc_u32_e32 v82, 16, v82
	;; [unrolled: 1-line block ×3, first 2 shown]
	v_cmp_lt_u32_e32 vcc_lo, 21, v84
	s_or_b32 s44, vcc_lo, s44
	s_waitcnt vmcnt(2) lgkmcnt(0)
	v_mul_f64 v[94:95], v[88:89], v[90:91]
	v_mul_f64 v[90:91], v[86:87], v[90:91]
	s_waitcnt vmcnt(0)
	v_fma_f64 v[86:87], v[86:87], v[92:93], -v[94:95]
	v_fma_f64 v[88:89], v[88:89], v[92:93], v[90:91]
	v_add_f64 v[1:2], v[1:2], v[86:87]
	v_add_f64 v[3:4], v[3:4], v[88:89]
	s_andn2_b32 exec_lo, exec_lo, s44
	s_cbranch_execnz .LBB100_468
; %bb.469:
	s_or_b32 exec_lo, exec_lo, s44
.LBB100_470:
	s_or_b32 exec_lo, exec_lo, s8
	v_mov_b32_e32 v82, 0
	ds_read_b128 v[86:89], v82 offset:368
	s_waitcnt lgkmcnt(0)
	v_mul_f64 v[82:83], v[3:4], v[88:89]
	v_mul_f64 v[88:89], v[1:2], v[88:89]
	v_fma_f64 v[1:2], v[1:2], v[86:87], -v[82:83]
	v_fma_f64 v[3:4], v[3:4], v[86:87], v[88:89]
	buffer_store_dword v2, off, s[0:3], 0 offset:372
	buffer_store_dword v1, off, s[0:3], 0 offset:368
	;; [unrolled: 1-line block ×4, first 2 shown]
.LBB100_471:
	s_or_b32 exec_lo, exec_lo, s4
	v_mov_b32_e32 v4, s19
	s_mov_b32 s4, exec_lo
	s_clause 0x3
	buffer_load_dword v1, v4, s[0:3], 0 offen
	buffer_load_dword v2, v4, s[0:3], 0 offen offset:4
	buffer_load_dword v3, v4, s[0:3], 0 offen offset:8
	;; [unrolled: 1-line block ×3, first 2 shown]
	s_waitcnt vmcnt(0)
	ds_write_b128 v80, v[1:4]
	s_waitcnt lgkmcnt(0)
	s_waitcnt_vscnt null, 0x0
	s_barrier
	buffer_gl0_inv
	v_cmpx_gt_u32_e32 24, v0
	s_cbranch_execz .LBB100_479
; %bb.472:
	ds_read_b128 v[1:4], v80
	v_cmp_ne_u32_e32 vcc_lo, 1, v81
	s_cbranch_vccnz .LBB100_474
; %bb.473:
	s_clause 0x3
	buffer_load_dword v82, v79, s[0:3], 0 offen offset:8
	buffer_load_dword v83, v79, s[0:3], 0 offen offset:12
	buffer_load_dword v86, v79, s[0:3], 0 offen
	buffer_load_dword v87, v79, s[0:3], 0 offen offset:4
	s_waitcnt vmcnt(2) lgkmcnt(0)
	v_mul_f64 v[88:89], v[3:4], v[82:83]
	v_mul_f64 v[82:83], v[1:2], v[82:83]
	s_waitcnt vmcnt(0)
	v_fma_f64 v[1:2], v[1:2], v[86:87], -v[88:89]
	v_fma_f64 v[3:4], v[3:4], v[86:87], v[82:83]
.LBB100_474:
	s_mov_b32 s8, exec_lo
	v_cmpx_ne_u32_e32 23, v0
	s_cbranch_execz .LBB100_478
; %bb.475:
	v_add_nc_u32_e32 v82, 0x260, v85
	v_add3_u32 v83, 0, v85, 16
	v_mov_b32_e32 v84, v0
	s_mov_b32 s44, 0
	.p2align	6
.LBB100_476:                            ; =>This Inner Loop Header: Depth=1
	s_clause 0x3
	buffer_load_dword v90, v83, s[0:3], 0 offen offset:8
	buffer_load_dword v91, v83, s[0:3], 0 offen offset:12
	buffer_load_dword v92, v83, s[0:3], 0 offen
	buffer_load_dword v93, v83, s[0:3], 0 offen offset:4
	ds_read_b128 v[86:89], v82
	v_add_nc_u32_e32 v84, 1, v84
	v_add_nc_u32_e32 v82, 16, v82
	;; [unrolled: 1-line block ×3, first 2 shown]
	v_cmp_lt_u32_e32 vcc_lo, 22, v84
	s_or_b32 s44, vcc_lo, s44
	s_waitcnt vmcnt(2) lgkmcnt(0)
	v_mul_f64 v[94:95], v[88:89], v[90:91]
	v_mul_f64 v[90:91], v[86:87], v[90:91]
	s_waitcnt vmcnt(0)
	v_fma_f64 v[86:87], v[86:87], v[92:93], -v[94:95]
	v_fma_f64 v[88:89], v[88:89], v[92:93], v[90:91]
	v_add_f64 v[1:2], v[1:2], v[86:87]
	v_add_f64 v[3:4], v[3:4], v[88:89]
	s_andn2_b32 exec_lo, exec_lo, s44
	s_cbranch_execnz .LBB100_476
; %bb.477:
	s_or_b32 exec_lo, exec_lo, s44
.LBB100_478:
	s_or_b32 exec_lo, exec_lo, s8
	v_mov_b32_e32 v82, 0
	ds_read_b128 v[86:89], v82 offset:384
	s_waitcnt lgkmcnt(0)
	v_mul_f64 v[82:83], v[3:4], v[88:89]
	v_mul_f64 v[88:89], v[1:2], v[88:89]
	v_fma_f64 v[1:2], v[1:2], v[86:87], -v[82:83]
	v_fma_f64 v[3:4], v[3:4], v[86:87], v[88:89]
	buffer_store_dword v2, off, s[0:3], 0 offset:388
	buffer_store_dword v1, off, s[0:3], 0 offset:384
	;; [unrolled: 1-line block ×4, first 2 shown]
.LBB100_479:
	s_or_b32 exec_lo, exec_lo, s4
	v_mov_b32_e32 v4, s18
	s_mov_b32 s4, exec_lo
	s_clause 0x3
	buffer_load_dword v1, v4, s[0:3], 0 offen
	buffer_load_dword v2, v4, s[0:3], 0 offen offset:4
	buffer_load_dword v3, v4, s[0:3], 0 offen offset:8
	;; [unrolled: 1-line block ×3, first 2 shown]
	s_waitcnt vmcnt(0)
	ds_write_b128 v80, v[1:4]
	s_waitcnt lgkmcnt(0)
	s_waitcnt_vscnt null, 0x0
	s_barrier
	buffer_gl0_inv
	v_cmpx_gt_u32_e32 25, v0
	s_cbranch_execz .LBB100_487
; %bb.480:
	ds_read_b128 v[1:4], v80
	v_cmp_ne_u32_e32 vcc_lo, 1, v81
	s_cbranch_vccnz .LBB100_482
; %bb.481:
	s_clause 0x3
	buffer_load_dword v82, v79, s[0:3], 0 offen offset:8
	buffer_load_dword v83, v79, s[0:3], 0 offen offset:12
	buffer_load_dword v86, v79, s[0:3], 0 offen
	buffer_load_dword v87, v79, s[0:3], 0 offen offset:4
	s_waitcnt vmcnt(2) lgkmcnt(0)
	v_mul_f64 v[88:89], v[3:4], v[82:83]
	v_mul_f64 v[82:83], v[1:2], v[82:83]
	s_waitcnt vmcnt(0)
	v_fma_f64 v[1:2], v[1:2], v[86:87], -v[88:89]
	v_fma_f64 v[3:4], v[3:4], v[86:87], v[82:83]
.LBB100_482:
	s_mov_b32 s8, exec_lo
	v_cmpx_ne_u32_e32 24, v0
	s_cbranch_execz .LBB100_486
; %bb.483:
	v_add_nc_u32_e32 v82, 0x260, v85
	v_add3_u32 v83, 0, v85, 16
	v_mov_b32_e32 v84, v0
	s_mov_b32 s44, 0
	.p2align	6
.LBB100_484:                            ; =>This Inner Loop Header: Depth=1
	s_clause 0x3
	buffer_load_dword v90, v83, s[0:3], 0 offen offset:8
	buffer_load_dword v91, v83, s[0:3], 0 offen offset:12
	buffer_load_dword v92, v83, s[0:3], 0 offen
	buffer_load_dword v93, v83, s[0:3], 0 offen offset:4
	ds_read_b128 v[86:89], v82
	v_add_nc_u32_e32 v84, 1, v84
	v_add_nc_u32_e32 v82, 16, v82
	v_add_nc_u32_e32 v83, 16, v83
	v_cmp_lt_u32_e32 vcc_lo, 23, v84
	s_or_b32 s44, vcc_lo, s44
	s_waitcnt vmcnt(2) lgkmcnt(0)
	v_mul_f64 v[94:95], v[88:89], v[90:91]
	v_mul_f64 v[90:91], v[86:87], v[90:91]
	s_waitcnt vmcnt(0)
	v_fma_f64 v[86:87], v[86:87], v[92:93], -v[94:95]
	v_fma_f64 v[88:89], v[88:89], v[92:93], v[90:91]
	v_add_f64 v[1:2], v[1:2], v[86:87]
	v_add_f64 v[3:4], v[3:4], v[88:89]
	s_andn2_b32 exec_lo, exec_lo, s44
	s_cbranch_execnz .LBB100_484
; %bb.485:
	s_or_b32 exec_lo, exec_lo, s44
.LBB100_486:
	s_or_b32 exec_lo, exec_lo, s8
	v_mov_b32_e32 v82, 0
	ds_read_b128 v[86:89], v82 offset:400
	s_waitcnt lgkmcnt(0)
	v_mul_f64 v[82:83], v[3:4], v[88:89]
	v_mul_f64 v[88:89], v[1:2], v[88:89]
	v_fma_f64 v[1:2], v[1:2], v[86:87], -v[82:83]
	v_fma_f64 v[3:4], v[3:4], v[86:87], v[88:89]
	buffer_store_dword v2, off, s[0:3], 0 offset:404
	buffer_store_dword v1, off, s[0:3], 0 offset:400
	;; [unrolled: 1-line block ×4, first 2 shown]
.LBB100_487:
	s_or_b32 exec_lo, exec_lo, s4
	v_mov_b32_e32 v4, s17
	s_mov_b32 s4, exec_lo
	s_clause 0x3
	buffer_load_dword v1, v4, s[0:3], 0 offen
	buffer_load_dword v2, v4, s[0:3], 0 offen offset:4
	buffer_load_dword v3, v4, s[0:3], 0 offen offset:8
	;; [unrolled: 1-line block ×3, first 2 shown]
	s_waitcnt vmcnt(0)
	ds_write_b128 v80, v[1:4]
	s_waitcnt lgkmcnt(0)
	s_waitcnt_vscnt null, 0x0
	s_barrier
	buffer_gl0_inv
	v_cmpx_gt_u32_e32 26, v0
	s_cbranch_execz .LBB100_495
; %bb.488:
	ds_read_b128 v[1:4], v80
	v_cmp_ne_u32_e32 vcc_lo, 1, v81
	s_cbranch_vccnz .LBB100_490
; %bb.489:
	s_clause 0x3
	buffer_load_dword v82, v79, s[0:3], 0 offen offset:8
	buffer_load_dword v83, v79, s[0:3], 0 offen offset:12
	buffer_load_dword v86, v79, s[0:3], 0 offen
	buffer_load_dword v87, v79, s[0:3], 0 offen offset:4
	s_waitcnt vmcnt(2) lgkmcnt(0)
	v_mul_f64 v[88:89], v[3:4], v[82:83]
	v_mul_f64 v[82:83], v[1:2], v[82:83]
	s_waitcnt vmcnt(0)
	v_fma_f64 v[1:2], v[1:2], v[86:87], -v[88:89]
	v_fma_f64 v[3:4], v[3:4], v[86:87], v[82:83]
.LBB100_490:
	s_mov_b32 s8, exec_lo
	v_cmpx_ne_u32_e32 25, v0
	s_cbranch_execz .LBB100_494
; %bb.491:
	v_add_nc_u32_e32 v82, 0x260, v85
	v_add3_u32 v83, 0, v85, 16
	v_mov_b32_e32 v84, v0
	s_mov_b32 s44, 0
	.p2align	6
.LBB100_492:                            ; =>This Inner Loop Header: Depth=1
	s_clause 0x3
	buffer_load_dword v90, v83, s[0:3], 0 offen offset:8
	buffer_load_dword v91, v83, s[0:3], 0 offen offset:12
	buffer_load_dword v92, v83, s[0:3], 0 offen
	buffer_load_dword v93, v83, s[0:3], 0 offen offset:4
	ds_read_b128 v[86:89], v82
	v_add_nc_u32_e32 v84, 1, v84
	v_add_nc_u32_e32 v82, 16, v82
	v_add_nc_u32_e32 v83, 16, v83
	v_cmp_lt_u32_e32 vcc_lo, 24, v84
	s_or_b32 s44, vcc_lo, s44
	s_waitcnt vmcnt(2) lgkmcnt(0)
	v_mul_f64 v[94:95], v[88:89], v[90:91]
	v_mul_f64 v[90:91], v[86:87], v[90:91]
	s_waitcnt vmcnt(0)
	v_fma_f64 v[86:87], v[86:87], v[92:93], -v[94:95]
	v_fma_f64 v[88:89], v[88:89], v[92:93], v[90:91]
	v_add_f64 v[1:2], v[1:2], v[86:87]
	v_add_f64 v[3:4], v[3:4], v[88:89]
	s_andn2_b32 exec_lo, exec_lo, s44
	s_cbranch_execnz .LBB100_492
; %bb.493:
	s_or_b32 exec_lo, exec_lo, s44
.LBB100_494:
	s_or_b32 exec_lo, exec_lo, s8
	v_mov_b32_e32 v82, 0
	ds_read_b128 v[86:89], v82 offset:416
	s_waitcnt lgkmcnt(0)
	v_mul_f64 v[82:83], v[3:4], v[88:89]
	v_mul_f64 v[88:89], v[1:2], v[88:89]
	v_fma_f64 v[1:2], v[1:2], v[86:87], -v[82:83]
	v_fma_f64 v[3:4], v[3:4], v[86:87], v[88:89]
	buffer_store_dword v2, off, s[0:3], 0 offset:420
	buffer_store_dword v1, off, s[0:3], 0 offset:416
	;; [unrolled: 1-line block ×4, first 2 shown]
.LBB100_495:
	s_or_b32 exec_lo, exec_lo, s4
	v_mov_b32_e32 v4, s16
	s_mov_b32 s4, exec_lo
	s_clause 0x3
	buffer_load_dword v1, v4, s[0:3], 0 offen
	buffer_load_dword v2, v4, s[0:3], 0 offen offset:4
	buffer_load_dword v3, v4, s[0:3], 0 offen offset:8
	;; [unrolled: 1-line block ×3, first 2 shown]
	s_waitcnt vmcnt(0)
	ds_write_b128 v80, v[1:4]
	s_waitcnt lgkmcnt(0)
	s_waitcnt_vscnt null, 0x0
	s_barrier
	buffer_gl0_inv
	v_cmpx_gt_u32_e32 27, v0
	s_cbranch_execz .LBB100_503
; %bb.496:
	ds_read_b128 v[1:4], v80
	v_cmp_ne_u32_e32 vcc_lo, 1, v81
	s_cbranch_vccnz .LBB100_498
; %bb.497:
	s_clause 0x3
	buffer_load_dword v82, v79, s[0:3], 0 offen offset:8
	buffer_load_dword v83, v79, s[0:3], 0 offen offset:12
	buffer_load_dword v86, v79, s[0:3], 0 offen
	buffer_load_dword v87, v79, s[0:3], 0 offen offset:4
	s_waitcnt vmcnt(2) lgkmcnt(0)
	v_mul_f64 v[88:89], v[3:4], v[82:83]
	v_mul_f64 v[82:83], v[1:2], v[82:83]
	s_waitcnt vmcnt(0)
	v_fma_f64 v[1:2], v[1:2], v[86:87], -v[88:89]
	v_fma_f64 v[3:4], v[3:4], v[86:87], v[82:83]
.LBB100_498:
	s_mov_b32 s8, exec_lo
	v_cmpx_ne_u32_e32 26, v0
	s_cbranch_execz .LBB100_502
; %bb.499:
	v_add_nc_u32_e32 v82, 0x260, v85
	v_add3_u32 v83, 0, v85, 16
	v_mov_b32_e32 v84, v0
	s_mov_b32 s44, 0
	.p2align	6
.LBB100_500:                            ; =>This Inner Loop Header: Depth=1
	s_clause 0x3
	buffer_load_dword v90, v83, s[0:3], 0 offen offset:8
	buffer_load_dword v91, v83, s[0:3], 0 offen offset:12
	buffer_load_dword v92, v83, s[0:3], 0 offen
	buffer_load_dword v93, v83, s[0:3], 0 offen offset:4
	ds_read_b128 v[86:89], v82
	v_add_nc_u32_e32 v84, 1, v84
	v_add_nc_u32_e32 v82, 16, v82
	;; [unrolled: 1-line block ×3, first 2 shown]
	v_cmp_lt_u32_e32 vcc_lo, 25, v84
	s_or_b32 s44, vcc_lo, s44
	s_waitcnt vmcnt(2) lgkmcnt(0)
	v_mul_f64 v[94:95], v[88:89], v[90:91]
	v_mul_f64 v[90:91], v[86:87], v[90:91]
	s_waitcnt vmcnt(0)
	v_fma_f64 v[86:87], v[86:87], v[92:93], -v[94:95]
	v_fma_f64 v[88:89], v[88:89], v[92:93], v[90:91]
	v_add_f64 v[1:2], v[1:2], v[86:87]
	v_add_f64 v[3:4], v[3:4], v[88:89]
	s_andn2_b32 exec_lo, exec_lo, s44
	s_cbranch_execnz .LBB100_500
; %bb.501:
	s_or_b32 exec_lo, exec_lo, s44
.LBB100_502:
	s_or_b32 exec_lo, exec_lo, s8
	v_mov_b32_e32 v82, 0
	ds_read_b128 v[86:89], v82 offset:432
	s_waitcnt lgkmcnt(0)
	v_mul_f64 v[82:83], v[3:4], v[88:89]
	v_mul_f64 v[88:89], v[1:2], v[88:89]
	v_fma_f64 v[1:2], v[1:2], v[86:87], -v[82:83]
	v_fma_f64 v[3:4], v[3:4], v[86:87], v[88:89]
	buffer_store_dword v2, off, s[0:3], 0 offset:436
	buffer_store_dword v1, off, s[0:3], 0 offset:432
	buffer_store_dword v4, off, s[0:3], 0 offset:444
	buffer_store_dword v3, off, s[0:3], 0 offset:440
.LBB100_503:
	s_or_b32 exec_lo, exec_lo, s4
	v_mov_b32_e32 v4, s15
	s_mov_b32 s4, exec_lo
	s_clause 0x3
	buffer_load_dword v1, v4, s[0:3], 0 offen
	buffer_load_dword v2, v4, s[0:3], 0 offen offset:4
	buffer_load_dword v3, v4, s[0:3], 0 offen offset:8
	;; [unrolled: 1-line block ×3, first 2 shown]
	s_waitcnt vmcnt(0)
	ds_write_b128 v80, v[1:4]
	s_waitcnt lgkmcnt(0)
	s_waitcnt_vscnt null, 0x0
	s_barrier
	buffer_gl0_inv
	v_cmpx_gt_u32_e32 28, v0
	s_cbranch_execz .LBB100_511
; %bb.504:
	ds_read_b128 v[1:4], v80
	v_cmp_ne_u32_e32 vcc_lo, 1, v81
	s_cbranch_vccnz .LBB100_506
; %bb.505:
	s_clause 0x3
	buffer_load_dword v82, v79, s[0:3], 0 offen offset:8
	buffer_load_dword v83, v79, s[0:3], 0 offen offset:12
	buffer_load_dword v86, v79, s[0:3], 0 offen
	buffer_load_dword v87, v79, s[0:3], 0 offen offset:4
	s_waitcnt vmcnt(2) lgkmcnt(0)
	v_mul_f64 v[88:89], v[3:4], v[82:83]
	v_mul_f64 v[82:83], v[1:2], v[82:83]
	s_waitcnt vmcnt(0)
	v_fma_f64 v[1:2], v[1:2], v[86:87], -v[88:89]
	v_fma_f64 v[3:4], v[3:4], v[86:87], v[82:83]
.LBB100_506:
	s_mov_b32 s8, exec_lo
	v_cmpx_ne_u32_e32 27, v0
	s_cbranch_execz .LBB100_510
; %bb.507:
	v_add_nc_u32_e32 v82, 0x260, v85
	v_add3_u32 v83, 0, v85, 16
	v_mov_b32_e32 v84, v0
	s_mov_b32 s44, 0
	.p2align	6
.LBB100_508:                            ; =>This Inner Loop Header: Depth=1
	s_clause 0x3
	buffer_load_dword v90, v83, s[0:3], 0 offen offset:8
	buffer_load_dword v91, v83, s[0:3], 0 offen offset:12
	buffer_load_dword v92, v83, s[0:3], 0 offen
	buffer_load_dword v93, v83, s[0:3], 0 offen offset:4
	ds_read_b128 v[86:89], v82
	v_add_nc_u32_e32 v84, 1, v84
	v_add_nc_u32_e32 v82, 16, v82
	;; [unrolled: 1-line block ×3, first 2 shown]
	v_cmp_lt_u32_e32 vcc_lo, 26, v84
	s_or_b32 s44, vcc_lo, s44
	s_waitcnt vmcnt(2) lgkmcnt(0)
	v_mul_f64 v[94:95], v[88:89], v[90:91]
	v_mul_f64 v[90:91], v[86:87], v[90:91]
	s_waitcnt vmcnt(0)
	v_fma_f64 v[86:87], v[86:87], v[92:93], -v[94:95]
	v_fma_f64 v[88:89], v[88:89], v[92:93], v[90:91]
	v_add_f64 v[1:2], v[1:2], v[86:87]
	v_add_f64 v[3:4], v[3:4], v[88:89]
	s_andn2_b32 exec_lo, exec_lo, s44
	s_cbranch_execnz .LBB100_508
; %bb.509:
	s_or_b32 exec_lo, exec_lo, s44
.LBB100_510:
	s_or_b32 exec_lo, exec_lo, s8
	v_mov_b32_e32 v82, 0
	ds_read_b128 v[86:89], v82 offset:448
	s_waitcnt lgkmcnt(0)
	v_mul_f64 v[82:83], v[3:4], v[88:89]
	v_mul_f64 v[88:89], v[1:2], v[88:89]
	v_fma_f64 v[1:2], v[1:2], v[86:87], -v[82:83]
	v_fma_f64 v[3:4], v[3:4], v[86:87], v[88:89]
	buffer_store_dword v2, off, s[0:3], 0 offset:452
	buffer_store_dword v1, off, s[0:3], 0 offset:448
	;; [unrolled: 1-line block ×4, first 2 shown]
.LBB100_511:
	s_or_b32 exec_lo, exec_lo, s4
	v_mov_b32_e32 v4, s14
	s_mov_b32 s4, exec_lo
	s_clause 0x3
	buffer_load_dword v1, v4, s[0:3], 0 offen
	buffer_load_dword v2, v4, s[0:3], 0 offen offset:4
	buffer_load_dword v3, v4, s[0:3], 0 offen offset:8
	;; [unrolled: 1-line block ×3, first 2 shown]
	s_waitcnt vmcnt(0)
	ds_write_b128 v80, v[1:4]
	s_waitcnt lgkmcnt(0)
	s_waitcnt_vscnt null, 0x0
	s_barrier
	buffer_gl0_inv
	v_cmpx_gt_u32_e32 29, v0
	s_cbranch_execz .LBB100_519
; %bb.512:
	ds_read_b128 v[1:4], v80
	v_cmp_ne_u32_e32 vcc_lo, 1, v81
	s_cbranch_vccnz .LBB100_514
; %bb.513:
	s_clause 0x3
	buffer_load_dword v82, v79, s[0:3], 0 offen offset:8
	buffer_load_dword v83, v79, s[0:3], 0 offen offset:12
	buffer_load_dword v86, v79, s[0:3], 0 offen
	buffer_load_dword v87, v79, s[0:3], 0 offen offset:4
	s_waitcnt vmcnt(2) lgkmcnt(0)
	v_mul_f64 v[88:89], v[3:4], v[82:83]
	v_mul_f64 v[82:83], v[1:2], v[82:83]
	s_waitcnt vmcnt(0)
	v_fma_f64 v[1:2], v[1:2], v[86:87], -v[88:89]
	v_fma_f64 v[3:4], v[3:4], v[86:87], v[82:83]
.LBB100_514:
	s_mov_b32 s8, exec_lo
	v_cmpx_ne_u32_e32 28, v0
	s_cbranch_execz .LBB100_518
; %bb.515:
	v_add_nc_u32_e32 v82, 0x260, v85
	v_add3_u32 v83, 0, v85, 16
	v_mov_b32_e32 v84, v0
	s_mov_b32 s44, 0
	.p2align	6
.LBB100_516:                            ; =>This Inner Loop Header: Depth=1
	s_clause 0x3
	buffer_load_dword v90, v83, s[0:3], 0 offen offset:8
	buffer_load_dword v91, v83, s[0:3], 0 offen offset:12
	buffer_load_dword v92, v83, s[0:3], 0 offen
	buffer_load_dword v93, v83, s[0:3], 0 offen offset:4
	ds_read_b128 v[86:89], v82
	v_add_nc_u32_e32 v84, 1, v84
	v_add_nc_u32_e32 v82, 16, v82
	;; [unrolled: 1-line block ×3, first 2 shown]
	v_cmp_lt_u32_e32 vcc_lo, 27, v84
	s_or_b32 s44, vcc_lo, s44
	s_waitcnt vmcnt(2) lgkmcnt(0)
	v_mul_f64 v[94:95], v[88:89], v[90:91]
	v_mul_f64 v[90:91], v[86:87], v[90:91]
	s_waitcnt vmcnt(0)
	v_fma_f64 v[86:87], v[86:87], v[92:93], -v[94:95]
	v_fma_f64 v[88:89], v[88:89], v[92:93], v[90:91]
	v_add_f64 v[1:2], v[1:2], v[86:87]
	v_add_f64 v[3:4], v[3:4], v[88:89]
	s_andn2_b32 exec_lo, exec_lo, s44
	s_cbranch_execnz .LBB100_516
; %bb.517:
	s_or_b32 exec_lo, exec_lo, s44
.LBB100_518:
	s_or_b32 exec_lo, exec_lo, s8
	v_mov_b32_e32 v82, 0
	ds_read_b128 v[86:89], v82 offset:464
	s_waitcnt lgkmcnt(0)
	v_mul_f64 v[82:83], v[3:4], v[88:89]
	v_mul_f64 v[88:89], v[1:2], v[88:89]
	v_fma_f64 v[1:2], v[1:2], v[86:87], -v[82:83]
	v_fma_f64 v[3:4], v[3:4], v[86:87], v[88:89]
	buffer_store_dword v2, off, s[0:3], 0 offset:468
	buffer_store_dword v1, off, s[0:3], 0 offset:464
	;; [unrolled: 1-line block ×4, first 2 shown]
.LBB100_519:
	s_or_b32 exec_lo, exec_lo, s4
	v_mov_b32_e32 v4, s13
	s_mov_b32 s4, exec_lo
	s_clause 0x3
	buffer_load_dword v1, v4, s[0:3], 0 offen
	buffer_load_dword v2, v4, s[0:3], 0 offen offset:4
	buffer_load_dword v3, v4, s[0:3], 0 offen offset:8
	;; [unrolled: 1-line block ×3, first 2 shown]
	s_waitcnt vmcnt(0)
	ds_write_b128 v80, v[1:4]
	s_waitcnt lgkmcnt(0)
	s_waitcnt_vscnt null, 0x0
	s_barrier
	buffer_gl0_inv
	v_cmpx_gt_u32_e32 30, v0
	s_cbranch_execz .LBB100_527
; %bb.520:
	ds_read_b128 v[1:4], v80
	v_cmp_ne_u32_e32 vcc_lo, 1, v81
	s_cbranch_vccnz .LBB100_522
; %bb.521:
	s_clause 0x3
	buffer_load_dword v82, v79, s[0:3], 0 offen offset:8
	buffer_load_dword v83, v79, s[0:3], 0 offen offset:12
	buffer_load_dword v86, v79, s[0:3], 0 offen
	buffer_load_dword v87, v79, s[0:3], 0 offen offset:4
	s_waitcnt vmcnt(2) lgkmcnt(0)
	v_mul_f64 v[88:89], v[3:4], v[82:83]
	v_mul_f64 v[82:83], v[1:2], v[82:83]
	s_waitcnt vmcnt(0)
	v_fma_f64 v[1:2], v[1:2], v[86:87], -v[88:89]
	v_fma_f64 v[3:4], v[3:4], v[86:87], v[82:83]
.LBB100_522:
	s_mov_b32 s8, exec_lo
	v_cmpx_ne_u32_e32 29, v0
	s_cbranch_execz .LBB100_526
; %bb.523:
	v_add_nc_u32_e32 v82, 0x260, v85
	v_add3_u32 v83, 0, v85, 16
	v_mov_b32_e32 v84, v0
	s_mov_b32 s44, 0
	.p2align	6
.LBB100_524:                            ; =>This Inner Loop Header: Depth=1
	s_clause 0x3
	buffer_load_dword v90, v83, s[0:3], 0 offen offset:8
	buffer_load_dword v91, v83, s[0:3], 0 offen offset:12
	buffer_load_dword v92, v83, s[0:3], 0 offen
	buffer_load_dword v93, v83, s[0:3], 0 offen offset:4
	ds_read_b128 v[86:89], v82
	v_add_nc_u32_e32 v84, 1, v84
	v_add_nc_u32_e32 v82, 16, v82
	;; [unrolled: 1-line block ×3, first 2 shown]
	v_cmp_lt_u32_e32 vcc_lo, 28, v84
	s_or_b32 s44, vcc_lo, s44
	s_waitcnt vmcnt(2) lgkmcnt(0)
	v_mul_f64 v[94:95], v[88:89], v[90:91]
	v_mul_f64 v[90:91], v[86:87], v[90:91]
	s_waitcnt vmcnt(0)
	v_fma_f64 v[86:87], v[86:87], v[92:93], -v[94:95]
	v_fma_f64 v[88:89], v[88:89], v[92:93], v[90:91]
	v_add_f64 v[1:2], v[1:2], v[86:87]
	v_add_f64 v[3:4], v[3:4], v[88:89]
	s_andn2_b32 exec_lo, exec_lo, s44
	s_cbranch_execnz .LBB100_524
; %bb.525:
	s_or_b32 exec_lo, exec_lo, s44
.LBB100_526:
	s_or_b32 exec_lo, exec_lo, s8
	v_mov_b32_e32 v82, 0
	ds_read_b128 v[86:89], v82 offset:480
	s_waitcnt lgkmcnt(0)
	v_mul_f64 v[82:83], v[3:4], v[88:89]
	v_mul_f64 v[88:89], v[1:2], v[88:89]
	v_fma_f64 v[1:2], v[1:2], v[86:87], -v[82:83]
	v_fma_f64 v[3:4], v[3:4], v[86:87], v[88:89]
	buffer_store_dword v2, off, s[0:3], 0 offset:484
	buffer_store_dword v1, off, s[0:3], 0 offset:480
	;; [unrolled: 1-line block ×4, first 2 shown]
.LBB100_527:
	s_or_b32 exec_lo, exec_lo, s4
	v_mov_b32_e32 v4, s12
	s_mov_b32 s4, exec_lo
	s_clause 0x3
	buffer_load_dword v1, v4, s[0:3], 0 offen
	buffer_load_dword v2, v4, s[0:3], 0 offen offset:4
	buffer_load_dword v3, v4, s[0:3], 0 offen offset:8
	;; [unrolled: 1-line block ×3, first 2 shown]
	s_waitcnt vmcnt(0)
	ds_write_b128 v80, v[1:4]
	s_waitcnt lgkmcnt(0)
	s_waitcnt_vscnt null, 0x0
	s_barrier
	buffer_gl0_inv
	v_cmpx_gt_u32_e32 31, v0
	s_cbranch_execz .LBB100_535
; %bb.528:
	ds_read_b128 v[1:4], v80
	v_cmp_ne_u32_e32 vcc_lo, 1, v81
	s_cbranch_vccnz .LBB100_530
; %bb.529:
	s_clause 0x3
	buffer_load_dword v82, v79, s[0:3], 0 offen offset:8
	buffer_load_dword v83, v79, s[0:3], 0 offen offset:12
	buffer_load_dword v86, v79, s[0:3], 0 offen
	buffer_load_dword v87, v79, s[0:3], 0 offen offset:4
	s_waitcnt vmcnt(2) lgkmcnt(0)
	v_mul_f64 v[88:89], v[3:4], v[82:83]
	v_mul_f64 v[82:83], v[1:2], v[82:83]
	s_waitcnt vmcnt(0)
	v_fma_f64 v[1:2], v[1:2], v[86:87], -v[88:89]
	v_fma_f64 v[3:4], v[3:4], v[86:87], v[82:83]
.LBB100_530:
	s_mov_b32 s8, exec_lo
	v_cmpx_ne_u32_e32 30, v0
	s_cbranch_execz .LBB100_534
; %bb.531:
	v_add_nc_u32_e32 v82, 0x260, v85
	v_add3_u32 v83, 0, v85, 16
	v_mov_b32_e32 v84, v0
	s_mov_b32 s44, 0
	.p2align	6
.LBB100_532:                            ; =>This Inner Loop Header: Depth=1
	s_clause 0x3
	buffer_load_dword v90, v83, s[0:3], 0 offen offset:8
	buffer_load_dword v91, v83, s[0:3], 0 offen offset:12
	buffer_load_dword v92, v83, s[0:3], 0 offen
	buffer_load_dword v93, v83, s[0:3], 0 offen offset:4
	ds_read_b128 v[86:89], v82
	v_add_nc_u32_e32 v84, 1, v84
	v_add_nc_u32_e32 v82, 16, v82
	;; [unrolled: 1-line block ×3, first 2 shown]
	v_cmp_lt_u32_e32 vcc_lo, 29, v84
	s_or_b32 s44, vcc_lo, s44
	s_waitcnt vmcnt(2) lgkmcnt(0)
	v_mul_f64 v[94:95], v[88:89], v[90:91]
	v_mul_f64 v[90:91], v[86:87], v[90:91]
	s_waitcnt vmcnt(0)
	v_fma_f64 v[86:87], v[86:87], v[92:93], -v[94:95]
	v_fma_f64 v[88:89], v[88:89], v[92:93], v[90:91]
	v_add_f64 v[1:2], v[1:2], v[86:87]
	v_add_f64 v[3:4], v[3:4], v[88:89]
	s_andn2_b32 exec_lo, exec_lo, s44
	s_cbranch_execnz .LBB100_532
; %bb.533:
	s_or_b32 exec_lo, exec_lo, s44
.LBB100_534:
	s_or_b32 exec_lo, exec_lo, s8
	v_mov_b32_e32 v82, 0
	ds_read_b128 v[86:89], v82 offset:496
	s_waitcnt lgkmcnt(0)
	v_mul_f64 v[82:83], v[3:4], v[88:89]
	v_mul_f64 v[88:89], v[1:2], v[88:89]
	v_fma_f64 v[1:2], v[1:2], v[86:87], -v[82:83]
	v_fma_f64 v[3:4], v[3:4], v[86:87], v[88:89]
	buffer_store_dword v2, off, s[0:3], 0 offset:500
	buffer_store_dword v1, off, s[0:3], 0 offset:496
	;; [unrolled: 1-line block ×4, first 2 shown]
.LBB100_535:
	s_or_b32 exec_lo, exec_lo, s4
	v_mov_b32_e32 v4, s11
	s_mov_b32 s4, exec_lo
	s_clause 0x3
	buffer_load_dword v1, v4, s[0:3], 0 offen
	buffer_load_dword v2, v4, s[0:3], 0 offen offset:4
	buffer_load_dword v3, v4, s[0:3], 0 offen offset:8
	;; [unrolled: 1-line block ×3, first 2 shown]
	s_waitcnt vmcnt(0)
	ds_write_b128 v80, v[1:4]
	s_waitcnt lgkmcnt(0)
	s_waitcnt_vscnt null, 0x0
	s_barrier
	buffer_gl0_inv
	v_cmpx_gt_u32_e32 32, v0
	s_cbranch_execz .LBB100_543
; %bb.536:
	ds_read_b128 v[1:4], v80
	v_cmp_ne_u32_e32 vcc_lo, 1, v81
	s_cbranch_vccnz .LBB100_538
; %bb.537:
	s_clause 0x3
	buffer_load_dword v82, v79, s[0:3], 0 offen offset:8
	buffer_load_dword v83, v79, s[0:3], 0 offen offset:12
	buffer_load_dword v86, v79, s[0:3], 0 offen
	buffer_load_dword v87, v79, s[0:3], 0 offen offset:4
	s_waitcnt vmcnt(2) lgkmcnt(0)
	v_mul_f64 v[88:89], v[3:4], v[82:83]
	v_mul_f64 v[82:83], v[1:2], v[82:83]
	s_waitcnt vmcnt(0)
	v_fma_f64 v[1:2], v[1:2], v[86:87], -v[88:89]
	v_fma_f64 v[3:4], v[3:4], v[86:87], v[82:83]
.LBB100_538:
	s_mov_b32 s8, exec_lo
	v_cmpx_ne_u32_e32 31, v0
	s_cbranch_execz .LBB100_542
; %bb.539:
	v_add_nc_u32_e32 v82, 0x260, v85
	v_add3_u32 v83, 0, v85, 16
	v_mov_b32_e32 v84, v0
	s_mov_b32 s44, 0
	.p2align	6
.LBB100_540:                            ; =>This Inner Loop Header: Depth=1
	s_clause 0x3
	buffer_load_dword v90, v83, s[0:3], 0 offen offset:8
	buffer_load_dword v91, v83, s[0:3], 0 offen offset:12
	buffer_load_dword v92, v83, s[0:3], 0 offen
	buffer_load_dword v93, v83, s[0:3], 0 offen offset:4
	ds_read_b128 v[86:89], v82
	v_add_nc_u32_e32 v84, 1, v84
	v_add_nc_u32_e32 v82, 16, v82
	;; [unrolled: 1-line block ×3, first 2 shown]
	v_cmp_lt_u32_e32 vcc_lo, 30, v84
	s_or_b32 s44, vcc_lo, s44
	s_waitcnt vmcnt(2) lgkmcnt(0)
	v_mul_f64 v[94:95], v[88:89], v[90:91]
	v_mul_f64 v[90:91], v[86:87], v[90:91]
	s_waitcnt vmcnt(0)
	v_fma_f64 v[86:87], v[86:87], v[92:93], -v[94:95]
	v_fma_f64 v[88:89], v[88:89], v[92:93], v[90:91]
	v_add_f64 v[1:2], v[1:2], v[86:87]
	v_add_f64 v[3:4], v[3:4], v[88:89]
	s_andn2_b32 exec_lo, exec_lo, s44
	s_cbranch_execnz .LBB100_540
; %bb.541:
	s_or_b32 exec_lo, exec_lo, s44
.LBB100_542:
	s_or_b32 exec_lo, exec_lo, s8
	v_mov_b32_e32 v82, 0
	ds_read_b128 v[86:89], v82 offset:512
	s_waitcnt lgkmcnt(0)
	v_mul_f64 v[82:83], v[3:4], v[88:89]
	v_mul_f64 v[88:89], v[1:2], v[88:89]
	v_fma_f64 v[1:2], v[1:2], v[86:87], -v[82:83]
	v_fma_f64 v[3:4], v[3:4], v[86:87], v[88:89]
	buffer_store_dword v2, off, s[0:3], 0 offset:516
	buffer_store_dword v1, off, s[0:3], 0 offset:512
	buffer_store_dword v4, off, s[0:3], 0 offset:524
	buffer_store_dword v3, off, s[0:3], 0 offset:520
.LBB100_543:
	s_or_b32 exec_lo, exec_lo, s4
	v_mov_b32_e32 v4, s10
	s_mov_b32 s4, exec_lo
	s_clause 0x3
	buffer_load_dword v1, v4, s[0:3], 0 offen
	buffer_load_dword v2, v4, s[0:3], 0 offen offset:4
	buffer_load_dword v3, v4, s[0:3], 0 offen offset:8
	;; [unrolled: 1-line block ×3, first 2 shown]
	s_waitcnt vmcnt(0)
	ds_write_b128 v80, v[1:4]
	s_waitcnt lgkmcnt(0)
	s_waitcnt_vscnt null, 0x0
	s_barrier
	buffer_gl0_inv
	v_cmpx_gt_u32_e32 33, v0
	s_cbranch_execz .LBB100_551
; %bb.544:
	ds_read_b128 v[1:4], v80
	v_cmp_ne_u32_e32 vcc_lo, 1, v81
	s_cbranch_vccnz .LBB100_546
; %bb.545:
	s_clause 0x3
	buffer_load_dword v82, v79, s[0:3], 0 offen offset:8
	buffer_load_dword v83, v79, s[0:3], 0 offen offset:12
	buffer_load_dword v86, v79, s[0:3], 0 offen
	buffer_load_dword v87, v79, s[0:3], 0 offen offset:4
	s_waitcnt vmcnt(2) lgkmcnt(0)
	v_mul_f64 v[88:89], v[3:4], v[82:83]
	v_mul_f64 v[82:83], v[1:2], v[82:83]
	s_waitcnt vmcnt(0)
	v_fma_f64 v[1:2], v[1:2], v[86:87], -v[88:89]
	v_fma_f64 v[3:4], v[3:4], v[86:87], v[82:83]
.LBB100_546:
	s_mov_b32 s8, exec_lo
	v_cmpx_ne_u32_e32 32, v0
	s_cbranch_execz .LBB100_550
; %bb.547:
	v_add_nc_u32_e32 v82, 0x260, v85
	v_add3_u32 v83, 0, v85, 16
	v_mov_b32_e32 v84, v0
	s_mov_b32 s44, 0
	.p2align	6
.LBB100_548:                            ; =>This Inner Loop Header: Depth=1
	s_clause 0x3
	buffer_load_dword v90, v83, s[0:3], 0 offen offset:8
	buffer_load_dword v91, v83, s[0:3], 0 offen offset:12
	buffer_load_dword v92, v83, s[0:3], 0 offen
	buffer_load_dword v93, v83, s[0:3], 0 offen offset:4
	ds_read_b128 v[86:89], v82
	v_add_nc_u32_e32 v84, 1, v84
	v_add_nc_u32_e32 v82, 16, v82
	;; [unrolled: 1-line block ×3, first 2 shown]
	v_cmp_lt_u32_e32 vcc_lo, 31, v84
	s_or_b32 s44, vcc_lo, s44
	s_waitcnt vmcnt(2) lgkmcnt(0)
	v_mul_f64 v[94:95], v[88:89], v[90:91]
	v_mul_f64 v[90:91], v[86:87], v[90:91]
	s_waitcnt vmcnt(0)
	v_fma_f64 v[86:87], v[86:87], v[92:93], -v[94:95]
	v_fma_f64 v[88:89], v[88:89], v[92:93], v[90:91]
	v_add_f64 v[1:2], v[1:2], v[86:87]
	v_add_f64 v[3:4], v[3:4], v[88:89]
	s_andn2_b32 exec_lo, exec_lo, s44
	s_cbranch_execnz .LBB100_548
; %bb.549:
	s_or_b32 exec_lo, exec_lo, s44
.LBB100_550:
	s_or_b32 exec_lo, exec_lo, s8
	v_mov_b32_e32 v82, 0
	ds_read_b128 v[86:89], v82 offset:528
	s_waitcnt lgkmcnt(0)
	v_mul_f64 v[82:83], v[3:4], v[88:89]
	v_mul_f64 v[88:89], v[1:2], v[88:89]
	v_fma_f64 v[1:2], v[1:2], v[86:87], -v[82:83]
	v_fma_f64 v[3:4], v[3:4], v[86:87], v[88:89]
	buffer_store_dword v2, off, s[0:3], 0 offset:532
	buffer_store_dword v1, off, s[0:3], 0 offset:528
	;; [unrolled: 1-line block ×4, first 2 shown]
.LBB100_551:
	s_or_b32 exec_lo, exec_lo, s4
	v_mov_b32_e32 v4, s9
	s_mov_b32 s4, exec_lo
	s_clause 0x3
	buffer_load_dword v1, v4, s[0:3], 0 offen
	buffer_load_dword v2, v4, s[0:3], 0 offen offset:4
	buffer_load_dword v3, v4, s[0:3], 0 offen offset:8
	;; [unrolled: 1-line block ×3, first 2 shown]
	s_waitcnt vmcnt(0)
	ds_write_b128 v80, v[1:4]
	s_waitcnt lgkmcnt(0)
	s_waitcnt_vscnt null, 0x0
	s_barrier
	buffer_gl0_inv
	v_cmpx_gt_u32_e32 34, v0
	s_cbranch_execz .LBB100_559
; %bb.552:
	ds_read_b128 v[1:4], v80
	v_cmp_ne_u32_e32 vcc_lo, 1, v81
	s_cbranch_vccnz .LBB100_554
; %bb.553:
	s_clause 0x3
	buffer_load_dword v82, v79, s[0:3], 0 offen offset:8
	buffer_load_dword v83, v79, s[0:3], 0 offen offset:12
	buffer_load_dword v86, v79, s[0:3], 0 offen
	buffer_load_dword v87, v79, s[0:3], 0 offen offset:4
	s_waitcnt vmcnt(2) lgkmcnt(0)
	v_mul_f64 v[88:89], v[3:4], v[82:83]
	v_mul_f64 v[82:83], v[1:2], v[82:83]
	s_waitcnt vmcnt(0)
	v_fma_f64 v[1:2], v[1:2], v[86:87], -v[88:89]
	v_fma_f64 v[3:4], v[3:4], v[86:87], v[82:83]
.LBB100_554:
	s_mov_b32 s8, exec_lo
	v_cmpx_ne_u32_e32 33, v0
	s_cbranch_execz .LBB100_558
; %bb.555:
	v_add_nc_u32_e32 v82, 0x260, v85
	v_add3_u32 v83, 0, v85, 16
	v_mov_b32_e32 v84, v0
	s_mov_b32 s44, 0
	.p2align	6
.LBB100_556:                            ; =>This Inner Loop Header: Depth=1
	s_clause 0x3
	buffer_load_dword v90, v83, s[0:3], 0 offen offset:8
	buffer_load_dword v91, v83, s[0:3], 0 offen offset:12
	buffer_load_dword v92, v83, s[0:3], 0 offen
	buffer_load_dword v93, v83, s[0:3], 0 offen offset:4
	ds_read_b128 v[86:89], v82
	v_add_nc_u32_e32 v84, 1, v84
	v_add_nc_u32_e32 v82, 16, v82
	;; [unrolled: 1-line block ×3, first 2 shown]
	v_cmp_lt_u32_e32 vcc_lo, 32, v84
	s_or_b32 s44, vcc_lo, s44
	s_waitcnt vmcnt(2) lgkmcnt(0)
	v_mul_f64 v[94:95], v[88:89], v[90:91]
	v_mul_f64 v[90:91], v[86:87], v[90:91]
	s_waitcnt vmcnt(0)
	v_fma_f64 v[86:87], v[86:87], v[92:93], -v[94:95]
	v_fma_f64 v[88:89], v[88:89], v[92:93], v[90:91]
	v_add_f64 v[1:2], v[1:2], v[86:87]
	v_add_f64 v[3:4], v[3:4], v[88:89]
	s_andn2_b32 exec_lo, exec_lo, s44
	s_cbranch_execnz .LBB100_556
; %bb.557:
	s_or_b32 exec_lo, exec_lo, s44
.LBB100_558:
	s_or_b32 exec_lo, exec_lo, s8
	v_mov_b32_e32 v82, 0
	ds_read_b128 v[86:89], v82 offset:544
	s_waitcnt lgkmcnt(0)
	v_mul_f64 v[82:83], v[3:4], v[88:89]
	v_mul_f64 v[88:89], v[1:2], v[88:89]
	v_fma_f64 v[1:2], v[1:2], v[86:87], -v[82:83]
	v_fma_f64 v[3:4], v[3:4], v[86:87], v[88:89]
	buffer_store_dword v2, off, s[0:3], 0 offset:548
	buffer_store_dword v1, off, s[0:3], 0 offset:544
	;; [unrolled: 1-line block ×4, first 2 shown]
.LBB100_559:
	s_or_b32 exec_lo, exec_lo, s4
	v_mov_b32_e32 v4, s7
	v_cmp_gt_u32_e64 s4, 35, v0
	s_clause 0x3
	buffer_load_dword v1, v4, s[0:3], 0 offen
	buffer_load_dword v2, v4, s[0:3], 0 offen offset:4
	buffer_load_dword v3, v4, s[0:3], 0 offen offset:8
	;; [unrolled: 1-line block ×3, first 2 shown]
	s_waitcnt vmcnt(0)
	ds_write_b128 v80, v[1:4]
	s_waitcnt lgkmcnt(0)
	s_waitcnt_vscnt null, 0x0
	s_barrier
	buffer_gl0_inv
	s_and_saveexec_b32 s8, s4
	s_cbranch_execz .LBB100_567
; %bb.560:
	ds_read_b128 v[1:4], v80
	v_cmp_ne_u32_e32 vcc_lo, 1, v81
	s_cbranch_vccnz .LBB100_562
; %bb.561:
	s_clause 0x3
	buffer_load_dword v82, v79, s[0:3], 0 offen offset:8
	buffer_load_dword v83, v79, s[0:3], 0 offen offset:12
	buffer_load_dword v86, v79, s[0:3], 0 offen
	buffer_load_dword v87, v79, s[0:3], 0 offen offset:4
	s_waitcnt vmcnt(2) lgkmcnt(0)
	v_mul_f64 v[88:89], v[3:4], v[82:83]
	v_mul_f64 v[82:83], v[1:2], v[82:83]
	s_waitcnt vmcnt(0)
	v_fma_f64 v[1:2], v[1:2], v[86:87], -v[88:89]
	v_fma_f64 v[3:4], v[3:4], v[86:87], v[82:83]
.LBB100_562:
	s_mov_b32 s44, exec_lo
	v_cmpx_ne_u32_e32 34, v0
	s_cbranch_execz .LBB100_566
; %bb.563:
	v_add_nc_u32_e32 v82, 0x260, v85
	v_add3_u32 v83, 0, v85, 16
	v_mov_b32_e32 v84, v0
	s_mov_b32 s45, 0
	.p2align	6
.LBB100_564:                            ; =>This Inner Loop Header: Depth=1
	s_clause 0x3
	buffer_load_dword v90, v83, s[0:3], 0 offen offset:8
	buffer_load_dword v91, v83, s[0:3], 0 offen offset:12
	buffer_load_dword v92, v83, s[0:3], 0 offen
	buffer_load_dword v93, v83, s[0:3], 0 offen offset:4
	ds_read_b128 v[86:89], v82
	v_add_nc_u32_e32 v84, 1, v84
	v_add_nc_u32_e32 v82, 16, v82
	;; [unrolled: 1-line block ×3, first 2 shown]
	v_cmp_lt_u32_e32 vcc_lo, 33, v84
	s_or_b32 s45, vcc_lo, s45
	s_waitcnt vmcnt(2) lgkmcnt(0)
	v_mul_f64 v[94:95], v[88:89], v[90:91]
	v_mul_f64 v[90:91], v[86:87], v[90:91]
	s_waitcnt vmcnt(0)
	v_fma_f64 v[86:87], v[86:87], v[92:93], -v[94:95]
	v_fma_f64 v[88:89], v[88:89], v[92:93], v[90:91]
	v_add_f64 v[1:2], v[1:2], v[86:87]
	v_add_f64 v[3:4], v[3:4], v[88:89]
	s_andn2_b32 exec_lo, exec_lo, s45
	s_cbranch_execnz .LBB100_564
; %bb.565:
	s_or_b32 exec_lo, exec_lo, s45
.LBB100_566:
	s_or_b32 exec_lo, exec_lo, s44
	v_mov_b32_e32 v82, 0
	ds_read_b128 v[86:89], v82 offset:560
	s_waitcnt lgkmcnt(0)
	v_mul_f64 v[82:83], v[3:4], v[88:89]
	v_mul_f64 v[88:89], v[1:2], v[88:89]
	v_fma_f64 v[1:2], v[1:2], v[86:87], -v[82:83]
	v_fma_f64 v[3:4], v[3:4], v[86:87], v[88:89]
	buffer_store_dword v2, off, s[0:3], 0 offset:564
	buffer_store_dword v1, off, s[0:3], 0 offset:560
	;; [unrolled: 1-line block ×4, first 2 shown]
.LBB100_567:
	s_or_b32 exec_lo, exec_lo, s8
	v_mov_b32_e32 v4, s6
	s_mov_b32 s8, exec_lo
                                        ; implicit-def: $sgpr46
	s_clause 0x3
	buffer_load_dword v1, v4, s[0:3], 0 offen
	buffer_load_dword v2, v4, s[0:3], 0 offen offset:4
	buffer_load_dword v3, v4, s[0:3], 0 offen offset:8
	;; [unrolled: 1-line block ×3, first 2 shown]
	s_waitcnt vmcnt(0)
	ds_write_b128 v80, v[1:4]
	s_waitcnt lgkmcnt(0)
	s_waitcnt_vscnt null, 0x0
	s_barrier
	buffer_gl0_inv
                                        ; implicit-def: $vgpr1_vgpr2
	v_cmpx_ne_u32_e32 36, v0
	s_cbranch_execz .LBB100_575
; %bb.568:
	ds_read_b128 v[1:4], v80
	v_cmp_ne_u32_e32 vcc_lo, 1, v81
	s_cbranch_vccnz .LBB100_570
; %bb.569:
	s_clause 0x3
	buffer_load_dword v80, v79, s[0:3], 0 offen offset:8
	buffer_load_dword v81, v79, s[0:3], 0 offen offset:12
	buffer_load_dword v82, v79, s[0:3], 0 offen
	buffer_load_dword v83, v79, s[0:3], 0 offen offset:4
	s_waitcnt vmcnt(2) lgkmcnt(0)
	v_mul_f64 v[86:87], v[3:4], v[80:81]
	v_mul_f64 v[79:80], v[1:2], v[80:81]
	s_waitcnt vmcnt(0)
	v_fma_f64 v[1:2], v[1:2], v[82:83], -v[86:87]
	v_fma_f64 v[3:4], v[3:4], v[82:83], v[79:80]
.LBB100_570:
	s_and_saveexec_b32 s44, s4
	s_cbranch_execz .LBB100_574
; %bb.571:
	v_add_nc_u32_e32 v79, 0x260, v85
	v_add3_u32 v80, 0, v85, 16
	s_mov_b32 s4, 0
	.p2align	6
.LBB100_572:                            ; =>This Inner Loop Header: Depth=1
	s_clause 0x3
	buffer_load_dword v85, v80, s[0:3], 0 offen offset:8
	buffer_load_dword v86, v80, s[0:3], 0 offen offset:12
	buffer_load_dword v87, v80, s[0:3], 0 offen
	buffer_load_dword v88, v80, s[0:3], 0 offen offset:4
	ds_read_b128 v[81:84], v79
	v_add_nc_u32_e32 v0, 1, v0
	v_add_nc_u32_e32 v79, 16, v79
	;; [unrolled: 1-line block ×3, first 2 shown]
	v_cmp_lt_u32_e32 vcc_lo, 34, v0
	s_or_b32 s4, vcc_lo, s4
	s_waitcnt vmcnt(2) lgkmcnt(0)
	v_mul_f64 v[89:90], v[83:84], v[85:86]
	v_mul_f64 v[85:86], v[81:82], v[85:86]
	s_waitcnt vmcnt(0)
	v_fma_f64 v[81:82], v[81:82], v[87:88], -v[89:90]
	v_fma_f64 v[83:84], v[83:84], v[87:88], v[85:86]
	v_add_f64 v[1:2], v[1:2], v[81:82]
	v_add_f64 v[3:4], v[3:4], v[83:84]
	s_andn2_b32 exec_lo, exec_lo, s4
	s_cbranch_execnz .LBB100_572
; %bb.573:
	s_or_b32 exec_lo, exec_lo, s4
.LBB100_574:
	s_or_b32 exec_lo, exec_lo, s44
	v_mov_b32_e32 v0, 0
	s_movk_i32 s46, 0x248
	s_or_b32 s5, s5, exec_lo
	ds_read_b128 v[79:82], v0 offset:576
	s_waitcnt lgkmcnt(0)
	v_mul_f64 v[83:84], v[3:4], v[81:82]
	v_mul_f64 v[81:82], v[1:2], v[81:82]
	v_fma_f64 v[83:84], v[1:2], v[79:80], -v[83:84]
	v_fma_f64 v[1:2], v[3:4], v[79:80], v[81:82]
	buffer_store_dword v84, off, s[0:3], 0 offset:580
	buffer_store_dword v83, off, s[0:3], 0 offset:576
.LBB100_575:
	s_or_b32 exec_lo, exec_lo, s8
.LBB100_576:
	s_and_saveexec_b32 s4, s5
	s_cbranch_execz .LBB100_578
; %bb.577:
	v_mov_b32_e32 v0, s46
	buffer_store_dword v2, v0, s[0:3], 0 offen offset:4
	buffer_store_dword v1, v0, s[0:3], 0 offen
.LBB100_578:
	s_or_b32 exec_lo, exec_lo, s4
	s_clause 0x3
	buffer_load_dword v0, off, s[0:3], 0
	buffer_load_dword v1, off, s[0:3], 0 offset:4
	buffer_load_dword v2, off, s[0:3], 0 offset:8
	;; [unrolled: 1-line block ×3, first 2 shown]
	v_mov_b32_e32 v4, s43
	s_waitcnt vmcnt(0)
	flat_store_dwordx4 v[5:6], v[0:3]
	s_clause 0x3
	buffer_load_dword v0, v4, s[0:3], 0 offen
	buffer_load_dword v1, v4, s[0:3], 0 offen offset:4
	buffer_load_dword v2, v4, s[0:3], 0 offen offset:8
	buffer_load_dword v3, v4, s[0:3], 0 offen offset:12
	v_mov_b32_e32 v4, s42
	s_waitcnt vmcnt(0)
	flat_store_dwordx4 v[59:60], v[0:3]
	s_clause 0x3
	buffer_load_dword v0, v4, s[0:3], 0 offen
	buffer_load_dword v1, v4, s[0:3], 0 offen offset:4
	buffer_load_dword v2, v4, s[0:3], 0 offen offset:8
	buffer_load_dword v3, v4, s[0:3], 0 offen offset:12
	;; [unrolled: 8-line block ×36, first 2 shown]
	s_waitcnt vmcnt(0)
	flat_store_dwordx4 v[77:78], v[0:3]
.LBB100_579:
	s_endpgm
	.section	.rodata,"a",@progbits
	.p2align	6, 0x0
	.amdhsa_kernel _ZN9rocsolver6v33100L18trti2_kernel_smallILi37E19rocblas_complex_numIdEPKPS3_EEv13rocblas_fill_17rocblas_diagonal_T1_iil
		.amdhsa_group_segment_fixed_size 1184
		.amdhsa_private_segment_fixed_size 608
		.amdhsa_kernarg_size 32
		.amdhsa_user_sgpr_count 6
		.amdhsa_user_sgpr_private_segment_buffer 1
		.amdhsa_user_sgpr_dispatch_ptr 0
		.amdhsa_user_sgpr_queue_ptr 0
		.amdhsa_user_sgpr_kernarg_segment_ptr 1
		.amdhsa_user_sgpr_dispatch_id 0
		.amdhsa_user_sgpr_flat_scratch_init 0
		.amdhsa_user_sgpr_private_segment_size 0
		.amdhsa_wavefront_size32 1
		.amdhsa_uses_dynamic_stack 0
		.amdhsa_system_sgpr_private_segment_wavefront_offset 1
		.amdhsa_system_sgpr_workgroup_id_x 1
		.amdhsa_system_sgpr_workgroup_id_y 0
		.amdhsa_system_sgpr_workgroup_id_z 0
		.amdhsa_system_sgpr_workgroup_info 0
		.amdhsa_system_vgpr_workitem_id 0
		.amdhsa_next_free_vgpr 96
		.amdhsa_next_free_sgpr 60
		.amdhsa_reserve_vcc 1
		.amdhsa_reserve_flat_scratch 0
		.amdhsa_float_round_mode_32 0
		.amdhsa_float_round_mode_16_64 0
		.amdhsa_float_denorm_mode_32 3
		.amdhsa_float_denorm_mode_16_64 3
		.amdhsa_dx10_clamp 1
		.amdhsa_ieee_mode 1
		.amdhsa_fp16_overflow 0
		.amdhsa_workgroup_processor_mode 1
		.amdhsa_memory_ordered 1
		.amdhsa_forward_progress 1
		.amdhsa_shared_vgpr_count 0
		.amdhsa_exception_fp_ieee_invalid_op 0
		.amdhsa_exception_fp_denorm_src 0
		.amdhsa_exception_fp_ieee_div_zero 0
		.amdhsa_exception_fp_ieee_overflow 0
		.amdhsa_exception_fp_ieee_underflow 0
		.amdhsa_exception_fp_ieee_inexact 0
		.amdhsa_exception_int_div_zero 0
	.end_amdhsa_kernel
	.section	.text._ZN9rocsolver6v33100L18trti2_kernel_smallILi37E19rocblas_complex_numIdEPKPS3_EEv13rocblas_fill_17rocblas_diagonal_T1_iil,"axG",@progbits,_ZN9rocsolver6v33100L18trti2_kernel_smallILi37E19rocblas_complex_numIdEPKPS3_EEv13rocblas_fill_17rocblas_diagonal_T1_iil,comdat
.Lfunc_end100:
	.size	_ZN9rocsolver6v33100L18trti2_kernel_smallILi37E19rocblas_complex_numIdEPKPS3_EEv13rocblas_fill_17rocblas_diagonal_T1_iil, .Lfunc_end100-_ZN9rocsolver6v33100L18trti2_kernel_smallILi37E19rocblas_complex_numIdEPKPS3_EEv13rocblas_fill_17rocblas_diagonal_T1_iil
                                        ; -- End function
	.set _ZN9rocsolver6v33100L18trti2_kernel_smallILi37E19rocblas_complex_numIdEPKPS3_EEv13rocblas_fill_17rocblas_diagonal_T1_iil.num_vgpr, 96
	.set _ZN9rocsolver6v33100L18trti2_kernel_smallILi37E19rocblas_complex_numIdEPKPS3_EEv13rocblas_fill_17rocblas_diagonal_T1_iil.num_agpr, 0
	.set _ZN9rocsolver6v33100L18trti2_kernel_smallILi37E19rocblas_complex_numIdEPKPS3_EEv13rocblas_fill_17rocblas_diagonal_T1_iil.numbered_sgpr, 60
	.set _ZN9rocsolver6v33100L18trti2_kernel_smallILi37E19rocblas_complex_numIdEPKPS3_EEv13rocblas_fill_17rocblas_diagonal_T1_iil.num_named_barrier, 0
	.set _ZN9rocsolver6v33100L18trti2_kernel_smallILi37E19rocblas_complex_numIdEPKPS3_EEv13rocblas_fill_17rocblas_diagonal_T1_iil.private_seg_size, 608
	.set _ZN9rocsolver6v33100L18trti2_kernel_smallILi37E19rocblas_complex_numIdEPKPS3_EEv13rocblas_fill_17rocblas_diagonal_T1_iil.uses_vcc, 1
	.set _ZN9rocsolver6v33100L18trti2_kernel_smallILi37E19rocblas_complex_numIdEPKPS3_EEv13rocblas_fill_17rocblas_diagonal_T1_iil.uses_flat_scratch, 0
	.set _ZN9rocsolver6v33100L18trti2_kernel_smallILi37E19rocblas_complex_numIdEPKPS3_EEv13rocblas_fill_17rocblas_diagonal_T1_iil.has_dyn_sized_stack, 0
	.set _ZN9rocsolver6v33100L18trti2_kernel_smallILi37E19rocblas_complex_numIdEPKPS3_EEv13rocblas_fill_17rocblas_diagonal_T1_iil.has_recursion, 0
	.set _ZN9rocsolver6v33100L18trti2_kernel_smallILi37E19rocblas_complex_numIdEPKPS3_EEv13rocblas_fill_17rocblas_diagonal_T1_iil.has_indirect_call, 0
	.section	.AMDGPU.csdata,"",@progbits
; Kernel info:
; codeLenInByte = 37496
; TotalNumSgprs: 62
; NumVgprs: 96
; ScratchSize: 608
; MemoryBound: 0
; FloatMode: 240
; IeeeMode: 1
; LDSByteSize: 1184 bytes/workgroup (compile time only)
; SGPRBlocks: 0
; VGPRBlocks: 11
; NumSGPRsForWavesPerEU: 62
; NumVGPRsForWavesPerEU: 96
; Occupancy: 10
; WaveLimiterHint : 1
; COMPUTE_PGM_RSRC2:SCRATCH_EN: 1
; COMPUTE_PGM_RSRC2:USER_SGPR: 6
; COMPUTE_PGM_RSRC2:TRAP_HANDLER: 0
; COMPUTE_PGM_RSRC2:TGID_X_EN: 1
; COMPUTE_PGM_RSRC2:TGID_Y_EN: 0
; COMPUTE_PGM_RSRC2:TGID_Z_EN: 0
; COMPUTE_PGM_RSRC2:TIDIG_COMP_CNT: 0
	.section	.text._ZN9rocsolver6v33100L18trti2_kernel_smallILi38E19rocblas_complex_numIdEPKPS3_EEv13rocblas_fill_17rocblas_diagonal_T1_iil,"axG",@progbits,_ZN9rocsolver6v33100L18trti2_kernel_smallILi38E19rocblas_complex_numIdEPKPS3_EEv13rocblas_fill_17rocblas_diagonal_T1_iil,comdat
	.globl	_ZN9rocsolver6v33100L18trti2_kernel_smallILi38E19rocblas_complex_numIdEPKPS3_EEv13rocblas_fill_17rocblas_diagonal_T1_iil ; -- Begin function _ZN9rocsolver6v33100L18trti2_kernel_smallILi38E19rocblas_complex_numIdEPKPS3_EEv13rocblas_fill_17rocblas_diagonal_T1_iil
	.p2align	8
	.type	_ZN9rocsolver6v33100L18trti2_kernel_smallILi38E19rocblas_complex_numIdEPKPS3_EEv13rocblas_fill_17rocblas_diagonal_T1_iil,@function
_ZN9rocsolver6v33100L18trti2_kernel_smallILi38E19rocblas_complex_numIdEPKPS3_EEv13rocblas_fill_17rocblas_diagonal_T1_iil: ; @_ZN9rocsolver6v33100L18trti2_kernel_smallILi38E19rocblas_complex_numIdEPKPS3_EEv13rocblas_fill_17rocblas_diagonal_T1_iil
; %bb.0:
	s_add_u32 s0, s0, s7
	s_addc_u32 s1, s1, 0
	s_mov_b32 s7, exec_lo
	v_cmpx_gt_u32_e32 38, v0
	s_cbranch_execz .LBB101_595
; %bb.1:
	s_clause 0x1
	s_load_dwordx2 s[12:13], s[4:5], 0x10
	s_load_dwordx4 s[8:11], s[4:5], 0x0
	s_ashr_i32 s7, s6, 31
	v_lshlrev_b32_e32 v87, 4, v0
	s_lshl_b64 s[4:5], s[6:7], 3
	s_movk_i32 s14, 0xd0
	s_movk_i32 s15, 0xe0
	s_movk_i32 s16, 0xf0
	s_movk_i32 s17, 0x100
	s_movk_i32 s18, 0x110
	s_movk_i32 s19, 0x120
	s_movk_i32 s20, 0x130
	s_movk_i32 s21, 0x140
	s_movk_i32 s22, 0x150
	s_movk_i32 s23, 0x160
	s_movk_i32 s47, 0x170
	s_movk_i32 s48, 0x180
	s_movk_i32 s49, 0x190
	s_movk_i32 s50, 0x1a0
	s_movk_i32 s51, 0x1b0
	s_waitcnt lgkmcnt(0)
	s_ashr_i32 s7, s12, 31
	s_add_u32 s4, s10, s4
	s_addc_u32 s5, s11, s5
	s_mov_b32 s6, s12
	s_load_dwordx2 s[4:5], s[4:5], 0x0
	s_lshl_b64 s[6:7], s[6:7], 4
	v_add3_u32 v7, s13, s13, v0
	s_movk_i32 s10, 0x90
	s_movk_i32 s11, 0xa0
	;; [unrolled: 1-line block ×4, first 2 shown]
	v_ashrrev_i32_e32 v8, 31, v7
	s_movk_i32 s53, 0x1d0
	s_movk_i32 s54, 0x1e0
	;; [unrolled: 1-line block ×4, first 2 shown]
	v_lshlrev_b64 v[8:9], 4, v[7:8]
	v_add_nc_u32_e32 v7, s13, v7
	s_movk_i32 s57, 0x210
	s_movk_i32 s58, 0x220
	;; [unrolled: 1-line block ×5, first 2 shown]
	s_waitcnt lgkmcnt(0)
	s_add_u32 s6, s4, s6
	s_addc_u32 s7, s5, s7
	v_add_co_u32 v5, s4, s6, v87
	v_add_co_ci_u32_e64 v6, null, s7, 0, s4
	s_mov_b32 s4, s13
	s_ashr_i32 s5, s13, 31
	s_lshl_b64 s[4:5], s[4:5], 4
	flat_load_dwordx4 v[1:4], v[5:6]
	v_add_co_u32 v59, vcc_lo, v5, s4
	v_add_co_ci_u32_e64 v60, null, s5, v6, vcc_lo
	v_add_co_u32 v57, vcc_lo, s6, v8
	v_add_co_ci_u32_e64 v58, null, s7, v9, vcc_lo
	v_ashrrev_i32_e32 v8, 31, v7
	s_cmpk_lg_i32 s9, 0x84
	s_movk_i32 s4, 0x50
	s_movk_i32 s5, 0x60
	s_cselect_b32 s46, -1, 0
	v_lshlrev_b64 v[8:9], 4, v[7:8]
	v_add_nc_u32_e32 v7, s13, v7
	s_cmpk_eq_i32 s9, 0x84
	s_waitcnt vmcnt(0) lgkmcnt(0)
	buffer_store_dword v4, off, s[0:3], 0 offset:12
	buffer_store_dword v3, off, s[0:3], 0 offset:8
	;; [unrolled: 1-line block ×3, first 2 shown]
	buffer_store_dword v1, off, s[0:3], 0
	flat_load_dwordx4 v[1:4], v[59:60]
	v_add_co_u32 v55, vcc_lo, s6, v8
	v_add_co_ci_u32_e64 v56, null, s7, v9, vcc_lo
	v_ashrrev_i32_e32 v8, 31, v7
	s_waitcnt vmcnt(0) lgkmcnt(0)
	buffer_store_dword v4, off, s[0:3], 0 offset:28
	buffer_store_dword v3, off, s[0:3], 0 offset:24
	;; [unrolled: 1-line block ×4, first 2 shown]
	flat_load_dwordx4 v[1:4], v[57:58]
	v_lshlrev_b64 v[8:9], 4, v[7:8]
	v_add_nc_u32_e32 v7, s13, v7
	s_waitcnt vmcnt(0) lgkmcnt(0)
	buffer_store_dword v4, off, s[0:3], 0 offset:44
	buffer_store_dword v3, off, s[0:3], 0 offset:40
	;; [unrolled: 1-line block ×4, first 2 shown]
	flat_load_dwordx4 v[1:4], v[55:56]
	v_add_co_u32 v53, vcc_lo, s6, v8
	v_add_co_ci_u32_e64 v54, null, s7, v9, vcc_lo
	v_ashrrev_i32_e32 v8, 31, v7
	s_waitcnt vmcnt(0) lgkmcnt(0)
	buffer_store_dword v4, off, s[0:3], 0 offset:60
	buffer_store_dword v3, off, s[0:3], 0 offset:56
	;; [unrolled: 1-line block ×4, first 2 shown]
	flat_load_dwordx4 v[1:4], v[53:54]
	v_lshlrev_b64 v[8:9], 4, v[7:8]
	v_add_nc_u32_e32 v7, s13, v7
	s_waitcnt vmcnt(0) lgkmcnt(0)
	buffer_store_dword v4, off, s[0:3], 0 offset:76
	buffer_store_dword v3, off, s[0:3], 0 offset:72
	;; [unrolled: 1-line block ×4, first 2 shown]
	v_add_co_u32 v49, vcc_lo, s6, v8
	v_add_co_ci_u32_e64 v50, null, s7, v9, vcc_lo
	v_ashrrev_i32_e32 v8, 31, v7
	flat_load_dwordx4 v[1:4], v[49:50]
	s_waitcnt vmcnt(0) lgkmcnt(0)
	buffer_store_dword v4, off, s[0:3], 0 offset:92
	buffer_store_dword v3, off, s[0:3], 0 offset:88
	buffer_store_dword v2, off, s[0:3], 0 offset:84
	buffer_store_dword v1, off, s[0:3], 0 offset:80
	v_lshlrev_b64 v[8:9], 4, v[7:8]
	v_add_nc_u32_e32 v7, s13, v7
	v_add_co_u32 v47, vcc_lo, s6, v8
	v_add_co_ci_u32_e64 v48, null, s7, v9, vcc_lo
	v_ashrrev_i32_e32 v8, 31, v7
	flat_load_dwordx4 v[1:4], v[47:48]
	s_waitcnt vmcnt(0) lgkmcnt(0)
	buffer_store_dword v4, off, s[0:3], 0 offset:108
	buffer_store_dword v3, off, s[0:3], 0 offset:104
	buffer_store_dword v2, off, s[0:3], 0 offset:100
	buffer_store_dword v1, off, s[0:3], 0 offset:96
	v_lshlrev_b64 v[8:9], 4, v[7:8]
	v_add_nc_u32_e32 v7, s13, v7
	;; [unrolled: 11-line block ×18, first 2 shown]
	v_add_co_u32 v11, vcc_lo, s6, v8
	v_add_co_ci_u32_e64 v12, null, s7, v9, vcc_lo
	v_ashrrev_i32_e32 v8, 31, v7
	v_add_nc_u32_e32 v33, s13, v7
	flat_load_dwordx4 v[1:4], v[11:12]
	s_waitcnt vmcnt(0) lgkmcnt(0)
	buffer_store_dword v4, off, s[0:3], 0 offset:380
	buffer_store_dword v3, off, s[0:3], 0 offset:376
	;; [unrolled: 1-line block ×4, first 2 shown]
	v_lshlrev_b64 v[9:10], 4, v[7:8]
	v_ashrrev_i32_e32 v34, 31, v33
	v_add_nc_u32_e32 v51, s13, v33
	v_add_co_u32 v9, vcc_lo, s6, v9
	v_add_co_ci_u32_e64 v10, null, s7, v10, vcc_lo
	v_lshlrev_b64 v[7:8], 4, v[33:34]
	v_ashrrev_i32_e32 v52, 31, v51
	v_add_nc_u32_e32 v61, s13, v51
	flat_load_dwordx4 v[1:4], v[9:10]
	s_waitcnt vmcnt(0) lgkmcnt(0)
	buffer_store_dword v4, off, s[0:3], 0 offset:396
	buffer_store_dword v3, off, s[0:3], 0 offset:392
	buffer_store_dword v2, off, s[0:3], 0 offset:388
	buffer_store_dword v1, off, s[0:3], 0 offset:384
	v_add_co_u32 v7, vcc_lo, s6, v7
	v_add_co_ci_u32_e64 v8, null, s7, v8, vcc_lo
	v_lshlrev_b64 v[33:34], 4, v[51:52]
	v_ashrrev_i32_e32 v62, 31, v61
	v_add_nc_u32_e32 v63, s13, v61
	flat_load_dwordx4 v[1:4], v[7:8]
	s_waitcnt vmcnt(0) lgkmcnt(0)
	buffer_store_dword v4, off, s[0:3], 0 offset:412
	buffer_store_dword v3, off, s[0:3], 0 offset:408
	buffer_store_dword v2, off, s[0:3], 0 offset:404
	buffer_store_dword v1, off, s[0:3], 0 offset:400
	;; [unrolled: 11-line block ×10, first 2 shown]
	v_add_co_u32 v73, vcc_lo, s6, v73
	v_add_co_ci_u32_e64 v74, null, s7, v74, vcc_lo
	v_lshlrev_b64 v[75:76], 4, v[77:78]
	v_ashrrev_i32_e32 v80, 31, v79
	flat_load_dwordx4 v[1:4], v[73:74]
	s_waitcnt vmcnt(0) lgkmcnt(0)
	buffer_store_dword v4, off, s[0:3], 0 offset:556
	buffer_store_dword v3, off, s[0:3], 0 offset:552
	;; [unrolled: 1-line block ×4, first 2 shown]
	v_add_co_u32 v75, vcc_lo, s6, v75
	v_add_co_ci_u32_e64 v76, null, s7, v76, vcc_lo
	v_lshlrev_b64 v[77:78], 4, v[79:80]
	v_add_nc_u32_e32 v79, s13, v79
	s_movk_i32 s13, 0xc0
	flat_load_dwordx4 v[1:4], v[75:76]
	s_waitcnt vmcnt(0) lgkmcnt(0)
	buffer_store_dword v4, off, s[0:3], 0 offset:572
	buffer_store_dword v3, off, s[0:3], 0 offset:568
	;; [unrolled: 1-line block ×4, first 2 shown]
	v_add_co_u32 v77, vcc_lo, s6, v77
	v_add_co_ci_u32_e64 v78, null, s7, v78, vcc_lo
	v_ashrrev_i32_e32 v80, 31, v79
	flat_load_dwordx4 v[1:4], v[77:78]
	s_waitcnt vmcnt(0) lgkmcnt(0)
	buffer_store_dword v4, off, s[0:3], 0 offset:588
	buffer_store_dword v3, off, s[0:3], 0 offset:584
	;; [unrolled: 1-line block ×4, first 2 shown]
	v_lshlrev_b64 v[79:80], 4, v[79:80]
	v_add_co_u32 v79, vcc_lo, s6, v79
	v_add_co_ci_u32_e64 v80, null, s7, v80, vcc_lo
	s_movk_i32 s6, 0x70
	s_movk_i32 s7, 0x80
	flat_load_dwordx4 v[1:4], v[79:80]
	s_waitcnt vmcnt(0) lgkmcnt(0)
	buffer_store_dword v4, off, s[0:3], 0 offset:604
	buffer_store_dword v3, off, s[0:3], 0 offset:600
	;; [unrolled: 1-line block ×4, first 2 shown]
	s_cbranch_scc1 .LBB101_7
; %bb.2:
	v_lshl_add_u32 v88, v0, 4, 0
                                        ; implicit-def: $vgpr83_vgpr84
                                        ; implicit-def: $vgpr3_vgpr4
	s_clause 0x3
	buffer_load_dword v81, v88, s[0:3], 0 offen
	buffer_load_dword v82, v88, s[0:3], 0 offen offset:4
	buffer_load_dword v85, v88, s[0:3], 0 offen offset:8
	;; [unrolled: 1-line block ×3, first 2 shown]
	s_waitcnt vmcnt(0)
	v_cmp_ngt_f64_e64 s9, |v[81:82]|, |v[85:86]|
	s_and_saveexec_b32 s24, s9
	s_xor_b32 s9, exec_lo, s24
	s_cbranch_execz .LBB101_4
; %bb.3:
	v_div_scale_f64 v[1:2], null, v[85:86], v[85:86], v[81:82]
	v_div_scale_f64 v[89:90], vcc_lo, v[81:82], v[85:86], v[81:82]
	v_rcp_f64_e32 v[3:4], v[1:2]
	v_fma_f64 v[83:84], -v[1:2], v[3:4], 1.0
	v_fma_f64 v[3:4], v[3:4], v[83:84], v[3:4]
	v_fma_f64 v[83:84], -v[1:2], v[3:4], 1.0
	v_fma_f64 v[3:4], v[3:4], v[83:84], v[3:4]
	v_mul_f64 v[83:84], v[89:90], v[3:4]
	v_fma_f64 v[1:2], -v[1:2], v[83:84], v[89:90]
	v_div_fmas_f64 v[1:2], v[1:2], v[3:4], v[83:84]
	v_div_fixup_f64 v[1:2], v[1:2], v[85:86], v[81:82]
	v_fma_f64 v[3:4], v[81:82], v[1:2], v[85:86]
	v_div_scale_f64 v[81:82], null, v[3:4], v[3:4], 1.0
	v_div_scale_f64 v[89:90], vcc_lo, 1.0, v[3:4], 1.0
	v_rcp_f64_e32 v[83:84], v[81:82]
	v_fma_f64 v[85:86], -v[81:82], v[83:84], 1.0
	v_fma_f64 v[83:84], v[83:84], v[85:86], v[83:84]
	v_fma_f64 v[85:86], -v[81:82], v[83:84], 1.0
	v_fma_f64 v[83:84], v[83:84], v[85:86], v[83:84]
	v_mul_f64 v[85:86], v[89:90], v[83:84]
	v_fma_f64 v[81:82], -v[81:82], v[85:86], v[89:90]
	v_div_fmas_f64 v[81:82], v[81:82], v[83:84], v[85:86]
                                        ; implicit-def: $vgpr85_vgpr86
	v_div_fixup_f64 v[3:4], v[81:82], v[3:4], 1.0
                                        ; implicit-def: $vgpr81_vgpr82
	v_mul_f64 v[83:84], v[1:2], v[3:4]
	v_xor_b32_e32 v4, 0x80000000, v4
	v_xor_b32_e32 v2, 0x80000000, v84
	v_mov_b32_e32 v1, v83
.LBB101_4:
	s_andn2_saveexec_b32 s9, s9
	s_cbranch_execz .LBB101_6
; %bb.5:
	v_div_scale_f64 v[1:2], null, v[81:82], v[81:82], v[85:86]
	v_div_scale_f64 v[89:90], vcc_lo, v[85:86], v[81:82], v[85:86]
	v_rcp_f64_e32 v[3:4], v[1:2]
	v_fma_f64 v[83:84], -v[1:2], v[3:4], 1.0
	v_fma_f64 v[3:4], v[3:4], v[83:84], v[3:4]
	v_fma_f64 v[83:84], -v[1:2], v[3:4], 1.0
	v_fma_f64 v[3:4], v[3:4], v[83:84], v[3:4]
	v_mul_f64 v[83:84], v[89:90], v[3:4]
	v_fma_f64 v[1:2], -v[1:2], v[83:84], v[89:90]
	v_div_fmas_f64 v[1:2], v[1:2], v[3:4], v[83:84]
	v_div_fixup_f64 v[1:2], v[1:2], v[81:82], v[85:86]
	v_fma_f64 v[3:4], v[85:86], v[1:2], v[81:82]
	v_div_scale_f64 v[81:82], null, v[3:4], v[3:4], 1.0
	v_rcp_f64_e32 v[83:84], v[81:82]
	v_fma_f64 v[85:86], -v[81:82], v[83:84], 1.0
	v_fma_f64 v[83:84], v[83:84], v[85:86], v[83:84]
	v_fma_f64 v[85:86], -v[81:82], v[83:84], 1.0
	v_fma_f64 v[83:84], v[83:84], v[85:86], v[83:84]
	v_div_scale_f64 v[85:86], vcc_lo, 1.0, v[3:4], 1.0
	v_mul_f64 v[89:90], v[85:86], v[83:84]
	v_fma_f64 v[81:82], -v[81:82], v[89:90], v[85:86]
	v_div_fmas_f64 v[81:82], v[81:82], v[83:84], v[89:90]
	v_div_fixup_f64 v[83:84], v[81:82], v[3:4], 1.0
	v_mul_f64 v[3:4], v[1:2], -v[83:84]
	v_xor_b32_e32 v2, 0x80000000, v84
	v_mov_b32_e32 v1, v83
.LBB101_6:
	s_or_b32 exec_lo, exec_lo, s9
	buffer_store_dword v4, v88, s[0:3], 0 offen offset:12
	v_xor_b32_e32 v4, 0x80000000, v4
	buffer_store_dword v84, v88, s[0:3], 0 offen offset:4
	buffer_store_dword v83, v88, s[0:3], 0 offen
	buffer_store_dword v3, v88, s[0:3], 0 offen offset:8
	s_branch .LBB101_8
.LBB101_7:
	v_mov_b32_e32 v1, 0
	v_mov_b32_e32 v3, 0
	;; [unrolled: 1-line block ×4, first 2 shown]
.LBB101_8:
	v_add_nc_u32_e32 v82, 0x260, v87
	v_mov_b32_e32 v81, v87
	s_mov_b32 s45, 16
	s_mov_b32 s44, 32
	;; [unrolled: 1-line block ×36, first 2 shown]
	s_cmpk_eq_i32 s8, 0x79
	ds_write_b128 v87, v[1:4]
	s_cbranch_scc1 .LBB101_300
; %bb.9:
	v_mov_b32_e32 v4, s9
	v_cmp_eq_u32_e64 s4, 37, v0
	s_clause 0x3
	buffer_load_dword v1, v4, s[0:3], 0 offen
	buffer_load_dword v2, v4, s[0:3], 0 offen offset:4
	buffer_load_dword v3, v4, s[0:3], 0 offen offset:8
	;; [unrolled: 1-line block ×3, first 2 shown]
	s_waitcnt vmcnt(0)
	ds_write_b128 v82, v[1:4]
	s_waitcnt lgkmcnt(0)
	s_waitcnt_vscnt null, 0x0
	s_barrier
	buffer_gl0_inv
	s_and_saveexec_b32 s5, s4
	s_cbranch_execz .LBB101_13
; %bb.10:
	ds_read_b128 v[1:4], v82
	s_andn2_b32 vcc_lo, exec_lo, s46
	s_cbranch_vccnz .LBB101_12
; %bb.11:
	s_clause 0x3
	buffer_load_dword v83, v81, s[0:3], 0 offen offset:8
	buffer_load_dword v84, v81, s[0:3], 0 offen offset:12
	buffer_load_dword v85, v81, s[0:3], 0 offen
	buffer_load_dword v86, v81, s[0:3], 0 offen offset:4
	s_waitcnt vmcnt(2) lgkmcnt(0)
	v_mul_f64 v[88:89], v[3:4], v[83:84]
	v_mul_f64 v[83:84], v[1:2], v[83:84]
	s_waitcnt vmcnt(0)
	v_fma_f64 v[1:2], v[1:2], v[85:86], -v[88:89]
	v_fma_f64 v[3:4], v[3:4], v[85:86], v[83:84]
.LBB101_12:
	v_mov_b32_e32 v83, 0
	ds_read_b128 v[83:86], v83 offset:576
	s_waitcnt lgkmcnt(0)
	v_mul_f64 v[88:89], v[3:4], v[85:86]
	v_mul_f64 v[85:86], v[1:2], v[85:86]
	v_fma_f64 v[1:2], v[1:2], v[83:84], -v[88:89]
	v_fma_f64 v[3:4], v[3:4], v[83:84], v[85:86]
	buffer_store_dword v2, off, s[0:3], 0 offset:580
	buffer_store_dword v1, off, s[0:3], 0 offset:576
	;; [unrolled: 1-line block ×4, first 2 shown]
.LBB101_13:
	s_or_b32 exec_lo, exec_lo, s5
	v_mov_b32_e32 v4, s10
	v_cmp_lt_u32_e64 s5, 35, v0
	s_clause 0x3
	buffer_load_dword v1, v4, s[0:3], 0 offen
	buffer_load_dword v2, v4, s[0:3], 0 offen offset:4
	buffer_load_dword v3, v4, s[0:3], 0 offen offset:8
	;; [unrolled: 1-line block ×3, first 2 shown]
	s_waitcnt vmcnt(0)
	ds_write_b128 v82, v[1:4]
	s_waitcnt lgkmcnt(0)
	s_waitcnt_vscnt null, 0x0
	s_barrier
	buffer_gl0_inv
	s_and_saveexec_b32 s6, s5
	s_cbranch_execz .LBB101_19
; %bb.14:
	ds_read_b128 v[1:4], v82
	s_andn2_b32 vcc_lo, exec_lo, s46
	s_cbranch_vccnz .LBB101_16
; %bb.15:
	s_clause 0x3
	buffer_load_dword v83, v81, s[0:3], 0 offen offset:8
	buffer_load_dword v84, v81, s[0:3], 0 offen offset:12
	buffer_load_dword v85, v81, s[0:3], 0 offen
	buffer_load_dword v86, v81, s[0:3], 0 offen offset:4
	s_waitcnt vmcnt(2) lgkmcnt(0)
	v_mul_f64 v[88:89], v[3:4], v[83:84]
	v_mul_f64 v[83:84], v[1:2], v[83:84]
	s_waitcnt vmcnt(0)
	v_fma_f64 v[1:2], v[1:2], v[85:86], -v[88:89]
	v_fma_f64 v[3:4], v[3:4], v[85:86], v[83:84]
.LBB101_16:
	s_and_saveexec_b32 s8, s4
	s_cbranch_execz .LBB101_18
; %bb.17:
	s_clause 0x3
	buffer_load_dword v88, off, s[0:3], 0 offset:584
	buffer_load_dword v89, off, s[0:3], 0 offset:588
	;; [unrolled: 1-line block ×4, first 2 shown]
	v_mov_b32_e32 v83, 0
	ds_read_b128 v[83:86], v83 offset:1184
	s_waitcnt vmcnt(2) lgkmcnt(0)
	v_mul_f64 v[92:93], v[83:84], v[88:89]
	v_mul_f64 v[88:89], v[85:86], v[88:89]
	s_waitcnt vmcnt(0)
	v_fma_f64 v[85:86], v[85:86], v[90:91], v[92:93]
	v_fma_f64 v[83:84], v[83:84], v[90:91], -v[88:89]
	v_add_f64 v[3:4], v[3:4], v[85:86]
	v_add_f64 v[1:2], v[1:2], v[83:84]
.LBB101_18:
	s_or_b32 exec_lo, exec_lo, s8
	v_mov_b32_e32 v83, 0
	ds_read_b128 v[83:86], v83 offset:560
	s_waitcnt lgkmcnt(0)
	v_mul_f64 v[88:89], v[3:4], v[85:86]
	v_mul_f64 v[85:86], v[1:2], v[85:86]
	v_fma_f64 v[1:2], v[1:2], v[83:84], -v[88:89]
	v_fma_f64 v[3:4], v[3:4], v[83:84], v[85:86]
	buffer_store_dword v2, off, s[0:3], 0 offset:564
	buffer_store_dword v1, off, s[0:3], 0 offset:560
	;; [unrolled: 1-line block ×4, first 2 shown]
.LBB101_19:
	s_or_b32 exec_lo, exec_lo, s6
	v_mov_b32_e32 v4, s11
	v_cmp_lt_u32_e64 s4, 34, v0
	s_clause 0x3
	buffer_load_dword v1, v4, s[0:3], 0 offen
	buffer_load_dword v2, v4, s[0:3], 0 offen offset:4
	buffer_load_dword v3, v4, s[0:3], 0 offen offset:8
	;; [unrolled: 1-line block ×3, first 2 shown]
	s_waitcnt vmcnt(0)
	ds_write_b128 v82, v[1:4]
	s_waitcnt lgkmcnt(0)
	s_waitcnt_vscnt null, 0x0
	s_barrier
	buffer_gl0_inv
	s_and_saveexec_b32 s6, s4
	s_cbranch_execz .LBB101_27
; %bb.20:
	ds_read_b128 v[1:4], v82
	s_andn2_b32 vcc_lo, exec_lo, s46
	s_cbranch_vccnz .LBB101_22
; %bb.21:
	s_clause 0x3
	buffer_load_dword v83, v81, s[0:3], 0 offen offset:8
	buffer_load_dword v84, v81, s[0:3], 0 offen offset:12
	buffer_load_dword v85, v81, s[0:3], 0 offen
	buffer_load_dword v86, v81, s[0:3], 0 offen offset:4
	s_waitcnt vmcnt(2) lgkmcnt(0)
	v_mul_f64 v[88:89], v[3:4], v[83:84]
	v_mul_f64 v[83:84], v[1:2], v[83:84]
	s_waitcnt vmcnt(0)
	v_fma_f64 v[1:2], v[1:2], v[85:86], -v[88:89]
	v_fma_f64 v[3:4], v[3:4], v[85:86], v[83:84]
.LBB101_22:
	s_and_saveexec_b32 s8, s5
	s_cbranch_execz .LBB101_26
; %bb.23:
	v_subrev_nc_u32_e32 v83, 35, v0
	s_movk_i32 s47, 0x490
	s_mov_b32 s5, 0
	s_mov_b32 s48, s10
	.p2align	6
.LBB101_24:                             ; =>This Inner Loop Header: Depth=1
	v_mov_b32_e32 v86, s48
	v_add_nc_u32_e32 v83, -1, v83
	s_add_i32 s48, s48, 16
	s_clause 0x3
	buffer_load_dword v84, v86, s[0:3], 0 offen offset:8
	buffer_load_dword v85, v86, s[0:3], 0 offen offset:12
	buffer_load_dword v92, v86, s[0:3], 0 offen
	buffer_load_dword v93, v86, s[0:3], 0 offen offset:4
	v_mov_b32_e32 v86, s47
	v_cmp_eq_u32_e32 vcc_lo, 0, v83
	s_add_i32 s47, s47, 16
	ds_read_b128 v[88:91], v86
	s_or_b32 s5, vcc_lo, s5
	s_waitcnt vmcnt(2) lgkmcnt(0)
	v_mul_f64 v[94:95], v[90:91], v[84:85]
	v_mul_f64 v[84:85], v[88:89], v[84:85]
	s_waitcnt vmcnt(0)
	v_fma_f64 v[88:89], v[88:89], v[92:93], -v[94:95]
	v_fma_f64 v[84:85], v[90:91], v[92:93], v[84:85]
	v_add_f64 v[1:2], v[1:2], v[88:89]
	v_add_f64 v[3:4], v[3:4], v[84:85]
	s_andn2_b32 exec_lo, exec_lo, s5
	s_cbranch_execnz .LBB101_24
; %bb.25:
	s_or_b32 exec_lo, exec_lo, s5
.LBB101_26:
	s_or_b32 exec_lo, exec_lo, s8
	v_mov_b32_e32 v83, 0
	ds_read_b128 v[83:86], v83 offset:544
	s_waitcnt lgkmcnt(0)
	v_mul_f64 v[88:89], v[3:4], v[85:86]
	v_mul_f64 v[85:86], v[1:2], v[85:86]
	v_fma_f64 v[1:2], v[1:2], v[83:84], -v[88:89]
	v_fma_f64 v[3:4], v[3:4], v[83:84], v[85:86]
	buffer_store_dword v2, off, s[0:3], 0 offset:548
	buffer_store_dword v1, off, s[0:3], 0 offset:544
	;; [unrolled: 1-line block ×4, first 2 shown]
.LBB101_27:
	s_or_b32 exec_lo, exec_lo, s6
	v_mov_b32_e32 v4, s12
	v_cmp_lt_u32_e64 s5, 33, v0
	s_clause 0x3
	buffer_load_dword v1, v4, s[0:3], 0 offen
	buffer_load_dword v2, v4, s[0:3], 0 offen offset:4
	buffer_load_dword v3, v4, s[0:3], 0 offen offset:8
	;; [unrolled: 1-line block ×3, first 2 shown]
	s_waitcnt vmcnt(0)
	ds_write_b128 v82, v[1:4]
	s_waitcnt lgkmcnt(0)
	s_waitcnt_vscnt null, 0x0
	s_barrier
	buffer_gl0_inv
	s_and_saveexec_b32 s6, s5
	s_cbranch_execz .LBB101_35
; %bb.28:
	ds_read_b128 v[1:4], v82
	s_andn2_b32 vcc_lo, exec_lo, s46
	s_cbranch_vccnz .LBB101_30
; %bb.29:
	s_clause 0x3
	buffer_load_dword v83, v81, s[0:3], 0 offen offset:8
	buffer_load_dword v84, v81, s[0:3], 0 offen offset:12
	buffer_load_dword v85, v81, s[0:3], 0 offen
	buffer_load_dword v86, v81, s[0:3], 0 offen offset:4
	s_waitcnt vmcnt(2) lgkmcnt(0)
	v_mul_f64 v[88:89], v[3:4], v[83:84]
	v_mul_f64 v[83:84], v[1:2], v[83:84]
	s_waitcnt vmcnt(0)
	v_fma_f64 v[1:2], v[1:2], v[85:86], -v[88:89]
	v_fma_f64 v[3:4], v[3:4], v[85:86], v[83:84]
.LBB101_30:
	s_and_saveexec_b32 s8, s4
	s_cbranch_execz .LBB101_34
; %bb.31:
	v_subrev_nc_u32_e32 v83, 34, v0
	s_movk_i32 s47, 0x480
	s_mov_b32 s4, 0
	s_mov_b32 s48, s11
	.p2align	6
.LBB101_32:                             ; =>This Inner Loop Header: Depth=1
	v_mov_b32_e32 v86, s48
	v_add_nc_u32_e32 v83, -1, v83
	s_add_i32 s48, s48, 16
	s_clause 0x3
	buffer_load_dword v84, v86, s[0:3], 0 offen offset:8
	buffer_load_dword v85, v86, s[0:3], 0 offen offset:12
	buffer_load_dword v92, v86, s[0:3], 0 offen
	buffer_load_dword v93, v86, s[0:3], 0 offen offset:4
	v_mov_b32_e32 v86, s47
	v_cmp_eq_u32_e32 vcc_lo, 0, v83
	s_add_i32 s47, s47, 16
	ds_read_b128 v[88:91], v86
	s_or_b32 s4, vcc_lo, s4
	s_waitcnt vmcnt(2) lgkmcnt(0)
	v_mul_f64 v[94:95], v[90:91], v[84:85]
	v_mul_f64 v[84:85], v[88:89], v[84:85]
	s_waitcnt vmcnt(0)
	v_fma_f64 v[88:89], v[88:89], v[92:93], -v[94:95]
	v_fma_f64 v[84:85], v[90:91], v[92:93], v[84:85]
	v_add_f64 v[1:2], v[1:2], v[88:89]
	v_add_f64 v[3:4], v[3:4], v[84:85]
	s_andn2_b32 exec_lo, exec_lo, s4
	s_cbranch_execnz .LBB101_32
; %bb.33:
	s_or_b32 exec_lo, exec_lo, s4
.LBB101_34:
	s_or_b32 exec_lo, exec_lo, s8
	v_mov_b32_e32 v83, 0
	ds_read_b128 v[83:86], v83 offset:528
	s_waitcnt lgkmcnt(0)
	v_mul_f64 v[88:89], v[3:4], v[85:86]
	v_mul_f64 v[85:86], v[1:2], v[85:86]
	v_fma_f64 v[1:2], v[1:2], v[83:84], -v[88:89]
	v_fma_f64 v[3:4], v[3:4], v[83:84], v[85:86]
	buffer_store_dword v2, off, s[0:3], 0 offset:532
	buffer_store_dword v1, off, s[0:3], 0 offset:528
	;; [unrolled: 1-line block ×4, first 2 shown]
.LBB101_35:
	s_or_b32 exec_lo, exec_lo, s6
	v_mov_b32_e32 v4, s13
	v_cmp_lt_u32_e64 s4, 32, v0
	s_clause 0x3
	buffer_load_dword v1, v4, s[0:3], 0 offen
	buffer_load_dword v2, v4, s[0:3], 0 offen offset:4
	buffer_load_dword v3, v4, s[0:3], 0 offen offset:8
	;; [unrolled: 1-line block ×3, first 2 shown]
	s_waitcnt vmcnt(0)
	ds_write_b128 v82, v[1:4]
	s_waitcnt lgkmcnt(0)
	s_waitcnt_vscnt null, 0x0
	s_barrier
	buffer_gl0_inv
	s_and_saveexec_b32 s6, s4
	s_cbranch_execz .LBB101_43
; %bb.36:
	ds_read_b128 v[1:4], v82
	s_andn2_b32 vcc_lo, exec_lo, s46
	s_cbranch_vccnz .LBB101_38
; %bb.37:
	s_clause 0x3
	buffer_load_dword v83, v81, s[0:3], 0 offen offset:8
	buffer_load_dword v84, v81, s[0:3], 0 offen offset:12
	buffer_load_dword v85, v81, s[0:3], 0 offen
	buffer_load_dword v86, v81, s[0:3], 0 offen offset:4
	s_waitcnt vmcnt(2) lgkmcnt(0)
	v_mul_f64 v[88:89], v[3:4], v[83:84]
	v_mul_f64 v[83:84], v[1:2], v[83:84]
	s_waitcnt vmcnt(0)
	v_fma_f64 v[1:2], v[1:2], v[85:86], -v[88:89]
	v_fma_f64 v[3:4], v[3:4], v[85:86], v[83:84]
.LBB101_38:
	s_and_saveexec_b32 s8, s5
	s_cbranch_execz .LBB101_42
; %bb.39:
	v_subrev_nc_u32_e32 v83, 33, v0
	s_movk_i32 s47, 0x470
	s_mov_b32 s5, 0
	s_mov_b32 s48, s12
	.p2align	6
.LBB101_40:                             ; =>This Inner Loop Header: Depth=1
	v_mov_b32_e32 v86, s48
	v_add_nc_u32_e32 v83, -1, v83
	s_add_i32 s48, s48, 16
	s_clause 0x3
	buffer_load_dword v84, v86, s[0:3], 0 offen offset:8
	buffer_load_dword v85, v86, s[0:3], 0 offen offset:12
	buffer_load_dword v92, v86, s[0:3], 0 offen
	buffer_load_dword v93, v86, s[0:3], 0 offen offset:4
	v_mov_b32_e32 v86, s47
	v_cmp_eq_u32_e32 vcc_lo, 0, v83
	s_add_i32 s47, s47, 16
	ds_read_b128 v[88:91], v86
	s_or_b32 s5, vcc_lo, s5
	s_waitcnt vmcnt(2) lgkmcnt(0)
	v_mul_f64 v[94:95], v[90:91], v[84:85]
	v_mul_f64 v[84:85], v[88:89], v[84:85]
	s_waitcnt vmcnt(0)
	v_fma_f64 v[88:89], v[88:89], v[92:93], -v[94:95]
	v_fma_f64 v[84:85], v[90:91], v[92:93], v[84:85]
	v_add_f64 v[1:2], v[1:2], v[88:89]
	v_add_f64 v[3:4], v[3:4], v[84:85]
	s_andn2_b32 exec_lo, exec_lo, s5
	s_cbranch_execnz .LBB101_40
; %bb.41:
	s_or_b32 exec_lo, exec_lo, s5
.LBB101_42:
	s_or_b32 exec_lo, exec_lo, s8
	v_mov_b32_e32 v83, 0
	ds_read_b128 v[83:86], v83 offset:512
	s_waitcnt lgkmcnt(0)
	v_mul_f64 v[88:89], v[3:4], v[85:86]
	v_mul_f64 v[85:86], v[1:2], v[85:86]
	v_fma_f64 v[1:2], v[1:2], v[83:84], -v[88:89]
	v_fma_f64 v[3:4], v[3:4], v[83:84], v[85:86]
	buffer_store_dword v2, off, s[0:3], 0 offset:516
	buffer_store_dword v1, off, s[0:3], 0 offset:512
	;; [unrolled: 1-line block ×4, first 2 shown]
.LBB101_43:
	s_or_b32 exec_lo, exec_lo, s6
	v_mov_b32_e32 v4, s14
	v_cmp_lt_u32_e64 s5, 31, v0
	s_clause 0x3
	buffer_load_dword v1, v4, s[0:3], 0 offen
	buffer_load_dword v2, v4, s[0:3], 0 offen offset:4
	buffer_load_dword v3, v4, s[0:3], 0 offen offset:8
	;; [unrolled: 1-line block ×3, first 2 shown]
	s_waitcnt vmcnt(0)
	ds_write_b128 v82, v[1:4]
	s_waitcnt lgkmcnt(0)
	s_waitcnt_vscnt null, 0x0
	s_barrier
	buffer_gl0_inv
	s_and_saveexec_b32 s6, s5
	s_cbranch_execz .LBB101_51
; %bb.44:
	ds_read_b128 v[1:4], v82
	s_andn2_b32 vcc_lo, exec_lo, s46
	s_cbranch_vccnz .LBB101_46
; %bb.45:
	s_clause 0x3
	buffer_load_dword v83, v81, s[0:3], 0 offen offset:8
	buffer_load_dword v84, v81, s[0:3], 0 offen offset:12
	buffer_load_dword v85, v81, s[0:3], 0 offen
	buffer_load_dword v86, v81, s[0:3], 0 offen offset:4
	s_waitcnt vmcnt(2) lgkmcnt(0)
	v_mul_f64 v[88:89], v[3:4], v[83:84]
	v_mul_f64 v[83:84], v[1:2], v[83:84]
	s_waitcnt vmcnt(0)
	v_fma_f64 v[1:2], v[1:2], v[85:86], -v[88:89]
	v_fma_f64 v[3:4], v[3:4], v[85:86], v[83:84]
.LBB101_46:
	s_and_saveexec_b32 s8, s4
	s_cbranch_execz .LBB101_50
; %bb.47:
	v_subrev_nc_u32_e32 v83, 32, v0
	s_movk_i32 s47, 0x460
	s_mov_b32 s4, 0
	s_mov_b32 s48, s13
	.p2align	6
.LBB101_48:                             ; =>This Inner Loop Header: Depth=1
	v_mov_b32_e32 v86, s48
	v_add_nc_u32_e32 v83, -1, v83
	s_add_i32 s48, s48, 16
	s_clause 0x3
	buffer_load_dword v84, v86, s[0:3], 0 offen offset:8
	buffer_load_dword v85, v86, s[0:3], 0 offen offset:12
	buffer_load_dword v92, v86, s[0:3], 0 offen
	buffer_load_dword v93, v86, s[0:3], 0 offen offset:4
	v_mov_b32_e32 v86, s47
	v_cmp_eq_u32_e32 vcc_lo, 0, v83
	s_add_i32 s47, s47, 16
	ds_read_b128 v[88:91], v86
	s_or_b32 s4, vcc_lo, s4
	s_waitcnt vmcnt(2) lgkmcnt(0)
	v_mul_f64 v[94:95], v[90:91], v[84:85]
	v_mul_f64 v[84:85], v[88:89], v[84:85]
	s_waitcnt vmcnt(0)
	v_fma_f64 v[88:89], v[88:89], v[92:93], -v[94:95]
	v_fma_f64 v[84:85], v[90:91], v[92:93], v[84:85]
	v_add_f64 v[1:2], v[1:2], v[88:89]
	v_add_f64 v[3:4], v[3:4], v[84:85]
	s_andn2_b32 exec_lo, exec_lo, s4
	s_cbranch_execnz .LBB101_48
; %bb.49:
	s_or_b32 exec_lo, exec_lo, s4
.LBB101_50:
	s_or_b32 exec_lo, exec_lo, s8
	v_mov_b32_e32 v83, 0
	ds_read_b128 v[83:86], v83 offset:496
	s_waitcnt lgkmcnt(0)
	v_mul_f64 v[88:89], v[3:4], v[85:86]
	v_mul_f64 v[85:86], v[1:2], v[85:86]
	v_fma_f64 v[1:2], v[1:2], v[83:84], -v[88:89]
	v_fma_f64 v[3:4], v[3:4], v[83:84], v[85:86]
	buffer_store_dword v2, off, s[0:3], 0 offset:500
	buffer_store_dword v1, off, s[0:3], 0 offset:496
	;; [unrolled: 1-line block ×4, first 2 shown]
.LBB101_51:
	s_or_b32 exec_lo, exec_lo, s6
	v_mov_b32_e32 v4, s15
	v_cmp_lt_u32_e64 s4, 30, v0
	s_clause 0x3
	buffer_load_dword v1, v4, s[0:3], 0 offen
	buffer_load_dword v2, v4, s[0:3], 0 offen offset:4
	buffer_load_dword v3, v4, s[0:3], 0 offen offset:8
	;; [unrolled: 1-line block ×3, first 2 shown]
	s_waitcnt vmcnt(0)
	ds_write_b128 v82, v[1:4]
	s_waitcnt lgkmcnt(0)
	s_waitcnt_vscnt null, 0x0
	s_barrier
	buffer_gl0_inv
	s_and_saveexec_b32 s6, s4
	s_cbranch_execz .LBB101_59
; %bb.52:
	ds_read_b128 v[1:4], v82
	s_andn2_b32 vcc_lo, exec_lo, s46
	s_cbranch_vccnz .LBB101_54
; %bb.53:
	s_clause 0x3
	buffer_load_dword v83, v81, s[0:3], 0 offen offset:8
	buffer_load_dword v84, v81, s[0:3], 0 offen offset:12
	buffer_load_dword v85, v81, s[0:3], 0 offen
	buffer_load_dword v86, v81, s[0:3], 0 offen offset:4
	s_waitcnt vmcnt(2) lgkmcnt(0)
	v_mul_f64 v[88:89], v[3:4], v[83:84]
	v_mul_f64 v[83:84], v[1:2], v[83:84]
	s_waitcnt vmcnt(0)
	v_fma_f64 v[1:2], v[1:2], v[85:86], -v[88:89]
	v_fma_f64 v[3:4], v[3:4], v[85:86], v[83:84]
.LBB101_54:
	s_and_saveexec_b32 s8, s5
	s_cbranch_execz .LBB101_58
; %bb.55:
	v_subrev_nc_u32_e32 v83, 31, v0
	s_movk_i32 s47, 0x450
	s_mov_b32 s5, 0
	s_mov_b32 s48, s14
	.p2align	6
.LBB101_56:                             ; =>This Inner Loop Header: Depth=1
	v_mov_b32_e32 v86, s48
	v_add_nc_u32_e32 v83, -1, v83
	s_add_i32 s48, s48, 16
	s_clause 0x3
	buffer_load_dword v84, v86, s[0:3], 0 offen offset:8
	buffer_load_dword v85, v86, s[0:3], 0 offen offset:12
	buffer_load_dword v92, v86, s[0:3], 0 offen
	buffer_load_dword v93, v86, s[0:3], 0 offen offset:4
	v_mov_b32_e32 v86, s47
	v_cmp_eq_u32_e32 vcc_lo, 0, v83
	s_add_i32 s47, s47, 16
	ds_read_b128 v[88:91], v86
	s_or_b32 s5, vcc_lo, s5
	s_waitcnt vmcnt(2) lgkmcnt(0)
	v_mul_f64 v[94:95], v[90:91], v[84:85]
	v_mul_f64 v[84:85], v[88:89], v[84:85]
	s_waitcnt vmcnt(0)
	v_fma_f64 v[88:89], v[88:89], v[92:93], -v[94:95]
	v_fma_f64 v[84:85], v[90:91], v[92:93], v[84:85]
	v_add_f64 v[1:2], v[1:2], v[88:89]
	v_add_f64 v[3:4], v[3:4], v[84:85]
	s_andn2_b32 exec_lo, exec_lo, s5
	s_cbranch_execnz .LBB101_56
; %bb.57:
	s_or_b32 exec_lo, exec_lo, s5
.LBB101_58:
	s_or_b32 exec_lo, exec_lo, s8
	v_mov_b32_e32 v83, 0
	ds_read_b128 v[83:86], v83 offset:480
	s_waitcnt lgkmcnt(0)
	v_mul_f64 v[88:89], v[3:4], v[85:86]
	v_mul_f64 v[85:86], v[1:2], v[85:86]
	v_fma_f64 v[1:2], v[1:2], v[83:84], -v[88:89]
	v_fma_f64 v[3:4], v[3:4], v[83:84], v[85:86]
	buffer_store_dword v2, off, s[0:3], 0 offset:484
	buffer_store_dword v1, off, s[0:3], 0 offset:480
	;; [unrolled: 1-line block ×4, first 2 shown]
.LBB101_59:
	s_or_b32 exec_lo, exec_lo, s6
	v_mov_b32_e32 v4, s16
	v_cmp_lt_u32_e64 s5, 29, v0
	s_clause 0x3
	buffer_load_dword v1, v4, s[0:3], 0 offen
	buffer_load_dword v2, v4, s[0:3], 0 offen offset:4
	buffer_load_dword v3, v4, s[0:3], 0 offen offset:8
	buffer_load_dword v4, v4, s[0:3], 0 offen offset:12
	s_waitcnt vmcnt(0)
	ds_write_b128 v82, v[1:4]
	s_waitcnt lgkmcnt(0)
	s_waitcnt_vscnt null, 0x0
	s_barrier
	buffer_gl0_inv
	s_and_saveexec_b32 s6, s5
	s_cbranch_execz .LBB101_67
; %bb.60:
	ds_read_b128 v[1:4], v82
	s_andn2_b32 vcc_lo, exec_lo, s46
	s_cbranch_vccnz .LBB101_62
; %bb.61:
	s_clause 0x3
	buffer_load_dword v83, v81, s[0:3], 0 offen offset:8
	buffer_load_dword v84, v81, s[0:3], 0 offen offset:12
	buffer_load_dword v85, v81, s[0:3], 0 offen
	buffer_load_dword v86, v81, s[0:3], 0 offen offset:4
	s_waitcnt vmcnt(2) lgkmcnt(0)
	v_mul_f64 v[88:89], v[3:4], v[83:84]
	v_mul_f64 v[83:84], v[1:2], v[83:84]
	s_waitcnt vmcnt(0)
	v_fma_f64 v[1:2], v[1:2], v[85:86], -v[88:89]
	v_fma_f64 v[3:4], v[3:4], v[85:86], v[83:84]
.LBB101_62:
	s_and_saveexec_b32 s8, s4
	s_cbranch_execz .LBB101_66
; %bb.63:
	v_subrev_nc_u32_e32 v83, 30, v0
	s_movk_i32 s47, 0x440
	s_mov_b32 s4, 0
	s_mov_b32 s48, s15
	.p2align	6
.LBB101_64:                             ; =>This Inner Loop Header: Depth=1
	v_mov_b32_e32 v86, s48
	v_add_nc_u32_e32 v83, -1, v83
	s_add_i32 s48, s48, 16
	s_clause 0x3
	buffer_load_dword v84, v86, s[0:3], 0 offen offset:8
	buffer_load_dword v85, v86, s[0:3], 0 offen offset:12
	buffer_load_dword v92, v86, s[0:3], 0 offen
	buffer_load_dword v93, v86, s[0:3], 0 offen offset:4
	v_mov_b32_e32 v86, s47
	v_cmp_eq_u32_e32 vcc_lo, 0, v83
	s_add_i32 s47, s47, 16
	ds_read_b128 v[88:91], v86
	s_or_b32 s4, vcc_lo, s4
	s_waitcnt vmcnt(2) lgkmcnt(0)
	v_mul_f64 v[94:95], v[90:91], v[84:85]
	v_mul_f64 v[84:85], v[88:89], v[84:85]
	s_waitcnt vmcnt(0)
	v_fma_f64 v[88:89], v[88:89], v[92:93], -v[94:95]
	v_fma_f64 v[84:85], v[90:91], v[92:93], v[84:85]
	v_add_f64 v[1:2], v[1:2], v[88:89]
	v_add_f64 v[3:4], v[3:4], v[84:85]
	s_andn2_b32 exec_lo, exec_lo, s4
	s_cbranch_execnz .LBB101_64
; %bb.65:
	s_or_b32 exec_lo, exec_lo, s4
.LBB101_66:
	s_or_b32 exec_lo, exec_lo, s8
	v_mov_b32_e32 v83, 0
	ds_read_b128 v[83:86], v83 offset:464
	s_waitcnt lgkmcnt(0)
	v_mul_f64 v[88:89], v[3:4], v[85:86]
	v_mul_f64 v[85:86], v[1:2], v[85:86]
	v_fma_f64 v[1:2], v[1:2], v[83:84], -v[88:89]
	v_fma_f64 v[3:4], v[3:4], v[83:84], v[85:86]
	buffer_store_dword v2, off, s[0:3], 0 offset:468
	buffer_store_dword v1, off, s[0:3], 0 offset:464
	;; [unrolled: 1-line block ×4, first 2 shown]
.LBB101_67:
	s_or_b32 exec_lo, exec_lo, s6
	v_mov_b32_e32 v4, s17
	v_cmp_lt_u32_e64 s4, 28, v0
	s_clause 0x3
	buffer_load_dword v1, v4, s[0:3], 0 offen
	buffer_load_dword v2, v4, s[0:3], 0 offen offset:4
	buffer_load_dword v3, v4, s[0:3], 0 offen offset:8
	;; [unrolled: 1-line block ×3, first 2 shown]
	s_waitcnt vmcnt(0)
	ds_write_b128 v82, v[1:4]
	s_waitcnt lgkmcnt(0)
	s_waitcnt_vscnt null, 0x0
	s_barrier
	buffer_gl0_inv
	s_and_saveexec_b32 s6, s4
	s_cbranch_execz .LBB101_75
; %bb.68:
	ds_read_b128 v[1:4], v82
	s_andn2_b32 vcc_lo, exec_lo, s46
	s_cbranch_vccnz .LBB101_70
; %bb.69:
	s_clause 0x3
	buffer_load_dword v83, v81, s[0:3], 0 offen offset:8
	buffer_load_dword v84, v81, s[0:3], 0 offen offset:12
	buffer_load_dword v85, v81, s[0:3], 0 offen
	buffer_load_dword v86, v81, s[0:3], 0 offen offset:4
	s_waitcnt vmcnt(2) lgkmcnt(0)
	v_mul_f64 v[88:89], v[3:4], v[83:84]
	v_mul_f64 v[83:84], v[1:2], v[83:84]
	s_waitcnt vmcnt(0)
	v_fma_f64 v[1:2], v[1:2], v[85:86], -v[88:89]
	v_fma_f64 v[3:4], v[3:4], v[85:86], v[83:84]
.LBB101_70:
	s_and_saveexec_b32 s8, s5
	s_cbranch_execz .LBB101_74
; %bb.71:
	v_subrev_nc_u32_e32 v83, 29, v0
	s_movk_i32 s47, 0x430
	s_mov_b32 s5, 0
	s_mov_b32 s48, s16
	.p2align	6
.LBB101_72:                             ; =>This Inner Loop Header: Depth=1
	v_mov_b32_e32 v86, s48
	v_add_nc_u32_e32 v83, -1, v83
	s_add_i32 s48, s48, 16
	s_clause 0x3
	buffer_load_dword v84, v86, s[0:3], 0 offen offset:8
	buffer_load_dword v85, v86, s[0:3], 0 offen offset:12
	buffer_load_dword v92, v86, s[0:3], 0 offen
	buffer_load_dword v93, v86, s[0:3], 0 offen offset:4
	v_mov_b32_e32 v86, s47
	v_cmp_eq_u32_e32 vcc_lo, 0, v83
	s_add_i32 s47, s47, 16
	ds_read_b128 v[88:91], v86
	s_or_b32 s5, vcc_lo, s5
	s_waitcnt vmcnt(2) lgkmcnt(0)
	v_mul_f64 v[94:95], v[90:91], v[84:85]
	v_mul_f64 v[84:85], v[88:89], v[84:85]
	s_waitcnt vmcnt(0)
	v_fma_f64 v[88:89], v[88:89], v[92:93], -v[94:95]
	v_fma_f64 v[84:85], v[90:91], v[92:93], v[84:85]
	v_add_f64 v[1:2], v[1:2], v[88:89]
	v_add_f64 v[3:4], v[3:4], v[84:85]
	s_andn2_b32 exec_lo, exec_lo, s5
	s_cbranch_execnz .LBB101_72
; %bb.73:
	s_or_b32 exec_lo, exec_lo, s5
.LBB101_74:
	s_or_b32 exec_lo, exec_lo, s8
	v_mov_b32_e32 v83, 0
	ds_read_b128 v[83:86], v83 offset:448
	s_waitcnt lgkmcnt(0)
	v_mul_f64 v[88:89], v[3:4], v[85:86]
	v_mul_f64 v[85:86], v[1:2], v[85:86]
	v_fma_f64 v[1:2], v[1:2], v[83:84], -v[88:89]
	v_fma_f64 v[3:4], v[3:4], v[83:84], v[85:86]
	buffer_store_dword v2, off, s[0:3], 0 offset:452
	buffer_store_dword v1, off, s[0:3], 0 offset:448
	;; [unrolled: 1-line block ×4, first 2 shown]
.LBB101_75:
	s_or_b32 exec_lo, exec_lo, s6
	v_mov_b32_e32 v4, s18
	v_cmp_lt_u32_e64 s5, 27, v0
	s_clause 0x3
	buffer_load_dword v1, v4, s[0:3], 0 offen
	buffer_load_dword v2, v4, s[0:3], 0 offen offset:4
	buffer_load_dword v3, v4, s[0:3], 0 offen offset:8
	;; [unrolled: 1-line block ×3, first 2 shown]
	s_waitcnt vmcnt(0)
	ds_write_b128 v82, v[1:4]
	s_waitcnt lgkmcnt(0)
	s_waitcnt_vscnt null, 0x0
	s_barrier
	buffer_gl0_inv
	s_and_saveexec_b32 s6, s5
	s_cbranch_execz .LBB101_83
; %bb.76:
	ds_read_b128 v[1:4], v82
	s_andn2_b32 vcc_lo, exec_lo, s46
	s_cbranch_vccnz .LBB101_78
; %bb.77:
	s_clause 0x3
	buffer_load_dword v83, v81, s[0:3], 0 offen offset:8
	buffer_load_dword v84, v81, s[0:3], 0 offen offset:12
	buffer_load_dword v85, v81, s[0:3], 0 offen
	buffer_load_dword v86, v81, s[0:3], 0 offen offset:4
	s_waitcnt vmcnt(2) lgkmcnt(0)
	v_mul_f64 v[88:89], v[3:4], v[83:84]
	v_mul_f64 v[83:84], v[1:2], v[83:84]
	s_waitcnt vmcnt(0)
	v_fma_f64 v[1:2], v[1:2], v[85:86], -v[88:89]
	v_fma_f64 v[3:4], v[3:4], v[85:86], v[83:84]
.LBB101_78:
	s_and_saveexec_b32 s8, s4
	s_cbranch_execz .LBB101_82
; %bb.79:
	v_subrev_nc_u32_e32 v83, 28, v0
	s_movk_i32 s47, 0x420
	s_mov_b32 s4, 0
	s_mov_b32 s48, s17
	.p2align	6
.LBB101_80:                             ; =>This Inner Loop Header: Depth=1
	v_mov_b32_e32 v86, s48
	v_add_nc_u32_e32 v83, -1, v83
	s_add_i32 s48, s48, 16
	s_clause 0x3
	buffer_load_dword v84, v86, s[0:3], 0 offen offset:8
	buffer_load_dword v85, v86, s[0:3], 0 offen offset:12
	buffer_load_dword v92, v86, s[0:3], 0 offen
	buffer_load_dword v93, v86, s[0:3], 0 offen offset:4
	v_mov_b32_e32 v86, s47
	v_cmp_eq_u32_e32 vcc_lo, 0, v83
	s_add_i32 s47, s47, 16
	ds_read_b128 v[88:91], v86
	s_or_b32 s4, vcc_lo, s4
	s_waitcnt vmcnt(2) lgkmcnt(0)
	v_mul_f64 v[94:95], v[90:91], v[84:85]
	v_mul_f64 v[84:85], v[88:89], v[84:85]
	s_waitcnt vmcnt(0)
	v_fma_f64 v[88:89], v[88:89], v[92:93], -v[94:95]
	v_fma_f64 v[84:85], v[90:91], v[92:93], v[84:85]
	v_add_f64 v[1:2], v[1:2], v[88:89]
	v_add_f64 v[3:4], v[3:4], v[84:85]
	s_andn2_b32 exec_lo, exec_lo, s4
	s_cbranch_execnz .LBB101_80
; %bb.81:
	s_or_b32 exec_lo, exec_lo, s4
.LBB101_82:
	s_or_b32 exec_lo, exec_lo, s8
	v_mov_b32_e32 v83, 0
	ds_read_b128 v[83:86], v83 offset:432
	s_waitcnt lgkmcnt(0)
	v_mul_f64 v[88:89], v[3:4], v[85:86]
	v_mul_f64 v[85:86], v[1:2], v[85:86]
	v_fma_f64 v[1:2], v[1:2], v[83:84], -v[88:89]
	v_fma_f64 v[3:4], v[3:4], v[83:84], v[85:86]
	buffer_store_dword v2, off, s[0:3], 0 offset:436
	buffer_store_dword v1, off, s[0:3], 0 offset:432
	;; [unrolled: 1-line block ×4, first 2 shown]
.LBB101_83:
	s_or_b32 exec_lo, exec_lo, s6
	v_mov_b32_e32 v4, s19
	v_cmp_lt_u32_e64 s4, 26, v0
	s_clause 0x3
	buffer_load_dword v1, v4, s[0:3], 0 offen
	buffer_load_dword v2, v4, s[0:3], 0 offen offset:4
	buffer_load_dword v3, v4, s[0:3], 0 offen offset:8
	;; [unrolled: 1-line block ×3, first 2 shown]
	s_waitcnt vmcnt(0)
	ds_write_b128 v82, v[1:4]
	s_waitcnt lgkmcnt(0)
	s_waitcnt_vscnt null, 0x0
	s_barrier
	buffer_gl0_inv
	s_and_saveexec_b32 s6, s4
	s_cbranch_execz .LBB101_91
; %bb.84:
	ds_read_b128 v[1:4], v82
	s_andn2_b32 vcc_lo, exec_lo, s46
	s_cbranch_vccnz .LBB101_86
; %bb.85:
	s_clause 0x3
	buffer_load_dword v83, v81, s[0:3], 0 offen offset:8
	buffer_load_dword v84, v81, s[0:3], 0 offen offset:12
	buffer_load_dword v85, v81, s[0:3], 0 offen
	buffer_load_dword v86, v81, s[0:3], 0 offen offset:4
	s_waitcnt vmcnt(2) lgkmcnt(0)
	v_mul_f64 v[88:89], v[3:4], v[83:84]
	v_mul_f64 v[83:84], v[1:2], v[83:84]
	s_waitcnt vmcnt(0)
	v_fma_f64 v[1:2], v[1:2], v[85:86], -v[88:89]
	v_fma_f64 v[3:4], v[3:4], v[85:86], v[83:84]
.LBB101_86:
	s_and_saveexec_b32 s8, s5
	s_cbranch_execz .LBB101_90
; %bb.87:
	v_subrev_nc_u32_e32 v83, 27, v0
	s_movk_i32 s47, 0x410
	s_mov_b32 s5, 0
	s_mov_b32 s48, s18
	.p2align	6
.LBB101_88:                             ; =>This Inner Loop Header: Depth=1
	v_mov_b32_e32 v86, s48
	v_add_nc_u32_e32 v83, -1, v83
	s_add_i32 s48, s48, 16
	s_clause 0x3
	buffer_load_dword v84, v86, s[0:3], 0 offen offset:8
	buffer_load_dword v85, v86, s[0:3], 0 offen offset:12
	buffer_load_dword v92, v86, s[0:3], 0 offen
	buffer_load_dword v93, v86, s[0:3], 0 offen offset:4
	v_mov_b32_e32 v86, s47
	v_cmp_eq_u32_e32 vcc_lo, 0, v83
	s_add_i32 s47, s47, 16
	ds_read_b128 v[88:91], v86
	s_or_b32 s5, vcc_lo, s5
	s_waitcnt vmcnt(2) lgkmcnt(0)
	v_mul_f64 v[94:95], v[90:91], v[84:85]
	v_mul_f64 v[84:85], v[88:89], v[84:85]
	s_waitcnt vmcnt(0)
	v_fma_f64 v[88:89], v[88:89], v[92:93], -v[94:95]
	v_fma_f64 v[84:85], v[90:91], v[92:93], v[84:85]
	v_add_f64 v[1:2], v[1:2], v[88:89]
	v_add_f64 v[3:4], v[3:4], v[84:85]
	s_andn2_b32 exec_lo, exec_lo, s5
	s_cbranch_execnz .LBB101_88
; %bb.89:
	s_or_b32 exec_lo, exec_lo, s5
.LBB101_90:
	s_or_b32 exec_lo, exec_lo, s8
	v_mov_b32_e32 v83, 0
	ds_read_b128 v[83:86], v83 offset:416
	s_waitcnt lgkmcnt(0)
	v_mul_f64 v[88:89], v[3:4], v[85:86]
	v_mul_f64 v[85:86], v[1:2], v[85:86]
	v_fma_f64 v[1:2], v[1:2], v[83:84], -v[88:89]
	v_fma_f64 v[3:4], v[3:4], v[83:84], v[85:86]
	buffer_store_dword v2, off, s[0:3], 0 offset:420
	buffer_store_dword v1, off, s[0:3], 0 offset:416
	;; [unrolled: 1-line block ×4, first 2 shown]
.LBB101_91:
	s_or_b32 exec_lo, exec_lo, s6
	v_mov_b32_e32 v4, s20
	v_cmp_lt_u32_e64 s5, 25, v0
	s_clause 0x3
	buffer_load_dword v1, v4, s[0:3], 0 offen
	buffer_load_dword v2, v4, s[0:3], 0 offen offset:4
	buffer_load_dword v3, v4, s[0:3], 0 offen offset:8
	;; [unrolled: 1-line block ×3, first 2 shown]
	s_waitcnt vmcnt(0)
	ds_write_b128 v82, v[1:4]
	s_waitcnt lgkmcnt(0)
	s_waitcnt_vscnt null, 0x0
	s_barrier
	buffer_gl0_inv
	s_and_saveexec_b32 s6, s5
	s_cbranch_execz .LBB101_99
; %bb.92:
	ds_read_b128 v[1:4], v82
	s_andn2_b32 vcc_lo, exec_lo, s46
	s_cbranch_vccnz .LBB101_94
; %bb.93:
	s_clause 0x3
	buffer_load_dword v83, v81, s[0:3], 0 offen offset:8
	buffer_load_dword v84, v81, s[0:3], 0 offen offset:12
	buffer_load_dword v85, v81, s[0:3], 0 offen
	buffer_load_dword v86, v81, s[0:3], 0 offen offset:4
	s_waitcnt vmcnt(2) lgkmcnt(0)
	v_mul_f64 v[88:89], v[3:4], v[83:84]
	v_mul_f64 v[83:84], v[1:2], v[83:84]
	s_waitcnt vmcnt(0)
	v_fma_f64 v[1:2], v[1:2], v[85:86], -v[88:89]
	v_fma_f64 v[3:4], v[3:4], v[85:86], v[83:84]
.LBB101_94:
	s_and_saveexec_b32 s8, s4
	s_cbranch_execz .LBB101_98
; %bb.95:
	v_subrev_nc_u32_e32 v83, 26, v0
	s_movk_i32 s47, 0x400
	s_mov_b32 s4, 0
	s_mov_b32 s48, s19
	.p2align	6
.LBB101_96:                             ; =>This Inner Loop Header: Depth=1
	v_mov_b32_e32 v86, s48
	v_add_nc_u32_e32 v83, -1, v83
	s_add_i32 s48, s48, 16
	s_clause 0x3
	buffer_load_dword v84, v86, s[0:3], 0 offen offset:8
	buffer_load_dword v85, v86, s[0:3], 0 offen offset:12
	buffer_load_dword v92, v86, s[0:3], 0 offen
	buffer_load_dword v93, v86, s[0:3], 0 offen offset:4
	v_mov_b32_e32 v86, s47
	v_cmp_eq_u32_e32 vcc_lo, 0, v83
	s_add_i32 s47, s47, 16
	ds_read_b128 v[88:91], v86
	s_or_b32 s4, vcc_lo, s4
	s_waitcnt vmcnt(2) lgkmcnt(0)
	v_mul_f64 v[94:95], v[90:91], v[84:85]
	v_mul_f64 v[84:85], v[88:89], v[84:85]
	s_waitcnt vmcnt(0)
	v_fma_f64 v[88:89], v[88:89], v[92:93], -v[94:95]
	v_fma_f64 v[84:85], v[90:91], v[92:93], v[84:85]
	v_add_f64 v[1:2], v[1:2], v[88:89]
	v_add_f64 v[3:4], v[3:4], v[84:85]
	s_andn2_b32 exec_lo, exec_lo, s4
	s_cbranch_execnz .LBB101_96
; %bb.97:
	s_or_b32 exec_lo, exec_lo, s4
.LBB101_98:
	s_or_b32 exec_lo, exec_lo, s8
	v_mov_b32_e32 v83, 0
	ds_read_b128 v[83:86], v83 offset:400
	s_waitcnt lgkmcnt(0)
	v_mul_f64 v[88:89], v[3:4], v[85:86]
	v_mul_f64 v[85:86], v[1:2], v[85:86]
	v_fma_f64 v[1:2], v[1:2], v[83:84], -v[88:89]
	v_fma_f64 v[3:4], v[3:4], v[83:84], v[85:86]
	buffer_store_dword v2, off, s[0:3], 0 offset:404
	buffer_store_dword v1, off, s[0:3], 0 offset:400
	;; [unrolled: 1-line block ×4, first 2 shown]
.LBB101_99:
	s_or_b32 exec_lo, exec_lo, s6
	v_mov_b32_e32 v4, s21
	v_cmp_lt_u32_e64 s4, 24, v0
	s_clause 0x3
	buffer_load_dword v1, v4, s[0:3], 0 offen
	buffer_load_dword v2, v4, s[0:3], 0 offen offset:4
	buffer_load_dword v3, v4, s[0:3], 0 offen offset:8
	;; [unrolled: 1-line block ×3, first 2 shown]
	s_waitcnt vmcnt(0)
	ds_write_b128 v82, v[1:4]
	s_waitcnt lgkmcnt(0)
	s_waitcnt_vscnt null, 0x0
	s_barrier
	buffer_gl0_inv
	s_and_saveexec_b32 s6, s4
	s_cbranch_execz .LBB101_107
; %bb.100:
	ds_read_b128 v[1:4], v82
	s_andn2_b32 vcc_lo, exec_lo, s46
	s_cbranch_vccnz .LBB101_102
; %bb.101:
	s_clause 0x3
	buffer_load_dword v83, v81, s[0:3], 0 offen offset:8
	buffer_load_dword v84, v81, s[0:3], 0 offen offset:12
	buffer_load_dword v85, v81, s[0:3], 0 offen
	buffer_load_dword v86, v81, s[0:3], 0 offen offset:4
	s_waitcnt vmcnt(2) lgkmcnt(0)
	v_mul_f64 v[88:89], v[3:4], v[83:84]
	v_mul_f64 v[83:84], v[1:2], v[83:84]
	s_waitcnt vmcnt(0)
	v_fma_f64 v[1:2], v[1:2], v[85:86], -v[88:89]
	v_fma_f64 v[3:4], v[3:4], v[85:86], v[83:84]
.LBB101_102:
	s_and_saveexec_b32 s8, s5
	s_cbranch_execz .LBB101_106
; %bb.103:
	v_subrev_nc_u32_e32 v83, 25, v0
	s_movk_i32 s47, 0x3f0
	s_mov_b32 s5, 0
	s_mov_b32 s48, s20
	.p2align	6
.LBB101_104:                            ; =>This Inner Loop Header: Depth=1
	v_mov_b32_e32 v86, s48
	v_add_nc_u32_e32 v83, -1, v83
	s_add_i32 s48, s48, 16
	s_clause 0x3
	buffer_load_dword v84, v86, s[0:3], 0 offen offset:8
	buffer_load_dword v85, v86, s[0:3], 0 offen offset:12
	buffer_load_dword v92, v86, s[0:3], 0 offen
	buffer_load_dword v93, v86, s[0:3], 0 offen offset:4
	v_mov_b32_e32 v86, s47
	v_cmp_eq_u32_e32 vcc_lo, 0, v83
	s_add_i32 s47, s47, 16
	ds_read_b128 v[88:91], v86
	s_or_b32 s5, vcc_lo, s5
	s_waitcnt vmcnt(2) lgkmcnt(0)
	v_mul_f64 v[94:95], v[90:91], v[84:85]
	v_mul_f64 v[84:85], v[88:89], v[84:85]
	s_waitcnt vmcnt(0)
	v_fma_f64 v[88:89], v[88:89], v[92:93], -v[94:95]
	v_fma_f64 v[84:85], v[90:91], v[92:93], v[84:85]
	v_add_f64 v[1:2], v[1:2], v[88:89]
	v_add_f64 v[3:4], v[3:4], v[84:85]
	s_andn2_b32 exec_lo, exec_lo, s5
	s_cbranch_execnz .LBB101_104
; %bb.105:
	s_or_b32 exec_lo, exec_lo, s5
.LBB101_106:
	s_or_b32 exec_lo, exec_lo, s8
	v_mov_b32_e32 v83, 0
	ds_read_b128 v[83:86], v83 offset:384
	s_waitcnt lgkmcnt(0)
	v_mul_f64 v[88:89], v[3:4], v[85:86]
	v_mul_f64 v[85:86], v[1:2], v[85:86]
	v_fma_f64 v[1:2], v[1:2], v[83:84], -v[88:89]
	v_fma_f64 v[3:4], v[3:4], v[83:84], v[85:86]
	buffer_store_dword v2, off, s[0:3], 0 offset:388
	buffer_store_dword v1, off, s[0:3], 0 offset:384
	;; [unrolled: 1-line block ×4, first 2 shown]
.LBB101_107:
	s_or_b32 exec_lo, exec_lo, s6
	v_mov_b32_e32 v4, s22
	v_cmp_lt_u32_e64 s5, 23, v0
	s_clause 0x3
	buffer_load_dword v1, v4, s[0:3], 0 offen
	buffer_load_dword v2, v4, s[0:3], 0 offen offset:4
	buffer_load_dword v3, v4, s[0:3], 0 offen offset:8
	;; [unrolled: 1-line block ×3, first 2 shown]
	s_waitcnt vmcnt(0)
	ds_write_b128 v82, v[1:4]
	s_waitcnt lgkmcnt(0)
	s_waitcnt_vscnt null, 0x0
	s_barrier
	buffer_gl0_inv
	s_and_saveexec_b32 s6, s5
	s_cbranch_execz .LBB101_115
; %bb.108:
	ds_read_b128 v[1:4], v82
	s_andn2_b32 vcc_lo, exec_lo, s46
	s_cbranch_vccnz .LBB101_110
; %bb.109:
	s_clause 0x3
	buffer_load_dword v83, v81, s[0:3], 0 offen offset:8
	buffer_load_dword v84, v81, s[0:3], 0 offen offset:12
	buffer_load_dword v85, v81, s[0:3], 0 offen
	buffer_load_dword v86, v81, s[0:3], 0 offen offset:4
	s_waitcnt vmcnt(2) lgkmcnt(0)
	v_mul_f64 v[88:89], v[3:4], v[83:84]
	v_mul_f64 v[83:84], v[1:2], v[83:84]
	s_waitcnt vmcnt(0)
	v_fma_f64 v[1:2], v[1:2], v[85:86], -v[88:89]
	v_fma_f64 v[3:4], v[3:4], v[85:86], v[83:84]
.LBB101_110:
	s_and_saveexec_b32 s8, s4
	s_cbranch_execz .LBB101_114
; %bb.111:
	v_subrev_nc_u32_e32 v83, 24, v0
	s_movk_i32 s47, 0x3e0
	s_mov_b32 s4, 0
	s_mov_b32 s48, s21
	.p2align	6
.LBB101_112:                            ; =>This Inner Loop Header: Depth=1
	v_mov_b32_e32 v86, s48
	v_add_nc_u32_e32 v83, -1, v83
	s_add_i32 s48, s48, 16
	s_clause 0x3
	buffer_load_dword v84, v86, s[0:3], 0 offen offset:8
	buffer_load_dword v85, v86, s[0:3], 0 offen offset:12
	buffer_load_dword v92, v86, s[0:3], 0 offen
	buffer_load_dword v93, v86, s[0:3], 0 offen offset:4
	v_mov_b32_e32 v86, s47
	v_cmp_eq_u32_e32 vcc_lo, 0, v83
	s_add_i32 s47, s47, 16
	ds_read_b128 v[88:91], v86
	s_or_b32 s4, vcc_lo, s4
	s_waitcnt vmcnt(2) lgkmcnt(0)
	v_mul_f64 v[94:95], v[90:91], v[84:85]
	v_mul_f64 v[84:85], v[88:89], v[84:85]
	s_waitcnt vmcnt(0)
	v_fma_f64 v[88:89], v[88:89], v[92:93], -v[94:95]
	v_fma_f64 v[84:85], v[90:91], v[92:93], v[84:85]
	v_add_f64 v[1:2], v[1:2], v[88:89]
	v_add_f64 v[3:4], v[3:4], v[84:85]
	s_andn2_b32 exec_lo, exec_lo, s4
	s_cbranch_execnz .LBB101_112
; %bb.113:
	s_or_b32 exec_lo, exec_lo, s4
.LBB101_114:
	s_or_b32 exec_lo, exec_lo, s8
	v_mov_b32_e32 v83, 0
	ds_read_b128 v[83:86], v83 offset:368
	s_waitcnt lgkmcnt(0)
	v_mul_f64 v[88:89], v[3:4], v[85:86]
	v_mul_f64 v[85:86], v[1:2], v[85:86]
	v_fma_f64 v[1:2], v[1:2], v[83:84], -v[88:89]
	v_fma_f64 v[3:4], v[3:4], v[83:84], v[85:86]
	buffer_store_dword v2, off, s[0:3], 0 offset:372
	buffer_store_dword v1, off, s[0:3], 0 offset:368
	;; [unrolled: 1-line block ×4, first 2 shown]
.LBB101_115:
	s_or_b32 exec_lo, exec_lo, s6
	v_mov_b32_e32 v4, s23
	v_cmp_lt_u32_e64 s4, 22, v0
	s_clause 0x3
	buffer_load_dword v1, v4, s[0:3], 0 offen
	buffer_load_dword v2, v4, s[0:3], 0 offen offset:4
	buffer_load_dword v3, v4, s[0:3], 0 offen offset:8
	;; [unrolled: 1-line block ×3, first 2 shown]
	s_waitcnt vmcnt(0)
	ds_write_b128 v82, v[1:4]
	s_waitcnt lgkmcnt(0)
	s_waitcnt_vscnt null, 0x0
	s_barrier
	buffer_gl0_inv
	s_and_saveexec_b32 s6, s4
	s_cbranch_execz .LBB101_123
; %bb.116:
	ds_read_b128 v[1:4], v82
	s_andn2_b32 vcc_lo, exec_lo, s46
	s_cbranch_vccnz .LBB101_118
; %bb.117:
	s_clause 0x3
	buffer_load_dword v83, v81, s[0:3], 0 offen offset:8
	buffer_load_dword v84, v81, s[0:3], 0 offen offset:12
	buffer_load_dword v85, v81, s[0:3], 0 offen
	buffer_load_dword v86, v81, s[0:3], 0 offen offset:4
	s_waitcnt vmcnt(2) lgkmcnt(0)
	v_mul_f64 v[88:89], v[3:4], v[83:84]
	v_mul_f64 v[83:84], v[1:2], v[83:84]
	s_waitcnt vmcnt(0)
	v_fma_f64 v[1:2], v[1:2], v[85:86], -v[88:89]
	v_fma_f64 v[3:4], v[3:4], v[85:86], v[83:84]
.LBB101_118:
	s_and_saveexec_b32 s8, s5
	s_cbranch_execz .LBB101_122
; %bb.119:
	v_subrev_nc_u32_e32 v83, 23, v0
	s_movk_i32 s47, 0x3d0
	s_mov_b32 s5, 0
	s_mov_b32 s48, s22
	.p2align	6
.LBB101_120:                            ; =>This Inner Loop Header: Depth=1
	v_mov_b32_e32 v86, s48
	v_add_nc_u32_e32 v83, -1, v83
	s_add_i32 s48, s48, 16
	s_clause 0x3
	buffer_load_dword v84, v86, s[0:3], 0 offen offset:8
	buffer_load_dword v85, v86, s[0:3], 0 offen offset:12
	buffer_load_dword v92, v86, s[0:3], 0 offen
	buffer_load_dword v93, v86, s[0:3], 0 offen offset:4
	v_mov_b32_e32 v86, s47
	v_cmp_eq_u32_e32 vcc_lo, 0, v83
	s_add_i32 s47, s47, 16
	ds_read_b128 v[88:91], v86
	s_or_b32 s5, vcc_lo, s5
	s_waitcnt vmcnt(2) lgkmcnt(0)
	v_mul_f64 v[94:95], v[90:91], v[84:85]
	v_mul_f64 v[84:85], v[88:89], v[84:85]
	s_waitcnt vmcnt(0)
	v_fma_f64 v[88:89], v[88:89], v[92:93], -v[94:95]
	v_fma_f64 v[84:85], v[90:91], v[92:93], v[84:85]
	v_add_f64 v[1:2], v[1:2], v[88:89]
	v_add_f64 v[3:4], v[3:4], v[84:85]
	s_andn2_b32 exec_lo, exec_lo, s5
	s_cbranch_execnz .LBB101_120
; %bb.121:
	s_or_b32 exec_lo, exec_lo, s5
.LBB101_122:
	s_or_b32 exec_lo, exec_lo, s8
	v_mov_b32_e32 v83, 0
	ds_read_b128 v[83:86], v83 offset:352
	s_waitcnt lgkmcnt(0)
	v_mul_f64 v[88:89], v[3:4], v[85:86]
	v_mul_f64 v[85:86], v[1:2], v[85:86]
	v_fma_f64 v[1:2], v[1:2], v[83:84], -v[88:89]
	v_fma_f64 v[3:4], v[3:4], v[83:84], v[85:86]
	buffer_store_dword v2, off, s[0:3], 0 offset:356
	buffer_store_dword v1, off, s[0:3], 0 offset:352
	;; [unrolled: 1-line block ×4, first 2 shown]
.LBB101_123:
	s_or_b32 exec_lo, exec_lo, s6
	v_mov_b32_e32 v4, s24
	v_cmp_lt_u32_e64 s5, 21, v0
	s_clause 0x3
	buffer_load_dword v1, v4, s[0:3], 0 offen
	buffer_load_dword v2, v4, s[0:3], 0 offen offset:4
	buffer_load_dword v3, v4, s[0:3], 0 offen offset:8
	;; [unrolled: 1-line block ×3, first 2 shown]
	s_waitcnt vmcnt(0)
	ds_write_b128 v82, v[1:4]
	s_waitcnt lgkmcnt(0)
	s_waitcnt_vscnt null, 0x0
	s_barrier
	buffer_gl0_inv
	s_and_saveexec_b32 s6, s5
	s_cbranch_execz .LBB101_131
; %bb.124:
	ds_read_b128 v[1:4], v82
	s_andn2_b32 vcc_lo, exec_lo, s46
	s_cbranch_vccnz .LBB101_126
; %bb.125:
	s_clause 0x3
	buffer_load_dword v83, v81, s[0:3], 0 offen offset:8
	buffer_load_dword v84, v81, s[0:3], 0 offen offset:12
	buffer_load_dword v85, v81, s[0:3], 0 offen
	buffer_load_dword v86, v81, s[0:3], 0 offen offset:4
	s_waitcnt vmcnt(2) lgkmcnt(0)
	v_mul_f64 v[88:89], v[3:4], v[83:84]
	v_mul_f64 v[83:84], v[1:2], v[83:84]
	s_waitcnt vmcnt(0)
	v_fma_f64 v[1:2], v[1:2], v[85:86], -v[88:89]
	v_fma_f64 v[3:4], v[3:4], v[85:86], v[83:84]
.LBB101_126:
	s_and_saveexec_b32 s8, s4
	s_cbranch_execz .LBB101_130
; %bb.127:
	v_subrev_nc_u32_e32 v83, 22, v0
	s_movk_i32 s47, 0x3c0
	s_mov_b32 s4, 0
	s_mov_b32 s48, s23
	.p2align	6
.LBB101_128:                            ; =>This Inner Loop Header: Depth=1
	v_mov_b32_e32 v86, s48
	v_add_nc_u32_e32 v83, -1, v83
	s_add_i32 s48, s48, 16
	s_clause 0x3
	buffer_load_dword v84, v86, s[0:3], 0 offen offset:8
	buffer_load_dword v85, v86, s[0:3], 0 offen offset:12
	buffer_load_dword v92, v86, s[0:3], 0 offen
	buffer_load_dword v93, v86, s[0:3], 0 offen offset:4
	v_mov_b32_e32 v86, s47
	v_cmp_eq_u32_e32 vcc_lo, 0, v83
	s_add_i32 s47, s47, 16
	ds_read_b128 v[88:91], v86
	s_or_b32 s4, vcc_lo, s4
	s_waitcnt vmcnt(2) lgkmcnt(0)
	v_mul_f64 v[94:95], v[90:91], v[84:85]
	v_mul_f64 v[84:85], v[88:89], v[84:85]
	s_waitcnt vmcnt(0)
	v_fma_f64 v[88:89], v[88:89], v[92:93], -v[94:95]
	v_fma_f64 v[84:85], v[90:91], v[92:93], v[84:85]
	v_add_f64 v[1:2], v[1:2], v[88:89]
	v_add_f64 v[3:4], v[3:4], v[84:85]
	s_andn2_b32 exec_lo, exec_lo, s4
	s_cbranch_execnz .LBB101_128
; %bb.129:
	s_or_b32 exec_lo, exec_lo, s4
.LBB101_130:
	s_or_b32 exec_lo, exec_lo, s8
	v_mov_b32_e32 v83, 0
	ds_read_b128 v[83:86], v83 offset:336
	s_waitcnt lgkmcnt(0)
	v_mul_f64 v[88:89], v[3:4], v[85:86]
	v_mul_f64 v[85:86], v[1:2], v[85:86]
	v_fma_f64 v[1:2], v[1:2], v[83:84], -v[88:89]
	v_fma_f64 v[3:4], v[3:4], v[83:84], v[85:86]
	buffer_store_dword v2, off, s[0:3], 0 offset:340
	buffer_store_dword v1, off, s[0:3], 0 offset:336
	;; [unrolled: 1-line block ×4, first 2 shown]
.LBB101_131:
	s_or_b32 exec_lo, exec_lo, s6
	v_mov_b32_e32 v4, s25
	v_cmp_lt_u32_e64 s4, 20, v0
	s_clause 0x3
	buffer_load_dword v1, v4, s[0:3], 0 offen
	buffer_load_dword v2, v4, s[0:3], 0 offen offset:4
	buffer_load_dword v3, v4, s[0:3], 0 offen offset:8
	;; [unrolled: 1-line block ×3, first 2 shown]
	s_waitcnt vmcnt(0)
	ds_write_b128 v82, v[1:4]
	s_waitcnt lgkmcnt(0)
	s_waitcnt_vscnt null, 0x0
	s_barrier
	buffer_gl0_inv
	s_and_saveexec_b32 s6, s4
	s_cbranch_execz .LBB101_139
; %bb.132:
	ds_read_b128 v[1:4], v82
	s_andn2_b32 vcc_lo, exec_lo, s46
	s_cbranch_vccnz .LBB101_134
; %bb.133:
	s_clause 0x3
	buffer_load_dword v83, v81, s[0:3], 0 offen offset:8
	buffer_load_dword v84, v81, s[0:3], 0 offen offset:12
	buffer_load_dword v85, v81, s[0:3], 0 offen
	buffer_load_dword v86, v81, s[0:3], 0 offen offset:4
	s_waitcnt vmcnt(2) lgkmcnt(0)
	v_mul_f64 v[88:89], v[3:4], v[83:84]
	v_mul_f64 v[83:84], v[1:2], v[83:84]
	s_waitcnt vmcnt(0)
	v_fma_f64 v[1:2], v[1:2], v[85:86], -v[88:89]
	v_fma_f64 v[3:4], v[3:4], v[85:86], v[83:84]
.LBB101_134:
	s_and_saveexec_b32 s8, s5
	s_cbranch_execz .LBB101_138
; %bb.135:
	v_subrev_nc_u32_e32 v83, 21, v0
	s_movk_i32 s47, 0x3b0
	s_mov_b32 s5, 0
	s_mov_b32 s48, s24
	.p2align	6
.LBB101_136:                            ; =>This Inner Loop Header: Depth=1
	v_mov_b32_e32 v86, s48
	v_add_nc_u32_e32 v83, -1, v83
	s_add_i32 s48, s48, 16
	s_clause 0x3
	buffer_load_dword v84, v86, s[0:3], 0 offen offset:8
	buffer_load_dword v85, v86, s[0:3], 0 offen offset:12
	buffer_load_dword v92, v86, s[0:3], 0 offen
	buffer_load_dword v93, v86, s[0:3], 0 offen offset:4
	v_mov_b32_e32 v86, s47
	v_cmp_eq_u32_e32 vcc_lo, 0, v83
	s_add_i32 s47, s47, 16
	ds_read_b128 v[88:91], v86
	s_or_b32 s5, vcc_lo, s5
	s_waitcnt vmcnt(2) lgkmcnt(0)
	v_mul_f64 v[94:95], v[90:91], v[84:85]
	v_mul_f64 v[84:85], v[88:89], v[84:85]
	s_waitcnt vmcnt(0)
	v_fma_f64 v[88:89], v[88:89], v[92:93], -v[94:95]
	v_fma_f64 v[84:85], v[90:91], v[92:93], v[84:85]
	v_add_f64 v[1:2], v[1:2], v[88:89]
	v_add_f64 v[3:4], v[3:4], v[84:85]
	s_andn2_b32 exec_lo, exec_lo, s5
	s_cbranch_execnz .LBB101_136
; %bb.137:
	s_or_b32 exec_lo, exec_lo, s5
.LBB101_138:
	s_or_b32 exec_lo, exec_lo, s8
	v_mov_b32_e32 v83, 0
	ds_read_b128 v[83:86], v83 offset:320
	s_waitcnt lgkmcnt(0)
	v_mul_f64 v[88:89], v[3:4], v[85:86]
	v_mul_f64 v[85:86], v[1:2], v[85:86]
	v_fma_f64 v[1:2], v[1:2], v[83:84], -v[88:89]
	v_fma_f64 v[3:4], v[3:4], v[83:84], v[85:86]
	buffer_store_dword v2, off, s[0:3], 0 offset:324
	buffer_store_dword v1, off, s[0:3], 0 offset:320
	;; [unrolled: 1-line block ×4, first 2 shown]
.LBB101_139:
	s_or_b32 exec_lo, exec_lo, s6
	v_mov_b32_e32 v4, s26
	v_cmp_lt_u32_e64 s5, 19, v0
	s_clause 0x3
	buffer_load_dword v1, v4, s[0:3], 0 offen
	buffer_load_dword v2, v4, s[0:3], 0 offen offset:4
	buffer_load_dword v3, v4, s[0:3], 0 offen offset:8
	;; [unrolled: 1-line block ×3, first 2 shown]
	s_waitcnt vmcnt(0)
	ds_write_b128 v82, v[1:4]
	s_waitcnt lgkmcnt(0)
	s_waitcnt_vscnt null, 0x0
	s_barrier
	buffer_gl0_inv
	s_and_saveexec_b32 s6, s5
	s_cbranch_execz .LBB101_147
; %bb.140:
	ds_read_b128 v[1:4], v82
	s_andn2_b32 vcc_lo, exec_lo, s46
	s_cbranch_vccnz .LBB101_142
; %bb.141:
	s_clause 0x3
	buffer_load_dword v83, v81, s[0:3], 0 offen offset:8
	buffer_load_dword v84, v81, s[0:3], 0 offen offset:12
	buffer_load_dword v85, v81, s[0:3], 0 offen
	buffer_load_dword v86, v81, s[0:3], 0 offen offset:4
	s_waitcnt vmcnt(2) lgkmcnt(0)
	v_mul_f64 v[88:89], v[3:4], v[83:84]
	v_mul_f64 v[83:84], v[1:2], v[83:84]
	s_waitcnt vmcnt(0)
	v_fma_f64 v[1:2], v[1:2], v[85:86], -v[88:89]
	v_fma_f64 v[3:4], v[3:4], v[85:86], v[83:84]
.LBB101_142:
	s_and_saveexec_b32 s8, s4
	s_cbranch_execz .LBB101_146
; %bb.143:
	v_subrev_nc_u32_e32 v83, 20, v0
	s_movk_i32 s47, 0x3a0
	s_mov_b32 s4, 0
	s_mov_b32 s48, s25
	.p2align	6
.LBB101_144:                            ; =>This Inner Loop Header: Depth=1
	v_mov_b32_e32 v86, s48
	v_add_nc_u32_e32 v83, -1, v83
	s_add_i32 s48, s48, 16
	s_clause 0x3
	buffer_load_dword v84, v86, s[0:3], 0 offen offset:8
	buffer_load_dword v85, v86, s[0:3], 0 offen offset:12
	buffer_load_dword v92, v86, s[0:3], 0 offen
	buffer_load_dword v93, v86, s[0:3], 0 offen offset:4
	v_mov_b32_e32 v86, s47
	v_cmp_eq_u32_e32 vcc_lo, 0, v83
	s_add_i32 s47, s47, 16
	ds_read_b128 v[88:91], v86
	s_or_b32 s4, vcc_lo, s4
	s_waitcnt vmcnt(2) lgkmcnt(0)
	v_mul_f64 v[94:95], v[90:91], v[84:85]
	v_mul_f64 v[84:85], v[88:89], v[84:85]
	s_waitcnt vmcnt(0)
	v_fma_f64 v[88:89], v[88:89], v[92:93], -v[94:95]
	v_fma_f64 v[84:85], v[90:91], v[92:93], v[84:85]
	v_add_f64 v[1:2], v[1:2], v[88:89]
	v_add_f64 v[3:4], v[3:4], v[84:85]
	s_andn2_b32 exec_lo, exec_lo, s4
	s_cbranch_execnz .LBB101_144
; %bb.145:
	s_or_b32 exec_lo, exec_lo, s4
.LBB101_146:
	s_or_b32 exec_lo, exec_lo, s8
	v_mov_b32_e32 v83, 0
	ds_read_b128 v[83:86], v83 offset:304
	s_waitcnt lgkmcnt(0)
	v_mul_f64 v[88:89], v[3:4], v[85:86]
	v_mul_f64 v[85:86], v[1:2], v[85:86]
	v_fma_f64 v[1:2], v[1:2], v[83:84], -v[88:89]
	v_fma_f64 v[3:4], v[3:4], v[83:84], v[85:86]
	buffer_store_dword v2, off, s[0:3], 0 offset:308
	buffer_store_dword v1, off, s[0:3], 0 offset:304
	;; [unrolled: 1-line block ×4, first 2 shown]
.LBB101_147:
	s_or_b32 exec_lo, exec_lo, s6
	v_mov_b32_e32 v4, s27
	v_cmp_lt_u32_e64 s4, 18, v0
	s_clause 0x3
	buffer_load_dword v1, v4, s[0:3], 0 offen
	buffer_load_dword v2, v4, s[0:3], 0 offen offset:4
	buffer_load_dword v3, v4, s[0:3], 0 offen offset:8
	;; [unrolled: 1-line block ×3, first 2 shown]
	s_waitcnt vmcnt(0)
	ds_write_b128 v82, v[1:4]
	s_waitcnt lgkmcnt(0)
	s_waitcnt_vscnt null, 0x0
	s_barrier
	buffer_gl0_inv
	s_and_saveexec_b32 s6, s4
	s_cbranch_execz .LBB101_155
; %bb.148:
	ds_read_b128 v[1:4], v82
	s_andn2_b32 vcc_lo, exec_lo, s46
	s_cbranch_vccnz .LBB101_150
; %bb.149:
	s_clause 0x3
	buffer_load_dword v83, v81, s[0:3], 0 offen offset:8
	buffer_load_dword v84, v81, s[0:3], 0 offen offset:12
	buffer_load_dword v85, v81, s[0:3], 0 offen
	buffer_load_dword v86, v81, s[0:3], 0 offen offset:4
	s_waitcnt vmcnt(2) lgkmcnt(0)
	v_mul_f64 v[88:89], v[3:4], v[83:84]
	v_mul_f64 v[83:84], v[1:2], v[83:84]
	s_waitcnt vmcnt(0)
	v_fma_f64 v[1:2], v[1:2], v[85:86], -v[88:89]
	v_fma_f64 v[3:4], v[3:4], v[85:86], v[83:84]
.LBB101_150:
	s_and_saveexec_b32 s8, s5
	s_cbranch_execz .LBB101_154
; %bb.151:
	v_subrev_nc_u32_e32 v83, 19, v0
	s_movk_i32 s47, 0x390
	s_mov_b32 s5, 0
	s_mov_b32 s48, s26
	.p2align	6
.LBB101_152:                            ; =>This Inner Loop Header: Depth=1
	v_mov_b32_e32 v86, s48
	v_add_nc_u32_e32 v83, -1, v83
	s_add_i32 s48, s48, 16
	s_clause 0x3
	buffer_load_dword v84, v86, s[0:3], 0 offen offset:8
	buffer_load_dword v85, v86, s[0:3], 0 offen offset:12
	buffer_load_dword v92, v86, s[0:3], 0 offen
	buffer_load_dword v93, v86, s[0:3], 0 offen offset:4
	v_mov_b32_e32 v86, s47
	v_cmp_eq_u32_e32 vcc_lo, 0, v83
	s_add_i32 s47, s47, 16
	ds_read_b128 v[88:91], v86
	s_or_b32 s5, vcc_lo, s5
	s_waitcnt vmcnt(2) lgkmcnt(0)
	v_mul_f64 v[94:95], v[90:91], v[84:85]
	v_mul_f64 v[84:85], v[88:89], v[84:85]
	s_waitcnt vmcnt(0)
	v_fma_f64 v[88:89], v[88:89], v[92:93], -v[94:95]
	v_fma_f64 v[84:85], v[90:91], v[92:93], v[84:85]
	v_add_f64 v[1:2], v[1:2], v[88:89]
	v_add_f64 v[3:4], v[3:4], v[84:85]
	s_andn2_b32 exec_lo, exec_lo, s5
	s_cbranch_execnz .LBB101_152
; %bb.153:
	s_or_b32 exec_lo, exec_lo, s5
.LBB101_154:
	s_or_b32 exec_lo, exec_lo, s8
	v_mov_b32_e32 v83, 0
	ds_read_b128 v[83:86], v83 offset:288
	s_waitcnt lgkmcnt(0)
	v_mul_f64 v[88:89], v[3:4], v[85:86]
	v_mul_f64 v[85:86], v[1:2], v[85:86]
	v_fma_f64 v[1:2], v[1:2], v[83:84], -v[88:89]
	v_fma_f64 v[3:4], v[3:4], v[83:84], v[85:86]
	buffer_store_dword v2, off, s[0:3], 0 offset:292
	buffer_store_dword v1, off, s[0:3], 0 offset:288
	;; [unrolled: 1-line block ×4, first 2 shown]
.LBB101_155:
	s_or_b32 exec_lo, exec_lo, s6
	v_mov_b32_e32 v4, s28
	v_cmp_lt_u32_e64 s5, 17, v0
	s_clause 0x3
	buffer_load_dword v1, v4, s[0:3], 0 offen
	buffer_load_dword v2, v4, s[0:3], 0 offen offset:4
	buffer_load_dword v3, v4, s[0:3], 0 offen offset:8
	;; [unrolled: 1-line block ×3, first 2 shown]
	s_waitcnt vmcnt(0)
	ds_write_b128 v82, v[1:4]
	s_waitcnt lgkmcnt(0)
	s_waitcnt_vscnt null, 0x0
	s_barrier
	buffer_gl0_inv
	s_and_saveexec_b32 s6, s5
	s_cbranch_execz .LBB101_163
; %bb.156:
	ds_read_b128 v[1:4], v82
	s_andn2_b32 vcc_lo, exec_lo, s46
	s_cbranch_vccnz .LBB101_158
; %bb.157:
	s_clause 0x3
	buffer_load_dword v83, v81, s[0:3], 0 offen offset:8
	buffer_load_dword v84, v81, s[0:3], 0 offen offset:12
	buffer_load_dword v85, v81, s[0:3], 0 offen
	buffer_load_dword v86, v81, s[0:3], 0 offen offset:4
	s_waitcnt vmcnt(2) lgkmcnt(0)
	v_mul_f64 v[88:89], v[3:4], v[83:84]
	v_mul_f64 v[83:84], v[1:2], v[83:84]
	s_waitcnt vmcnt(0)
	v_fma_f64 v[1:2], v[1:2], v[85:86], -v[88:89]
	v_fma_f64 v[3:4], v[3:4], v[85:86], v[83:84]
.LBB101_158:
	s_and_saveexec_b32 s8, s4
	s_cbranch_execz .LBB101_162
; %bb.159:
	v_subrev_nc_u32_e32 v83, 18, v0
	s_movk_i32 s47, 0x380
	s_mov_b32 s4, 0
	s_mov_b32 s48, s27
	.p2align	6
.LBB101_160:                            ; =>This Inner Loop Header: Depth=1
	v_mov_b32_e32 v86, s48
	v_add_nc_u32_e32 v83, -1, v83
	s_add_i32 s48, s48, 16
	s_clause 0x3
	buffer_load_dword v84, v86, s[0:3], 0 offen offset:8
	buffer_load_dword v85, v86, s[0:3], 0 offen offset:12
	buffer_load_dword v92, v86, s[0:3], 0 offen
	buffer_load_dword v93, v86, s[0:3], 0 offen offset:4
	v_mov_b32_e32 v86, s47
	v_cmp_eq_u32_e32 vcc_lo, 0, v83
	s_add_i32 s47, s47, 16
	ds_read_b128 v[88:91], v86
	s_or_b32 s4, vcc_lo, s4
	s_waitcnt vmcnt(2) lgkmcnt(0)
	v_mul_f64 v[94:95], v[90:91], v[84:85]
	v_mul_f64 v[84:85], v[88:89], v[84:85]
	s_waitcnt vmcnt(0)
	v_fma_f64 v[88:89], v[88:89], v[92:93], -v[94:95]
	v_fma_f64 v[84:85], v[90:91], v[92:93], v[84:85]
	v_add_f64 v[1:2], v[1:2], v[88:89]
	v_add_f64 v[3:4], v[3:4], v[84:85]
	s_andn2_b32 exec_lo, exec_lo, s4
	s_cbranch_execnz .LBB101_160
; %bb.161:
	s_or_b32 exec_lo, exec_lo, s4
.LBB101_162:
	s_or_b32 exec_lo, exec_lo, s8
	v_mov_b32_e32 v83, 0
	ds_read_b128 v[83:86], v83 offset:272
	s_waitcnt lgkmcnt(0)
	v_mul_f64 v[88:89], v[3:4], v[85:86]
	v_mul_f64 v[85:86], v[1:2], v[85:86]
	v_fma_f64 v[1:2], v[1:2], v[83:84], -v[88:89]
	v_fma_f64 v[3:4], v[3:4], v[83:84], v[85:86]
	buffer_store_dword v2, off, s[0:3], 0 offset:276
	buffer_store_dword v1, off, s[0:3], 0 offset:272
	;; [unrolled: 1-line block ×4, first 2 shown]
.LBB101_163:
	s_or_b32 exec_lo, exec_lo, s6
	v_mov_b32_e32 v4, s29
	v_cmp_lt_u32_e64 s4, 16, v0
	s_clause 0x3
	buffer_load_dword v1, v4, s[0:3], 0 offen
	buffer_load_dword v2, v4, s[0:3], 0 offen offset:4
	buffer_load_dword v3, v4, s[0:3], 0 offen offset:8
	;; [unrolled: 1-line block ×3, first 2 shown]
	s_waitcnt vmcnt(0)
	ds_write_b128 v82, v[1:4]
	s_waitcnt lgkmcnt(0)
	s_waitcnt_vscnt null, 0x0
	s_barrier
	buffer_gl0_inv
	s_and_saveexec_b32 s6, s4
	s_cbranch_execz .LBB101_171
; %bb.164:
	ds_read_b128 v[1:4], v82
	s_andn2_b32 vcc_lo, exec_lo, s46
	s_cbranch_vccnz .LBB101_166
; %bb.165:
	s_clause 0x3
	buffer_load_dword v83, v81, s[0:3], 0 offen offset:8
	buffer_load_dword v84, v81, s[0:3], 0 offen offset:12
	buffer_load_dword v85, v81, s[0:3], 0 offen
	buffer_load_dword v86, v81, s[0:3], 0 offen offset:4
	s_waitcnt vmcnt(2) lgkmcnt(0)
	v_mul_f64 v[88:89], v[3:4], v[83:84]
	v_mul_f64 v[83:84], v[1:2], v[83:84]
	s_waitcnt vmcnt(0)
	v_fma_f64 v[1:2], v[1:2], v[85:86], -v[88:89]
	v_fma_f64 v[3:4], v[3:4], v[85:86], v[83:84]
.LBB101_166:
	s_and_saveexec_b32 s8, s5
	s_cbranch_execz .LBB101_170
; %bb.167:
	v_subrev_nc_u32_e32 v83, 17, v0
	s_movk_i32 s47, 0x370
	s_mov_b32 s5, 0
	s_mov_b32 s48, s28
	.p2align	6
.LBB101_168:                            ; =>This Inner Loop Header: Depth=1
	v_mov_b32_e32 v86, s48
	v_add_nc_u32_e32 v83, -1, v83
	s_add_i32 s48, s48, 16
	s_clause 0x3
	buffer_load_dword v84, v86, s[0:3], 0 offen offset:8
	buffer_load_dword v85, v86, s[0:3], 0 offen offset:12
	buffer_load_dword v92, v86, s[0:3], 0 offen
	buffer_load_dword v93, v86, s[0:3], 0 offen offset:4
	v_mov_b32_e32 v86, s47
	v_cmp_eq_u32_e32 vcc_lo, 0, v83
	s_add_i32 s47, s47, 16
	ds_read_b128 v[88:91], v86
	s_or_b32 s5, vcc_lo, s5
	s_waitcnt vmcnt(2) lgkmcnt(0)
	v_mul_f64 v[94:95], v[90:91], v[84:85]
	v_mul_f64 v[84:85], v[88:89], v[84:85]
	s_waitcnt vmcnt(0)
	v_fma_f64 v[88:89], v[88:89], v[92:93], -v[94:95]
	v_fma_f64 v[84:85], v[90:91], v[92:93], v[84:85]
	v_add_f64 v[1:2], v[1:2], v[88:89]
	v_add_f64 v[3:4], v[3:4], v[84:85]
	s_andn2_b32 exec_lo, exec_lo, s5
	s_cbranch_execnz .LBB101_168
; %bb.169:
	s_or_b32 exec_lo, exec_lo, s5
.LBB101_170:
	s_or_b32 exec_lo, exec_lo, s8
	v_mov_b32_e32 v83, 0
	ds_read_b128 v[83:86], v83 offset:256
	s_waitcnt lgkmcnt(0)
	v_mul_f64 v[88:89], v[3:4], v[85:86]
	v_mul_f64 v[85:86], v[1:2], v[85:86]
	v_fma_f64 v[1:2], v[1:2], v[83:84], -v[88:89]
	v_fma_f64 v[3:4], v[3:4], v[83:84], v[85:86]
	buffer_store_dword v2, off, s[0:3], 0 offset:260
	buffer_store_dword v1, off, s[0:3], 0 offset:256
	;; [unrolled: 1-line block ×4, first 2 shown]
.LBB101_171:
	s_or_b32 exec_lo, exec_lo, s6
	v_mov_b32_e32 v4, s30
	v_cmp_lt_u32_e64 s5, 15, v0
	s_clause 0x3
	buffer_load_dword v1, v4, s[0:3], 0 offen
	buffer_load_dword v2, v4, s[0:3], 0 offen offset:4
	buffer_load_dword v3, v4, s[0:3], 0 offen offset:8
	;; [unrolled: 1-line block ×3, first 2 shown]
	s_waitcnt vmcnt(0)
	ds_write_b128 v82, v[1:4]
	s_waitcnt lgkmcnt(0)
	s_waitcnt_vscnt null, 0x0
	s_barrier
	buffer_gl0_inv
	s_and_saveexec_b32 s6, s5
	s_cbranch_execz .LBB101_179
; %bb.172:
	ds_read_b128 v[1:4], v82
	s_andn2_b32 vcc_lo, exec_lo, s46
	s_cbranch_vccnz .LBB101_174
; %bb.173:
	s_clause 0x3
	buffer_load_dword v83, v81, s[0:3], 0 offen offset:8
	buffer_load_dword v84, v81, s[0:3], 0 offen offset:12
	buffer_load_dword v85, v81, s[0:3], 0 offen
	buffer_load_dword v86, v81, s[0:3], 0 offen offset:4
	s_waitcnt vmcnt(2) lgkmcnt(0)
	v_mul_f64 v[88:89], v[3:4], v[83:84]
	v_mul_f64 v[83:84], v[1:2], v[83:84]
	s_waitcnt vmcnt(0)
	v_fma_f64 v[1:2], v[1:2], v[85:86], -v[88:89]
	v_fma_f64 v[3:4], v[3:4], v[85:86], v[83:84]
.LBB101_174:
	s_and_saveexec_b32 s8, s4
	s_cbranch_execz .LBB101_178
; %bb.175:
	v_add_nc_u32_e32 v83, -16, v0
	s_movk_i32 s47, 0x360
	s_mov_b32 s4, 0
	s_mov_b32 s48, s29
	.p2align	6
.LBB101_176:                            ; =>This Inner Loop Header: Depth=1
	v_mov_b32_e32 v86, s48
	v_add_nc_u32_e32 v83, -1, v83
	s_add_i32 s48, s48, 16
	s_clause 0x3
	buffer_load_dword v84, v86, s[0:3], 0 offen offset:8
	buffer_load_dword v85, v86, s[0:3], 0 offen offset:12
	buffer_load_dword v92, v86, s[0:3], 0 offen
	buffer_load_dword v93, v86, s[0:3], 0 offen offset:4
	v_mov_b32_e32 v86, s47
	v_cmp_eq_u32_e32 vcc_lo, 0, v83
	s_add_i32 s47, s47, 16
	ds_read_b128 v[88:91], v86
	s_or_b32 s4, vcc_lo, s4
	s_waitcnt vmcnt(2) lgkmcnt(0)
	v_mul_f64 v[94:95], v[90:91], v[84:85]
	v_mul_f64 v[84:85], v[88:89], v[84:85]
	s_waitcnt vmcnt(0)
	v_fma_f64 v[88:89], v[88:89], v[92:93], -v[94:95]
	v_fma_f64 v[84:85], v[90:91], v[92:93], v[84:85]
	v_add_f64 v[1:2], v[1:2], v[88:89]
	v_add_f64 v[3:4], v[3:4], v[84:85]
	s_andn2_b32 exec_lo, exec_lo, s4
	s_cbranch_execnz .LBB101_176
; %bb.177:
	s_or_b32 exec_lo, exec_lo, s4
.LBB101_178:
	s_or_b32 exec_lo, exec_lo, s8
	v_mov_b32_e32 v83, 0
	ds_read_b128 v[83:86], v83 offset:240
	s_waitcnt lgkmcnt(0)
	v_mul_f64 v[88:89], v[3:4], v[85:86]
	v_mul_f64 v[85:86], v[1:2], v[85:86]
	v_fma_f64 v[1:2], v[1:2], v[83:84], -v[88:89]
	v_fma_f64 v[3:4], v[3:4], v[83:84], v[85:86]
	buffer_store_dword v2, off, s[0:3], 0 offset:244
	buffer_store_dword v1, off, s[0:3], 0 offset:240
	;; [unrolled: 1-line block ×4, first 2 shown]
.LBB101_179:
	s_or_b32 exec_lo, exec_lo, s6
	v_mov_b32_e32 v4, s31
	v_cmp_lt_u32_e64 s4, 14, v0
	s_clause 0x3
	buffer_load_dword v1, v4, s[0:3], 0 offen
	buffer_load_dword v2, v4, s[0:3], 0 offen offset:4
	buffer_load_dword v3, v4, s[0:3], 0 offen offset:8
	;; [unrolled: 1-line block ×3, first 2 shown]
	s_waitcnt vmcnt(0)
	ds_write_b128 v82, v[1:4]
	s_waitcnt lgkmcnt(0)
	s_waitcnt_vscnt null, 0x0
	s_barrier
	buffer_gl0_inv
	s_and_saveexec_b32 s6, s4
	s_cbranch_execz .LBB101_187
; %bb.180:
	ds_read_b128 v[1:4], v82
	s_andn2_b32 vcc_lo, exec_lo, s46
	s_cbranch_vccnz .LBB101_182
; %bb.181:
	s_clause 0x3
	buffer_load_dword v83, v81, s[0:3], 0 offen offset:8
	buffer_load_dword v84, v81, s[0:3], 0 offen offset:12
	buffer_load_dword v85, v81, s[0:3], 0 offen
	buffer_load_dword v86, v81, s[0:3], 0 offen offset:4
	s_waitcnt vmcnt(2) lgkmcnt(0)
	v_mul_f64 v[88:89], v[3:4], v[83:84]
	v_mul_f64 v[83:84], v[1:2], v[83:84]
	s_waitcnt vmcnt(0)
	v_fma_f64 v[1:2], v[1:2], v[85:86], -v[88:89]
	v_fma_f64 v[3:4], v[3:4], v[85:86], v[83:84]
.LBB101_182:
	s_and_saveexec_b32 s8, s5
	s_cbranch_execz .LBB101_186
; %bb.183:
	v_add_nc_u32_e32 v83, -15, v0
	s_movk_i32 s47, 0x350
	s_mov_b32 s5, 0
	s_mov_b32 s48, s30
	.p2align	6
.LBB101_184:                            ; =>This Inner Loop Header: Depth=1
	v_mov_b32_e32 v86, s48
	v_add_nc_u32_e32 v83, -1, v83
	s_add_i32 s48, s48, 16
	s_clause 0x3
	buffer_load_dword v84, v86, s[0:3], 0 offen offset:8
	buffer_load_dword v85, v86, s[0:3], 0 offen offset:12
	buffer_load_dword v92, v86, s[0:3], 0 offen
	buffer_load_dword v93, v86, s[0:3], 0 offen offset:4
	v_mov_b32_e32 v86, s47
	v_cmp_eq_u32_e32 vcc_lo, 0, v83
	s_add_i32 s47, s47, 16
	ds_read_b128 v[88:91], v86
	s_or_b32 s5, vcc_lo, s5
	s_waitcnt vmcnt(2) lgkmcnt(0)
	v_mul_f64 v[94:95], v[90:91], v[84:85]
	v_mul_f64 v[84:85], v[88:89], v[84:85]
	s_waitcnt vmcnt(0)
	v_fma_f64 v[88:89], v[88:89], v[92:93], -v[94:95]
	v_fma_f64 v[84:85], v[90:91], v[92:93], v[84:85]
	v_add_f64 v[1:2], v[1:2], v[88:89]
	v_add_f64 v[3:4], v[3:4], v[84:85]
	s_andn2_b32 exec_lo, exec_lo, s5
	s_cbranch_execnz .LBB101_184
; %bb.185:
	s_or_b32 exec_lo, exec_lo, s5
.LBB101_186:
	s_or_b32 exec_lo, exec_lo, s8
	v_mov_b32_e32 v83, 0
	ds_read_b128 v[83:86], v83 offset:224
	s_waitcnt lgkmcnt(0)
	v_mul_f64 v[88:89], v[3:4], v[85:86]
	v_mul_f64 v[85:86], v[1:2], v[85:86]
	v_fma_f64 v[1:2], v[1:2], v[83:84], -v[88:89]
	v_fma_f64 v[3:4], v[3:4], v[83:84], v[85:86]
	buffer_store_dword v2, off, s[0:3], 0 offset:228
	buffer_store_dword v1, off, s[0:3], 0 offset:224
	buffer_store_dword v4, off, s[0:3], 0 offset:236
	buffer_store_dword v3, off, s[0:3], 0 offset:232
.LBB101_187:
	s_or_b32 exec_lo, exec_lo, s6
	v_mov_b32_e32 v4, s33
	v_cmp_lt_u32_e64 s5, 13, v0
	s_clause 0x3
	buffer_load_dword v1, v4, s[0:3], 0 offen
	buffer_load_dword v2, v4, s[0:3], 0 offen offset:4
	buffer_load_dword v3, v4, s[0:3], 0 offen offset:8
	;; [unrolled: 1-line block ×3, first 2 shown]
	s_waitcnt vmcnt(0)
	ds_write_b128 v82, v[1:4]
	s_waitcnt lgkmcnt(0)
	s_waitcnt_vscnt null, 0x0
	s_barrier
	buffer_gl0_inv
	s_and_saveexec_b32 s6, s5
	s_cbranch_execz .LBB101_195
; %bb.188:
	ds_read_b128 v[1:4], v82
	s_andn2_b32 vcc_lo, exec_lo, s46
	s_cbranch_vccnz .LBB101_190
; %bb.189:
	s_clause 0x3
	buffer_load_dword v83, v81, s[0:3], 0 offen offset:8
	buffer_load_dword v84, v81, s[0:3], 0 offen offset:12
	buffer_load_dword v85, v81, s[0:3], 0 offen
	buffer_load_dword v86, v81, s[0:3], 0 offen offset:4
	s_waitcnt vmcnt(2) lgkmcnt(0)
	v_mul_f64 v[88:89], v[3:4], v[83:84]
	v_mul_f64 v[83:84], v[1:2], v[83:84]
	s_waitcnt vmcnt(0)
	v_fma_f64 v[1:2], v[1:2], v[85:86], -v[88:89]
	v_fma_f64 v[3:4], v[3:4], v[85:86], v[83:84]
.LBB101_190:
	s_and_saveexec_b32 s8, s4
	s_cbranch_execz .LBB101_194
; %bb.191:
	v_add_nc_u32_e32 v83, -14, v0
	s_movk_i32 s47, 0x340
	s_mov_b32 s4, 0
	s_mov_b32 s48, s31
	.p2align	6
.LBB101_192:                            ; =>This Inner Loop Header: Depth=1
	v_mov_b32_e32 v86, s48
	v_add_nc_u32_e32 v83, -1, v83
	s_add_i32 s48, s48, 16
	s_clause 0x3
	buffer_load_dword v84, v86, s[0:3], 0 offen offset:8
	buffer_load_dword v85, v86, s[0:3], 0 offen offset:12
	buffer_load_dword v92, v86, s[0:3], 0 offen
	buffer_load_dword v93, v86, s[0:3], 0 offen offset:4
	v_mov_b32_e32 v86, s47
	v_cmp_eq_u32_e32 vcc_lo, 0, v83
	s_add_i32 s47, s47, 16
	ds_read_b128 v[88:91], v86
	s_or_b32 s4, vcc_lo, s4
	s_waitcnt vmcnt(2) lgkmcnt(0)
	v_mul_f64 v[94:95], v[90:91], v[84:85]
	v_mul_f64 v[84:85], v[88:89], v[84:85]
	s_waitcnt vmcnt(0)
	v_fma_f64 v[88:89], v[88:89], v[92:93], -v[94:95]
	v_fma_f64 v[84:85], v[90:91], v[92:93], v[84:85]
	v_add_f64 v[1:2], v[1:2], v[88:89]
	v_add_f64 v[3:4], v[3:4], v[84:85]
	s_andn2_b32 exec_lo, exec_lo, s4
	s_cbranch_execnz .LBB101_192
; %bb.193:
	s_or_b32 exec_lo, exec_lo, s4
.LBB101_194:
	s_or_b32 exec_lo, exec_lo, s8
	v_mov_b32_e32 v83, 0
	ds_read_b128 v[83:86], v83 offset:208
	s_waitcnt lgkmcnt(0)
	v_mul_f64 v[88:89], v[3:4], v[85:86]
	v_mul_f64 v[85:86], v[1:2], v[85:86]
	v_fma_f64 v[1:2], v[1:2], v[83:84], -v[88:89]
	v_fma_f64 v[3:4], v[3:4], v[83:84], v[85:86]
	buffer_store_dword v2, off, s[0:3], 0 offset:212
	buffer_store_dword v1, off, s[0:3], 0 offset:208
	;; [unrolled: 1-line block ×4, first 2 shown]
.LBB101_195:
	s_or_b32 exec_lo, exec_lo, s6
	v_mov_b32_e32 v4, s34
	v_cmp_lt_u32_e64 s4, 12, v0
	s_clause 0x3
	buffer_load_dword v1, v4, s[0:3], 0 offen
	buffer_load_dword v2, v4, s[0:3], 0 offen offset:4
	buffer_load_dword v3, v4, s[0:3], 0 offen offset:8
	buffer_load_dword v4, v4, s[0:3], 0 offen offset:12
	s_waitcnt vmcnt(0)
	ds_write_b128 v82, v[1:4]
	s_waitcnt lgkmcnt(0)
	s_waitcnt_vscnt null, 0x0
	s_barrier
	buffer_gl0_inv
	s_and_saveexec_b32 s6, s4
	s_cbranch_execz .LBB101_203
; %bb.196:
	ds_read_b128 v[1:4], v82
	s_andn2_b32 vcc_lo, exec_lo, s46
	s_cbranch_vccnz .LBB101_198
; %bb.197:
	s_clause 0x3
	buffer_load_dword v83, v81, s[0:3], 0 offen offset:8
	buffer_load_dword v84, v81, s[0:3], 0 offen offset:12
	buffer_load_dword v85, v81, s[0:3], 0 offen
	buffer_load_dword v86, v81, s[0:3], 0 offen offset:4
	s_waitcnt vmcnt(2) lgkmcnt(0)
	v_mul_f64 v[88:89], v[3:4], v[83:84]
	v_mul_f64 v[83:84], v[1:2], v[83:84]
	s_waitcnt vmcnt(0)
	v_fma_f64 v[1:2], v[1:2], v[85:86], -v[88:89]
	v_fma_f64 v[3:4], v[3:4], v[85:86], v[83:84]
.LBB101_198:
	s_and_saveexec_b32 s8, s5
	s_cbranch_execz .LBB101_202
; %bb.199:
	v_add_nc_u32_e32 v83, -13, v0
	s_movk_i32 s47, 0x330
	s_mov_b32 s5, 0
	s_mov_b32 s48, s33
	.p2align	6
.LBB101_200:                            ; =>This Inner Loop Header: Depth=1
	v_mov_b32_e32 v86, s48
	v_add_nc_u32_e32 v83, -1, v83
	s_add_i32 s48, s48, 16
	s_clause 0x3
	buffer_load_dword v84, v86, s[0:3], 0 offen offset:8
	buffer_load_dword v85, v86, s[0:3], 0 offen offset:12
	buffer_load_dword v92, v86, s[0:3], 0 offen
	buffer_load_dword v93, v86, s[0:3], 0 offen offset:4
	v_mov_b32_e32 v86, s47
	v_cmp_eq_u32_e32 vcc_lo, 0, v83
	s_add_i32 s47, s47, 16
	ds_read_b128 v[88:91], v86
	s_or_b32 s5, vcc_lo, s5
	s_waitcnt vmcnt(2) lgkmcnt(0)
	v_mul_f64 v[94:95], v[90:91], v[84:85]
	v_mul_f64 v[84:85], v[88:89], v[84:85]
	s_waitcnt vmcnt(0)
	v_fma_f64 v[88:89], v[88:89], v[92:93], -v[94:95]
	v_fma_f64 v[84:85], v[90:91], v[92:93], v[84:85]
	v_add_f64 v[1:2], v[1:2], v[88:89]
	v_add_f64 v[3:4], v[3:4], v[84:85]
	s_andn2_b32 exec_lo, exec_lo, s5
	s_cbranch_execnz .LBB101_200
; %bb.201:
	s_or_b32 exec_lo, exec_lo, s5
.LBB101_202:
	s_or_b32 exec_lo, exec_lo, s8
	v_mov_b32_e32 v83, 0
	ds_read_b128 v[83:86], v83 offset:192
	s_waitcnt lgkmcnt(0)
	v_mul_f64 v[88:89], v[3:4], v[85:86]
	v_mul_f64 v[85:86], v[1:2], v[85:86]
	v_fma_f64 v[1:2], v[1:2], v[83:84], -v[88:89]
	v_fma_f64 v[3:4], v[3:4], v[83:84], v[85:86]
	buffer_store_dword v2, off, s[0:3], 0 offset:196
	buffer_store_dword v1, off, s[0:3], 0 offset:192
	;; [unrolled: 1-line block ×4, first 2 shown]
.LBB101_203:
	s_or_b32 exec_lo, exec_lo, s6
	v_mov_b32_e32 v4, s35
	v_cmp_lt_u32_e64 s5, 11, v0
	s_clause 0x3
	buffer_load_dword v1, v4, s[0:3], 0 offen
	buffer_load_dword v2, v4, s[0:3], 0 offen offset:4
	buffer_load_dword v3, v4, s[0:3], 0 offen offset:8
	;; [unrolled: 1-line block ×3, first 2 shown]
	s_waitcnt vmcnt(0)
	ds_write_b128 v82, v[1:4]
	s_waitcnt lgkmcnt(0)
	s_waitcnt_vscnt null, 0x0
	s_barrier
	buffer_gl0_inv
	s_and_saveexec_b32 s6, s5
	s_cbranch_execz .LBB101_211
; %bb.204:
	ds_read_b128 v[1:4], v82
	s_andn2_b32 vcc_lo, exec_lo, s46
	s_cbranch_vccnz .LBB101_206
; %bb.205:
	s_clause 0x3
	buffer_load_dword v83, v81, s[0:3], 0 offen offset:8
	buffer_load_dword v84, v81, s[0:3], 0 offen offset:12
	buffer_load_dword v85, v81, s[0:3], 0 offen
	buffer_load_dword v86, v81, s[0:3], 0 offen offset:4
	s_waitcnt vmcnt(2) lgkmcnt(0)
	v_mul_f64 v[88:89], v[3:4], v[83:84]
	v_mul_f64 v[83:84], v[1:2], v[83:84]
	s_waitcnt vmcnt(0)
	v_fma_f64 v[1:2], v[1:2], v[85:86], -v[88:89]
	v_fma_f64 v[3:4], v[3:4], v[85:86], v[83:84]
.LBB101_206:
	s_and_saveexec_b32 s8, s4
	s_cbranch_execz .LBB101_210
; %bb.207:
	v_add_nc_u32_e32 v83, -12, v0
	s_movk_i32 s47, 0x320
	s_mov_b32 s4, 0
	s_mov_b32 s48, s34
	.p2align	6
.LBB101_208:                            ; =>This Inner Loop Header: Depth=1
	v_mov_b32_e32 v86, s48
	v_add_nc_u32_e32 v83, -1, v83
	s_add_i32 s48, s48, 16
	s_clause 0x3
	buffer_load_dword v84, v86, s[0:3], 0 offen offset:8
	buffer_load_dword v85, v86, s[0:3], 0 offen offset:12
	buffer_load_dword v92, v86, s[0:3], 0 offen
	buffer_load_dword v93, v86, s[0:3], 0 offen offset:4
	v_mov_b32_e32 v86, s47
	v_cmp_eq_u32_e32 vcc_lo, 0, v83
	s_add_i32 s47, s47, 16
	ds_read_b128 v[88:91], v86
	s_or_b32 s4, vcc_lo, s4
	s_waitcnt vmcnt(2) lgkmcnt(0)
	v_mul_f64 v[94:95], v[90:91], v[84:85]
	v_mul_f64 v[84:85], v[88:89], v[84:85]
	s_waitcnt vmcnt(0)
	v_fma_f64 v[88:89], v[88:89], v[92:93], -v[94:95]
	v_fma_f64 v[84:85], v[90:91], v[92:93], v[84:85]
	v_add_f64 v[1:2], v[1:2], v[88:89]
	v_add_f64 v[3:4], v[3:4], v[84:85]
	s_andn2_b32 exec_lo, exec_lo, s4
	s_cbranch_execnz .LBB101_208
; %bb.209:
	s_or_b32 exec_lo, exec_lo, s4
.LBB101_210:
	s_or_b32 exec_lo, exec_lo, s8
	v_mov_b32_e32 v83, 0
	ds_read_b128 v[83:86], v83 offset:176
	s_waitcnt lgkmcnt(0)
	v_mul_f64 v[88:89], v[3:4], v[85:86]
	v_mul_f64 v[85:86], v[1:2], v[85:86]
	v_fma_f64 v[1:2], v[1:2], v[83:84], -v[88:89]
	v_fma_f64 v[3:4], v[3:4], v[83:84], v[85:86]
	buffer_store_dword v2, off, s[0:3], 0 offset:180
	buffer_store_dword v1, off, s[0:3], 0 offset:176
	;; [unrolled: 1-line block ×4, first 2 shown]
.LBB101_211:
	s_or_b32 exec_lo, exec_lo, s6
	v_mov_b32_e32 v4, s36
	v_cmp_lt_u32_e64 s4, 10, v0
	s_clause 0x3
	buffer_load_dword v1, v4, s[0:3], 0 offen
	buffer_load_dword v2, v4, s[0:3], 0 offen offset:4
	buffer_load_dword v3, v4, s[0:3], 0 offen offset:8
	buffer_load_dword v4, v4, s[0:3], 0 offen offset:12
	s_waitcnt vmcnt(0)
	ds_write_b128 v82, v[1:4]
	s_waitcnt lgkmcnt(0)
	s_waitcnt_vscnt null, 0x0
	s_barrier
	buffer_gl0_inv
	s_and_saveexec_b32 s6, s4
	s_cbranch_execz .LBB101_219
; %bb.212:
	ds_read_b128 v[1:4], v82
	s_andn2_b32 vcc_lo, exec_lo, s46
	s_cbranch_vccnz .LBB101_214
; %bb.213:
	s_clause 0x3
	buffer_load_dword v83, v81, s[0:3], 0 offen offset:8
	buffer_load_dword v84, v81, s[0:3], 0 offen offset:12
	buffer_load_dword v85, v81, s[0:3], 0 offen
	buffer_load_dword v86, v81, s[0:3], 0 offen offset:4
	s_waitcnt vmcnt(2) lgkmcnt(0)
	v_mul_f64 v[88:89], v[3:4], v[83:84]
	v_mul_f64 v[83:84], v[1:2], v[83:84]
	s_waitcnt vmcnt(0)
	v_fma_f64 v[1:2], v[1:2], v[85:86], -v[88:89]
	v_fma_f64 v[3:4], v[3:4], v[85:86], v[83:84]
.LBB101_214:
	s_and_saveexec_b32 s8, s5
	s_cbranch_execz .LBB101_218
; %bb.215:
	v_add_nc_u32_e32 v83, -11, v0
	s_movk_i32 s47, 0x310
	s_mov_b32 s5, 0
	s_mov_b32 s48, s35
	.p2align	6
.LBB101_216:                            ; =>This Inner Loop Header: Depth=1
	v_mov_b32_e32 v86, s48
	v_add_nc_u32_e32 v83, -1, v83
	s_add_i32 s48, s48, 16
	s_clause 0x3
	buffer_load_dword v84, v86, s[0:3], 0 offen offset:8
	buffer_load_dword v85, v86, s[0:3], 0 offen offset:12
	buffer_load_dword v92, v86, s[0:3], 0 offen
	buffer_load_dword v93, v86, s[0:3], 0 offen offset:4
	v_mov_b32_e32 v86, s47
	v_cmp_eq_u32_e32 vcc_lo, 0, v83
	s_add_i32 s47, s47, 16
	ds_read_b128 v[88:91], v86
	s_or_b32 s5, vcc_lo, s5
	s_waitcnt vmcnt(2) lgkmcnt(0)
	v_mul_f64 v[94:95], v[90:91], v[84:85]
	v_mul_f64 v[84:85], v[88:89], v[84:85]
	s_waitcnt vmcnt(0)
	v_fma_f64 v[88:89], v[88:89], v[92:93], -v[94:95]
	v_fma_f64 v[84:85], v[90:91], v[92:93], v[84:85]
	v_add_f64 v[1:2], v[1:2], v[88:89]
	v_add_f64 v[3:4], v[3:4], v[84:85]
	s_andn2_b32 exec_lo, exec_lo, s5
	s_cbranch_execnz .LBB101_216
; %bb.217:
	s_or_b32 exec_lo, exec_lo, s5
.LBB101_218:
	s_or_b32 exec_lo, exec_lo, s8
	v_mov_b32_e32 v83, 0
	ds_read_b128 v[83:86], v83 offset:160
	s_waitcnt lgkmcnt(0)
	v_mul_f64 v[88:89], v[3:4], v[85:86]
	v_mul_f64 v[85:86], v[1:2], v[85:86]
	v_fma_f64 v[1:2], v[1:2], v[83:84], -v[88:89]
	v_fma_f64 v[3:4], v[3:4], v[83:84], v[85:86]
	buffer_store_dword v2, off, s[0:3], 0 offset:164
	buffer_store_dword v1, off, s[0:3], 0 offset:160
	;; [unrolled: 1-line block ×4, first 2 shown]
.LBB101_219:
	s_or_b32 exec_lo, exec_lo, s6
	v_mov_b32_e32 v4, s37
	v_cmp_lt_u32_e64 s5, 9, v0
	s_clause 0x3
	buffer_load_dword v1, v4, s[0:3], 0 offen
	buffer_load_dword v2, v4, s[0:3], 0 offen offset:4
	buffer_load_dword v3, v4, s[0:3], 0 offen offset:8
	buffer_load_dword v4, v4, s[0:3], 0 offen offset:12
	s_waitcnt vmcnt(0)
	ds_write_b128 v82, v[1:4]
	s_waitcnt lgkmcnt(0)
	s_waitcnt_vscnt null, 0x0
	s_barrier
	buffer_gl0_inv
	s_and_saveexec_b32 s6, s5
	s_cbranch_execz .LBB101_227
; %bb.220:
	ds_read_b128 v[1:4], v82
	s_andn2_b32 vcc_lo, exec_lo, s46
	s_cbranch_vccnz .LBB101_222
; %bb.221:
	s_clause 0x3
	buffer_load_dword v83, v81, s[0:3], 0 offen offset:8
	buffer_load_dword v84, v81, s[0:3], 0 offen offset:12
	buffer_load_dword v85, v81, s[0:3], 0 offen
	buffer_load_dword v86, v81, s[0:3], 0 offen offset:4
	s_waitcnt vmcnt(2) lgkmcnt(0)
	v_mul_f64 v[88:89], v[3:4], v[83:84]
	v_mul_f64 v[83:84], v[1:2], v[83:84]
	s_waitcnt vmcnt(0)
	v_fma_f64 v[1:2], v[1:2], v[85:86], -v[88:89]
	v_fma_f64 v[3:4], v[3:4], v[85:86], v[83:84]
.LBB101_222:
	s_and_saveexec_b32 s8, s4
	s_cbranch_execz .LBB101_226
; %bb.223:
	v_add_nc_u32_e32 v83, -10, v0
	s_movk_i32 s47, 0x300
	s_mov_b32 s4, 0
	s_mov_b32 s48, s36
	.p2align	6
.LBB101_224:                            ; =>This Inner Loop Header: Depth=1
	v_mov_b32_e32 v86, s48
	v_add_nc_u32_e32 v83, -1, v83
	s_add_i32 s48, s48, 16
	s_clause 0x3
	buffer_load_dword v84, v86, s[0:3], 0 offen offset:8
	buffer_load_dword v85, v86, s[0:3], 0 offen offset:12
	buffer_load_dword v92, v86, s[0:3], 0 offen
	buffer_load_dword v93, v86, s[0:3], 0 offen offset:4
	v_mov_b32_e32 v86, s47
	v_cmp_eq_u32_e32 vcc_lo, 0, v83
	s_add_i32 s47, s47, 16
	ds_read_b128 v[88:91], v86
	s_or_b32 s4, vcc_lo, s4
	s_waitcnt vmcnt(2) lgkmcnt(0)
	v_mul_f64 v[94:95], v[90:91], v[84:85]
	v_mul_f64 v[84:85], v[88:89], v[84:85]
	s_waitcnt vmcnt(0)
	v_fma_f64 v[88:89], v[88:89], v[92:93], -v[94:95]
	v_fma_f64 v[84:85], v[90:91], v[92:93], v[84:85]
	v_add_f64 v[1:2], v[1:2], v[88:89]
	v_add_f64 v[3:4], v[3:4], v[84:85]
	s_andn2_b32 exec_lo, exec_lo, s4
	s_cbranch_execnz .LBB101_224
; %bb.225:
	s_or_b32 exec_lo, exec_lo, s4
.LBB101_226:
	s_or_b32 exec_lo, exec_lo, s8
	v_mov_b32_e32 v83, 0
	ds_read_b128 v[83:86], v83 offset:144
	s_waitcnt lgkmcnt(0)
	v_mul_f64 v[88:89], v[3:4], v[85:86]
	v_mul_f64 v[85:86], v[1:2], v[85:86]
	v_fma_f64 v[1:2], v[1:2], v[83:84], -v[88:89]
	v_fma_f64 v[3:4], v[3:4], v[83:84], v[85:86]
	buffer_store_dword v2, off, s[0:3], 0 offset:148
	buffer_store_dword v1, off, s[0:3], 0 offset:144
	;; [unrolled: 1-line block ×4, first 2 shown]
.LBB101_227:
	s_or_b32 exec_lo, exec_lo, s6
	v_mov_b32_e32 v4, s38
	v_cmp_lt_u32_e64 s4, 8, v0
	s_clause 0x3
	buffer_load_dword v1, v4, s[0:3], 0 offen
	buffer_load_dword v2, v4, s[0:3], 0 offen offset:4
	buffer_load_dword v3, v4, s[0:3], 0 offen offset:8
	;; [unrolled: 1-line block ×3, first 2 shown]
	s_waitcnt vmcnt(0)
	ds_write_b128 v82, v[1:4]
	s_waitcnt lgkmcnt(0)
	s_waitcnt_vscnt null, 0x0
	s_barrier
	buffer_gl0_inv
	s_and_saveexec_b32 s6, s4
	s_cbranch_execz .LBB101_235
; %bb.228:
	ds_read_b128 v[1:4], v82
	s_andn2_b32 vcc_lo, exec_lo, s46
	s_cbranch_vccnz .LBB101_230
; %bb.229:
	s_clause 0x3
	buffer_load_dword v83, v81, s[0:3], 0 offen offset:8
	buffer_load_dword v84, v81, s[0:3], 0 offen offset:12
	buffer_load_dword v85, v81, s[0:3], 0 offen
	buffer_load_dword v86, v81, s[0:3], 0 offen offset:4
	s_waitcnt vmcnt(2) lgkmcnt(0)
	v_mul_f64 v[88:89], v[3:4], v[83:84]
	v_mul_f64 v[83:84], v[1:2], v[83:84]
	s_waitcnt vmcnt(0)
	v_fma_f64 v[1:2], v[1:2], v[85:86], -v[88:89]
	v_fma_f64 v[3:4], v[3:4], v[85:86], v[83:84]
.LBB101_230:
	s_and_saveexec_b32 s8, s5
	s_cbranch_execz .LBB101_234
; %bb.231:
	v_add_nc_u32_e32 v83, -9, v0
	s_movk_i32 s47, 0x2f0
	s_mov_b32 s5, 0
	s_mov_b32 s48, s37
	.p2align	6
.LBB101_232:                            ; =>This Inner Loop Header: Depth=1
	v_mov_b32_e32 v86, s48
	v_add_nc_u32_e32 v83, -1, v83
	s_add_i32 s48, s48, 16
	s_clause 0x3
	buffer_load_dword v84, v86, s[0:3], 0 offen offset:8
	buffer_load_dword v85, v86, s[0:3], 0 offen offset:12
	buffer_load_dword v92, v86, s[0:3], 0 offen
	buffer_load_dword v93, v86, s[0:3], 0 offen offset:4
	v_mov_b32_e32 v86, s47
	v_cmp_eq_u32_e32 vcc_lo, 0, v83
	s_add_i32 s47, s47, 16
	ds_read_b128 v[88:91], v86
	s_or_b32 s5, vcc_lo, s5
	s_waitcnt vmcnt(2) lgkmcnt(0)
	v_mul_f64 v[94:95], v[90:91], v[84:85]
	v_mul_f64 v[84:85], v[88:89], v[84:85]
	s_waitcnt vmcnt(0)
	v_fma_f64 v[88:89], v[88:89], v[92:93], -v[94:95]
	v_fma_f64 v[84:85], v[90:91], v[92:93], v[84:85]
	v_add_f64 v[1:2], v[1:2], v[88:89]
	v_add_f64 v[3:4], v[3:4], v[84:85]
	s_andn2_b32 exec_lo, exec_lo, s5
	s_cbranch_execnz .LBB101_232
; %bb.233:
	s_or_b32 exec_lo, exec_lo, s5
.LBB101_234:
	s_or_b32 exec_lo, exec_lo, s8
	v_mov_b32_e32 v83, 0
	ds_read_b128 v[83:86], v83 offset:128
	s_waitcnt lgkmcnt(0)
	v_mul_f64 v[88:89], v[3:4], v[85:86]
	v_mul_f64 v[85:86], v[1:2], v[85:86]
	v_fma_f64 v[1:2], v[1:2], v[83:84], -v[88:89]
	v_fma_f64 v[3:4], v[3:4], v[83:84], v[85:86]
	buffer_store_dword v2, off, s[0:3], 0 offset:132
	buffer_store_dword v1, off, s[0:3], 0 offset:128
	;; [unrolled: 1-line block ×4, first 2 shown]
.LBB101_235:
	s_or_b32 exec_lo, exec_lo, s6
	v_mov_b32_e32 v4, s39
	v_cmp_lt_u32_e64 s5, 7, v0
	s_clause 0x3
	buffer_load_dword v1, v4, s[0:3], 0 offen
	buffer_load_dword v2, v4, s[0:3], 0 offen offset:4
	buffer_load_dword v3, v4, s[0:3], 0 offen offset:8
	;; [unrolled: 1-line block ×3, first 2 shown]
	s_waitcnt vmcnt(0)
	ds_write_b128 v82, v[1:4]
	s_waitcnt lgkmcnt(0)
	s_waitcnt_vscnt null, 0x0
	s_barrier
	buffer_gl0_inv
	s_and_saveexec_b32 s6, s5
	s_cbranch_execz .LBB101_243
; %bb.236:
	ds_read_b128 v[1:4], v82
	s_andn2_b32 vcc_lo, exec_lo, s46
	s_cbranch_vccnz .LBB101_238
; %bb.237:
	s_clause 0x3
	buffer_load_dword v83, v81, s[0:3], 0 offen offset:8
	buffer_load_dword v84, v81, s[0:3], 0 offen offset:12
	buffer_load_dword v85, v81, s[0:3], 0 offen
	buffer_load_dword v86, v81, s[0:3], 0 offen offset:4
	s_waitcnt vmcnt(2) lgkmcnt(0)
	v_mul_f64 v[88:89], v[3:4], v[83:84]
	v_mul_f64 v[83:84], v[1:2], v[83:84]
	s_waitcnt vmcnt(0)
	v_fma_f64 v[1:2], v[1:2], v[85:86], -v[88:89]
	v_fma_f64 v[3:4], v[3:4], v[85:86], v[83:84]
.LBB101_238:
	s_and_saveexec_b32 s8, s4
	s_cbranch_execz .LBB101_242
; %bb.239:
	v_add_nc_u32_e32 v83, -8, v0
	s_movk_i32 s47, 0x2e0
	s_mov_b32 s4, 0
	s_mov_b32 s48, s38
	.p2align	6
.LBB101_240:                            ; =>This Inner Loop Header: Depth=1
	v_mov_b32_e32 v86, s48
	v_add_nc_u32_e32 v83, -1, v83
	s_add_i32 s48, s48, 16
	s_clause 0x3
	buffer_load_dword v84, v86, s[0:3], 0 offen offset:8
	buffer_load_dword v85, v86, s[0:3], 0 offen offset:12
	buffer_load_dword v92, v86, s[0:3], 0 offen
	buffer_load_dword v93, v86, s[0:3], 0 offen offset:4
	v_mov_b32_e32 v86, s47
	v_cmp_eq_u32_e32 vcc_lo, 0, v83
	s_add_i32 s47, s47, 16
	ds_read_b128 v[88:91], v86
	s_or_b32 s4, vcc_lo, s4
	s_waitcnt vmcnt(2) lgkmcnt(0)
	v_mul_f64 v[94:95], v[90:91], v[84:85]
	v_mul_f64 v[84:85], v[88:89], v[84:85]
	s_waitcnt vmcnt(0)
	v_fma_f64 v[88:89], v[88:89], v[92:93], -v[94:95]
	v_fma_f64 v[84:85], v[90:91], v[92:93], v[84:85]
	v_add_f64 v[1:2], v[1:2], v[88:89]
	v_add_f64 v[3:4], v[3:4], v[84:85]
	s_andn2_b32 exec_lo, exec_lo, s4
	s_cbranch_execnz .LBB101_240
; %bb.241:
	s_or_b32 exec_lo, exec_lo, s4
.LBB101_242:
	s_or_b32 exec_lo, exec_lo, s8
	v_mov_b32_e32 v83, 0
	ds_read_b128 v[83:86], v83 offset:112
	s_waitcnt lgkmcnt(0)
	v_mul_f64 v[88:89], v[3:4], v[85:86]
	v_mul_f64 v[85:86], v[1:2], v[85:86]
	v_fma_f64 v[1:2], v[1:2], v[83:84], -v[88:89]
	v_fma_f64 v[3:4], v[3:4], v[83:84], v[85:86]
	buffer_store_dword v2, off, s[0:3], 0 offset:116
	buffer_store_dword v1, off, s[0:3], 0 offset:112
	;; [unrolled: 1-line block ×4, first 2 shown]
.LBB101_243:
	s_or_b32 exec_lo, exec_lo, s6
	v_mov_b32_e32 v4, s40
	v_cmp_lt_u32_e64 s4, 6, v0
	s_clause 0x3
	buffer_load_dword v1, v4, s[0:3], 0 offen
	buffer_load_dword v2, v4, s[0:3], 0 offen offset:4
	buffer_load_dword v3, v4, s[0:3], 0 offen offset:8
	;; [unrolled: 1-line block ×3, first 2 shown]
	s_waitcnt vmcnt(0)
	ds_write_b128 v82, v[1:4]
	s_waitcnt lgkmcnt(0)
	s_waitcnt_vscnt null, 0x0
	s_barrier
	buffer_gl0_inv
	s_and_saveexec_b32 s6, s4
	s_cbranch_execz .LBB101_251
; %bb.244:
	ds_read_b128 v[1:4], v82
	s_andn2_b32 vcc_lo, exec_lo, s46
	s_cbranch_vccnz .LBB101_246
; %bb.245:
	s_clause 0x3
	buffer_load_dword v83, v81, s[0:3], 0 offen offset:8
	buffer_load_dword v84, v81, s[0:3], 0 offen offset:12
	buffer_load_dword v85, v81, s[0:3], 0 offen
	buffer_load_dword v86, v81, s[0:3], 0 offen offset:4
	s_waitcnt vmcnt(2) lgkmcnt(0)
	v_mul_f64 v[88:89], v[3:4], v[83:84]
	v_mul_f64 v[83:84], v[1:2], v[83:84]
	s_waitcnt vmcnt(0)
	v_fma_f64 v[1:2], v[1:2], v[85:86], -v[88:89]
	v_fma_f64 v[3:4], v[3:4], v[85:86], v[83:84]
.LBB101_246:
	s_and_saveexec_b32 s8, s5
	s_cbranch_execz .LBB101_250
; %bb.247:
	v_add_nc_u32_e32 v83, -7, v0
	s_movk_i32 s47, 0x2d0
	s_mov_b32 s5, 0
	s_mov_b32 s48, s39
	.p2align	6
.LBB101_248:                            ; =>This Inner Loop Header: Depth=1
	v_mov_b32_e32 v86, s48
	v_add_nc_u32_e32 v83, -1, v83
	s_add_i32 s48, s48, 16
	s_clause 0x3
	buffer_load_dword v84, v86, s[0:3], 0 offen offset:8
	buffer_load_dword v85, v86, s[0:3], 0 offen offset:12
	buffer_load_dword v92, v86, s[0:3], 0 offen
	buffer_load_dword v93, v86, s[0:3], 0 offen offset:4
	v_mov_b32_e32 v86, s47
	v_cmp_eq_u32_e32 vcc_lo, 0, v83
	s_add_i32 s47, s47, 16
	ds_read_b128 v[88:91], v86
	s_or_b32 s5, vcc_lo, s5
	s_waitcnt vmcnt(2) lgkmcnt(0)
	v_mul_f64 v[94:95], v[90:91], v[84:85]
	v_mul_f64 v[84:85], v[88:89], v[84:85]
	s_waitcnt vmcnt(0)
	v_fma_f64 v[88:89], v[88:89], v[92:93], -v[94:95]
	v_fma_f64 v[84:85], v[90:91], v[92:93], v[84:85]
	v_add_f64 v[1:2], v[1:2], v[88:89]
	v_add_f64 v[3:4], v[3:4], v[84:85]
	s_andn2_b32 exec_lo, exec_lo, s5
	s_cbranch_execnz .LBB101_248
; %bb.249:
	s_or_b32 exec_lo, exec_lo, s5
.LBB101_250:
	s_or_b32 exec_lo, exec_lo, s8
	v_mov_b32_e32 v83, 0
	ds_read_b128 v[83:86], v83 offset:96
	s_waitcnt lgkmcnt(0)
	v_mul_f64 v[88:89], v[3:4], v[85:86]
	v_mul_f64 v[85:86], v[1:2], v[85:86]
	v_fma_f64 v[1:2], v[1:2], v[83:84], -v[88:89]
	v_fma_f64 v[3:4], v[3:4], v[83:84], v[85:86]
	buffer_store_dword v2, off, s[0:3], 0 offset:100
	buffer_store_dword v1, off, s[0:3], 0 offset:96
	;; [unrolled: 1-line block ×4, first 2 shown]
.LBB101_251:
	s_or_b32 exec_lo, exec_lo, s6
	v_mov_b32_e32 v4, s41
	v_cmp_lt_u32_e64 s5, 5, v0
	s_clause 0x3
	buffer_load_dword v1, v4, s[0:3], 0 offen
	buffer_load_dword v2, v4, s[0:3], 0 offen offset:4
	buffer_load_dword v3, v4, s[0:3], 0 offen offset:8
	;; [unrolled: 1-line block ×3, first 2 shown]
	s_waitcnt vmcnt(0)
	ds_write_b128 v82, v[1:4]
	s_waitcnt lgkmcnt(0)
	s_waitcnt_vscnt null, 0x0
	s_barrier
	buffer_gl0_inv
	s_and_saveexec_b32 s6, s5
	s_cbranch_execz .LBB101_259
; %bb.252:
	ds_read_b128 v[1:4], v82
	s_andn2_b32 vcc_lo, exec_lo, s46
	s_cbranch_vccnz .LBB101_254
; %bb.253:
	s_clause 0x3
	buffer_load_dword v83, v81, s[0:3], 0 offen offset:8
	buffer_load_dword v84, v81, s[0:3], 0 offen offset:12
	buffer_load_dword v85, v81, s[0:3], 0 offen
	buffer_load_dword v86, v81, s[0:3], 0 offen offset:4
	s_waitcnt vmcnt(2) lgkmcnt(0)
	v_mul_f64 v[88:89], v[3:4], v[83:84]
	v_mul_f64 v[83:84], v[1:2], v[83:84]
	s_waitcnt vmcnt(0)
	v_fma_f64 v[1:2], v[1:2], v[85:86], -v[88:89]
	v_fma_f64 v[3:4], v[3:4], v[85:86], v[83:84]
.LBB101_254:
	s_and_saveexec_b32 s8, s4
	s_cbranch_execz .LBB101_258
; %bb.255:
	v_add_nc_u32_e32 v83, -6, v0
	s_movk_i32 s47, 0x2c0
	s_mov_b32 s4, 0
	s_mov_b32 s48, s40
	.p2align	6
.LBB101_256:                            ; =>This Inner Loop Header: Depth=1
	v_mov_b32_e32 v86, s48
	v_add_nc_u32_e32 v83, -1, v83
	s_add_i32 s48, s48, 16
	s_clause 0x3
	buffer_load_dword v84, v86, s[0:3], 0 offen offset:8
	buffer_load_dword v85, v86, s[0:3], 0 offen offset:12
	buffer_load_dword v92, v86, s[0:3], 0 offen
	buffer_load_dword v93, v86, s[0:3], 0 offen offset:4
	v_mov_b32_e32 v86, s47
	v_cmp_eq_u32_e32 vcc_lo, 0, v83
	s_add_i32 s47, s47, 16
	ds_read_b128 v[88:91], v86
	s_or_b32 s4, vcc_lo, s4
	s_waitcnt vmcnt(2) lgkmcnt(0)
	v_mul_f64 v[94:95], v[90:91], v[84:85]
	v_mul_f64 v[84:85], v[88:89], v[84:85]
	s_waitcnt vmcnt(0)
	v_fma_f64 v[88:89], v[88:89], v[92:93], -v[94:95]
	v_fma_f64 v[84:85], v[90:91], v[92:93], v[84:85]
	v_add_f64 v[1:2], v[1:2], v[88:89]
	v_add_f64 v[3:4], v[3:4], v[84:85]
	s_andn2_b32 exec_lo, exec_lo, s4
	s_cbranch_execnz .LBB101_256
; %bb.257:
	s_or_b32 exec_lo, exec_lo, s4
.LBB101_258:
	s_or_b32 exec_lo, exec_lo, s8
	v_mov_b32_e32 v83, 0
	ds_read_b128 v[83:86], v83 offset:80
	s_waitcnt lgkmcnt(0)
	v_mul_f64 v[88:89], v[3:4], v[85:86]
	v_mul_f64 v[85:86], v[1:2], v[85:86]
	v_fma_f64 v[1:2], v[1:2], v[83:84], -v[88:89]
	v_fma_f64 v[3:4], v[3:4], v[83:84], v[85:86]
	buffer_store_dword v2, off, s[0:3], 0 offset:84
	buffer_store_dword v1, off, s[0:3], 0 offset:80
	buffer_store_dword v4, off, s[0:3], 0 offset:92
	buffer_store_dword v3, off, s[0:3], 0 offset:88
.LBB101_259:
	s_or_b32 exec_lo, exec_lo, s6
	v_mov_b32_e32 v4, s42
	v_cmp_lt_u32_e64 s4, 4, v0
	s_clause 0x3
	buffer_load_dword v1, v4, s[0:3], 0 offen
	buffer_load_dword v2, v4, s[0:3], 0 offen offset:4
	buffer_load_dword v3, v4, s[0:3], 0 offen offset:8
	;; [unrolled: 1-line block ×3, first 2 shown]
	s_waitcnt vmcnt(0)
	ds_write_b128 v82, v[1:4]
	s_waitcnt lgkmcnt(0)
	s_waitcnt_vscnt null, 0x0
	s_barrier
	buffer_gl0_inv
	s_and_saveexec_b32 s6, s4
	s_cbranch_execz .LBB101_267
; %bb.260:
	ds_read_b128 v[1:4], v82
	s_andn2_b32 vcc_lo, exec_lo, s46
	s_cbranch_vccnz .LBB101_262
; %bb.261:
	s_clause 0x3
	buffer_load_dword v83, v81, s[0:3], 0 offen offset:8
	buffer_load_dword v84, v81, s[0:3], 0 offen offset:12
	buffer_load_dword v85, v81, s[0:3], 0 offen
	buffer_load_dword v86, v81, s[0:3], 0 offen offset:4
	s_waitcnt vmcnt(2) lgkmcnt(0)
	v_mul_f64 v[88:89], v[3:4], v[83:84]
	v_mul_f64 v[83:84], v[1:2], v[83:84]
	s_waitcnt vmcnt(0)
	v_fma_f64 v[1:2], v[1:2], v[85:86], -v[88:89]
	v_fma_f64 v[3:4], v[3:4], v[85:86], v[83:84]
.LBB101_262:
	s_and_saveexec_b32 s8, s5
	s_cbranch_execz .LBB101_266
; %bb.263:
	v_add_nc_u32_e32 v83, -5, v0
	s_movk_i32 s47, 0x2b0
	s_mov_b32 s5, 0
	s_mov_b32 s48, s41
	.p2align	6
.LBB101_264:                            ; =>This Inner Loop Header: Depth=1
	v_mov_b32_e32 v86, s48
	v_add_nc_u32_e32 v83, -1, v83
	s_add_i32 s48, s48, 16
	s_clause 0x3
	buffer_load_dword v84, v86, s[0:3], 0 offen offset:8
	buffer_load_dword v85, v86, s[0:3], 0 offen offset:12
	buffer_load_dword v92, v86, s[0:3], 0 offen
	buffer_load_dword v93, v86, s[0:3], 0 offen offset:4
	v_mov_b32_e32 v86, s47
	v_cmp_eq_u32_e32 vcc_lo, 0, v83
	s_add_i32 s47, s47, 16
	ds_read_b128 v[88:91], v86
	s_or_b32 s5, vcc_lo, s5
	s_waitcnt vmcnt(2) lgkmcnt(0)
	v_mul_f64 v[94:95], v[90:91], v[84:85]
	v_mul_f64 v[84:85], v[88:89], v[84:85]
	s_waitcnt vmcnt(0)
	v_fma_f64 v[88:89], v[88:89], v[92:93], -v[94:95]
	v_fma_f64 v[84:85], v[90:91], v[92:93], v[84:85]
	v_add_f64 v[1:2], v[1:2], v[88:89]
	v_add_f64 v[3:4], v[3:4], v[84:85]
	s_andn2_b32 exec_lo, exec_lo, s5
	s_cbranch_execnz .LBB101_264
; %bb.265:
	s_or_b32 exec_lo, exec_lo, s5
.LBB101_266:
	s_or_b32 exec_lo, exec_lo, s8
	v_mov_b32_e32 v83, 0
	ds_read_b128 v[83:86], v83 offset:64
	s_waitcnt lgkmcnt(0)
	v_mul_f64 v[88:89], v[3:4], v[85:86]
	v_mul_f64 v[85:86], v[1:2], v[85:86]
	v_fma_f64 v[1:2], v[1:2], v[83:84], -v[88:89]
	v_fma_f64 v[3:4], v[3:4], v[83:84], v[85:86]
	buffer_store_dword v2, off, s[0:3], 0 offset:68
	buffer_store_dword v1, off, s[0:3], 0 offset:64
	;; [unrolled: 1-line block ×4, first 2 shown]
.LBB101_267:
	s_or_b32 exec_lo, exec_lo, s6
	v_mov_b32_e32 v4, s43
	v_cmp_lt_u32_e64 s5, 3, v0
	s_clause 0x3
	buffer_load_dword v1, v4, s[0:3], 0 offen
	buffer_load_dword v2, v4, s[0:3], 0 offen offset:4
	buffer_load_dword v3, v4, s[0:3], 0 offen offset:8
	;; [unrolled: 1-line block ×3, first 2 shown]
	s_waitcnt vmcnt(0)
	ds_write_b128 v82, v[1:4]
	s_waitcnt lgkmcnt(0)
	s_waitcnt_vscnt null, 0x0
	s_barrier
	buffer_gl0_inv
	s_and_saveexec_b32 s6, s5
	s_cbranch_execz .LBB101_275
; %bb.268:
	ds_read_b128 v[1:4], v82
	s_andn2_b32 vcc_lo, exec_lo, s46
	s_cbranch_vccnz .LBB101_270
; %bb.269:
	s_clause 0x3
	buffer_load_dword v83, v81, s[0:3], 0 offen offset:8
	buffer_load_dword v84, v81, s[0:3], 0 offen offset:12
	buffer_load_dword v85, v81, s[0:3], 0 offen
	buffer_load_dword v86, v81, s[0:3], 0 offen offset:4
	s_waitcnt vmcnt(2) lgkmcnt(0)
	v_mul_f64 v[88:89], v[3:4], v[83:84]
	v_mul_f64 v[83:84], v[1:2], v[83:84]
	s_waitcnt vmcnt(0)
	v_fma_f64 v[1:2], v[1:2], v[85:86], -v[88:89]
	v_fma_f64 v[3:4], v[3:4], v[85:86], v[83:84]
.LBB101_270:
	s_and_saveexec_b32 s8, s4
	s_cbranch_execz .LBB101_274
; %bb.271:
	v_add_nc_u32_e32 v83, -4, v0
	s_movk_i32 s47, 0x2a0
	s_mov_b32 s4, 0
	s_mov_b32 s48, s42
	.p2align	6
.LBB101_272:                            ; =>This Inner Loop Header: Depth=1
	v_mov_b32_e32 v86, s48
	v_add_nc_u32_e32 v83, -1, v83
	s_add_i32 s48, s48, 16
	s_clause 0x3
	buffer_load_dword v84, v86, s[0:3], 0 offen offset:8
	buffer_load_dword v85, v86, s[0:3], 0 offen offset:12
	buffer_load_dword v92, v86, s[0:3], 0 offen
	buffer_load_dword v93, v86, s[0:3], 0 offen offset:4
	v_mov_b32_e32 v86, s47
	v_cmp_eq_u32_e32 vcc_lo, 0, v83
	s_add_i32 s47, s47, 16
	ds_read_b128 v[88:91], v86
	s_or_b32 s4, vcc_lo, s4
	s_waitcnt vmcnt(2) lgkmcnt(0)
	v_mul_f64 v[94:95], v[90:91], v[84:85]
	v_mul_f64 v[84:85], v[88:89], v[84:85]
	s_waitcnt vmcnt(0)
	v_fma_f64 v[88:89], v[88:89], v[92:93], -v[94:95]
	v_fma_f64 v[84:85], v[90:91], v[92:93], v[84:85]
	v_add_f64 v[1:2], v[1:2], v[88:89]
	v_add_f64 v[3:4], v[3:4], v[84:85]
	s_andn2_b32 exec_lo, exec_lo, s4
	s_cbranch_execnz .LBB101_272
; %bb.273:
	s_or_b32 exec_lo, exec_lo, s4
.LBB101_274:
	s_or_b32 exec_lo, exec_lo, s8
	v_mov_b32_e32 v83, 0
	ds_read_b128 v[83:86], v83 offset:48
	s_waitcnt lgkmcnt(0)
	v_mul_f64 v[88:89], v[3:4], v[85:86]
	v_mul_f64 v[85:86], v[1:2], v[85:86]
	v_fma_f64 v[1:2], v[1:2], v[83:84], -v[88:89]
	v_fma_f64 v[3:4], v[3:4], v[83:84], v[85:86]
	buffer_store_dword v2, off, s[0:3], 0 offset:52
	buffer_store_dword v1, off, s[0:3], 0 offset:48
	buffer_store_dword v4, off, s[0:3], 0 offset:60
	buffer_store_dword v3, off, s[0:3], 0 offset:56
.LBB101_275:
	s_or_b32 exec_lo, exec_lo, s6
	v_mov_b32_e32 v4, s44
	v_cmp_lt_u32_e64 s6, 2, v0
	s_clause 0x3
	buffer_load_dword v1, v4, s[0:3], 0 offen
	buffer_load_dword v2, v4, s[0:3], 0 offen offset:4
	buffer_load_dword v3, v4, s[0:3], 0 offen offset:8
	;; [unrolled: 1-line block ×3, first 2 shown]
	s_waitcnt vmcnt(0)
	ds_write_b128 v82, v[1:4]
	s_waitcnt lgkmcnt(0)
	s_waitcnt_vscnt null, 0x0
	s_barrier
	buffer_gl0_inv
	s_and_saveexec_b32 s4, s6
	s_cbranch_execz .LBB101_283
; %bb.276:
	ds_read_b128 v[1:4], v82
	s_andn2_b32 vcc_lo, exec_lo, s46
	s_cbranch_vccnz .LBB101_278
; %bb.277:
	s_clause 0x3
	buffer_load_dword v83, v81, s[0:3], 0 offen offset:8
	buffer_load_dword v84, v81, s[0:3], 0 offen offset:12
	buffer_load_dword v85, v81, s[0:3], 0 offen
	buffer_load_dword v86, v81, s[0:3], 0 offen offset:4
	s_waitcnt vmcnt(2) lgkmcnt(0)
	v_mul_f64 v[88:89], v[3:4], v[83:84]
	v_mul_f64 v[83:84], v[1:2], v[83:84]
	s_waitcnt vmcnt(0)
	v_fma_f64 v[1:2], v[1:2], v[85:86], -v[88:89]
	v_fma_f64 v[3:4], v[3:4], v[85:86], v[83:84]
.LBB101_278:
	s_and_saveexec_b32 s8, s5
	s_cbranch_execz .LBB101_282
; %bb.279:
	v_add_nc_u32_e32 v83, -3, v0
	s_movk_i32 s47, 0x290
	s_mov_b32 s5, 0
	s_mov_b32 s48, s43
	.p2align	6
.LBB101_280:                            ; =>This Inner Loop Header: Depth=1
	v_mov_b32_e32 v86, s48
	v_add_nc_u32_e32 v83, -1, v83
	s_add_i32 s48, s48, 16
	s_clause 0x3
	buffer_load_dword v84, v86, s[0:3], 0 offen offset:8
	buffer_load_dword v85, v86, s[0:3], 0 offen offset:12
	buffer_load_dword v92, v86, s[0:3], 0 offen
	buffer_load_dword v93, v86, s[0:3], 0 offen offset:4
	v_mov_b32_e32 v86, s47
	v_cmp_eq_u32_e32 vcc_lo, 0, v83
	s_add_i32 s47, s47, 16
	ds_read_b128 v[88:91], v86
	s_or_b32 s5, vcc_lo, s5
	s_waitcnt vmcnt(2) lgkmcnt(0)
	v_mul_f64 v[94:95], v[90:91], v[84:85]
	v_mul_f64 v[84:85], v[88:89], v[84:85]
	s_waitcnt vmcnt(0)
	v_fma_f64 v[88:89], v[88:89], v[92:93], -v[94:95]
	v_fma_f64 v[84:85], v[90:91], v[92:93], v[84:85]
	v_add_f64 v[1:2], v[1:2], v[88:89]
	v_add_f64 v[3:4], v[3:4], v[84:85]
	s_andn2_b32 exec_lo, exec_lo, s5
	s_cbranch_execnz .LBB101_280
; %bb.281:
	s_or_b32 exec_lo, exec_lo, s5
.LBB101_282:
	s_or_b32 exec_lo, exec_lo, s8
	v_mov_b32_e32 v83, 0
	ds_read_b128 v[83:86], v83 offset:32
	s_waitcnt lgkmcnt(0)
	v_mul_f64 v[88:89], v[3:4], v[85:86]
	v_mul_f64 v[85:86], v[1:2], v[85:86]
	v_fma_f64 v[1:2], v[1:2], v[83:84], -v[88:89]
	v_fma_f64 v[3:4], v[3:4], v[83:84], v[85:86]
	buffer_store_dword v2, off, s[0:3], 0 offset:36
	buffer_store_dword v1, off, s[0:3], 0 offset:32
	;; [unrolled: 1-line block ×4, first 2 shown]
.LBB101_283:
	s_or_b32 exec_lo, exec_lo, s4
	v_mov_b32_e32 v4, s45
	v_cmp_lt_u32_e64 s4, 1, v0
	s_clause 0x3
	buffer_load_dword v1, v4, s[0:3], 0 offen
	buffer_load_dword v2, v4, s[0:3], 0 offen offset:4
	buffer_load_dword v3, v4, s[0:3], 0 offen offset:8
	;; [unrolled: 1-line block ×3, first 2 shown]
	s_waitcnt vmcnt(0)
	ds_write_b128 v82, v[1:4]
	s_waitcnt lgkmcnt(0)
	s_waitcnt_vscnt null, 0x0
	s_barrier
	buffer_gl0_inv
	s_and_saveexec_b32 s5, s4
	s_cbranch_execz .LBB101_291
; %bb.284:
	ds_read_b128 v[1:4], v82
	s_andn2_b32 vcc_lo, exec_lo, s46
	s_cbranch_vccnz .LBB101_286
; %bb.285:
	s_clause 0x3
	buffer_load_dword v83, v81, s[0:3], 0 offen offset:8
	buffer_load_dword v84, v81, s[0:3], 0 offen offset:12
	buffer_load_dword v85, v81, s[0:3], 0 offen
	buffer_load_dword v86, v81, s[0:3], 0 offen offset:4
	s_waitcnt vmcnt(2) lgkmcnt(0)
	v_mul_f64 v[88:89], v[3:4], v[83:84]
	v_mul_f64 v[83:84], v[1:2], v[83:84]
	s_waitcnt vmcnt(0)
	v_fma_f64 v[1:2], v[1:2], v[85:86], -v[88:89]
	v_fma_f64 v[3:4], v[3:4], v[85:86], v[83:84]
.LBB101_286:
	s_and_saveexec_b32 s8, s6
	s_cbranch_execz .LBB101_290
; %bb.287:
	v_add_nc_u32_e32 v83, -2, v0
	s_movk_i32 s47, 0x280
	s_mov_b32 s6, 0
	s_mov_b32 s48, s44
	.p2align	6
.LBB101_288:                            ; =>This Inner Loop Header: Depth=1
	v_mov_b32_e32 v86, s48
	v_add_nc_u32_e32 v83, -1, v83
	s_add_i32 s48, s48, 16
	s_clause 0x3
	buffer_load_dword v84, v86, s[0:3], 0 offen offset:8
	buffer_load_dword v85, v86, s[0:3], 0 offen offset:12
	buffer_load_dword v92, v86, s[0:3], 0 offen
	buffer_load_dword v93, v86, s[0:3], 0 offen offset:4
	v_mov_b32_e32 v86, s47
	v_cmp_eq_u32_e32 vcc_lo, 0, v83
	s_add_i32 s47, s47, 16
	ds_read_b128 v[88:91], v86
	s_or_b32 s6, vcc_lo, s6
	s_waitcnt vmcnt(2) lgkmcnt(0)
	v_mul_f64 v[94:95], v[90:91], v[84:85]
	v_mul_f64 v[84:85], v[88:89], v[84:85]
	s_waitcnt vmcnt(0)
	v_fma_f64 v[88:89], v[88:89], v[92:93], -v[94:95]
	v_fma_f64 v[84:85], v[90:91], v[92:93], v[84:85]
	v_add_f64 v[1:2], v[1:2], v[88:89]
	v_add_f64 v[3:4], v[3:4], v[84:85]
	s_andn2_b32 exec_lo, exec_lo, s6
	s_cbranch_execnz .LBB101_288
; %bb.289:
	s_or_b32 exec_lo, exec_lo, s6
.LBB101_290:
	s_or_b32 exec_lo, exec_lo, s8
	v_mov_b32_e32 v83, 0
	ds_read_b128 v[83:86], v83 offset:16
	s_waitcnt lgkmcnt(0)
	v_mul_f64 v[88:89], v[3:4], v[85:86]
	v_mul_f64 v[85:86], v[1:2], v[85:86]
	v_fma_f64 v[1:2], v[1:2], v[83:84], -v[88:89]
	v_fma_f64 v[3:4], v[3:4], v[83:84], v[85:86]
	buffer_store_dword v2, off, s[0:3], 0 offset:20
	buffer_store_dword v1, off, s[0:3], 0 offset:16
	;; [unrolled: 1-line block ×4, first 2 shown]
.LBB101_291:
	s_or_b32 exec_lo, exec_lo, s5
	s_clause 0x3
	buffer_load_dword v1, off, s[0:3], 0
	buffer_load_dword v2, off, s[0:3], 0 offset:4
	buffer_load_dword v3, off, s[0:3], 0 offset:8
	;; [unrolled: 1-line block ×3, first 2 shown]
	s_mov_b32 s6, 0
	s_mov_b32 s5, 0
	s_mov_b32 s8, exec_lo
                                        ; implicit-def: $sgpr47
	s_waitcnt vmcnt(0)
	ds_write_b128 v82, v[1:4]
	s_waitcnt lgkmcnt(0)
	s_waitcnt_vscnt null, 0x0
	s_barrier
	buffer_gl0_inv
                                        ; implicit-def: $vgpr1_vgpr2
	v_cmpx_ne_u32_e32 0, v0
	s_cbranch_execz .LBB101_299
; %bb.292:
	ds_read_b128 v[1:4], v82
	s_andn2_b32 vcc_lo, exec_lo, s46
	s_cbranch_vccnz .LBB101_294
; %bb.293:
	s_clause 0x3
	buffer_load_dword v83, v81, s[0:3], 0 offen offset:8
	buffer_load_dword v84, v81, s[0:3], 0 offen offset:12
	buffer_load_dword v85, v81, s[0:3], 0 offen
	buffer_load_dword v86, v81, s[0:3], 0 offen offset:4
	s_waitcnt vmcnt(2) lgkmcnt(0)
	v_mul_f64 v[88:89], v[3:4], v[83:84]
	v_mul_f64 v[83:84], v[1:2], v[83:84]
	s_waitcnt vmcnt(0)
	v_fma_f64 v[1:2], v[1:2], v[85:86], -v[88:89]
	v_fma_f64 v[3:4], v[3:4], v[85:86], v[83:84]
.LBB101_294:
	s_and_saveexec_b32 s5, s4
	s_cbranch_execz .LBB101_298
; %bb.295:
	v_add_nc_u32_e32 v83, -1, v0
	s_movk_i32 s47, 0x270
	s_mov_b32 s4, 0
	s_mov_b32 s48, s45
	.p2align	6
.LBB101_296:                            ; =>This Inner Loop Header: Depth=1
	v_mov_b32_e32 v86, s48
	v_add_nc_u32_e32 v83, -1, v83
	s_add_i32 s48, s48, 16
	s_clause 0x3
	buffer_load_dword v84, v86, s[0:3], 0 offen offset:8
	buffer_load_dword v85, v86, s[0:3], 0 offen offset:12
	buffer_load_dword v92, v86, s[0:3], 0 offen
	buffer_load_dword v93, v86, s[0:3], 0 offen offset:4
	v_mov_b32_e32 v86, s47
	v_cmp_eq_u32_e32 vcc_lo, 0, v83
	s_add_i32 s47, s47, 16
	ds_read_b128 v[88:91], v86
	s_or_b32 s4, vcc_lo, s4
	s_waitcnt vmcnt(2) lgkmcnt(0)
	v_mul_f64 v[94:95], v[90:91], v[84:85]
	v_mul_f64 v[84:85], v[88:89], v[84:85]
	s_waitcnt vmcnt(0)
	v_fma_f64 v[88:89], v[88:89], v[92:93], -v[94:95]
	v_fma_f64 v[84:85], v[90:91], v[92:93], v[84:85]
	v_add_f64 v[1:2], v[1:2], v[88:89]
	v_add_f64 v[3:4], v[3:4], v[84:85]
	s_andn2_b32 exec_lo, exec_lo, s4
	s_cbranch_execnz .LBB101_296
; %bb.297:
	s_or_b32 exec_lo, exec_lo, s4
.LBB101_298:
	s_or_b32 exec_lo, exec_lo, s5
	v_mov_b32_e32 v83, 0
	s_mov_b32 s5, exec_lo
	s_or_b32 s47, 0, 8
	ds_read_b128 v[83:86], v83
	s_waitcnt lgkmcnt(0)
	v_mul_f64 v[88:89], v[3:4], v[85:86]
	v_mul_f64 v[85:86], v[1:2], v[85:86]
	v_fma_f64 v[88:89], v[1:2], v[83:84], -v[88:89]
	v_fma_f64 v[1:2], v[3:4], v[83:84], v[85:86]
	buffer_store_dword v89, off, s[0:3], 0 offset:4
	buffer_store_dword v88, off, s[0:3], 0
.LBB101_299:
	s_or_b32 exec_lo, exec_lo, s8
	s_and_b32 vcc_lo, exec_lo, s6
	s_cbranch_vccnz .LBB101_301
	s_branch .LBB101_592
.LBB101_300:
	s_mov_b32 s5, 0
                                        ; implicit-def: $vgpr1_vgpr2
                                        ; implicit-def: $sgpr47
	s_cbranch_execz .LBB101_592
.LBB101_301:
	v_mov_b32_e32 v4, s45
	v_cmp_eq_u32_e64 s4, 0, v0
	v_cndmask_b32_e64 v83, 0, 1, s46
	s_clause 0x3
	buffer_load_dword v1, v4, s[0:3], 0 offen
	buffer_load_dword v2, v4, s[0:3], 0 offen offset:4
	buffer_load_dword v3, v4, s[0:3], 0 offen offset:8
	;; [unrolled: 1-line block ×3, first 2 shown]
	s_waitcnt vmcnt(0)
	ds_write_b128 v82, v[1:4]
	s_waitcnt lgkmcnt(0)
	s_waitcnt_vscnt null, 0x0
	s_barrier
	buffer_gl0_inv
	s_and_saveexec_b32 s6, s4
	s_cbranch_execz .LBB101_305
; %bb.302:
	ds_read_b128 v[1:4], v82
	s_andn2_b32 vcc_lo, exec_lo, s46
	s_cbranch_vccnz .LBB101_304
; %bb.303:
	s_clause 0x3
	buffer_load_dword v84, v81, s[0:3], 0 offen offset:8
	buffer_load_dword v85, v81, s[0:3], 0 offen offset:12
	buffer_load_dword v88, v81, s[0:3], 0 offen
	buffer_load_dword v89, v81, s[0:3], 0 offen offset:4
	s_waitcnt vmcnt(2) lgkmcnt(0)
	v_mul_f64 v[90:91], v[3:4], v[84:85]
	v_mul_f64 v[84:85], v[1:2], v[84:85]
	s_waitcnt vmcnt(0)
	v_fma_f64 v[1:2], v[1:2], v[88:89], -v[90:91]
	v_fma_f64 v[3:4], v[3:4], v[88:89], v[84:85]
.LBB101_304:
	v_mov_b32_e32 v84, 0
	ds_read_b128 v[88:91], v84 offset:16
	s_waitcnt lgkmcnt(0)
	v_mul_f64 v[84:85], v[3:4], v[90:91]
	v_mul_f64 v[90:91], v[1:2], v[90:91]
	v_fma_f64 v[1:2], v[1:2], v[88:89], -v[84:85]
	v_fma_f64 v[3:4], v[3:4], v[88:89], v[90:91]
	buffer_store_dword v2, off, s[0:3], 0 offset:20
	buffer_store_dword v1, off, s[0:3], 0 offset:16
	;; [unrolled: 1-line block ×4, first 2 shown]
.LBB101_305:
	s_or_b32 exec_lo, exec_lo, s6
	v_mov_b32_e32 v4, s44
	s_mov_b32 s6, exec_lo
	s_clause 0x3
	buffer_load_dword v1, v4, s[0:3], 0 offen
	buffer_load_dword v2, v4, s[0:3], 0 offen offset:4
	buffer_load_dword v3, v4, s[0:3], 0 offen offset:8
	;; [unrolled: 1-line block ×3, first 2 shown]
	s_waitcnt vmcnt(0)
	ds_write_b128 v82, v[1:4]
	s_waitcnt lgkmcnt(0)
	s_waitcnt_vscnt null, 0x0
	s_barrier
	buffer_gl0_inv
	v_cmpx_gt_u32_e32 2, v0
	s_cbranch_execz .LBB101_311
; %bb.306:
	ds_read_b128 v[1:4], v82
	v_cmp_ne_u32_e32 vcc_lo, 1, v83
	s_cbranch_vccnz .LBB101_308
; %bb.307:
	s_clause 0x3
	buffer_load_dword v84, v81, s[0:3], 0 offen offset:8
	buffer_load_dword v85, v81, s[0:3], 0 offen offset:12
	buffer_load_dword v88, v81, s[0:3], 0 offen
	buffer_load_dword v89, v81, s[0:3], 0 offen offset:4
	s_waitcnt vmcnt(2) lgkmcnt(0)
	v_mul_f64 v[90:91], v[3:4], v[84:85]
	v_mul_f64 v[84:85], v[1:2], v[84:85]
	s_waitcnt vmcnt(0)
	v_fma_f64 v[1:2], v[1:2], v[88:89], -v[90:91]
	v_fma_f64 v[3:4], v[3:4], v[88:89], v[84:85]
.LBB101_308:
	s_and_saveexec_b32 s8, s4
	s_cbranch_execz .LBB101_310
; %bb.309:
	s_clause 0x3
	buffer_load_dword v84, off, s[0:3], 0 offset:24
	buffer_load_dword v85, off, s[0:3], 0 offset:28
	;; [unrolled: 1-line block ×4, first 2 shown]
	v_mov_b32_e32 v86, 0
	ds_read_b128 v[88:91], v86 offset:624
	s_waitcnt vmcnt(2) lgkmcnt(0)
	v_mul_f64 v[94:95], v[90:91], v[84:85]
	v_mul_f64 v[84:85], v[88:89], v[84:85]
	s_waitcnt vmcnt(0)
	v_fma_f64 v[88:89], v[88:89], v[92:93], -v[94:95]
	v_fma_f64 v[84:85], v[90:91], v[92:93], v[84:85]
	v_add_f64 v[1:2], v[1:2], v[88:89]
	v_add_f64 v[3:4], v[3:4], v[84:85]
.LBB101_310:
	s_or_b32 exec_lo, exec_lo, s8
	v_mov_b32_e32 v84, 0
	ds_read_b128 v[88:91], v84 offset:32
	s_waitcnt lgkmcnt(0)
	v_mul_f64 v[84:85], v[3:4], v[90:91]
	v_mul_f64 v[90:91], v[1:2], v[90:91]
	v_fma_f64 v[1:2], v[1:2], v[88:89], -v[84:85]
	v_fma_f64 v[3:4], v[3:4], v[88:89], v[90:91]
	buffer_store_dword v2, off, s[0:3], 0 offset:36
	buffer_store_dword v1, off, s[0:3], 0 offset:32
	;; [unrolled: 1-line block ×4, first 2 shown]
.LBB101_311:
	s_or_b32 exec_lo, exec_lo, s6
	v_mov_b32_e32 v4, s43
	s_mov_b32 s6, exec_lo
	s_clause 0x3
	buffer_load_dword v1, v4, s[0:3], 0 offen
	buffer_load_dword v2, v4, s[0:3], 0 offen offset:4
	buffer_load_dword v3, v4, s[0:3], 0 offen offset:8
	buffer_load_dword v4, v4, s[0:3], 0 offen offset:12
	s_waitcnt vmcnt(0)
	ds_write_b128 v82, v[1:4]
	s_waitcnt lgkmcnt(0)
	s_waitcnt_vscnt null, 0x0
	s_barrier
	buffer_gl0_inv
	v_cmpx_gt_u32_e32 3, v0
	s_cbranch_execz .LBB101_319
; %bb.312:
	ds_read_b128 v[1:4], v82
	v_cmp_ne_u32_e32 vcc_lo, 1, v83
	s_cbranch_vccnz .LBB101_314
; %bb.313:
	s_clause 0x3
	buffer_load_dword v84, v81, s[0:3], 0 offen offset:8
	buffer_load_dword v85, v81, s[0:3], 0 offen offset:12
	buffer_load_dword v88, v81, s[0:3], 0 offen
	buffer_load_dword v89, v81, s[0:3], 0 offen offset:4
	s_waitcnt vmcnt(2) lgkmcnt(0)
	v_mul_f64 v[90:91], v[3:4], v[84:85]
	v_mul_f64 v[84:85], v[1:2], v[84:85]
	s_waitcnt vmcnt(0)
	v_fma_f64 v[1:2], v[1:2], v[88:89], -v[90:91]
	v_fma_f64 v[3:4], v[3:4], v[88:89], v[84:85]
.LBB101_314:
	s_mov_b32 s8, exec_lo
	v_cmpx_ne_u32_e32 2, v0
	s_cbranch_execz .LBB101_318
; %bb.315:
	s_clause 0x3
	buffer_load_dword v84, v81, s[0:3], 0 offen offset:24
	buffer_load_dword v85, v81, s[0:3], 0 offen offset:28
	;; [unrolled: 1-line block ×4, first 2 shown]
	ds_read_b128 v[88:91], v82 offset:16
	s_waitcnt vmcnt(2) lgkmcnt(0)
	v_mul_f64 v[94:95], v[90:91], v[84:85]
	v_mul_f64 v[84:85], v[88:89], v[84:85]
	s_waitcnt vmcnt(0)
	v_fma_f64 v[88:89], v[88:89], v[92:93], -v[94:95]
	v_fma_f64 v[84:85], v[90:91], v[92:93], v[84:85]
	v_add_f64 v[1:2], v[1:2], v[88:89]
	v_add_f64 v[3:4], v[3:4], v[84:85]
	s_and_saveexec_b32 s46, s4
	s_cbranch_execz .LBB101_317
; %bb.316:
	s_clause 0x3
	buffer_load_dword v84, off, s[0:3], 0 offset:40
	buffer_load_dword v85, off, s[0:3], 0 offset:44
	;; [unrolled: 1-line block ×4, first 2 shown]
	v_mov_b32_e32 v86, 0
	ds_read_b128 v[88:91], v86 offset:640
	s_waitcnt vmcnt(2) lgkmcnt(0)
	v_mul_f64 v[94:95], v[88:89], v[84:85]
	v_mul_f64 v[84:85], v[90:91], v[84:85]
	s_waitcnt vmcnt(0)
	v_fma_f64 v[90:91], v[90:91], v[92:93], v[94:95]
	v_fma_f64 v[84:85], v[88:89], v[92:93], -v[84:85]
	v_add_f64 v[3:4], v[3:4], v[90:91]
	v_add_f64 v[1:2], v[1:2], v[84:85]
.LBB101_317:
	s_or_b32 exec_lo, exec_lo, s46
.LBB101_318:
	s_or_b32 exec_lo, exec_lo, s8
	v_mov_b32_e32 v84, 0
	ds_read_b128 v[88:91], v84 offset:48
	s_waitcnt lgkmcnt(0)
	v_mul_f64 v[84:85], v[3:4], v[90:91]
	v_mul_f64 v[90:91], v[1:2], v[90:91]
	v_fma_f64 v[1:2], v[1:2], v[88:89], -v[84:85]
	v_fma_f64 v[3:4], v[3:4], v[88:89], v[90:91]
	buffer_store_dword v2, off, s[0:3], 0 offset:52
	buffer_store_dword v1, off, s[0:3], 0 offset:48
	;; [unrolled: 1-line block ×4, first 2 shown]
.LBB101_319:
	s_or_b32 exec_lo, exec_lo, s6
	v_mov_b32_e32 v4, s42
	s_mov_b32 s4, exec_lo
	s_clause 0x3
	buffer_load_dword v1, v4, s[0:3], 0 offen
	buffer_load_dword v2, v4, s[0:3], 0 offen offset:4
	buffer_load_dword v3, v4, s[0:3], 0 offen offset:8
	;; [unrolled: 1-line block ×3, first 2 shown]
	s_waitcnt vmcnt(0)
	ds_write_b128 v82, v[1:4]
	s_waitcnt lgkmcnt(0)
	s_waitcnt_vscnt null, 0x0
	s_barrier
	buffer_gl0_inv
	v_cmpx_gt_u32_e32 4, v0
	s_cbranch_execz .LBB101_327
; %bb.320:
	ds_read_b128 v[1:4], v82
	v_cmp_ne_u32_e32 vcc_lo, 1, v83
	s_cbranch_vccnz .LBB101_322
; %bb.321:
	s_clause 0x3
	buffer_load_dword v84, v81, s[0:3], 0 offen offset:8
	buffer_load_dword v85, v81, s[0:3], 0 offen offset:12
	buffer_load_dword v88, v81, s[0:3], 0 offen
	buffer_load_dword v89, v81, s[0:3], 0 offen offset:4
	s_waitcnt vmcnt(2) lgkmcnt(0)
	v_mul_f64 v[90:91], v[3:4], v[84:85]
	v_mul_f64 v[84:85], v[1:2], v[84:85]
	s_waitcnt vmcnt(0)
	v_fma_f64 v[1:2], v[1:2], v[88:89], -v[90:91]
	v_fma_f64 v[3:4], v[3:4], v[88:89], v[84:85]
.LBB101_322:
	s_mov_b32 s6, exec_lo
	v_cmpx_ne_u32_e32 3, v0
	s_cbranch_execz .LBB101_326
; %bb.323:
	v_add_nc_u32_e32 v84, 0x270, v87
	v_add3_u32 v85, 0, v87, 16
	v_mov_b32_e32 v86, v0
	s_mov_b32 s8, 0
	.p2align	6
.LBB101_324:                            ; =>This Inner Loop Header: Depth=1
	s_clause 0x3
	buffer_load_dword v92, v85, s[0:3], 0 offen offset:8
	buffer_load_dword v93, v85, s[0:3], 0 offen offset:12
	buffer_load_dword v94, v85, s[0:3], 0 offen
	buffer_load_dword v95, v85, s[0:3], 0 offen offset:4
	ds_read_b128 v[88:91], v84
	v_add_nc_u32_e32 v86, 1, v86
	v_add_nc_u32_e32 v84, 16, v84
	;; [unrolled: 1-line block ×3, first 2 shown]
	v_cmp_lt_u32_e32 vcc_lo, 2, v86
	s_or_b32 s8, vcc_lo, s8
	s_waitcnt vmcnt(2) lgkmcnt(0)
	v_mul_f64 v[96:97], v[90:91], v[92:93]
	v_mul_f64 v[92:93], v[88:89], v[92:93]
	s_waitcnt vmcnt(0)
	v_fma_f64 v[88:89], v[88:89], v[94:95], -v[96:97]
	v_fma_f64 v[90:91], v[90:91], v[94:95], v[92:93]
	v_add_f64 v[1:2], v[1:2], v[88:89]
	v_add_f64 v[3:4], v[3:4], v[90:91]
	s_andn2_b32 exec_lo, exec_lo, s8
	s_cbranch_execnz .LBB101_324
; %bb.325:
	s_or_b32 exec_lo, exec_lo, s8
.LBB101_326:
	s_or_b32 exec_lo, exec_lo, s6
	v_mov_b32_e32 v84, 0
	ds_read_b128 v[88:91], v84 offset:64
	s_waitcnt lgkmcnt(0)
	v_mul_f64 v[84:85], v[3:4], v[90:91]
	v_mul_f64 v[90:91], v[1:2], v[90:91]
	v_fma_f64 v[1:2], v[1:2], v[88:89], -v[84:85]
	v_fma_f64 v[3:4], v[3:4], v[88:89], v[90:91]
	buffer_store_dword v2, off, s[0:3], 0 offset:68
	buffer_store_dword v1, off, s[0:3], 0 offset:64
	;; [unrolled: 1-line block ×4, first 2 shown]
.LBB101_327:
	s_or_b32 exec_lo, exec_lo, s4
	v_mov_b32_e32 v4, s41
	s_mov_b32 s4, exec_lo
	s_clause 0x3
	buffer_load_dword v1, v4, s[0:3], 0 offen
	buffer_load_dword v2, v4, s[0:3], 0 offen offset:4
	buffer_load_dword v3, v4, s[0:3], 0 offen offset:8
	;; [unrolled: 1-line block ×3, first 2 shown]
	s_waitcnt vmcnt(0)
	ds_write_b128 v82, v[1:4]
	s_waitcnt lgkmcnt(0)
	s_waitcnt_vscnt null, 0x0
	s_barrier
	buffer_gl0_inv
	v_cmpx_gt_u32_e32 5, v0
	s_cbranch_execz .LBB101_335
; %bb.328:
	ds_read_b128 v[1:4], v82
	v_cmp_ne_u32_e32 vcc_lo, 1, v83
	s_cbranch_vccnz .LBB101_330
; %bb.329:
	s_clause 0x3
	buffer_load_dword v84, v81, s[0:3], 0 offen offset:8
	buffer_load_dword v85, v81, s[0:3], 0 offen offset:12
	buffer_load_dword v88, v81, s[0:3], 0 offen
	buffer_load_dword v89, v81, s[0:3], 0 offen offset:4
	s_waitcnt vmcnt(2) lgkmcnt(0)
	v_mul_f64 v[90:91], v[3:4], v[84:85]
	v_mul_f64 v[84:85], v[1:2], v[84:85]
	s_waitcnt vmcnt(0)
	v_fma_f64 v[1:2], v[1:2], v[88:89], -v[90:91]
	v_fma_f64 v[3:4], v[3:4], v[88:89], v[84:85]
.LBB101_330:
	s_mov_b32 s6, exec_lo
	v_cmpx_ne_u32_e32 4, v0
	s_cbranch_execz .LBB101_334
; %bb.331:
	v_add_nc_u32_e32 v84, 0x270, v87
	v_add3_u32 v85, 0, v87, 16
	v_mov_b32_e32 v86, v0
	s_mov_b32 s8, 0
	.p2align	6
.LBB101_332:                            ; =>This Inner Loop Header: Depth=1
	s_clause 0x3
	buffer_load_dword v92, v85, s[0:3], 0 offen offset:8
	buffer_load_dword v93, v85, s[0:3], 0 offen offset:12
	buffer_load_dword v94, v85, s[0:3], 0 offen
	buffer_load_dword v95, v85, s[0:3], 0 offen offset:4
	ds_read_b128 v[88:91], v84
	v_add_nc_u32_e32 v86, 1, v86
	v_add_nc_u32_e32 v84, 16, v84
	;; [unrolled: 1-line block ×3, first 2 shown]
	v_cmp_lt_u32_e32 vcc_lo, 3, v86
	s_or_b32 s8, vcc_lo, s8
	s_waitcnt vmcnt(2) lgkmcnt(0)
	v_mul_f64 v[96:97], v[90:91], v[92:93]
	v_mul_f64 v[92:93], v[88:89], v[92:93]
	s_waitcnt vmcnt(0)
	v_fma_f64 v[88:89], v[88:89], v[94:95], -v[96:97]
	v_fma_f64 v[90:91], v[90:91], v[94:95], v[92:93]
	v_add_f64 v[1:2], v[1:2], v[88:89]
	v_add_f64 v[3:4], v[3:4], v[90:91]
	s_andn2_b32 exec_lo, exec_lo, s8
	s_cbranch_execnz .LBB101_332
; %bb.333:
	s_or_b32 exec_lo, exec_lo, s8
.LBB101_334:
	s_or_b32 exec_lo, exec_lo, s6
	v_mov_b32_e32 v84, 0
	ds_read_b128 v[88:91], v84 offset:80
	s_waitcnt lgkmcnt(0)
	v_mul_f64 v[84:85], v[3:4], v[90:91]
	v_mul_f64 v[90:91], v[1:2], v[90:91]
	v_fma_f64 v[1:2], v[1:2], v[88:89], -v[84:85]
	v_fma_f64 v[3:4], v[3:4], v[88:89], v[90:91]
	buffer_store_dword v2, off, s[0:3], 0 offset:84
	buffer_store_dword v1, off, s[0:3], 0 offset:80
	;; [unrolled: 1-line block ×4, first 2 shown]
.LBB101_335:
	s_or_b32 exec_lo, exec_lo, s4
	v_mov_b32_e32 v4, s40
	s_mov_b32 s4, exec_lo
	s_clause 0x3
	buffer_load_dword v1, v4, s[0:3], 0 offen
	buffer_load_dword v2, v4, s[0:3], 0 offen offset:4
	buffer_load_dword v3, v4, s[0:3], 0 offen offset:8
	;; [unrolled: 1-line block ×3, first 2 shown]
	s_waitcnt vmcnt(0)
	ds_write_b128 v82, v[1:4]
	s_waitcnt lgkmcnt(0)
	s_waitcnt_vscnt null, 0x0
	s_barrier
	buffer_gl0_inv
	v_cmpx_gt_u32_e32 6, v0
	s_cbranch_execz .LBB101_343
; %bb.336:
	ds_read_b128 v[1:4], v82
	v_cmp_ne_u32_e32 vcc_lo, 1, v83
	s_cbranch_vccnz .LBB101_338
; %bb.337:
	s_clause 0x3
	buffer_load_dword v84, v81, s[0:3], 0 offen offset:8
	buffer_load_dword v85, v81, s[0:3], 0 offen offset:12
	buffer_load_dword v88, v81, s[0:3], 0 offen
	buffer_load_dword v89, v81, s[0:3], 0 offen offset:4
	s_waitcnt vmcnt(2) lgkmcnt(0)
	v_mul_f64 v[90:91], v[3:4], v[84:85]
	v_mul_f64 v[84:85], v[1:2], v[84:85]
	s_waitcnt vmcnt(0)
	v_fma_f64 v[1:2], v[1:2], v[88:89], -v[90:91]
	v_fma_f64 v[3:4], v[3:4], v[88:89], v[84:85]
.LBB101_338:
	s_mov_b32 s6, exec_lo
	v_cmpx_ne_u32_e32 5, v0
	s_cbranch_execz .LBB101_342
; %bb.339:
	v_add_nc_u32_e32 v84, 0x270, v87
	v_add3_u32 v85, 0, v87, 16
	v_mov_b32_e32 v86, v0
	s_mov_b32 s8, 0
	.p2align	6
.LBB101_340:                            ; =>This Inner Loop Header: Depth=1
	s_clause 0x3
	buffer_load_dword v92, v85, s[0:3], 0 offen offset:8
	buffer_load_dword v93, v85, s[0:3], 0 offen offset:12
	buffer_load_dword v94, v85, s[0:3], 0 offen
	buffer_load_dword v95, v85, s[0:3], 0 offen offset:4
	ds_read_b128 v[88:91], v84
	v_add_nc_u32_e32 v86, 1, v86
	v_add_nc_u32_e32 v84, 16, v84
	v_add_nc_u32_e32 v85, 16, v85
	v_cmp_lt_u32_e32 vcc_lo, 4, v86
	s_or_b32 s8, vcc_lo, s8
	s_waitcnt vmcnt(2) lgkmcnt(0)
	v_mul_f64 v[96:97], v[90:91], v[92:93]
	v_mul_f64 v[92:93], v[88:89], v[92:93]
	s_waitcnt vmcnt(0)
	v_fma_f64 v[88:89], v[88:89], v[94:95], -v[96:97]
	v_fma_f64 v[90:91], v[90:91], v[94:95], v[92:93]
	v_add_f64 v[1:2], v[1:2], v[88:89]
	v_add_f64 v[3:4], v[3:4], v[90:91]
	s_andn2_b32 exec_lo, exec_lo, s8
	s_cbranch_execnz .LBB101_340
; %bb.341:
	s_or_b32 exec_lo, exec_lo, s8
.LBB101_342:
	s_or_b32 exec_lo, exec_lo, s6
	v_mov_b32_e32 v84, 0
	ds_read_b128 v[88:91], v84 offset:96
	s_waitcnt lgkmcnt(0)
	v_mul_f64 v[84:85], v[3:4], v[90:91]
	v_mul_f64 v[90:91], v[1:2], v[90:91]
	v_fma_f64 v[1:2], v[1:2], v[88:89], -v[84:85]
	v_fma_f64 v[3:4], v[3:4], v[88:89], v[90:91]
	buffer_store_dword v2, off, s[0:3], 0 offset:100
	buffer_store_dword v1, off, s[0:3], 0 offset:96
	;; [unrolled: 1-line block ×4, first 2 shown]
.LBB101_343:
	s_or_b32 exec_lo, exec_lo, s4
	v_mov_b32_e32 v4, s39
	s_mov_b32 s4, exec_lo
	s_clause 0x3
	buffer_load_dword v1, v4, s[0:3], 0 offen
	buffer_load_dword v2, v4, s[0:3], 0 offen offset:4
	buffer_load_dword v3, v4, s[0:3], 0 offen offset:8
	;; [unrolled: 1-line block ×3, first 2 shown]
	s_waitcnt vmcnt(0)
	ds_write_b128 v82, v[1:4]
	s_waitcnt lgkmcnt(0)
	s_waitcnt_vscnt null, 0x0
	s_barrier
	buffer_gl0_inv
	v_cmpx_gt_u32_e32 7, v0
	s_cbranch_execz .LBB101_351
; %bb.344:
	ds_read_b128 v[1:4], v82
	v_cmp_ne_u32_e32 vcc_lo, 1, v83
	s_cbranch_vccnz .LBB101_346
; %bb.345:
	s_clause 0x3
	buffer_load_dword v84, v81, s[0:3], 0 offen offset:8
	buffer_load_dword v85, v81, s[0:3], 0 offen offset:12
	buffer_load_dword v88, v81, s[0:3], 0 offen
	buffer_load_dword v89, v81, s[0:3], 0 offen offset:4
	s_waitcnt vmcnt(2) lgkmcnt(0)
	v_mul_f64 v[90:91], v[3:4], v[84:85]
	v_mul_f64 v[84:85], v[1:2], v[84:85]
	s_waitcnt vmcnt(0)
	v_fma_f64 v[1:2], v[1:2], v[88:89], -v[90:91]
	v_fma_f64 v[3:4], v[3:4], v[88:89], v[84:85]
.LBB101_346:
	s_mov_b32 s6, exec_lo
	v_cmpx_ne_u32_e32 6, v0
	s_cbranch_execz .LBB101_350
; %bb.347:
	v_add_nc_u32_e32 v84, 0x270, v87
	v_add3_u32 v85, 0, v87, 16
	v_mov_b32_e32 v86, v0
	s_mov_b32 s8, 0
	.p2align	6
.LBB101_348:                            ; =>This Inner Loop Header: Depth=1
	s_clause 0x3
	buffer_load_dword v92, v85, s[0:3], 0 offen offset:8
	buffer_load_dword v93, v85, s[0:3], 0 offen offset:12
	buffer_load_dword v94, v85, s[0:3], 0 offen
	buffer_load_dword v95, v85, s[0:3], 0 offen offset:4
	ds_read_b128 v[88:91], v84
	v_add_nc_u32_e32 v86, 1, v86
	v_add_nc_u32_e32 v84, 16, v84
	;; [unrolled: 1-line block ×3, first 2 shown]
	v_cmp_lt_u32_e32 vcc_lo, 5, v86
	s_or_b32 s8, vcc_lo, s8
	s_waitcnt vmcnt(2) lgkmcnt(0)
	v_mul_f64 v[96:97], v[90:91], v[92:93]
	v_mul_f64 v[92:93], v[88:89], v[92:93]
	s_waitcnt vmcnt(0)
	v_fma_f64 v[88:89], v[88:89], v[94:95], -v[96:97]
	v_fma_f64 v[90:91], v[90:91], v[94:95], v[92:93]
	v_add_f64 v[1:2], v[1:2], v[88:89]
	v_add_f64 v[3:4], v[3:4], v[90:91]
	s_andn2_b32 exec_lo, exec_lo, s8
	s_cbranch_execnz .LBB101_348
; %bb.349:
	s_or_b32 exec_lo, exec_lo, s8
.LBB101_350:
	s_or_b32 exec_lo, exec_lo, s6
	v_mov_b32_e32 v84, 0
	ds_read_b128 v[88:91], v84 offset:112
	s_waitcnt lgkmcnt(0)
	v_mul_f64 v[84:85], v[3:4], v[90:91]
	v_mul_f64 v[90:91], v[1:2], v[90:91]
	v_fma_f64 v[1:2], v[1:2], v[88:89], -v[84:85]
	v_fma_f64 v[3:4], v[3:4], v[88:89], v[90:91]
	buffer_store_dword v2, off, s[0:3], 0 offset:116
	buffer_store_dword v1, off, s[0:3], 0 offset:112
	;; [unrolled: 1-line block ×4, first 2 shown]
.LBB101_351:
	s_or_b32 exec_lo, exec_lo, s4
	v_mov_b32_e32 v4, s38
	s_mov_b32 s4, exec_lo
	s_clause 0x3
	buffer_load_dword v1, v4, s[0:3], 0 offen
	buffer_load_dword v2, v4, s[0:3], 0 offen offset:4
	buffer_load_dword v3, v4, s[0:3], 0 offen offset:8
	;; [unrolled: 1-line block ×3, first 2 shown]
	s_waitcnt vmcnt(0)
	ds_write_b128 v82, v[1:4]
	s_waitcnt lgkmcnt(0)
	s_waitcnt_vscnt null, 0x0
	s_barrier
	buffer_gl0_inv
	v_cmpx_gt_u32_e32 8, v0
	s_cbranch_execz .LBB101_359
; %bb.352:
	ds_read_b128 v[1:4], v82
	v_cmp_ne_u32_e32 vcc_lo, 1, v83
	s_cbranch_vccnz .LBB101_354
; %bb.353:
	s_clause 0x3
	buffer_load_dword v84, v81, s[0:3], 0 offen offset:8
	buffer_load_dword v85, v81, s[0:3], 0 offen offset:12
	buffer_load_dword v88, v81, s[0:3], 0 offen
	buffer_load_dword v89, v81, s[0:3], 0 offen offset:4
	s_waitcnt vmcnt(2) lgkmcnt(0)
	v_mul_f64 v[90:91], v[3:4], v[84:85]
	v_mul_f64 v[84:85], v[1:2], v[84:85]
	s_waitcnt vmcnt(0)
	v_fma_f64 v[1:2], v[1:2], v[88:89], -v[90:91]
	v_fma_f64 v[3:4], v[3:4], v[88:89], v[84:85]
.LBB101_354:
	s_mov_b32 s6, exec_lo
	v_cmpx_ne_u32_e32 7, v0
	s_cbranch_execz .LBB101_358
; %bb.355:
	v_add_nc_u32_e32 v84, 0x270, v87
	v_add3_u32 v85, 0, v87, 16
	v_mov_b32_e32 v86, v0
	s_mov_b32 s8, 0
	.p2align	6
.LBB101_356:                            ; =>This Inner Loop Header: Depth=1
	s_clause 0x3
	buffer_load_dword v92, v85, s[0:3], 0 offen offset:8
	buffer_load_dword v93, v85, s[0:3], 0 offen offset:12
	buffer_load_dword v94, v85, s[0:3], 0 offen
	buffer_load_dword v95, v85, s[0:3], 0 offen offset:4
	ds_read_b128 v[88:91], v84
	v_add_nc_u32_e32 v86, 1, v86
	v_add_nc_u32_e32 v84, 16, v84
	;; [unrolled: 1-line block ×3, first 2 shown]
	v_cmp_lt_u32_e32 vcc_lo, 6, v86
	s_or_b32 s8, vcc_lo, s8
	s_waitcnt vmcnt(2) lgkmcnt(0)
	v_mul_f64 v[96:97], v[90:91], v[92:93]
	v_mul_f64 v[92:93], v[88:89], v[92:93]
	s_waitcnt vmcnt(0)
	v_fma_f64 v[88:89], v[88:89], v[94:95], -v[96:97]
	v_fma_f64 v[90:91], v[90:91], v[94:95], v[92:93]
	v_add_f64 v[1:2], v[1:2], v[88:89]
	v_add_f64 v[3:4], v[3:4], v[90:91]
	s_andn2_b32 exec_lo, exec_lo, s8
	s_cbranch_execnz .LBB101_356
; %bb.357:
	s_or_b32 exec_lo, exec_lo, s8
.LBB101_358:
	s_or_b32 exec_lo, exec_lo, s6
	v_mov_b32_e32 v84, 0
	ds_read_b128 v[88:91], v84 offset:128
	s_waitcnt lgkmcnt(0)
	v_mul_f64 v[84:85], v[3:4], v[90:91]
	v_mul_f64 v[90:91], v[1:2], v[90:91]
	v_fma_f64 v[1:2], v[1:2], v[88:89], -v[84:85]
	v_fma_f64 v[3:4], v[3:4], v[88:89], v[90:91]
	buffer_store_dword v2, off, s[0:3], 0 offset:132
	buffer_store_dword v1, off, s[0:3], 0 offset:128
	;; [unrolled: 1-line block ×4, first 2 shown]
.LBB101_359:
	s_or_b32 exec_lo, exec_lo, s4
	v_mov_b32_e32 v4, s37
	s_mov_b32 s4, exec_lo
	s_clause 0x3
	buffer_load_dword v1, v4, s[0:3], 0 offen
	buffer_load_dword v2, v4, s[0:3], 0 offen offset:4
	buffer_load_dword v3, v4, s[0:3], 0 offen offset:8
	;; [unrolled: 1-line block ×3, first 2 shown]
	s_waitcnt vmcnt(0)
	ds_write_b128 v82, v[1:4]
	s_waitcnt lgkmcnt(0)
	s_waitcnt_vscnt null, 0x0
	s_barrier
	buffer_gl0_inv
	v_cmpx_gt_u32_e32 9, v0
	s_cbranch_execz .LBB101_367
; %bb.360:
	ds_read_b128 v[1:4], v82
	v_cmp_ne_u32_e32 vcc_lo, 1, v83
	s_cbranch_vccnz .LBB101_362
; %bb.361:
	s_clause 0x3
	buffer_load_dword v84, v81, s[0:3], 0 offen offset:8
	buffer_load_dword v85, v81, s[0:3], 0 offen offset:12
	buffer_load_dword v88, v81, s[0:3], 0 offen
	buffer_load_dword v89, v81, s[0:3], 0 offen offset:4
	s_waitcnt vmcnt(2) lgkmcnt(0)
	v_mul_f64 v[90:91], v[3:4], v[84:85]
	v_mul_f64 v[84:85], v[1:2], v[84:85]
	s_waitcnt vmcnt(0)
	v_fma_f64 v[1:2], v[1:2], v[88:89], -v[90:91]
	v_fma_f64 v[3:4], v[3:4], v[88:89], v[84:85]
.LBB101_362:
	s_mov_b32 s6, exec_lo
	v_cmpx_ne_u32_e32 8, v0
	s_cbranch_execz .LBB101_366
; %bb.363:
	v_add_nc_u32_e32 v84, 0x270, v87
	v_add3_u32 v85, 0, v87, 16
	v_mov_b32_e32 v86, v0
	s_mov_b32 s8, 0
	.p2align	6
.LBB101_364:                            ; =>This Inner Loop Header: Depth=1
	s_clause 0x3
	buffer_load_dword v92, v85, s[0:3], 0 offen offset:8
	buffer_load_dword v93, v85, s[0:3], 0 offen offset:12
	buffer_load_dword v94, v85, s[0:3], 0 offen
	buffer_load_dword v95, v85, s[0:3], 0 offen offset:4
	ds_read_b128 v[88:91], v84
	v_add_nc_u32_e32 v86, 1, v86
	v_add_nc_u32_e32 v84, 16, v84
	;; [unrolled: 1-line block ×3, first 2 shown]
	v_cmp_lt_u32_e32 vcc_lo, 7, v86
	s_or_b32 s8, vcc_lo, s8
	s_waitcnt vmcnt(2) lgkmcnt(0)
	v_mul_f64 v[96:97], v[90:91], v[92:93]
	v_mul_f64 v[92:93], v[88:89], v[92:93]
	s_waitcnt vmcnt(0)
	v_fma_f64 v[88:89], v[88:89], v[94:95], -v[96:97]
	v_fma_f64 v[90:91], v[90:91], v[94:95], v[92:93]
	v_add_f64 v[1:2], v[1:2], v[88:89]
	v_add_f64 v[3:4], v[3:4], v[90:91]
	s_andn2_b32 exec_lo, exec_lo, s8
	s_cbranch_execnz .LBB101_364
; %bb.365:
	s_or_b32 exec_lo, exec_lo, s8
.LBB101_366:
	s_or_b32 exec_lo, exec_lo, s6
	v_mov_b32_e32 v84, 0
	ds_read_b128 v[88:91], v84 offset:144
	s_waitcnt lgkmcnt(0)
	v_mul_f64 v[84:85], v[3:4], v[90:91]
	v_mul_f64 v[90:91], v[1:2], v[90:91]
	v_fma_f64 v[1:2], v[1:2], v[88:89], -v[84:85]
	v_fma_f64 v[3:4], v[3:4], v[88:89], v[90:91]
	buffer_store_dword v2, off, s[0:3], 0 offset:148
	buffer_store_dword v1, off, s[0:3], 0 offset:144
	buffer_store_dword v4, off, s[0:3], 0 offset:156
	buffer_store_dword v3, off, s[0:3], 0 offset:152
.LBB101_367:
	s_or_b32 exec_lo, exec_lo, s4
	v_mov_b32_e32 v4, s36
	s_mov_b32 s4, exec_lo
	s_clause 0x3
	buffer_load_dword v1, v4, s[0:3], 0 offen
	buffer_load_dword v2, v4, s[0:3], 0 offen offset:4
	buffer_load_dword v3, v4, s[0:3], 0 offen offset:8
	;; [unrolled: 1-line block ×3, first 2 shown]
	s_waitcnt vmcnt(0)
	ds_write_b128 v82, v[1:4]
	s_waitcnt lgkmcnt(0)
	s_waitcnt_vscnt null, 0x0
	s_barrier
	buffer_gl0_inv
	v_cmpx_gt_u32_e32 10, v0
	s_cbranch_execz .LBB101_375
; %bb.368:
	ds_read_b128 v[1:4], v82
	v_cmp_ne_u32_e32 vcc_lo, 1, v83
	s_cbranch_vccnz .LBB101_370
; %bb.369:
	s_clause 0x3
	buffer_load_dword v84, v81, s[0:3], 0 offen offset:8
	buffer_load_dword v85, v81, s[0:3], 0 offen offset:12
	buffer_load_dword v88, v81, s[0:3], 0 offen
	buffer_load_dword v89, v81, s[0:3], 0 offen offset:4
	s_waitcnt vmcnt(2) lgkmcnt(0)
	v_mul_f64 v[90:91], v[3:4], v[84:85]
	v_mul_f64 v[84:85], v[1:2], v[84:85]
	s_waitcnt vmcnt(0)
	v_fma_f64 v[1:2], v[1:2], v[88:89], -v[90:91]
	v_fma_f64 v[3:4], v[3:4], v[88:89], v[84:85]
.LBB101_370:
	s_mov_b32 s6, exec_lo
	v_cmpx_ne_u32_e32 9, v0
	s_cbranch_execz .LBB101_374
; %bb.371:
	v_add_nc_u32_e32 v84, 0x270, v87
	v_add3_u32 v85, 0, v87, 16
	v_mov_b32_e32 v86, v0
	s_mov_b32 s8, 0
	.p2align	6
.LBB101_372:                            ; =>This Inner Loop Header: Depth=1
	s_clause 0x3
	buffer_load_dword v92, v85, s[0:3], 0 offen offset:8
	buffer_load_dword v93, v85, s[0:3], 0 offen offset:12
	buffer_load_dword v94, v85, s[0:3], 0 offen
	buffer_load_dword v95, v85, s[0:3], 0 offen offset:4
	ds_read_b128 v[88:91], v84
	v_add_nc_u32_e32 v86, 1, v86
	v_add_nc_u32_e32 v84, 16, v84
	;; [unrolled: 1-line block ×3, first 2 shown]
	v_cmp_lt_u32_e32 vcc_lo, 8, v86
	s_or_b32 s8, vcc_lo, s8
	s_waitcnt vmcnt(2) lgkmcnt(0)
	v_mul_f64 v[96:97], v[90:91], v[92:93]
	v_mul_f64 v[92:93], v[88:89], v[92:93]
	s_waitcnt vmcnt(0)
	v_fma_f64 v[88:89], v[88:89], v[94:95], -v[96:97]
	v_fma_f64 v[90:91], v[90:91], v[94:95], v[92:93]
	v_add_f64 v[1:2], v[1:2], v[88:89]
	v_add_f64 v[3:4], v[3:4], v[90:91]
	s_andn2_b32 exec_lo, exec_lo, s8
	s_cbranch_execnz .LBB101_372
; %bb.373:
	s_or_b32 exec_lo, exec_lo, s8
.LBB101_374:
	s_or_b32 exec_lo, exec_lo, s6
	v_mov_b32_e32 v84, 0
	ds_read_b128 v[88:91], v84 offset:160
	s_waitcnt lgkmcnt(0)
	v_mul_f64 v[84:85], v[3:4], v[90:91]
	v_mul_f64 v[90:91], v[1:2], v[90:91]
	v_fma_f64 v[1:2], v[1:2], v[88:89], -v[84:85]
	v_fma_f64 v[3:4], v[3:4], v[88:89], v[90:91]
	buffer_store_dword v2, off, s[0:3], 0 offset:164
	buffer_store_dword v1, off, s[0:3], 0 offset:160
	;; [unrolled: 1-line block ×4, first 2 shown]
.LBB101_375:
	s_or_b32 exec_lo, exec_lo, s4
	v_mov_b32_e32 v4, s35
	s_mov_b32 s4, exec_lo
	s_clause 0x3
	buffer_load_dword v1, v4, s[0:3], 0 offen
	buffer_load_dword v2, v4, s[0:3], 0 offen offset:4
	buffer_load_dword v3, v4, s[0:3], 0 offen offset:8
	;; [unrolled: 1-line block ×3, first 2 shown]
	s_waitcnt vmcnt(0)
	ds_write_b128 v82, v[1:4]
	s_waitcnt lgkmcnt(0)
	s_waitcnt_vscnt null, 0x0
	s_barrier
	buffer_gl0_inv
	v_cmpx_gt_u32_e32 11, v0
	s_cbranch_execz .LBB101_383
; %bb.376:
	ds_read_b128 v[1:4], v82
	v_cmp_ne_u32_e32 vcc_lo, 1, v83
	s_cbranch_vccnz .LBB101_378
; %bb.377:
	s_clause 0x3
	buffer_load_dword v84, v81, s[0:3], 0 offen offset:8
	buffer_load_dword v85, v81, s[0:3], 0 offen offset:12
	buffer_load_dword v88, v81, s[0:3], 0 offen
	buffer_load_dword v89, v81, s[0:3], 0 offen offset:4
	s_waitcnt vmcnt(2) lgkmcnt(0)
	v_mul_f64 v[90:91], v[3:4], v[84:85]
	v_mul_f64 v[84:85], v[1:2], v[84:85]
	s_waitcnt vmcnt(0)
	v_fma_f64 v[1:2], v[1:2], v[88:89], -v[90:91]
	v_fma_f64 v[3:4], v[3:4], v[88:89], v[84:85]
.LBB101_378:
	s_mov_b32 s6, exec_lo
	v_cmpx_ne_u32_e32 10, v0
	s_cbranch_execz .LBB101_382
; %bb.379:
	v_add_nc_u32_e32 v84, 0x270, v87
	v_add3_u32 v85, 0, v87, 16
	v_mov_b32_e32 v86, v0
	s_mov_b32 s8, 0
	.p2align	6
.LBB101_380:                            ; =>This Inner Loop Header: Depth=1
	s_clause 0x3
	buffer_load_dword v92, v85, s[0:3], 0 offen offset:8
	buffer_load_dword v93, v85, s[0:3], 0 offen offset:12
	buffer_load_dword v94, v85, s[0:3], 0 offen
	buffer_load_dword v95, v85, s[0:3], 0 offen offset:4
	ds_read_b128 v[88:91], v84
	v_add_nc_u32_e32 v86, 1, v86
	v_add_nc_u32_e32 v84, 16, v84
	;; [unrolled: 1-line block ×3, first 2 shown]
	v_cmp_lt_u32_e32 vcc_lo, 9, v86
	s_or_b32 s8, vcc_lo, s8
	s_waitcnt vmcnt(2) lgkmcnt(0)
	v_mul_f64 v[96:97], v[90:91], v[92:93]
	v_mul_f64 v[92:93], v[88:89], v[92:93]
	s_waitcnt vmcnt(0)
	v_fma_f64 v[88:89], v[88:89], v[94:95], -v[96:97]
	v_fma_f64 v[90:91], v[90:91], v[94:95], v[92:93]
	v_add_f64 v[1:2], v[1:2], v[88:89]
	v_add_f64 v[3:4], v[3:4], v[90:91]
	s_andn2_b32 exec_lo, exec_lo, s8
	s_cbranch_execnz .LBB101_380
; %bb.381:
	s_or_b32 exec_lo, exec_lo, s8
.LBB101_382:
	s_or_b32 exec_lo, exec_lo, s6
	v_mov_b32_e32 v84, 0
	ds_read_b128 v[88:91], v84 offset:176
	s_waitcnt lgkmcnt(0)
	v_mul_f64 v[84:85], v[3:4], v[90:91]
	v_mul_f64 v[90:91], v[1:2], v[90:91]
	v_fma_f64 v[1:2], v[1:2], v[88:89], -v[84:85]
	v_fma_f64 v[3:4], v[3:4], v[88:89], v[90:91]
	buffer_store_dword v2, off, s[0:3], 0 offset:180
	buffer_store_dword v1, off, s[0:3], 0 offset:176
	buffer_store_dword v4, off, s[0:3], 0 offset:188
	buffer_store_dword v3, off, s[0:3], 0 offset:184
.LBB101_383:
	s_or_b32 exec_lo, exec_lo, s4
	v_mov_b32_e32 v4, s34
	s_mov_b32 s4, exec_lo
	s_clause 0x3
	buffer_load_dword v1, v4, s[0:3], 0 offen
	buffer_load_dword v2, v4, s[0:3], 0 offen offset:4
	buffer_load_dword v3, v4, s[0:3], 0 offen offset:8
	;; [unrolled: 1-line block ×3, first 2 shown]
	s_waitcnt vmcnt(0)
	ds_write_b128 v82, v[1:4]
	s_waitcnt lgkmcnt(0)
	s_waitcnt_vscnt null, 0x0
	s_barrier
	buffer_gl0_inv
	v_cmpx_gt_u32_e32 12, v0
	s_cbranch_execz .LBB101_391
; %bb.384:
	ds_read_b128 v[1:4], v82
	v_cmp_ne_u32_e32 vcc_lo, 1, v83
	s_cbranch_vccnz .LBB101_386
; %bb.385:
	s_clause 0x3
	buffer_load_dword v84, v81, s[0:3], 0 offen offset:8
	buffer_load_dword v85, v81, s[0:3], 0 offen offset:12
	buffer_load_dword v88, v81, s[0:3], 0 offen
	buffer_load_dword v89, v81, s[0:3], 0 offen offset:4
	s_waitcnt vmcnt(2) lgkmcnt(0)
	v_mul_f64 v[90:91], v[3:4], v[84:85]
	v_mul_f64 v[84:85], v[1:2], v[84:85]
	s_waitcnt vmcnt(0)
	v_fma_f64 v[1:2], v[1:2], v[88:89], -v[90:91]
	v_fma_f64 v[3:4], v[3:4], v[88:89], v[84:85]
.LBB101_386:
	s_mov_b32 s6, exec_lo
	v_cmpx_ne_u32_e32 11, v0
	s_cbranch_execz .LBB101_390
; %bb.387:
	v_add_nc_u32_e32 v84, 0x270, v87
	v_add3_u32 v85, 0, v87, 16
	v_mov_b32_e32 v86, v0
	s_mov_b32 s8, 0
	.p2align	6
.LBB101_388:                            ; =>This Inner Loop Header: Depth=1
	s_clause 0x3
	buffer_load_dword v92, v85, s[0:3], 0 offen offset:8
	buffer_load_dword v93, v85, s[0:3], 0 offen offset:12
	buffer_load_dword v94, v85, s[0:3], 0 offen
	buffer_load_dword v95, v85, s[0:3], 0 offen offset:4
	ds_read_b128 v[88:91], v84
	v_add_nc_u32_e32 v86, 1, v86
	v_add_nc_u32_e32 v84, 16, v84
	v_add_nc_u32_e32 v85, 16, v85
	v_cmp_lt_u32_e32 vcc_lo, 10, v86
	s_or_b32 s8, vcc_lo, s8
	s_waitcnt vmcnt(2) lgkmcnt(0)
	v_mul_f64 v[96:97], v[90:91], v[92:93]
	v_mul_f64 v[92:93], v[88:89], v[92:93]
	s_waitcnt vmcnt(0)
	v_fma_f64 v[88:89], v[88:89], v[94:95], -v[96:97]
	v_fma_f64 v[90:91], v[90:91], v[94:95], v[92:93]
	v_add_f64 v[1:2], v[1:2], v[88:89]
	v_add_f64 v[3:4], v[3:4], v[90:91]
	s_andn2_b32 exec_lo, exec_lo, s8
	s_cbranch_execnz .LBB101_388
; %bb.389:
	s_or_b32 exec_lo, exec_lo, s8
.LBB101_390:
	s_or_b32 exec_lo, exec_lo, s6
	v_mov_b32_e32 v84, 0
	ds_read_b128 v[88:91], v84 offset:192
	s_waitcnt lgkmcnt(0)
	v_mul_f64 v[84:85], v[3:4], v[90:91]
	v_mul_f64 v[90:91], v[1:2], v[90:91]
	v_fma_f64 v[1:2], v[1:2], v[88:89], -v[84:85]
	v_fma_f64 v[3:4], v[3:4], v[88:89], v[90:91]
	buffer_store_dword v2, off, s[0:3], 0 offset:196
	buffer_store_dword v1, off, s[0:3], 0 offset:192
	;; [unrolled: 1-line block ×4, first 2 shown]
.LBB101_391:
	s_or_b32 exec_lo, exec_lo, s4
	v_mov_b32_e32 v4, s33
	s_mov_b32 s4, exec_lo
	s_clause 0x3
	buffer_load_dword v1, v4, s[0:3], 0 offen
	buffer_load_dword v2, v4, s[0:3], 0 offen offset:4
	buffer_load_dword v3, v4, s[0:3], 0 offen offset:8
	;; [unrolled: 1-line block ×3, first 2 shown]
	s_waitcnt vmcnt(0)
	ds_write_b128 v82, v[1:4]
	s_waitcnt lgkmcnt(0)
	s_waitcnt_vscnt null, 0x0
	s_barrier
	buffer_gl0_inv
	v_cmpx_gt_u32_e32 13, v0
	s_cbranch_execz .LBB101_399
; %bb.392:
	ds_read_b128 v[1:4], v82
	v_cmp_ne_u32_e32 vcc_lo, 1, v83
	s_cbranch_vccnz .LBB101_394
; %bb.393:
	s_clause 0x3
	buffer_load_dword v84, v81, s[0:3], 0 offen offset:8
	buffer_load_dword v85, v81, s[0:3], 0 offen offset:12
	buffer_load_dword v88, v81, s[0:3], 0 offen
	buffer_load_dword v89, v81, s[0:3], 0 offen offset:4
	s_waitcnt vmcnt(2) lgkmcnt(0)
	v_mul_f64 v[90:91], v[3:4], v[84:85]
	v_mul_f64 v[84:85], v[1:2], v[84:85]
	s_waitcnt vmcnt(0)
	v_fma_f64 v[1:2], v[1:2], v[88:89], -v[90:91]
	v_fma_f64 v[3:4], v[3:4], v[88:89], v[84:85]
.LBB101_394:
	s_mov_b32 s6, exec_lo
	v_cmpx_ne_u32_e32 12, v0
	s_cbranch_execz .LBB101_398
; %bb.395:
	v_add_nc_u32_e32 v84, 0x270, v87
	v_add3_u32 v85, 0, v87, 16
	v_mov_b32_e32 v86, v0
	s_mov_b32 s8, 0
	.p2align	6
.LBB101_396:                            ; =>This Inner Loop Header: Depth=1
	s_clause 0x3
	buffer_load_dword v92, v85, s[0:3], 0 offen offset:8
	buffer_load_dword v93, v85, s[0:3], 0 offen offset:12
	buffer_load_dword v94, v85, s[0:3], 0 offen
	buffer_load_dword v95, v85, s[0:3], 0 offen offset:4
	ds_read_b128 v[88:91], v84
	v_add_nc_u32_e32 v86, 1, v86
	v_add_nc_u32_e32 v84, 16, v84
	;; [unrolled: 1-line block ×3, first 2 shown]
	v_cmp_lt_u32_e32 vcc_lo, 11, v86
	s_or_b32 s8, vcc_lo, s8
	s_waitcnt vmcnt(2) lgkmcnt(0)
	v_mul_f64 v[96:97], v[90:91], v[92:93]
	v_mul_f64 v[92:93], v[88:89], v[92:93]
	s_waitcnt vmcnt(0)
	v_fma_f64 v[88:89], v[88:89], v[94:95], -v[96:97]
	v_fma_f64 v[90:91], v[90:91], v[94:95], v[92:93]
	v_add_f64 v[1:2], v[1:2], v[88:89]
	v_add_f64 v[3:4], v[3:4], v[90:91]
	s_andn2_b32 exec_lo, exec_lo, s8
	s_cbranch_execnz .LBB101_396
; %bb.397:
	s_or_b32 exec_lo, exec_lo, s8
.LBB101_398:
	s_or_b32 exec_lo, exec_lo, s6
	v_mov_b32_e32 v84, 0
	ds_read_b128 v[88:91], v84 offset:208
	s_waitcnt lgkmcnt(0)
	v_mul_f64 v[84:85], v[3:4], v[90:91]
	v_mul_f64 v[90:91], v[1:2], v[90:91]
	v_fma_f64 v[1:2], v[1:2], v[88:89], -v[84:85]
	v_fma_f64 v[3:4], v[3:4], v[88:89], v[90:91]
	buffer_store_dword v2, off, s[0:3], 0 offset:212
	buffer_store_dword v1, off, s[0:3], 0 offset:208
	;; [unrolled: 1-line block ×4, first 2 shown]
.LBB101_399:
	s_or_b32 exec_lo, exec_lo, s4
	v_mov_b32_e32 v4, s31
	s_mov_b32 s4, exec_lo
	s_clause 0x3
	buffer_load_dword v1, v4, s[0:3], 0 offen
	buffer_load_dword v2, v4, s[0:3], 0 offen offset:4
	buffer_load_dword v3, v4, s[0:3], 0 offen offset:8
	buffer_load_dword v4, v4, s[0:3], 0 offen offset:12
	s_waitcnt vmcnt(0)
	ds_write_b128 v82, v[1:4]
	s_waitcnt lgkmcnt(0)
	s_waitcnt_vscnt null, 0x0
	s_barrier
	buffer_gl0_inv
	v_cmpx_gt_u32_e32 14, v0
	s_cbranch_execz .LBB101_407
; %bb.400:
	ds_read_b128 v[1:4], v82
	v_cmp_ne_u32_e32 vcc_lo, 1, v83
	s_cbranch_vccnz .LBB101_402
; %bb.401:
	s_clause 0x3
	buffer_load_dword v84, v81, s[0:3], 0 offen offset:8
	buffer_load_dword v85, v81, s[0:3], 0 offen offset:12
	buffer_load_dword v88, v81, s[0:3], 0 offen
	buffer_load_dword v89, v81, s[0:3], 0 offen offset:4
	s_waitcnt vmcnt(2) lgkmcnt(0)
	v_mul_f64 v[90:91], v[3:4], v[84:85]
	v_mul_f64 v[84:85], v[1:2], v[84:85]
	s_waitcnt vmcnt(0)
	v_fma_f64 v[1:2], v[1:2], v[88:89], -v[90:91]
	v_fma_f64 v[3:4], v[3:4], v[88:89], v[84:85]
.LBB101_402:
	s_mov_b32 s6, exec_lo
	v_cmpx_ne_u32_e32 13, v0
	s_cbranch_execz .LBB101_406
; %bb.403:
	v_add_nc_u32_e32 v84, 0x270, v87
	v_add3_u32 v85, 0, v87, 16
	v_mov_b32_e32 v86, v0
	s_mov_b32 s8, 0
	.p2align	6
.LBB101_404:                            ; =>This Inner Loop Header: Depth=1
	s_clause 0x3
	buffer_load_dword v92, v85, s[0:3], 0 offen offset:8
	buffer_load_dword v93, v85, s[0:3], 0 offen offset:12
	buffer_load_dword v94, v85, s[0:3], 0 offen
	buffer_load_dword v95, v85, s[0:3], 0 offen offset:4
	ds_read_b128 v[88:91], v84
	v_add_nc_u32_e32 v86, 1, v86
	v_add_nc_u32_e32 v84, 16, v84
	;; [unrolled: 1-line block ×3, first 2 shown]
	v_cmp_lt_u32_e32 vcc_lo, 12, v86
	s_or_b32 s8, vcc_lo, s8
	s_waitcnt vmcnt(2) lgkmcnt(0)
	v_mul_f64 v[96:97], v[90:91], v[92:93]
	v_mul_f64 v[92:93], v[88:89], v[92:93]
	s_waitcnt vmcnt(0)
	v_fma_f64 v[88:89], v[88:89], v[94:95], -v[96:97]
	v_fma_f64 v[90:91], v[90:91], v[94:95], v[92:93]
	v_add_f64 v[1:2], v[1:2], v[88:89]
	v_add_f64 v[3:4], v[3:4], v[90:91]
	s_andn2_b32 exec_lo, exec_lo, s8
	s_cbranch_execnz .LBB101_404
; %bb.405:
	s_or_b32 exec_lo, exec_lo, s8
.LBB101_406:
	s_or_b32 exec_lo, exec_lo, s6
	v_mov_b32_e32 v84, 0
	ds_read_b128 v[88:91], v84 offset:224
	s_waitcnt lgkmcnt(0)
	v_mul_f64 v[84:85], v[3:4], v[90:91]
	v_mul_f64 v[90:91], v[1:2], v[90:91]
	v_fma_f64 v[1:2], v[1:2], v[88:89], -v[84:85]
	v_fma_f64 v[3:4], v[3:4], v[88:89], v[90:91]
	buffer_store_dword v2, off, s[0:3], 0 offset:228
	buffer_store_dword v1, off, s[0:3], 0 offset:224
	;; [unrolled: 1-line block ×4, first 2 shown]
.LBB101_407:
	s_or_b32 exec_lo, exec_lo, s4
	v_mov_b32_e32 v4, s30
	s_mov_b32 s4, exec_lo
	s_clause 0x3
	buffer_load_dword v1, v4, s[0:3], 0 offen
	buffer_load_dword v2, v4, s[0:3], 0 offen offset:4
	buffer_load_dword v3, v4, s[0:3], 0 offen offset:8
	;; [unrolled: 1-line block ×3, first 2 shown]
	s_waitcnt vmcnt(0)
	ds_write_b128 v82, v[1:4]
	s_waitcnt lgkmcnt(0)
	s_waitcnt_vscnt null, 0x0
	s_barrier
	buffer_gl0_inv
	v_cmpx_gt_u32_e32 15, v0
	s_cbranch_execz .LBB101_415
; %bb.408:
	ds_read_b128 v[1:4], v82
	v_cmp_ne_u32_e32 vcc_lo, 1, v83
	s_cbranch_vccnz .LBB101_410
; %bb.409:
	s_clause 0x3
	buffer_load_dword v84, v81, s[0:3], 0 offen offset:8
	buffer_load_dword v85, v81, s[0:3], 0 offen offset:12
	buffer_load_dword v88, v81, s[0:3], 0 offen
	buffer_load_dword v89, v81, s[0:3], 0 offen offset:4
	s_waitcnt vmcnt(2) lgkmcnt(0)
	v_mul_f64 v[90:91], v[3:4], v[84:85]
	v_mul_f64 v[84:85], v[1:2], v[84:85]
	s_waitcnt vmcnt(0)
	v_fma_f64 v[1:2], v[1:2], v[88:89], -v[90:91]
	v_fma_f64 v[3:4], v[3:4], v[88:89], v[84:85]
.LBB101_410:
	s_mov_b32 s6, exec_lo
	v_cmpx_ne_u32_e32 14, v0
	s_cbranch_execz .LBB101_414
; %bb.411:
	v_add_nc_u32_e32 v84, 0x270, v87
	v_add3_u32 v85, 0, v87, 16
	v_mov_b32_e32 v86, v0
	s_mov_b32 s8, 0
	.p2align	6
.LBB101_412:                            ; =>This Inner Loop Header: Depth=1
	s_clause 0x3
	buffer_load_dword v92, v85, s[0:3], 0 offen offset:8
	buffer_load_dword v93, v85, s[0:3], 0 offen offset:12
	buffer_load_dword v94, v85, s[0:3], 0 offen
	buffer_load_dword v95, v85, s[0:3], 0 offen offset:4
	ds_read_b128 v[88:91], v84
	v_add_nc_u32_e32 v86, 1, v86
	v_add_nc_u32_e32 v84, 16, v84
	;; [unrolled: 1-line block ×3, first 2 shown]
	v_cmp_lt_u32_e32 vcc_lo, 13, v86
	s_or_b32 s8, vcc_lo, s8
	s_waitcnt vmcnt(2) lgkmcnt(0)
	v_mul_f64 v[96:97], v[90:91], v[92:93]
	v_mul_f64 v[92:93], v[88:89], v[92:93]
	s_waitcnt vmcnt(0)
	v_fma_f64 v[88:89], v[88:89], v[94:95], -v[96:97]
	v_fma_f64 v[90:91], v[90:91], v[94:95], v[92:93]
	v_add_f64 v[1:2], v[1:2], v[88:89]
	v_add_f64 v[3:4], v[3:4], v[90:91]
	s_andn2_b32 exec_lo, exec_lo, s8
	s_cbranch_execnz .LBB101_412
; %bb.413:
	s_or_b32 exec_lo, exec_lo, s8
.LBB101_414:
	s_or_b32 exec_lo, exec_lo, s6
	v_mov_b32_e32 v84, 0
	ds_read_b128 v[88:91], v84 offset:240
	s_waitcnt lgkmcnt(0)
	v_mul_f64 v[84:85], v[3:4], v[90:91]
	v_mul_f64 v[90:91], v[1:2], v[90:91]
	v_fma_f64 v[1:2], v[1:2], v[88:89], -v[84:85]
	v_fma_f64 v[3:4], v[3:4], v[88:89], v[90:91]
	buffer_store_dword v2, off, s[0:3], 0 offset:244
	buffer_store_dword v1, off, s[0:3], 0 offset:240
	;; [unrolled: 1-line block ×4, first 2 shown]
.LBB101_415:
	s_or_b32 exec_lo, exec_lo, s4
	v_mov_b32_e32 v4, s29
	s_mov_b32 s4, exec_lo
	s_clause 0x3
	buffer_load_dword v1, v4, s[0:3], 0 offen
	buffer_load_dword v2, v4, s[0:3], 0 offen offset:4
	buffer_load_dword v3, v4, s[0:3], 0 offen offset:8
	;; [unrolled: 1-line block ×3, first 2 shown]
	s_waitcnt vmcnt(0)
	ds_write_b128 v82, v[1:4]
	s_waitcnt lgkmcnt(0)
	s_waitcnt_vscnt null, 0x0
	s_barrier
	buffer_gl0_inv
	v_cmpx_gt_u32_e32 16, v0
	s_cbranch_execz .LBB101_423
; %bb.416:
	ds_read_b128 v[1:4], v82
	v_cmp_ne_u32_e32 vcc_lo, 1, v83
	s_cbranch_vccnz .LBB101_418
; %bb.417:
	s_clause 0x3
	buffer_load_dword v84, v81, s[0:3], 0 offen offset:8
	buffer_load_dword v85, v81, s[0:3], 0 offen offset:12
	buffer_load_dword v88, v81, s[0:3], 0 offen
	buffer_load_dword v89, v81, s[0:3], 0 offen offset:4
	s_waitcnt vmcnt(2) lgkmcnt(0)
	v_mul_f64 v[90:91], v[3:4], v[84:85]
	v_mul_f64 v[84:85], v[1:2], v[84:85]
	s_waitcnt vmcnt(0)
	v_fma_f64 v[1:2], v[1:2], v[88:89], -v[90:91]
	v_fma_f64 v[3:4], v[3:4], v[88:89], v[84:85]
.LBB101_418:
	s_mov_b32 s6, exec_lo
	v_cmpx_ne_u32_e32 15, v0
	s_cbranch_execz .LBB101_422
; %bb.419:
	v_add_nc_u32_e32 v84, 0x270, v87
	v_add3_u32 v85, 0, v87, 16
	v_mov_b32_e32 v86, v0
	s_mov_b32 s8, 0
	.p2align	6
.LBB101_420:                            ; =>This Inner Loop Header: Depth=1
	s_clause 0x3
	buffer_load_dword v92, v85, s[0:3], 0 offen offset:8
	buffer_load_dword v93, v85, s[0:3], 0 offen offset:12
	buffer_load_dword v94, v85, s[0:3], 0 offen
	buffer_load_dword v95, v85, s[0:3], 0 offen offset:4
	ds_read_b128 v[88:91], v84
	v_add_nc_u32_e32 v86, 1, v86
	v_add_nc_u32_e32 v84, 16, v84
	;; [unrolled: 1-line block ×3, first 2 shown]
	v_cmp_lt_u32_e32 vcc_lo, 14, v86
	s_or_b32 s8, vcc_lo, s8
	s_waitcnt vmcnt(2) lgkmcnt(0)
	v_mul_f64 v[96:97], v[90:91], v[92:93]
	v_mul_f64 v[92:93], v[88:89], v[92:93]
	s_waitcnt vmcnt(0)
	v_fma_f64 v[88:89], v[88:89], v[94:95], -v[96:97]
	v_fma_f64 v[90:91], v[90:91], v[94:95], v[92:93]
	v_add_f64 v[1:2], v[1:2], v[88:89]
	v_add_f64 v[3:4], v[3:4], v[90:91]
	s_andn2_b32 exec_lo, exec_lo, s8
	s_cbranch_execnz .LBB101_420
; %bb.421:
	s_or_b32 exec_lo, exec_lo, s8
.LBB101_422:
	s_or_b32 exec_lo, exec_lo, s6
	v_mov_b32_e32 v84, 0
	ds_read_b128 v[88:91], v84 offset:256
	s_waitcnt lgkmcnt(0)
	v_mul_f64 v[84:85], v[3:4], v[90:91]
	v_mul_f64 v[90:91], v[1:2], v[90:91]
	v_fma_f64 v[1:2], v[1:2], v[88:89], -v[84:85]
	v_fma_f64 v[3:4], v[3:4], v[88:89], v[90:91]
	buffer_store_dword v2, off, s[0:3], 0 offset:260
	buffer_store_dword v1, off, s[0:3], 0 offset:256
	;; [unrolled: 1-line block ×4, first 2 shown]
.LBB101_423:
	s_or_b32 exec_lo, exec_lo, s4
	v_mov_b32_e32 v4, s28
	s_mov_b32 s4, exec_lo
	s_clause 0x3
	buffer_load_dword v1, v4, s[0:3], 0 offen
	buffer_load_dword v2, v4, s[0:3], 0 offen offset:4
	buffer_load_dword v3, v4, s[0:3], 0 offen offset:8
	;; [unrolled: 1-line block ×3, first 2 shown]
	s_waitcnt vmcnt(0)
	ds_write_b128 v82, v[1:4]
	s_waitcnt lgkmcnt(0)
	s_waitcnt_vscnt null, 0x0
	s_barrier
	buffer_gl0_inv
	v_cmpx_gt_u32_e32 17, v0
	s_cbranch_execz .LBB101_431
; %bb.424:
	ds_read_b128 v[1:4], v82
	v_cmp_ne_u32_e32 vcc_lo, 1, v83
	s_cbranch_vccnz .LBB101_426
; %bb.425:
	s_clause 0x3
	buffer_load_dword v84, v81, s[0:3], 0 offen offset:8
	buffer_load_dword v85, v81, s[0:3], 0 offen offset:12
	buffer_load_dword v88, v81, s[0:3], 0 offen
	buffer_load_dword v89, v81, s[0:3], 0 offen offset:4
	s_waitcnt vmcnt(2) lgkmcnt(0)
	v_mul_f64 v[90:91], v[3:4], v[84:85]
	v_mul_f64 v[84:85], v[1:2], v[84:85]
	s_waitcnt vmcnt(0)
	v_fma_f64 v[1:2], v[1:2], v[88:89], -v[90:91]
	v_fma_f64 v[3:4], v[3:4], v[88:89], v[84:85]
.LBB101_426:
	s_mov_b32 s6, exec_lo
	v_cmpx_ne_u32_e32 16, v0
	s_cbranch_execz .LBB101_430
; %bb.427:
	v_add_nc_u32_e32 v84, 0x270, v87
	v_add3_u32 v85, 0, v87, 16
	v_mov_b32_e32 v86, v0
	s_mov_b32 s8, 0
	.p2align	6
.LBB101_428:                            ; =>This Inner Loop Header: Depth=1
	s_clause 0x3
	buffer_load_dword v92, v85, s[0:3], 0 offen offset:8
	buffer_load_dword v93, v85, s[0:3], 0 offen offset:12
	buffer_load_dword v94, v85, s[0:3], 0 offen
	buffer_load_dword v95, v85, s[0:3], 0 offen offset:4
	ds_read_b128 v[88:91], v84
	v_add_nc_u32_e32 v86, 1, v86
	v_add_nc_u32_e32 v84, 16, v84
	;; [unrolled: 1-line block ×3, first 2 shown]
	v_cmp_lt_u32_e32 vcc_lo, 15, v86
	s_or_b32 s8, vcc_lo, s8
	s_waitcnt vmcnt(2) lgkmcnt(0)
	v_mul_f64 v[96:97], v[90:91], v[92:93]
	v_mul_f64 v[92:93], v[88:89], v[92:93]
	s_waitcnt vmcnt(0)
	v_fma_f64 v[88:89], v[88:89], v[94:95], -v[96:97]
	v_fma_f64 v[90:91], v[90:91], v[94:95], v[92:93]
	v_add_f64 v[1:2], v[1:2], v[88:89]
	v_add_f64 v[3:4], v[3:4], v[90:91]
	s_andn2_b32 exec_lo, exec_lo, s8
	s_cbranch_execnz .LBB101_428
; %bb.429:
	s_or_b32 exec_lo, exec_lo, s8
.LBB101_430:
	s_or_b32 exec_lo, exec_lo, s6
	v_mov_b32_e32 v84, 0
	ds_read_b128 v[88:91], v84 offset:272
	s_waitcnt lgkmcnt(0)
	v_mul_f64 v[84:85], v[3:4], v[90:91]
	v_mul_f64 v[90:91], v[1:2], v[90:91]
	v_fma_f64 v[1:2], v[1:2], v[88:89], -v[84:85]
	v_fma_f64 v[3:4], v[3:4], v[88:89], v[90:91]
	buffer_store_dword v2, off, s[0:3], 0 offset:276
	buffer_store_dword v1, off, s[0:3], 0 offset:272
	;; [unrolled: 1-line block ×4, first 2 shown]
.LBB101_431:
	s_or_b32 exec_lo, exec_lo, s4
	v_mov_b32_e32 v4, s27
	s_mov_b32 s4, exec_lo
	s_clause 0x3
	buffer_load_dword v1, v4, s[0:3], 0 offen
	buffer_load_dword v2, v4, s[0:3], 0 offen offset:4
	buffer_load_dword v3, v4, s[0:3], 0 offen offset:8
	;; [unrolled: 1-line block ×3, first 2 shown]
	s_waitcnt vmcnt(0)
	ds_write_b128 v82, v[1:4]
	s_waitcnt lgkmcnt(0)
	s_waitcnt_vscnt null, 0x0
	s_barrier
	buffer_gl0_inv
	v_cmpx_gt_u32_e32 18, v0
	s_cbranch_execz .LBB101_439
; %bb.432:
	ds_read_b128 v[1:4], v82
	v_cmp_ne_u32_e32 vcc_lo, 1, v83
	s_cbranch_vccnz .LBB101_434
; %bb.433:
	s_clause 0x3
	buffer_load_dword v84, v81, s[0:3], 0 offen offset:8
	buffer_load_dword v85, v81, s[0:3], 0 offen offset:12
	buffer_load_dword v88, v81, s[0:3], 0 offen
	buffer_load_dword v89, v81, s[0:3], 0 offen offset:4
	s_waitcnt vmcnt(2) lgkmcnt(0)
	v_mul_f64 v[90:91], v[3:4], v[84:85]
	v_mul_f64 v[84:85], v[1:2], v[84:85]
	s_waitcnt vmcnt(0)
	v_fma_f64 v[1:2], v[1:2], v[88:89], -v[90:91]
	v_fma_f64 v[3:4], v[3:4], v[88:89], v[84:85]
.LBB101_434:
	s_mov_b32 s6, exec_lo
	v_cmpx_ne_u32_e32 17, v0
	s_cbranch_execz .LBB101_438
; %bb.435:
	v_add_nc_u32_e32 v84, 0x270, v87
	v_add3_u32 v85, 0, v87, 16
	v_mov_b32_e32 v86, v0
	s_mov_b32 s8, 0
	.p2align	6
.LBB101_436:                            ; =>This Inner Loop Header: Depth=1
	s_clause 0x3
	buffer_load_dword v92, v85, s[0:3], 0 offen offset:8
	buffer_load_dword v93, v85, s[0:3], 0 offen offset:12
	buffer_load_dword v94, v85, s[0:3], 0 offen
	buffer_load_dword v95, v85, s[0:3], 0 offen offset:4
	ds_read_b128 v[88:91], v84
	v_add_nc_u32_e32 v86, 1, v86
	v_add_nc_u32_e32 v84, 16, v84
	;; [unrolled: 1-line block ×3, first 2 shown]
	v_cmp_lt_u32_e32 vcc_lo, 16, v86
	s_or_b32 s8, vcc_lo, s8
	s_waitcnt vmcnt(2) lgkmcnt(0)
	v_mul_f64 v[96:97], v[90:91], v[92:93]
	v_mul_f64 v[92:93], v[88:89], v[92:93]
	s_waitcnt vmcnt(0)
	v_fma_f64 v[88:89], v[88:89], v[94:95], -v[96:97]
	v_fma_f64 v[90:91], v[90:91], v[94:95], v[92:93]
	v_add_f64 v[1:2], v[1:2], v[88:89]
	v_add_f64 v[3:4], v[3:4], v[90:91]
	s_andn2_b32 exec_lo, exec_lo, s8
	s_cbranch_execnz .LBB101_436
; %bb.437:
	s_or_b32 exec_lo, exec_lo, s8
.LBB101_438:
	s_or_b32 exec_lo, exec_lo, s6
	v_mov_b32_e32 v84, 0
	ds_read_b128 v[88:91], v84 offset:288
	s_waitcnt lgkmcnt(0)
	v_mul_f64 v[84:85], v[3:4], v[90:91]
	v_mul_f64 v[90:91], v[1:2], v[90:91]
	v_fma_f64 v[1:2], v[1:2], v[88:89], -v[84:85]
	v_fma_f64 v[3:4], v[3:4], v[88:89], v[90:91]
	buffer_store_dword v2, off, s[0:3], 0 offset:292
	buffer_store_dword v1, off, s[0:3], 0 offset:288
	;; [unrolled: 1-line block ×4, first 2 shown]
.LBB101_439:
	s_or_b32 exec_lo, exec_lo, s4
	v_mov_b32_e32 v4, s26
	s_mov_b32 s4, exec_lo
	s_clause 0x3
	buffer_load_dword v1, v4, s[0:3], 0 offen
	buffer_load_dword v2, v4, s[0:3], 0 offen offset:4
	buffer_load_dword v3, v4, s[0:3], 0 offen offset:8
	;; [unrolled: 1-line block ×3, first 2 shown]
	s_waitcnt vmcnt(0)
	ds_write_b128 v82, v[1:4]
	s_waitcnt lgkmcnt(0)
	s_waitcnt_vscnt null, 0x0
	s_barrier
	buffer_gl0_inv
	v_cmpx_gt_u32_e32 19, v0
	s_cbranch_execz .LBB101_447
; %bb.440:
	ds_read_b128 v[1:4], v82
	v_cmp_ne_u32_e32 vcc_lo, 1, v83
	s_cbranch_vccnz .LBB101_442
; %bb.441:
	s_clause 0x3
	buffer_load_dword v84, v81, s[0:3], 0 offen offset:8
	buffer_load_dword v85, v81, s[0:3], 0 offen offset:12
	buffer_load_dword v88, v81, s[0:3], 0 offen
	buffer_load_dword v89, v81, s[0:3], 0 offen offset:4
	s_waitcnt vmcnt(2) lgkmcnt(0)
	v_mul_f64 v[90:91], v[3:4], v[84:85]
	v_mul_f64 v[84:85], v[1:2], v[84:85]
	s_waitcnt vmcnt(0)
	v_fma_f64 v[1:2], v[1:2], v[88:89], -v[90:91]
	v_fma_f64 v[3:4], v[3:4], v[88:89], v[84:85]
.LBB101_442:
	s_mov_b32 s6, exec_lo
	v_cmpx_ne_u32_e32 18, v0
	s_cbranch_execz .LBB101_446
; %bb.443:
	v_add_nc_u32_e32 v84, 0x270, v87
	v_add3_u32 v85, 0, v87, 16
	v_mov_b32_e32 v86, v0
	s_mov_b32 s8, 0
	.p2align	6
.LBB101_444:                            ; =>This Inner Loop Header: Depth=1
	s_clause 0x3
	buffer_load_dword v92, v85, s[0:3], 0 offen offset:8
	buffer_load_dword v93, v85, s[0:3], 0 offen offset:12
	buffer_load_dword v94, v85, s[0:3], 0 offen
	buffer_load_dword v95, v85, s[0:3], 0 offen offset:4
	ds_read_b128 v[88:91], v84
	v_add_nc_u32_e32 v86, 1, v86
	v_add_nc_u32_e32 v84, 16, v84
	;; [unrolled: 1-line block ×3, first 2 shown]
	v_cmp_lt_u32_e32 vcc_lo, 17, v86
	s_or_b32 s8, vcc_lo, s8
	s_waitcnt vmcnt(2) lgkmcnt(0)
	v_mul_f64 v[96:97], v[90:91], v[92:93]
	v_mul_f64 v[92:93], v[88:89], v[92:93]
	s_waitcnt vmcnt(0)
	v_fma_f64 v[88:89], v[88:89], v[94:95], -v[96:97]
	v_fma_f64 v[90:91], v[90:91], v[94:95], v[92:93]
	v_add_f64 v[1:2], v[1:2], v[88:89]
	v_add_f64 v[3:4], v[3:4], v[90:91]
	s_andn2_b32 exec_lo, exec_lo, s8
	s_cbranch_execnz .LBB101_444
; %bb.445:
	s_or_b32 exec_lo, exec_lo, s8
.LBB101_446:
	s_or_b32 exec_lo, exec_lo, s6
	v_mov_b32_e32 v84, 0
	ds_read_b128 v[88:91], v84 offset:304
	s_waitcnt lgkmcnt(0)
	v_mul_f64 v[84:85], v[3:4], v[90:91]
	v_mul_f64 v[90:91], v[1:2], v[90:91]
	v_fma_f64 v[1:2], v[1:2], v[88:89], -v[84:85]
	v_fma_f64 v[3:4], v[3:4], v[88:89], v[90:91]
	buffer_store_dword v2, off, s[0:3], 0 offset:308
	buffer_store_dword v1, off, s[0:3], 0 offset:304
	;; [unrolled: 1-line block ×4, first 2 shown]
.LBB101_447:
	s_or_b32 exec_lo, exec_lo, s4
	v_mov_b32_e32 v4, s25
	s_mov_b32 s4, exec_lo
	s_clause 0x3
	buffer_load_dword v1, v4, s[0:3], 0 offen
	buffer_load_dword v2, v4, s[0:3], 0 offen offset:4
	buffer_load_dword v3, v4, s[0:3], 0 offen offset:8
	;; [unrolled: 1-line block ×3, first 2 shown]
	s_waitcnt vmcnt(0)
	ds_write_b128 v82, v[1:4]
	s_waitcnt lgkmcnt(0)
	s_waitcnt_vscnt null, 0x0
	s_barrier
	buffer_gl0_inv
	v_cmpx_gt_u32_e32 20, v0
	s_cbranch_execz .LBB101_455
; %bb.448:
	ds_read_b128 v[1:4], v82
	v_cmp_ne_u32_e32 vcc_lo, 1, v83
	s_cbranch_vccnz .LBB101_450
; %bb.449:
	s_clause 0x3
	buffer_load_dword v84, v81, s[0:3], 0 offen offset:8
	buffer_load_dword v85, v81, s[0:3], 0 offen offset:12
	buffer_load_dword v88, v81, s[0:3], 0 offen
	buffer_load_dword v89, v81, s[0:3], 0 offen offset:4
	s_waitcnt vmcnt(2) lgkmcnt(0)
	v_mul_f64 v[90:91], v[3:4], v[84:85]
	v_mul_f64 v[84:85], v[1:2], v[84:85]
	s_waitcnt vmcnt(0)
	v_fma_f64 v[1:2], v[1:2], v[88:89], -v[90:91]
	v_fma_f64 v[3:4], v[3:4], v[88:89], v[84:85]
.LBB101_450:
	s_mov_b32 s6, exec_lo
	v_cmpx_ne_u32_e32 19, v0
	s_cbranch_execz .LBB101_454
; %bb.451:
	v_add_nc_u32_e32 v84, 0x270, v87
	v_add3_u32 v85, 0, v87, 16
	v_mov_b32_e32 v86, v0
	s_mov_b32 s8, 0
	.p2align	6
.LBB101_452:                            ; =>This Inner Loop Header: Depth=1
	s_clause 0x3
	buffer_load_dword v92, v85, s[0:3], 0 offen offset:8
	buffer_load_dword v93, v85, s[0:3], 0 offen offset:12
	buffer_load_dword v94, v85, s[0:3], 0 offen
	buffer_load_dword v95, v85, s[0:3], 0 offen offset:4
	ds_read_b128 v[88:91], v84
	v_add_nc_u32_e32 v86, 1, v86
	v_add_nc_u32_e32 v84, 16, v84
	;; [unrolled: 1-line block ×3, first 2 shown]
	v_cmp_lt_u32_e32 vcc_lo, 18, v86
	s_or_b32 s8, vcc_lo, s8
	s_waitcnt vmcnt(2) lgkmcnt(0)
	v_mul_f64 v[96:97], v[90:91], v[92:93]
	v_mul_f64 v[92:93], v[88:89], v[92:93]
	s_waitcnt vmcnt(0)
	v_fma_f64 v[88:89], v[88:89], v[94:95], -v[96:97]
	v_fma_f64 v[90:91], v[90:91], v[94:95], v[92:93]
	v_add_f64 v[1:2], v[1:2], v[88:89]
	v_add_f64 v[3:4], v[3:4], v[90:91]
	s_andn2_b32 exec_lo, exec_lo, s8
	s_cbranch_execnz .LBB101_452
; %bb.453:
	s_or_b32 exec_lo, exec_lo, s8
.LBB101_454:
	s_or_b32 exec_lo, exec_lo, s6
	v_mov_b32_e32 v84, 0
	ds_read_b128 v[88:91], v84 offset:320
	s_waitcnt lgkmcnt(0)
	v_mul_f64 v[84:85], v[3:4], v[90:91]
	v_mul_f64 v[90:91], v[1:2], v[90:91]
	v_fma_f64 v[1:2], v[1:2], v[88:89], -v[84:85]
	v_fma_f64 v[3:4], v[3:4], v[88:89], v[90:91]
	buffer_store_dword v2, off, s[0:3], 0 offset:324
	buffer_store_dword v1, off, s[0:3], 0 offset:320
	;; [unrolled: 1-line block ×4, first 2 shown]
.LBB101_455:
	s_or_b32 exec_lo, exec_lo, s4
	v_mov_b32_e32 v4, s24
	s_mov_b32 s4, exec_lo
	s_clause 0x3
	buffer_load_dword v1, v4, s[0:3], 0 offen
	buffer_load_dword v2, v4, s[0:3], 0 offen offset:4
	buffer_load_dword v3, v4, s[0:3], 0 offen offset:8
	;; [unrolled: 1-line block ×3, first 2 shown]
	s_waitcnt vmcnt(0)
	ds_write_b128 v82, v[1:4]
	s_waitcnt lgkmcnt(0)
	s_waitcnt_vscnt null, 0x0
	s_barrier
	buffer_gl0_inv
	v_cmpx_gt_u32_e32 21, v0
	s_cbranch_execz .LBB101_463
; %bb.456:
	ds_read_b128 v[1:4], v82
	v_cmp_ne_u32_e32 vcc_lo, 1, v83
	s_cbranch_vccnz .LBB101_458
; %bb.457:
	s_clause 0x3
	buffer_load_dword v84, v81, s[0:3], 0 offen offset:8
	buffer_load_dword v85, v81, s[0:3], 0 offen offset:12
	buffer_load_dword v88, v81, s[0:3], 0 offen
	buffer_load_dword v89, v81, s[0:3], 0 offen offset:4
	s_waitcnt vmcnt(2) lgkmcnt(0)
	v_mul_f64 v[90:91], v[3:4], v[84:85]
	v_mul_f64 v[84:85], v[1:2], v[84:85]
	s_waitcnt vmcnt(0)
	v_fma_f64 v[1:2], v[1:2], v[88:89], -v[90:91]
	v_fma_f64 v[3:4], v[3:4], v[88:89], v[84:85]
.LBB101_458:
	s_mov_b32 s6, exec_lo
	v_cmpx_ne_u32_e32 20, v0
	s_cbranch_execz .LBB101_462
; %bb.459:
	v_add_nc_u32_e32 v84, 0x270, v87
	v_add3_u32 v85, 0, v87, 16
	v_mov_b32_e32 v86, v0
	s_mov_b32 s8, 0
	.p2align	6
.LBB101_460:                            ; =>This Inner Loop Header: Depth=1
	s_clause 0x3
	buffer_load_dword v92, v85, s[0:3], 0 offen offset:8
	buffer_load_dword v93, v85, s[0:3], 0 offen offset:12
	buffer_load_dword v94, v85, s[0:3], 0 offen
	buffer_load_dword v95, v85, s[0:3], 0 offen offset:4
	ds_read_b128 v[88:91], v84
	v_add_nc_u32_e32 v86, 1, v86
	v_add_nc_u32_e32 v84, 16, v84
	;; [unrolled: 1-line block ×3, first 2 shown]
	v_cmp_lt_u32_e32 vcc_lo, 19, v86
	s_or_b32 s8, vcc_lo, s8
	s_waitcnt vmcnt(2) lgkmcnt(0)
	v_mul_f64 v[96:97], v[90:91], v[92:93]
	v_mul_f64 v[92:93], v[88:89], v[92:93]
	s_waitcnt vmcnt(0)
	v_fma_f64 v[88:89], v[88:89], v[94:95], -v[96:97]
	v_fma_f64 v[90:91], v[90:91], v[94:95], v[92:93]
	v_add_f64 v[1:2], v[1:2], v[88:89]
	v_add_f64 v[3:4], v[3:4], v[90:91]
	s_andn2_b32 exec_lo, exec_lo, s8
	s_cbranch_execnz .LBB101_460
; %bb.461:
	s_or_b32 exec_lo, exec_lo, s8
.LBB101_462:
	s_or_b32 exec_lo, exec_lo, s6
	v_mov_b32_e32 v84, 0
	ds_read_b128 v[88:91], v84 offset:336
	s_waitcnt lgkmcnt(0)
	v_mul_f64 v[84:85], v[3:4], v[90:91]
	v_mul_f64 v[90:91], v[1:2], v[90:91]
	v_fma_f64 v[1:2], v[1:2], v[88:89], -v[84:85]
	v_fma_f64 v[3:4], v[3:4], v[88:89], v[90:91]
	buffer_store_dword v2, off, s[0:3], 0 offset:340
	buffer_store_dword v1, off, s[0:3], 0 offset:336
	;; [unrolled: 1-line block ×4, first 2 shown]
.LBB101_463:
	s_or_b32 exec_lo, exec_lo, s4
	v_mov_b32_e32 v4, s23
	s_mov_b32 s4, exec_lo
	s_clause 0x3
	buffer_load_dword v1, v4, s[0:3], 0 offen
	buffer_load_dword v2, v4, s[0:3], 0 offen offset:4
	buffer_load_dword v3, v4, s[0:3], 0 offen offset:8
	;; [unrolled: 1-line block ×3, first 2 shown]
	s_waitcnt vmcnt(0)
	ds_write_b128 v82, v[1:4]
	s_waitcnt lgkmcnt(0)
	s_waitcnt_vscnt null, 0x0
	s_barrier
	buffer_gl0_inv
	v_cmpx_gt_u32_e32 22, v0
	s_cbranch_execz .LBB101_471
; %bb.464:
	ds_read_b128 v[1:4], v82
	v_cmp_ne_u32_e32 vcc_lo, 1, v83
	s_cbranch_vccnz .LBB101_466
; %bb.465:
	s_clause 0x3
	buffer_load_dword v84, v81, s[0:3], 0 offen offset:8
	buffer_load_dword v85, v81, s[0:3], 0 offen offset:12
	buffer_load_dword v88, v81, s[0:3], 0 offen
	buffer_load_dword v89, v81, s[0:3], 0 offen offset:4
	s_waitcnt vmcnt(2) lgkmcnt(0)
	v_mul_f64 v[90:91], v[3:4], v[84:85]
	v_mul_f64 v[84:85], v[1:2], v[84:85]
	s_waitcnt vmcnt(0)
	v_fma_f64 v[1:2], v[1:2], v[88:89], -v[90:91]
	v_fma_f64 v[3:4], v[3:4], v[88:89], v[84:85]
.LBB101_466:
	s_mov_b32 s6, exec_lo
	v_cmpx_ne_u32_e32 21, v0
	s_cbranch_execz .LBB101_470
; %bb.467:
	v_add_nc_u32_e32 v84, 0x270, v87
	v_add3_u32 v85, 0, v87, 16
	v_mov_b32_e32 v86, v0
	s_mov_b32 s8, 0
	.p2align	6
.LBB101_468:                            ; =>This Inner Loop Header: Depth=1
	s_clause 0x3
	buffer_load_dword v92, v85, s[0:3], 0 offen offset:8
	buffer_load_dword v93, v85, s[0:3], 0 offen offset:12
	buffer_load_dword v94, v85, s[0:3], 0 offen
	buffer_load_dword v95, v85, s[0:3], 0 offen offset:4
	ds_read_b128 v[88:91], v84
	v_add_nc_u32_e32 v86, 1, v86
	v_add_nc_u32_e32 v84, 16, v84
	;; [unrolled: 1-line block ×3, first 2 shown]
	v_cmp_lt_u32_e32 vcc_lo, 20, v86
	s_or_b32 s8, vcc_lo, s8
	s_waitcnt vmcnt(2) lgkmcnt(0)
	v_mul_f64 v[96:97], v[90:91], v[92:93]
	v_mul_f64 v[92:93], v[88:89], v[92:93]
	s_waitcnt vmcnt(0)
	v_fma_f64 v[88:89], v[88:89], v[94:95], -v[96:97]
	v_fma_f64 v[90:91], v[90:91], v[94:95], v[92:93]
	v_add_f64 v[1:2], v[1:2], v[88:89]
	v_add_f64 v[3:4], v[3:4], v[90:91]
	s_andn2_b32 exec_lo, exec_lo, s8
	s_cbranch_execnz .LBB101_468
; %bb.469:
	s_or_b32 exec_lo, exec_lo, s8
.LBB101_470:
	s_or_b32 exec_lo, exec_lo, s6
	v_mov_b32_e32 v84, 0
	ds_read_b128 v[88:91], v84 offset:352
	s_waitcnt lgkmcnt(0)
	v_mul_f64 v[84:85], v[3:4], v[90:91]
	v_mul_f64 v[90:91], v[1:2], v[90:91]
	v_fma_f64 v[1:2], v[1:2], v[88:89], -v[84:85]
	v_fma_f64 v[3:4], v[3:4], v[88:89], v[90:91]
	buffer_store_dword v2, off, s[0:3], 0 offset:356
	buffer_store_dword v1, off, s[0:3], 0 offset:352
	;; [unrolled: 1-line block ×4, first 2 shown]
.LBB101_471:
	s_or_b32 exec_lo, exec_lo, s4
	v_mov_b32_e32 v4, s22
	s_mov_b32 s4, exec_lo
	s_clause 0x3
	buffer_load_dword v1, v4, s[0:3], 0 offen
	buffer_load_dword v2, v4, s[0:3], 0 offen offset:4
	buffer_load_dword v3, v4, s[0:3], 0 offen offset:8
	;; [unrolled: 1-line block ×3, first 2 shown]
	s_waitcnt vmcnt(0)
	ds_write_b128 v82, v[1:4]
	s_waitcnt lgkmcnt(0)
	s_waitcnt_vscnt null, 0x0
	s_barrier
	buffer_gl0_inv
	v_cmpx_gt_u32_e32 23, v0
	s_cbranch_execz .LBB101_479
; %bb.472:
	ds_read_b128 v[1:4], v82
	v_cmp_ne_u32_e32 vcc_lo, 1, v83
	s_cbranch_vccnz .LBB101_474
; %bb.473:
	s_clause 0x3
	buffer_load_dword v84, v81, s[0:3], 0 offen offset:8
	buffer_load_dword v85, v81, s[0:3], 0 offen offset:12
	buffer_load_dword v88, v81, s[0:3], 0 offen
	buffer_load_dword v89, v81, s[0:3], 0 offen offset:4
	s_waitcnt vmcnt(2) lgkmcnt(0)
	v_mul_f64 v[90:91], v[3:4], v[84:85]
	v_mul_f64 v[84:85], v[1:2], v[84:85]
	s_waitcnt vmcnt(0)
	v_fma_f64 v[1:2], v[1:2], v[88:89], -v[90:91]
	v_fma_f64 v[3:4], v[3:4], v[88:89], v[84:85]
.LBB101_474:
	s_mov_b32 s6, exec_lo
	v_cmpx_ne_u32_e32 22, v0
	s_cbranch_execz .LBB101_478
; %bb.475:
	v_add_nc_u32_e32 v84, 0x270, v87
	v_add3_u32 v85, 0, v87, 16
	v_mov_b32_e32 v86, v0
	s_mov_b32 s8, 0
	.p2align	6
.LBB101_476:                            ; =>This Inner Loop Header: Depth=1
	s_clause 0x3
	buffer_load_dword v92, v85, s[0:3], 0 offen offset:8
	buffer_load_dword v93, v85, s[0:3], 0 offen offset:12
	buffer_load_dword v94, v85, s[0:3], 0 offen
	buffer_load_dword v95, v85, s[0:3], 0 offen offset:4
	ds_read_b128 v[88:91], v84
	v_add_nc_u32_e32 v86, 1, v86
	v_add_nc_u32_e32 v84, 16, v84
	;; [unrolled: 1-line block ×3, first 2 shown]
	v_cmp_lt_u32_e32 vcc_lo, 21, v86
	s_or_b32 s8, vcc_lo, s8
	s_waitcnt vmcnt(2) lgkmcnt(0)
	v_mul_f64 v[96:97], v[90:91], v[92:93]
	v_mul_f64 v[92:93], v[88:89], v[92:93]
	s_waitcnt vmcnt(0)
	v_fma_f64 v[88:89], v[88:89], v[94:95], -v[96:97]
	v_fma_f64 v[90:91], v[90:91], v[94:95], v[92:93]
	v_add_f64 v[1:2], v[1:2], v[88:89]
	v_add_f64 v[3:4], v[3:4], v[90:91]
	s_andn2_b32 exec_lo, exec_lo, s8
	s_cbranch_execnz .LBB101_476
; %bb.477:
	s_or_b32 exec_lo, exec_lo, s8
.LBB101_478:
	s_or_b32 exec_lo, exec_lo, s6
	v_mov_b32_e32 v84, 0
	ds_read_b128 v[88:91], v84 offset:368
	s_waitcnt lgkmcnt(0)
	v_mul_f64 v[84:85], v[3:4], v[90:91]
	v_mul_f64 v[90:91], v[1:2], v[90:91]
	v_fma_f64 v[1:2], v[1:2], v[88:89], -v[84:85]
	v_fma_f64 v[3:4], v[3:4], v[88:89], v[90:91]
	buffer_store_dword v2, off, s[0:3], 0 offset:372
	buffer_store_dword v1, off, s[0:3], 0 offset:368
	;; [unrolled: 1-line block ×4, first 2 shown]
.LBB101_479:
	s_or_b32 exec_lo, exec_lo, s4
	v_mov_b32_e32 v4, s21
	s_mov_b32 s4, exec_lo
	s_clause 0x3
	buffer_load_dword v1, v4, s[0:3], 0 offen
	buffer_load_dword v2, v4, s[0:3], 0 offen offset:4
	buffer_load_dword v3, v4, s[0:3], 0 offen offset:8
	;; [unrolled: 1-line block ×3, first 2 shown]
	s_waitcnt vmcnt(0)
	ds_write_b128 v82, v[1:4]
	s_waitcnt lgkmcnt(0)
	s_waitcnt_vscnt null, 0x0
	s_barrier
	buffer_gl0_inv
	v_cmpx_gt_u32_e32 24, v0
	s_cbranch_execz .LBB101_487
; %bb.480:
	ds_read_b128 v[1:4], v82
	v_cmp_ne_u32_e32 vcc_lo, 1, v83
	s_cbranch_vccnz .LBB101_482
; %bb.481:
	s_clause 0x3
	buffer_load_dword v84, v81, s[0:3], 0 offen offset:8
	buffer_load_dword v85, v81, s[0:3], 0 offen offset:12
	buffer_load_dword v88, v81, s[0:3], 0 offen
	buffer_load_dword v89, v81, s[0:3], 0 offen offset:4
	s_waitcnt vmcnt(2) lgkmcnt(0)
	v_mul_f64 v[90:91], v[3:4], v[84:85]
	v_mul_f64 v[84:85], v[1:2], v[84:85]
	s_waitcnt vmcnt(0)
	v_fma_f64 v[1:2], v[1:2], v[88:89], -v[90:91]
	v_fma_f64 v[3:4], v[3:4], v[88:89], v[84:85]
.LBB101_482:
	s_mov_b32 s6, exec_lo
	v_cmpx_ne_u32_e32 23, v0
	s_cbranch_execz .LBB101_486
; %bb.483:
	v_add_nc_u32_e32 v84, 0x270, v87
	v_add3_u32 v85, 0, v87, 16
	v_mov_b32_e32 v86, v0
	s_mov_b32 s8, 0
	.p2align	6
.LBB101_484:                            ; =>This Inner Loop Header: Depth=1
	s_clause 0x3
	buffer_load_dword v92, v85, s[0:3], 0 offen offset:8
	buffer_load_dword v93, v85, s[0:3], 0 offen offset:12
	buffer_load_dword v94, v85, s[0:3], 0 offen
	buffer_load_dword v95, v85, s[0:3], 0 offen offset:4
	ds_read_b128 v[88:91], v84
	v_add_nc_u32_e32 v86, 1, v86
	v_add_nc_u32_e32 v84, 16, v84
	;; [unrolled: 1-line block ×3, first 2 shown]
	v_cmp_lt_u32_e32 vcc_lo, 22, v86
	s_or_b32 s8, vcc_lo, s8
	s_waitcnt vmcnt(2) lgkmcnt(0)
	v_mul_f64 v[96:97], v[90:91], v[92:93]
	v_mul_f64 v[92:93], v[88:89], v[92:93]
	s_waitcnt vmcnt(0)
	v_fma_f64 v[88:89], v[88:89], v[94:95], -v[96:97]
	v_fma_f64 v[90:91], v[90:91], v[94:95], v[92:93]
	v_add_f64 v[1:2], v[1:2], v[88:89]
	v_add_f64 v[3:4], v[3:4], v[90:91]
	s_andn2_b32 exec_lo, exec_lo, s8
	s_cbranch_execnz .LBB101_484
; %bb.485:
	s_or_b32 exec_lo, exec_lo, s8
.LBB101_486:
	s_or_b32 exec_lo, exec_lo, s6
	v_mov_b32_e32 v84, 0
	ds_read_b128 v[88:91], v84 offset:384
	s_waitcnt lgkmcnt(0)
	v_mul_f64 v[84:85], v[3:4], v[90:91]
	v_mul_f64 v[90:91], v[1:2], v[90:91]
	v_fma_f64 v[1:2], v[1:2], v[88:89], -v[84:85]
	v_fma_f64 v[3:4], v[3:4], v[88:89], v[90:91]
	buffer_store_dword v2, off, s[0:3], 0 offset:388
	buffer_store_dword v1, off, s[0:3], 0 offset:384
	buffer_store_dword v4, off, s[0:3], 0 offset:396
	buffer_store_dword v3, off, s[0:3], 0 offset:392
.LBB101_487:
	s_or_b32 exec_lo, exec_lo, s4
	v_mov_b32_e32 v4, s20
	s_mov_b32 s4, exec_lo
	s_clause 0x3
	buffer_load_dword v1, v4, s[0:3], 0 offen
	buffer_load_dword v2, v4, s[0:3], 0 offen offset:4
	buffer_load_dword v3, v4, s[0:3], 0 offen offset:8
	;; [unrolled: 1-line block ×3, first 2 shown]
	s_waitcnt vmcnt(0)
	ds_write_b128 v82, v[1:4]
	s_waitcnt lgkmcnt(0)
	s_waitcnt_vscnt null, 0x0
	s_barrier
	buffer_gl0_inv
	v_cmpx_gt_u32_e32 25, v0
	s_cbranch_execz .LBB101_495
; %bb.488:
	ds_read_b128 v[1:4], v82
	v_cmp_ne_u32_e32 vcc_lo, 1, v83
	s_cbranch_vccnz .LBB101_490
; %bb.489:
	s_clause 0x3
	buffer_load_dword v84, v81, s[0:3], 0 offen offset:8
	buffer_load_dword v85, v81, s[0:3], 0 offen offset:12
	buffer_load_dword v88, v81, s[0:3], 0 offen
	buffer_load_dword v89, v81, s[0:3], 0 offen offset:4
	s_waitcnt vmcnt(2) lgkmcnt(0)
	v_mul_f64 v[90:91], v[3:4], v[84:85]
	v_mul_f64 v[84:85], v[1:2], v[84:85]
	s_waitcnt vmcnt(0)
	v_fma_f64 v[1:2], v[1:2], v[88:89], -v[90:91]
	v_fma_f64 v[3:4], v[3:4], v[88:89], v[84:85]
.LBB101_490:
	s_mov_b32 s6, exec_lo
	v_cmpx_ne_u32_e32 24, v0
	s_cbranch_execz .LBB101_494
; %bb.491:
	v_add_nc_u32_e32 v84, 0x270, v87
	v_add3_u32 v85, 0, v87, 16
	v_mov_b32_e32 v86, v0
	s_mov_b32 s8, 0
	.p2align	6
.LBB101_492:                            ; =>This Inner Loop Header: Depth=1
	s_clause 0x3
	buffer_load_dword v92, v85, s[0:3], 0 offen offset:8
	buffer_load_dword v93, v85, s[0:3], 0 offen offset:12
	buffer_load_dword v94, v85, s[0:3], 0 offen
	buffer_load_dword v95, v85, s[0:3], 0 offen offset:4
	ds_read_b128 v[88:91], v84
	v_add_nc_u32_e32 v86, 1, v86
	v_add_nc_u32_e32 v84, 16, v84
	;; [unrolled: 1-line block ×3, first 2 shown]
	v_cmp_lt_u32_e32 vcc_lo, 23, v86
	s_or_b32 s8, vcc_lo, s8
	s_waitcnt vmcnt(2) lgkmcnt(0)
	v_mul_f64 v[96:97], v[90:91], v[92:93]
	v_mul_f64 v[92:93], v[88:89], v[92:93]
	s_waitcnt vmcnt(0)
	v_fma_f64 v[88:89], v[88:89], v[94:95], -v[96:97]
	v_fma_f64 v[90:91], v[90:91], v[94:95], v[92:93]
	v_add_f64 v[1:2], v[1:2], v[88:89]
	v_add_f64 v[3:4], v[3:4], v[90:91]
	s_andn2_b32 exec_lo, exec_lo, s8
	s_cbranch_execnz .LBB101_492
; %bb.493:
	s_or_b32 exec_lo, exec_lo, s8
.LBB101_494:
	s_or_b32 exec_lo, exec_lo, s6
	v_mov_b32_e32 v84, 0
	ds_read_b128 v[88:91], v84 offset:400
	s_waitcnt lgkmcnt(0)
	v_mul_f64 v[84:85], v[3:4], v[90:91]
	v_mul_f64 v[90:91], v[1:2], v[90:91]
	v_fma_f64 v[1:2], v[1:2], v[88:89], -v[84:85]
	v_fma_f64 v[3:4], v[3:4], v[88:89], v[90:91]
	buffer_store_dword v2, off, s[0:3], 0 offset:404
	buffer_store_dword v1, off, s[0:3], 0 offset:400
	;; [unrolled: 1-line block ×4, first 2 shown]
.LBB101_495:
	s_or_b32 exec_lo, exec_lo, s4
	v_mov_b32_e32 v4, s19
	s_mov_b32 s4, exec_lo
	s_clause 0x3
	buffer_load_dword v1, v4, s[0:3], 0 offen
	buffer_load_dword v2, v4, s[0:3], 0 offen offset:4
	buffer_load_dword v3, v4, s[0:3], 0 offen offset:8
	;; [unrolled: 1-line block ×3, first 2 shown]
	s_waitcnt vmcnt(0)
	ds_write_b128 v82, v[1:4]
	s_waitcnt lgkmcnt(0)
	s_waitcnt_vscnt null, 0x0
	s_barrier
	buffer_gl0_inv
	v_cmpx_gt_u32_e32 26, v0
	s_cbranch_execz .LBB101_503
; %bb.496:
	ds_read_b128 v[1:4], v82
	v_cmp_ne_u32_e32 vcc_lo, 1, v83
	s_cbranch_vccnz .LBB101_498
; %bb.497:
	s_clause 0x3
	buffer_load_dword v84, v81, s[0:3], 0 offen offset:8
	buffer_load_dword v85, v81, s[0:3], 0 offen offset:12
	buffer_load_dword v88, v81, s[0:3], 0 offen
	buffer_load_dword v89, v81, s[0:3], 0 offen offset:4
	s_waitcnt vmcnt(2) lgkmcnt(0)
	v_mul_f64 v[90:91], v[3:4], v[84:85]
	v_mul_f64 v[84:85], v[1:2], v[84:85]
	s_waitcnt vmcnt(0)
	v_fma_f64 v[1:2], v[1:2], v[88:89], -v[90:91]
	v_fma_f64 v[3:4], v[3:4], v[88:89], v[84:85]
.LBB101_498:
	s_mov_b32 s6, exec_lo
	v_cmpx_ne_u32_e32 25, v0
	s_cbranch_execz .LBB101_502
; %bb.499:
	v_add_nc_u32_e32 v84, 0x270, v87
	v_add3_u32 v85, 0, v87, 16
	v_mov_b32_e32 v86, v0
	s_mov_b32 s8, 0
	.p2align	6
.LBB101_500:                            ; =>This Inner Loop Header: Depth=1
	s_clause 0x3
	buffer_load_dword v92, v85, s[0:3], 0 offen offset:8
	buffer_load_dword v93, v85, s[0:3], 0 offen offset:12
	buffer_load_dword v94, v85, s[0:3], 0 offen
	buffer_load_dword v95, v85, s[0:3], 0 offen offset:4
	ds_read_b128 v[88:91], v84
	v_add_nc_u32_e32 v86, 1, v86
	v_add_nc_u32_e32 v84, 16, v84
	;; [unrolled: 1-line block ×3, first 2 shown]
	v_cmp_lt_u32_e32 vcc_lo, 24, v86
	s_or_b32 s8, vcc_lo, s8
	s_waitcnt vmcnt(2) lgkmcnt(0)
	v_mul_f64 v[96:97], v[90:91], v[92:93]
	v_mul_f64 v[92:93], v[88:89], v[92:93]
	s_waitcnt vmcnt(0)
	v_fma_f64 v[88:89], v[88:89], v[94:95], -v[96:97]
	v_fma_f64 v[90:91], v[90:91], v[94:95], v[92:93]
	v_add_f64 v[1:2], v[1:2], v[88:89]
	v_add_f64 v[3:4], v[3:4], v[90:91]
	s_andn2_b32 exec_lo, exec_lo, s8
	s_cbranch_execnz .LBB101_500
; %bb.501:
	s_or_b32 exec_lo, exec_lo, s8
.LBB101_502:
	s_or_b32 exec_lo, exec_lo, s6
	v_mov_b32_e32 v84, 0
	ds_read_b128 v[88:91], v84 offset:416
	s_waitcnt lgkmcnt(0)
	v_mul_f64 v[84:85], v[3:4], v[90:91]
	v_mul_f64 v[90:91], v[1:2], v[90:91]
	v_fma_f64 v[1:2], v[1:2], v[88:89], -v[84:85]
	v_fma_f64 v[3:4], v[3:4], v[88:89], v[90:91]
	buffer_store_dword v2, off, s[0:3], 0 offset:420
	buffer_store_dword v1, off, s[0:3], 0 offset:416
	buffer_store_dword v4, off, s[0:3], 0 offset:428
	buffer_store_dword v3, off, s[0:3], 0 offset:424
.LBB101_503:
	s_or_b32 exec_lo, exec_lo, s4
	v_mov_b32_e32 v4, s18
	s_mov_b32 s4, exec_lo
	s_clause 0x3
	buffer_load_dword v1, v4, s[0:3], 0 offen
	buffer_load_dword v2, v4, s[0:3], 0 offen offset:4
	buffer_load_dword v3, v4, s[0:3], 0 offen offset:8
	buffer_load_dword v4, v4, s[0:3], 0 offen offset:12
	s_waitcnt vmcnt(0)
	ds_write_b128 v82, v[1:4]
	s_waitcnt lgkmcnt(0)
	s_waitcnt_vscnt null, 0x0
	s_barrier
	buffer_gl0_inv
	v_cmpx_gt_u32_e32 27, v0
	s_cbranch_execz .LBB101_511
; %bb.504:
	ds_read_b128 v[1:4], v82
	v_cmp_ne_u32_e32 vcc_lo, 1, v83
	s_cbranch_vccnz .LBB101_506
; %bb.505:
	s_clause 0x3
	buffer_load_dword v84, v81, s[0:3], 0 offen offset:8
	buffer_load_dword v85, v81, s[0:3], 0 offen offset:12
	buffer_load_dword v88, v81, s[0:3], 0 offen
	buffer_load_dword v89, v81, s[0:3], 0 offen offset:4
	s_waitcnt vmcnt(2) lgkmcnt(0)
	v_mul_f64 v[90:91], v[3:4], v[84:85]
	v_mul_f64 v[84:85], v[1:2], v[84:85]
	s_waitcnt vmcnt(0)
	v_fma_f64 v[1:2], v[1:2], v[88:89], -v[90:91]
	v_fma_f64 v[3:4], v[3:4], v[88:89], v[84:85]
.LBB101_506:
	s_mov_b32 s6, exec_lo
	v_cmpx_ne_u32_e32 26, v0
	s_cbranch_execz .LBB101_510
; %bb.507:
	v_add_nc_u32_e32 v84, 0x270, v87
	v_add3_u32 v85, 0, v87, 16
	v_mov_b32_e32 v86, v0
	s_mov_b32 s8, 0
	.p2align	6
.LBB101_508:                            ; =>This Inner Loop Header: Depth=1
	s_clause 0x3
	buffer_load_dword v92, v85, s[0:3], 0 offen offset:8
	buffer_load_dword v93, v85, s[0:3], 0 offen offset:12
	buffer_load_dword v94, v85, s[0:3], 0 offen
	buffer_load_dword v95, v85, s[0:3], 0 offen offset:4
	ds_read_b128 v[88:91], v84
	v_add_nc_u32_e32 v86, 1, v86
	v_add_nc_u32_e32 v84, 16, v84
	;; [unrolled: 1-line block ×3, first 2 shown]
	v_cmp_lt_u32_e32 vcc_lo, 25, v86
	s_or_b32 s8, vcc_lo, s8
	s_waitcnt vmcnt(2) lgkmcnt(0)
	v_mul_f64 v[96:97], v[90:91], v[92:93]
	v_mul_f64 v[92:93], v[88:89], v[92:93]
	s_waitcnt vmcnt(0)
	v_fma_f64 v[88:89], v[88:89], v[94:95], -v[96:97]
	v_fma_f64 v[90:91], v[90:91], v[94:95], v[92:93]
	v_add_f64 v[1:2], v[1:2], v[88:89]
	v_add_f64 v[3:4], v[3:4], v[90:91]
	s_andn2_b32 exec_lo, exec_lo, s8
	s_cbranch_execnz .LBB101_508
; %bb.509:
	s_or_b32 exec_lo, exec_lo, s8
.LBB101_510:
	s_or_b32 exec_lo, exec_lo, s6
	v_mov_b32_e32 v84, 0
	ds_read_b128 v[88:91], v84 offset:432
	s_waitcnt lgkmcnt(0)
	v_mul_f64 v[84:85], v[3:4], v[90:91]
	v_mul_f64 v[90:91], v[1:2], v[90:91]
	v_fma_f64 v[1:2], v[1:2], v[88:89], -v[84:85]
	v_fma_f64 v[3:4], v[3:4], v[88:89], v[90:91]
	buffer_store_dword v2, off, s[0:3], 0 offset:436
	buffer_store_dword v1, off, s[0:3], 0 offset:432
	;; [unrolled: 1-line block ×4, first 2 shown]
.LBB101_511:
	s_or_b32 exec_lo, exec_lo, s4
	v_mov_b32_e32 v4, s17
	s_mov_b32 s4, exec_lo
	s_clause 0x3
	buffer_load_dword v1, v4, s[0:3], 0 offen
	buffer_load_dword v2, v4, s[0:3], 0 offen offset:4
	buffer_load_dword v3, v4, s[0:3], 0 offen offset:8
	;; [unrolled: 1-line block ×3, first 2 shown]
	s_waitcnt vmcnt(0)
	ds_write_b128 v82, v[1:4]
	s_waitcnt lgkmcnt(0)
	s_waitcnt_vscnt null, 0x0
	s_barrier
	buffer_gl0_inv
	v_cmpx_gt_u32_e32 28, v0
	s_cbranch_execz .LBB101_519
; %bb.512:
	ds_read_b128 v[1:4], v82
	v_cmp_ne_u32_e32 vcc_lo, 1, v83
	s_cbranch_vccnz .LBB101_514
; %bb.513:
	s_clause 0x3
	buffer_load_dword v84, v81, s[0:3], 0 offen offset:8
	buffer_load_dword v85, v81, s[0:3], 0 offen offset:12
	buffer_load_dword v88, v81, s[0:3], 0 offen
	buffer_load_dword v89, v81, s[0:3], 0 offen offset:4
	s_waitcnt vmcnt(2) lgkmcnt(0)
	v_mul_f64 v[90:91], v[3:4], v[84:85]
	v_mul_f64 v[84:85], v[1:2], v[84:85]
	s_waitcnt vmcnt(0)
	v_fma_f64 v[1:2], v[1:2], v[88:89], -v[90:91]
	v_fma_f64 v[3:4], v[3:4], v[88:89], v[84:85]
.LBB101_514:
	s_mov_b32 s6, exec_lo
	v_cmpx_ne_u32_e32 27, v0
	s_cbranch_execz .LBB101_518
; %bb.515:
	v_add_nc_u32_e32 v84, 0x270, v87
	v_add3_u32 v85, 0, v87, 16
	v_mov_b32_e32 v86, v0
	s_mov_b32 s8, 0
	.p2align	6
.LBB101_516:                            ; =>This Inner Loop Header: Depth=1
	s_clause 0x3
	buffer_load_dword v92, v85, s[0:3], 0 offen offset:8
	buffer_load_dword v93, v85, s[0:3], 0 offen offset:12
	buffer_load_dword v94, v85, s[0:3], 0 offen
	buffer_load_dword v95, v85, s[0:3], 0 offen offset:4
	ds_read_b128 v[88:91], v84
	v_add_nc_u32_e32 v86, 1, v86
	v_add_nc_u32_e32 v84, 16, v84
	;; [unrolled: 1-line block ×3, first 2 shown]
	v_cmp_lt_u32_e32 vcc_lo, 26, v86
	s_or_b32 s8, vcc_lo, s8
	s_waitcnt vmcnt(2) lgkmcnt(0)
	v_mul_f64 v[96:97], v[90:91], v[92:93]
	v_mul_f64 v[92:93], v[88:89], v[92:93]
	s_waitcnt vmcnt(0)
	v_fma_f64 v[88:89], v[88:89], v[94:95], -v[96:97]
	v_fma_f64 v[90:91], v[90:91], v[94:95], v[92:93]
	v_add_f64 v[1:2], v[1:2], v[88:89]
	v_add_f64 v[3:4], v[3:4], v[90:91]
	s_andn2_b32 exec_lo, exec_lo, s8
	s_cbranch_execnz .LBB101_516
; %bb.517:
	s_or_b32 exec_lo, exec_lo, s8
.LBB101_518:
	s_or_b32 exec_lo, exec_lo, s6
	v_mov_b32_e32 v84, 0
	ds_read_b128 v[88:91], v84 offset:448
	s_waitcnt lgkmcnt(0)
	v_mul_f64 v[84:85], v[3:4], v[90:91]
	v_mul_f64 v[90:91], v[1:2], v[90:91]
	v_fma_f64 v[1:2], v[1:2], v[88:89], -v[84:85]
	v_fma_f64 v[3:4], v[3:4], v[88:89], v[90:91]
	buffer_store_dword v2, off, s[0:3], 0 offset:452
	buffer_store_dword v1, off, s[0:3], 0 offset:448
	buffer_store_dword v4, off, s[0:3], 0 offset:460
	buffer_store_dword v3, off, s[0:3], 0 offset:456
.LBB101_519:
	s_or_b32 exec_lo, exec_lo, s4
	v_mov_b32_e32 v4, s16
	s_mov_b32 s4, exec_lo
	s_clause 0x3
	buffer_load_dword v1, v4, s[0:3], 0 offen
	buffer_load_dword v2, v4, s[0:3], 0 offen offset:4
	buffer_load_dword v3, v4, s[0:3], 0 offen offset:8
	;; [unrolled: 1-line block ×3, first 2 shown]
	s_waitcnt vmcnt(0)
	ds_write_b128 v82, v[1:4]
	s_waitcnt lgkmcnt(0)
	s_waitcnt_vscnt null, 0x0
	s_barrier
	buffer_gl0_inv
	v_cmpx_gt_u32_e32 29, v0
	s_cbranch_execz .LBB101_527
; %bb.520:
	ds_read_b128 v[1:4], v82
	v_cmp_ne_u32_e32 vcc_lo, 1, v83
	s_cbranch_vccnz .LBB101_522
; %bb.521:
	s_clause 0x3
	buffer_load_dword v84, v81, s[0:3], 0 offen offset:8
	buffer_load_dword v85, v81, s[0:3], 0 offen offset:12
	buffer_load_dword v88, v81, s[0:3], 0 offen
	buffer_load_dword v89, v81, s[0:3], 0 offen offset:4
	s_waitcnt vmcnt(2) lgkmcnt(0)
	v_mul_f64 v[90:91], v[3:4], v[84:85]
	v_mul_f64 v[84:85], v[1:2], v[84:85]
	s_waitcnt vmcnt(0)
	v_fma_f64 v[1:2], v[1:2], v[88:89], -v[90:91]
	v_fma_f64 v[3:4], v[3:4], v[88:89], v[84:85]
.LBB101_522:
	s_mov_b32 s6, exec_lo
	v_cmpx_ne_u32_e32 28, v0
	s_cbranch_execz .LBB101_526
; %bb.523:
	v_add_nc_u32_e32 v84, 0x270, v87
	v_add3_u32 v85, 0, v87, 16
	v_mov_b32_e32 v86, v0
	s_mov_b32 s8, 0
	.p2align	6
.LBB101_524:                            ; =>This Inner Loop Header: Depth=1
	s_clause 0x3
	buffer_load_dword v92, v85, s[0:3], 0 offen offset:8
	buffer_load_dword v93, v85, s[0:3], 0 offen offset:12
	buffer_load_dword v94, v85, s[0:3], 0 offen
	buffer_load_dword v95, v85, s[0:3], 0 offen offset:4
	ds_read_b128 v[88:91], v84
	v_add_nc_u32_e32 v86, 1, v86
	v_add_nc_u32_e32 v84, 16, v84
	;; [unrolled: 1-line block ×3, first 2 shown]
	v_cmp_lt_u32_e32 vcc_lo, 27, v86
	s_or_b32 s8, vcc_lo, s8
	s_waitcnt vmcnt(2) lgkmcnt(0)
	v_mul_f64 v[96:97], v[90:91], v[92:93]
	v_mul_f64 v[92:93], v[88:89], v[92:93]
	s_waitcnt vmcnt(0)
	v_fma_f64 v[88:89], v[88:89], v[94:95], -v[96:97]
	v_fma_f64 v[90:91], v[90:91], v[94:95], v[92:93]
	v_add_f64 v[1:2], v[1:2], v[88:89]
	v_add_f64 v[3:4], v[3:4], v[90:91]
	s_andn2_b32 exec_lo, exec_lo, s8
	s_cbranch_execnz .LBB101_524
; %bb.525:
	s_or_b32 exec_lo, exec_lo, s8
.LBB101_526:
	s_or_b32 exec_lo, exec_lo, s6
	v_mov_b32_e32 v84, 0
	ds_read_b128 v[88:91], v84 offset:464
	s_waitcnt lgkmcnt(0)
	v_mul_f64 v[84:85], v[3:4], v[90:91]
	v_mul_f64 v[90:91], v[1:2], v[90:91]
	v_fma_f64 v[1:2], v[1:2], v[88:89], -v[84:85]
	v_fma_f64 v[3:4], v[3:4], v[88:89], v[90:91]
	buffer_store_dword v2, off, s[0:3], 0 offset:468
	buffer_store_dword v1, off, s[0:3], 0 offset:464
	buffer_store_dword v4, off, s[0:3], 0 offset:476
	buffer_store_dword v3, off, s[0:3], 0 offset:472
.LBB101_527:
	s_or_b32 exec_lo, exec_lo, s4
	v_mov_b32_e32 v4, s15
	s_mov_b32 s4, exec_lo
	s_clause 0x3
	buffer_load_dword v1, v4, s[0:3], 0 offen
	buffer_load_dword v2, v4, s[0:3], 0 offen offset:4
	buffer_load_dword v3, v4, s[0:3], 0 offen offset:8
	buffer_load_dword v4, v4, s[0:3], 0 offen offset:12
	s_waitcnt vmcnt(0)
	ds_write_b128 v82, v[1:4]
	s_waitcnt lgkmcnt(0)
	s_waitcnt_vscnt null, 0x0
	s_barrier
	buffer_gl0_inv
	v_cmpx_gt_u32_e32 30, v0
	s_cbranch_execz .LBB101_535
; %bb.528:
	ds_read_b128 v[1:4], v82
	v_cmp_ne_u32_e32 vcc_lo, 1, v83
	s_cbranch_vccnz .LBB101_530
; %bb.529:
	s_clause 0x3
	buffer_load_dword v84, v81, s[0:3], 0 offen offset:8
	buffer_load_dword v85, v81, s[0:3], 0 offen offset:12
	buffer_load_dword v88, v81, s[0:3], 0 offen
	buffer_load_dword v89, v81, s[0:3], 0 offen offset:4
	s_waitcnt vmcnt(2) lgkmcnt(0)
	v_mul_f64 v[90:91], v[3:4], v[84:85]
	v_mul_f64 v[84:85], v[1:2], v[84:85]
	s_waitcnt vmcnt(0)
	v_fma_f64 v[1:2], v[1:2], v[88:89], -v[90:91]
	v_fma_f64 v[3:4], v[3:4], v[88:89], v[84:85]
.LBB101_530:
	s_mov_b32 s6, exec_lo
	v_cmpx_ne_u32_e32 29, v0
	s_cbranch_execz .LBB101_534
; %bb.531:
	v_add_nc_u32_e32 v84, 0x270, v87
	v_add3_u32 v85, 0, v87, 16
	v_mov_b32_e32 v86, v0
	s_mov_b32 s8, 0
	.p2align	6
.LBB101_532:                            ; =>This Inner Loop Header: Depth=1
	s_clause 0x3
	buffer_load_dword v92, v85, s[0:3], 0 offen offset:8
	buffer_load_dword v93, v85, s[0:3], 0 offen offset:12
	buffer_load_dword v94, v85, s[0:3], 0 offen
	buffer_load_dword v95, v85, s[0:3], 0 offen offset:4
	ds_read_b128 v[88:91], v84
	v_add_nc_u32_e32 v86, 1, v86
	v_add_nc_u32_e32 v84, 16, v84
	v_add_nc_u32_e32 v85, 16, v85
	v_cmp_lt_u32_e32 vcc_lo, 28, v86
	s_or_b32 s8, vcc_lo, s8
	s_waitcnt vmcnt(2) lgkmcnt(0)
	v_mul_f64 v[96:97], v[90:91], v[92:93]
	v_mul_f64 v[92:93], v[88:89], v[92:93]
	s_waitcnt vmcnt(0)
	v_fma_f64 v[88:89], v[88:89], v[94:95], -v[96:97]
	v_fma_f64 v[90:91], v[90:91], v[94:95], v[92:93]
	v_add_f64 v[1:2], v[1:2], v[88:89]
	v_add_f64 v[3:4], v[3:4], v[90:91]
	s_andn2_b32 exec_lo, exec_lo, s8
	s_cbranch_execnz .LBB101_532
; %bb.533:
	s_or_b32 exec_lo, exec_lo, s8
.LBB101_534:
	s_or_b32 exec_lo, exec_lo, s6
	v_mov_b32_e32 v84, 0
	ds_read_b128 v[88:91], v84 offset:480
	s_waitcnt lgkmcnt(0)
	v_mul_f64 v[84:85], v[3:4], v[90:91]
	v_mul_f64 v[90:91], v[1:2], v[90:91]
	v_fma_f64 v[1:2], v[1:2], v[88:89], -v[84:85]
	v_fma_f64 v[3:4], v[3:4], v[88:89], v[90:91]
	buffer_store_dword v2, off, s[0:3], 0 offset:484
	buffer_store_dword v1, off, s[0:3], 0 offset:480
	;; [unrolled: 1-line block ×4, first 2 shown]
.LBB101_535:
	s_or_b32 exec_lo, exec_lo, s4
	v_mov_b32_e32 v4, s14
	s_mov_b32 s4, exec_lo
	s_clause 0x3
	buffer_load_dword v1, v4, s[0:3], 0 offen
	buffer_load_dword v2, v4, s[0:3], 0 offen offset:4
	buffer_load_dword v3, v4, s[0:3], 0 offen offset:8
	;; [unrolled: 1-line block ×3, first 2 shown]
	s_waitcnt vmcnt(0)
	ds_write_b128 v82, v[1:4]
	s_waitcnt lgkmcnt(0)
	s_waitcnt_vscnt null, 0x0
	s_barrier
	buffer_gl0_inv
	v_cmpx_gt_u32_e32 31, v0
	s_cbranch_execz .LBB101_543
; %bb.536:
	ds_read_b128 v[1:4], v82
	v_cmp_ne_u32_e32 vcc_lo, 1, v83
	s_cbranch_vccnz .LBB101_538
; %bb.537:
	s_clause 0x3
	buffer_load_dword v84, v81, s[0:3], 0 offen offset:8
	buffer_load_dword v85, v81, s[0:3], 0 offen offset:12
	buffer_load_dword v88, v81, s[0:3], 0 offen
	buffer_load_dword v89, v81, s[0:3], 0 offen offset:4
	s_waitcnt vmcnt(2) lgkmcnt(0)
	v_mul_f64 v[90:91], v[3:4], v[84:85]
	v_mul_f64 v[84:85], v[1:2], v[84:85]
	s_waitcnt vmcnt(0)
	v_fma_f64 v[1:2], v[1:2], v[88:89], -v[90:91]
	v_fma_f64 v[3:4], v[3:4], v[88:89], v[84:85]
.LBB101_538:
	s_mov_b32 s6, exec_lo
	v_cmpx_ne_u32_e32 30, v0
	s_cbranch_execz .LBB101_542
; %bb.539:
	v_add_nc_u32_e32 v84, 0x270, v87
	v_add3_u32 v85, 0, v87, 16
	v_mov_b32_e32 v86, v0
	s_mov_b32 s8, 0
	.p2align	6
.LBB101_540:                            ; =>This Inner Loop Header: Depth=1
	s_clause 0x3
	buffer_load_dword v92, v85, s[0:3], 0 offen offset:8
	buffer_load_dword v93, v85, s[0:3], 0 offen offset:12
	buffer_load_dword v94, v85, s[0:3], 0 offen
	buffer_load_dword v95, v85, s[0:3], 0 offen offset:4
	ds_read_b128 v[88:91], v84
	v_add_nc_u32_e32 v86, 1, v86
	v_add_nc_u32_e32 v84, 16, v84
	;; [unrolled: 1-line block ×3, first 2 shown]
	v_cmp_lt_u32_e32 vcc_lo, 29, v86
	s_or_b32 s8, vcc_lo, s8
	s_waitcnt vmcnt(2) lgkmcnt(0)
	v_mul_f64 v[96:97], v[90:91], v[92:93]
	v_mul_f64 v[92:93], v[88:89], v[92:93]
	s_waitcnt vmcnt(0)
	v_fma_f64 v[88:89], v[88:89], v[94:95], -v[96:97]
	v_fma_f64 v[90:91], v[90:91], v[94:95], v[92:93]
	v_add_f64 v[1:2], v[1:2], v[88:89]
	v_add_f64 v[3:4], v[3:4], v[90:91]
	s_andn2_b32 exec_lo, exec_lo, s8
	s_cbranch_execnz .LBB101_540
; %bb.541:
	s_or_b32 exec_lo, exec_lo, s8
.LBB101_542:
	s_or_b32 exec_lo, exec_lo, s6
	v_mov_b32_e32 v84, 0
	ds_read_b128 v[88:91], v84 offset:496
	s_waitcnt lgkmcnt(0)
	v_mul_f64 v[84:85], v[3:4], v[90:91]
	v_mul_f64 v[90:91], v[1:2], v[90:91]
	v_fma_f64 v[1:2], v[1:2], v[88:89], -v[84:85]
	v_fma_f64 v[3:4], v[3:4], v[88:89], v[90:91]
	buffer_store_dword v2, off, s[0:3], 0 offset:500
	buffer_store_dword v1, off, s[0:3], 0 offset:496
	;; [unrolled: 1-line block ×4, first 2 shown]
.LBB101_543:
	s_or_b32 exec_lo, exec_lo, s4
	v_mov_b32_e32 v4, s13
	s_mov_b32 s4, exec_lo
	s_clause 0x3
	buffer_load_dword v1, v4, s[0:3], 0 offen
	buffer_load_dword v2, v4, s[0:3], 0 offen offset:4
	buffer_load_dword v3, v4, s[0:3], 0 offen offset:8
	;; [unrolled: 1-line block ×3, first 2 shown]
	s_waitcnt vmcnt(0)
	ds_write_b128 v82, v[1:4]
	s_waitcnt lgkmcnt(0)
	s_waitcnt_vscnt null, 0x0
	s_barrier
	buffer_gl0_inv
	v_cmpx_gt_u32_e32 32, v0
	s_cbranch_execz .LBB101_551
; %bb.544:
	ds_read_b128 v[1:4], v82
	v_cmp_ne_u32_e32 vcc_lo, 1, v83
	s_cbranch_vccnz .LBB101_546
; %bb.545:
	s_clause 0x3
	buffer_load_dword v84, v81, s[0:3], 0 offen offset:8
	buffer_load_dword v85, v81, s[0:3], 0 offen offset:12
	buffer_load_dword v88, v81, s[0:3], 0 offen
	buffer_load_dword v89, v81, s[0:3], 0 offen offset:4
	s_waitcnt vmcnt(2) lgkmcnt(0)
	v_mul_f64 v[90:91], v[3:4], v[84:85]
	v_mul_f64 v[84:85], v[1:2], v[84:85]
	s_waitcnt vmcnt(0)
	v_fma_f64 v[1:2], v[1:2], v[88:89], -v[90:91]
	v_fma_f64 v[3:4], v[3:4], v[88:89], v[84:85]
.LBB101_546:
	s_mov_b32 s6, exec_lo
	v_cmpx_ne_u32_e32 31, v0
	s_cbranch_execz .LBB101_550
; %bb.547:
	v_add_nc_u32_e32 v84, 0x270, v87
	v_add3_u32 v85, 0, v87, 16
	v_mov_b32_e32 v86, v0
	s_mov_b32 s8, 0
	.p2align	6
.LBB101_548:                            ; =>This Inner Loop Header: Depth=1
	s_clause 0x3
	buffer_load_dword v92, v85, s[0:3], 0 offen offset:8
	buffer_load_dword v93, v85, s[0:3], 0 offen offset:12
	buffer_load_dword v94, v85, s[0:3], 0 offen
	buffer_load_dword v95, v85, s[0:3], 0 offen offset:4
	ds_read_b128 v[88:91], v84
	v_add_nc_u32_e32 v86, 1, v86
	v_add_nc_u32_e32 v84, 16, v84
	;; [unrolled: 1-line block ×3, first 2 shown]
	v_cmp_lt_u32_e32 vcc_lo, 30, v86
	s_or_b32 s8, vcc_lo, s8
	s_waitcnt vmcnt(2) lgkmcnt(0)
	v_mul_f64 v[96:97], v[90:91], v[92:93]
	v_mul_f64 v[92:93], v[88:89], v[92:93]
	s_waitcnt vmcnt(0)
	v_fma_f64 v[88:89], v[88:89], v[94:95], -v[96:97]
	v_fma_f64 v[90:91], v[90:91], v[94:95], v[92:93]
	v_add_f64 v[1:2], v[1:2], v[88:89]
	v_add_f64 v[3:4], v[3:4], v[90:91]
	s_andn2_b32 exec_lo, exec_lo, s8
	s_cbranch_execnz .LBB101_548
; %bb.549:
	s_or_b32 exec_lo, exec_lo, s8
.LBB101_550:
	s_or_b32 exec_lo, exec_lo, s6
	v_mov_b32_e32 v84, 0
	ds_read_b128 v[88:91], v84 offset:512
	s_waitcnt lgkmcnt(0)
	v_mul_f64 v[84:85], v[3:4], v[90:91]
	v_mul_f64 v[90:91], v[1:2], v[90:91]
	v_fma_f64 v[1:2], v[1:2], v[88:89], -v[84:85]
	v_fma_f64 v[3:4], v[3:4], v[88:89], v[90:91]
	buffer_store_dword v2, off, s[0:3], 0 offset:516
	buffer_store_dword v1, off, s[0:3], 0 offset:512
	;; [unrolled: 1-line block ×4, first 2 shown]
.LBB101_551:
	s_or_b32 exec_lo, exec_lo, s4
	v_mov_b32_e32 v4, s12
	s_mov_b32 s4, exec_lo
	s_clause 0x3
	buffer_load_dword v1, v4, s[0:3], 0 offen
	buffer_load_dword v2, v4, s[0:3], 0 offen offset:4
	buffer_load_dword v3, v4, s[0:3], 0 offen offset:8
	buffer_load_dword v4, v4, s[0:3], 0 offen offset:12
	s_waitcnt vmcnt(0)
	ds_write_b128 v82, v[1:4]
	s_waitcnt lgkmcnt(0)
	s_waitcnt_vscnt null, 0x0
	s_barrier
	buffer_gl0_inv
	v_cmpx_gt_u32_e32 33, v0
	s_cbranch_execz .LBB101_559
; %bb.552:
	ds_read_b128 v[1:4], v82
	v_cmp_ne_u32_e32 vcc_lo, 1, v83
	s_cbranch_vccnz .LBB101_554
; %bb.553:
	s_clause 0x3
	buffer_load_dword v84, v81, s[0:3], 0 offen offset:8
	buffer_load_dword v85, v81, s[0:3], 0 offen offset:12
	buffer_load_dword v88, v81, s[0:3], 0 offen
	buffer_load_dword v89, v81, s[0:3], 0 offen offset:4
	s_waitcnt vmcnt(2) lgkmcnt(0)
	v_mul_f64 v[90:91], v[3:4], v[84:85]
	v_mul_f64 v[84:85], v[1:2], v[84:85]
	s_waitcnt vmcnt(0)
	v_fma_f64 v[1:2], v[1:2], v[88:89], -v[90:91]
	v_fma_f64 v[3:4], v[3:4], v[88:89], v[84:85]
.LBB101_554:
	s_mov_b32 s6, exec_lo
	v_cmpx_ne_u32_e32 32, v0
	s_cbranch_execz .LBB101_558
; %bb.555:
	v_add_nc_u32_e32 v84, 0x270, v87
	v_add3_u32 v85, 0, v87, 16
	v_mov_b32_e32 v86, v0
	s_mov_b32 s8, 0
	.p2align	6
.LBB101_556:                            ; =>This Inner Loop Header: Depth=1
	s_clause 0x3
	buffer_load_dword v92, v85, s[0:3], 0 offen offset:8
	buffer_load_dword v93, v85, s[0:3], 0 offen offset:12
	buffer_load_dword v94, v85, s[0:3], 0 offen
	buffer_load_dword v95, v85, s[0:3], 0 offen offset:4
	ds_read_b128 v[88:91], v84
	v_add_nc_u32_e32 v86, 1, v86
	v_add_nc_u32_e32 v84, 16, v84
	;; [unrolled: 1-line block ×3, first 2 shown]
	v_cmp_lt_u32_e32 vcc_lo, 31, v86
	s_or_b32 s8, vcc_lo, s8
	s_waitcnt vmcnt(2) lgkmcnt(0)
	v_mul_f64 v[96:97], v[90:91], v[92:93]
	v_mul_f64 v[92:93], v[88:89], v[92:93]
	s_waitcnt vmcnt(0)
	v_fma_f64 v[88:89], v[88:89], v[94:95], -v[96:97]
	v_fma_f64 v[90:91], v[90:91], v[94:95], v[92:93]
	v_add_f64 v[1:2], v[1:2], v[88:89]
	v_add_f64 v[3:4], v[3:4], v[90:91]
	s_andn2_b32 exec_lo, exec_lo, s8
	s_cbranch_execnz .LBB101_556
; %bb.557:
	s_or_b32 exec_lo, exec_lo, s8
.LBB101_558:
	s_or_b32 exec_lo, exec_lo, s6
	v_mov_b32_e32 v84, 0
	ds_read_b128 v[88:91], v84 offset:528
	s_waitcnt lgkmcnt(0)
	v_mul_f64 v[84:85], v[3:4], v[90:91]
	v_mul_f64 v[90:91], v[1:2], v[90:91]
	v_fma_f64 v[1:2], v[1:2], v[88:89], -v[84:85]
	v_fma_f64 v[3:4], v[3:4], v[88:89], v[90:91]
	buffer_store_dword v2, off, s[0:3], 0 offset:532
	buffer_store_dword v1, off, s[0:3], 0 offset:528
	;; [unrolled: 1-line block ×4, first 2 shown]
.LBB101_559:
	s_or_b32 exec_lo, exec_lo, s4
	v_mov_b32_e32 v4, s11
	s_mov_b32 s4, exec_lo
	s_clause 0x3
	buffer_load_dword v1, v4, s[0:3], 0 offen
	buffer_load_dword v2, v4, s[0:3], 0 offen offset:4
	buffer_load_dword v3, v4, s[0:3], 0 offen offset:8
	;; [unrolled: 1-line block ×3, first 2 shown]
	s_waitcnt vmcnt(0)
	ds_write_b128 v82, v[1:4]
	s_waitcnt lgkmcnt(0)
	s_waitcnt_vscnt null, 0x0
	s_barrier
	buffer_gl0_inv
	v_cmpx_gt_u32_e32 34, v0
	s_cbranch_execz .LBB101_567
; %bb.560:
	ds_read_b128 v[1:4], v82
	v_cmp_ne_u32_e32 vcc_lo, 1, v83
	s_cbranch_vccnz .LBB101_562
; %bb.561:
	s_clause 0x3
	buffer_load_dword v84, v81, s[0:3], 0 offen offset:8
	buffer_load_dword v85, v81, s[0:3], 0 offen offset:12
	buffer_load_dword v88, v81, s[0:3], 0 offen
	buffer_load_dword v89, v81, s[0:3], 0 offen offset:4
	s_waitcnt vmcnt(2) lgkmcnt(0)
	v_mul_f64 v[90:91], v[3:4], v[84:85]
	v_mul_f64 v[84:85], v[1:2], v[84:85]
	s_waitcnt vmcnt(0)
	v_fma_f64 v[1:2], v[1:2], v[88:89], -v[90:91]
	v_fma_f64 v[3:4], v[3:4], v[88:89], v[84:85]
.LBB101_562:
	s_mov_b32 s6, exec_lo
	v_cmpx_ne_u32_e32 33, v0
	s_cbranch_execz .LBB101_566
; %bb.563:
	v_add_nc_u32_e32 v84, 0x270, v87
	v_add3_u32 v85, 0, v87, 16
	v_mov_b32_e32 v86, v0
	s_mov_b32 s8, 0
	.p2align	6
.LBB101_564:                            ; =>This Inner Loop Header: Depth=1
	s_clause 0x3
	buffer_load_dword v92, v85, s[0:3], 0 offen offset:8
	buffer_load_dword v93, v85, s[0:3], 0 offen offset:12
	buffer_load_dword v94, v85, s[0:3], 0 offen
	buffer_load_dword v95, v85, s[0:3], 0 offen offset:4
	ds_read_b128 v[88:91], v84
	v_add_nc_u32_e32 v86, 1, v86
	v_add_nc_u32_e32 v84, 16, v84
	;; [unrolled: 1-line block ×3, first 2 shown]
	v_cmp_lt_u32_e32 vcc_lo, 32, v86
	s_or_b32 s8, vcc_lo, s8
	s_waitcnt vmcnt(2) lgkmcnt(0)
	v_mul_f64 v[96:97], v[90:91], v[92:93]
	v_mul_f64 v[92:93], v[88:89], v[92:93]
	s_waitcnt vmcnt(0)
	v_fma_f64 v[88:89], v[88:89], v[94:95], -v[96:97]
	v_fma_f64 v[90:91], v[90:91], v[94:95], v[92:93]
	v_add_f64 v[1:2], v[1:2], v[88:89]
	v_add_f64 v[3:4], v[3:4], v[90:91]
	s_andn2_b32 exec_lo, exec_lo, s8
	s_cbranch_execnz .LBB101_564
; %bb.565:
	s_or_b32 exec_lo, exec_lo, s8
.LBB101_566:
	s_or_b32 exec_lo, exec_lo, s6
	v_mov_b32_e32 v84, 0
	ds_read_b128 v[88:91], v84 offset:544
	s_waitcnt lgkmcnt(0)
	v_mul_f64 v[84:85], v[3:4], v[90:91]
	v_mul_f64 v[90:91], v[1:2], v[90:91]
	v_fma_f64 v[1:2], v[1:2], v[88:89], -v[84:85]
	v_fma_f64 v[3:4], v[3:4], v[88:89], v[90:91]
	buffer_store_dword v2, off, s[0:3], 0 offset:548
	buffer_store_dword v1, off, s[0:3], 0 offset:544
	;; [unrolled: 1-line block ×4, first 2 shown]
.LBB101_567:
	s_or_b32 exec_lo, exec_lo, s4
	v_mov_b32_e32 v4, s10
	s_mov_b32 s4, exec_lo
	s_clause 0x3
	buffer_load_dword v1, v4, s[0:3], 0 offen
	buffer_load_dword v2, v4, s[0:3], 0 offen offset:4
	buffer_load_dword v3, v4, s[0:3], 0 offen offset:8
	;; [unrolled: 1-line block ×3, first 2 shown]
	s_waitcnt vmcnt(0)
	ds_write_b128 v82, v[1:4]
	s_waitcnt lgkmcnt(0)
	s_waitcnt_vscnt null, 0x0
	s_barrier
	buffer_gl0_inv
	v_cmpx_gt_u32_e32 35, v0
	s_cbranch_execz .LBB101_575
; %bb.568:
	ds_read_b128 v[1:4], v82
	v_cmp_ne_u32_e32 vcc_lo, 1, v83
	s_cbranch_vccnz .LBB101_570
; %bb.569:
	s_clause 0x3
	buffer_load_dword v84, v81, s[0:3], 0 offen offset:8
	buffer_load_dword v85, v81, s[0:3], 0 offen offset:12
	buffer_load_dword v88, v81, s[0:3], 0 offen
	buffer_load_dword v89, v81, s[0:3], 0 offen offset:4
	s_waitcnt vmcnt(2) lgkmcnt(0)
	v_mul_f64 v[90:91], v[3:4], v[84:85]
	v_mul_f64 v[84:85], v[1:2], v[84:85]
	s_waitcnt vmcnt(0)
	v_fma_f64 v[1:2], v[1:2], v[88:89], -v[90:91]
	v_fma_f64 v[3:4], v[3:4], v[88:89], v[84:85]
.LBB101_570:
	s_mov_b32 s6, exec_lo
	v_cmpx_ne_u32_e32 34, v0
	s_cbranch_execz .LBB101_574
; %bb.571:
	v_add_nc_u32_e32 v84, 0x270, v87
	v_add3_u32 v85, 0, v87, 16
	v_mov_b32_e32 v86, v0
	s_mov_b32 s8, 0
	.p2align	6
.LBB101_572:                            ; =>This Inner Loop Header: Depth=1
	s_clause 0x3
	buffer_load_dword v92, v85, s[0:3], 0 offen offset:8
	buffer_load_dword v93, v85, s[0:3], 0 offen offset:12
	buffer_load_dword v94, v85, s[0:3], 0 offen
	buffer_load_dword v95, v85, s[0:3], 0 offen offset:4
	ds_read_b128 v[88:91], v84
	v_add_nc_u32_e32 v86, 1, v86
	v_add_nc_u32_e32 v84, 16, v84
	v_add_nc_u32_e32 v85, 16, v85
	v_cmp_lt_u32_e32 vcc_lo, 33, v86
	s_or_b32 s8, vcc_lo, s8
	s_waitcnt vmcnt(2) lgkmcnt(0)
	v_mul_f64 v[96:97], v[90:91], v[92:93]
	v_mul_f64 v[92:93], v[88:89], v[92:93]
	s_waitcnt vmcnt(0)
	v_fma_f64 v[88:89], v[88:89], v[94:95], -v[96:97]
	v_fma_f64 v[90:91], v[90:91], v[94:95], v[92:93]
	v_add_f64 v[1:2], v[1:2], v[88:89]
	v_add_f64 v[3:4], v[3:4], v[90:91]
	s_andn2_b32 exec_lo, exec_lo, s8
	s_cbranch_execnz .LBB101_572
; %bb.573:
	s_or_b32 exec_lo, exec_lo, s8
.LBB101_574:
	s_or_b32 exec_lo, exec_lo, s6
	v_mov_b32_e32 v84, 0
	ds_read_b128 v[88:91], v84 offset:560
	s_waitcnt lgkmcnt(0)
	v_mul_f64 v[84:85], v[3:4], v[90:91]
	v_mul_f64 v[90:91], v[1:2], v[90:91]
	v_fma_f64 v[1:2], v[1:2], v[88:89], -v[84:85]
	v_fma_f64 v[3:4], v[3:4], v[88:89], v[90:91]
	buffer_store_dword v2, off, s[0:3], 0 offset:564
	buffer_store_dword v1, off, s[0:3], 0 offset:560
	;; [unrolled: 1-line block ×4, first 2 shown]
.LBB101_575:
	s_or_b32 exec_lo, exec_lo, s4
	v_mov_b32_e32 v4, s9
	v_cmp_gt_u32_e64 s4, 36, v0
	s_clause 0x3
	buffer_load_dword v1, v4, s[0:3], 0 offen
	buffer_load_dword v2, v4, s[0:3], 0 offen offset:4
	buffer_load_dword v3, v4, s[0:3], 0 offen offset:8
	;; [unrolled: 1-line block ×3, first 2 shown]
	s_waitcnt vmcnt(0)
	ds_write_b128 v82, v[1:4]
	s_waitcnt lgkmcnt(0)
	s_waitcnt_vscnt null, 0x0
	s_barrier
	buffer_gl0_inv
	s_and_saveexec_b32 s6, s4
	s_cbranch_execz .LBB101_583
; %bb.576:
	ds_read_b128 v[1:4], v82
	v_cmp_ne_u32_e32 vcc_lo, 1, v83
	s_cbranch_vccnz .LBB101_578
; %bb.577:
	s_clause 0x3
	buffer_load_dword v84, v81, s[0:3], 0 offen offset:8
	buffer_load_dword v85, v81, s[0:3], 0 offen offset:12
	buffer_load_dword v88, v81, s[0:3], 0 offen
	buffer_load_dword v89, v81, s[0:3], 0 offen offset:4
	s_waitcnt vmcnt(2) lgkmcnt(0)
	v_mul_f64 v[90:91], v[3:4], v[84:85]
	v_mul_f64 v[84:85], v[1:2], v[84:85]
	s_waitcnt vmcnt(0)
	v_fma_f64 v[1:2], v[1:2], v[88:89], -v[90:91]
	v_fma_f64 v[3:4], v[3:4], v[88:89], v[84:85]
.LBB101_578:
	s_mov_b32 s8, exec_lo
	v_cmpx_ne_u32_e32 35, v0
	s_cbranch_execz .LBB101_582
; %bb.579:
	v_add_nc_u32_e32 v84, 0x270, v87
	v_add3_u32 v85, 0, v87, 16
	v_mov_b32_e32 v86, v0
	s_mov_b32 s46, 0
	.p2align	6
.LBB101_580:                            ; =>This Inner Loop Header: Depth=1
	s_clause 0x3
	buffer_load_dword v92, v85, s[0:3], 0 offen offset:8
	buffer_load_dword v93, v85, s[0:3], 0 offen offset:12
	buffer_load_dword v94, v85, s[0:3], 0 offen
	buffer_load_dword v95, v85, s[0:3], 0 offen offset:4
	ds_read_b128 v[88:91], v84
	v_add_nc_u32_e32 v86, 1, v86
	v_add_nc_u32_e32 v84, 16, v84
	;; [unrolled: 1-line block ×3, first 2 shown]
	v_cmp_lt_u32_e32 vcc_lo, 34, v86
	s_or_b32 s46, vcc_lo, s46
	s_waitcnt vmcnt(2) lgkmcnt(0)
	v_mul_f64 v[96:97], v[90:91], v[92:93]
	v_mul_f64 v[92:93], v[88:89], v[92:93]
	s_waitcnt vmcnt(0)
	v_fma_f64 v[88:89], v[88:89], v[94:95], -v[96:97]
	v_fma_f64 v[90:91], v[90:91], v[94:95], v[92:93]
	v_add_f64 v[1:2], v[1:2], v[88:89]
	v_add_f64 v[3:4], v[3:4], v[90:91]
	s_andn2_b32 exec_lo, exec_lo, s46
	s_cbranch_execnz .LBB101_580
; %bb.581:
	s_or_b32 exec_lo, exec_lo, s46
.LBB101_582:
	s_or_b32 exec_lo, exec_lo, s8
	v_mov_b32_e32 v84, 0
	ds_read_b128 v[88:91], v84 offset:576
	s_waitcnt lgkmcnt(0)
	v_mul_f64 v[84:85], v[3:4], v[90:91]
	v_mul_f64 v[90:91], v[1:2], v[90:91]
	v_fma_f64 v[1:2], v[1:2], v[88:89], -v[84:85]
	v_fma_f64 v[3:4], v[3:4], v[88:89], v[90:91]
	buffer_store_dword v2, off, s[0:3], 0 offset:580
	buffer_store_dword v1, off, s[0:3], 0 offset:576
	;; [unrolled: 1-line block ×4, first 2 shown]
.LBB101_583:
	s_or_b32 exec_lo, exec_lo, s6
	v_mov_b32_e32 v4, s7
	s_mov_b32 s6, exec_lo
                                        ; implicit-def: $sgpr47
	s_clause 0x3
	buffer_load_dword v1, v4, s[0:3], 0 offen
	buffer_load_dword v2, v4, s[0:3], 0 offen offset:4
	buffer_load_dword v3, v4, s[0:3], 0 offen offset:8
	;; [unrolled: 1-line block ×3, first 2 shown]
	s_waitcnt vmcnt(0)
	ds_write_b128 v82, v[1:4]
	s_waitcnt lgkmcnt(0)
	s_waitcnt_vscnt null, 0x0
	s_barrier
	buffer_gl0_inv
                                        ; implicit-def: $vgpr1_vgpr2
	v_cmpx_ne_u32_e32 37, v0
	s_cbranch_execz .LBB101_591
; %bb.584:
	ds_read_b128 v[1:4], v82
	v_cmp_ne_u32_e32 vcc_lo, 1, v83
	s_cbranch_vccnz .LBB101_586
; %bb.585:
	s_clause 0x3
	buffer_load_dword v82, v81, s[0:3], 0 offen offset:8
	buffer_load_dword v83, v81, s[0:3], 0 offen offset:12
	buffer_load_dword v84, v81, s[0:3], 0 offen
	buffer_load_dword v85, v81, s[0:3], 0 offen offset:4
	s_waitcnt vmcnt(2) lgkmcnt(0)
	v_mul_f64 v[88:89], v[3:4], v[82:83]
	v_mul_f64 v[81:82], v[1:2], v[82:83]
	s_waitcnt vmcnt(0)
	v_fma_f64 v[1:2], v[1:2], v[84:85], -v[88:89]
	v_fma_f64 v[3:4], v[3:4], v[84:85], v[81:82]
.LBB101_586:
	s_and_saveexec_b32 s8, s4
	s_cbranch_execz .LBB101_590
; %bb.587:
	v_add_nc_u32_e32 v81, 0x270, v87
	v_add3_u32 v82, 0, v87, 16
	s_mov_b32 s4, 0
	.p2align	6
.LBB101_588:                            ; =>This Inner Loop Header: Depth=1
	s_clause 0x3
	buffer_load_dword v87, v82, s[0:3], 0 offen offset:8
	buffer_load_dword v88, v82, s[0:3], 0 offen offset:12
	buffer_load_dword v89, v82, s[0:3], 0 offen
	buffer_load_dword v90, v82, s[0:3], 0 offen offset:4
	ds_read_b128 v[83:86], v81
	v_add_nc_u32_e32 v0, 1, v0
	v_add_nc_u32_e32 v81, 16, v81
	;; [unrolled: 1-line block ×3, first 2 shown]
	v_cmp_lt_u32_e32 vcc_lo, 35, v0
	s_or_b32 s4, vcc_lo, s4
	s_waitcnt vmcnt(2) lgkmcnt(0)
	v_mul_f64 v[91:92], v[85:86], v[87:88]
	v_mul_f64 v[87:88], v[83:84], v[87:88]
	s_waitcnt vmcnt(0)
	v_fma_f64 v[83:84], v[83:84], v[89:90], -v[91:92]
	v_fma_f64 v[85:86], v[85:86], v[89:90], v[87:88]
	v_add_f64 v[1:2], v[1:2], v[83:84]
	v_add_f64 v[3:4], v[3:4], v[85:86]
	s_andn2_b32 exec_lo, exec_lo, s4
	s_cbranch_execnz .LBB101_588
; %bb.589:
	s_or_b32 exec_lo, exec_lo, s4
.LBB101_590:
	s_or_b32 exec_lo, exec_lo, s8
	v_mov_b32_e32 v0, 0
	s_movk_i32 s47, 0x258
	s_or_b32 s5, s5, exec_lo
	ds_read_b128 v[81:84], v0 offset:592
	s_waitcnt lgkmcnt(0)
	v_mul_f64 v[85:86], v[3:4], v[83:84]
	v_mul_f64 v[83:84], v[1:2], v[83:84]
	v_fma_f64 v[85:86], v[1:2], v[81:82], -v[85:86]
	v_fma_f64 v[1:2], v[3:4], v[81:82], v[83:84]
	buffer_store_dword v86, off, s[0:3], 0 offset:596
	buffer_store_dword v85, off, s[0:3], 0 offset:592
.LBB101_591:
	s_or_b32 exec_lo, exec_lo, s6
.LBB101_592:
	s_and_saveexec_b32 s4, s5
	s_cbranch_execz .LBB101_594
; %bb.593:
	v_mov_b32_e32 v0, s47
	buffer_store_dword v2, v0, s[0:3], 0 offen offset:4
	buffer_store_dword v1, v0, s[0:3], 0 offen
.LBB101_594:
	s_or_b32 exec_lo, exec_lo, s4
	s_clause 0x3
	buffer_load_dword v0, off, s[0:3], 0
	buffer_load_dword v1, off, s[0:3], 0 offset:4
	buffer_load_dword v2, off, s[0:3], 0 offset:8
	;; [unrolled: 1-line block ×3, first 2 shown]
	v_mov_b32_e32 v4, s45
	s_waitcnt vmcnt(0)
	flat_store_dwordx4 v[5:6], v[0:3]
	s_clause 0x3
	buffer_load_dword v0, v4, s[0:3], 0 offen
	buffer_load_dword v1, v4, s[0:3], 0 offen offset:4
	buffer_load_dword v2, v4, s[0:3], 0 offen offset:8
	buffer_load_dword v3, v4, s[0:3], 0 offen offset:12
	v_mov_b32_e32 v4, s44
	s_waitcnt vmcnt(0)
	flat_store_dwordx4 v[59:60], v[0:3]
	s_clause 0x3
	buffer_load_dword v0, v4, s[0:3], 0 offen
	buffer_load_dword v1, v4, s[0:3], 0 offen offset:4
	buffer_load_dword v2, v4, s[0:3], 0 offen offset:8
	buffer_load_dword v3, v4, s[0:3], 0 offen offset:12
	;; [unrolled: 8-line block ×37, first 2 shown]
	s_waitcnt vmcnt(0)
	flat_store_dwordx4 v[79:80], v[0:3]
.LBB101_595:
	s_endpgm
	.section	.rodata,"a",@progbits
	.p2align	6, 0x0
	.amdhsa_kernel _ZN9rocsolver6v33100L18trti2_kernel_smallILi38E19rocblas_complex_numIdEPKPS3_EEv13rocblas_fill_17rocblas_diagonal_T1_iil
		.amdhsa_group_segment_fixed_size 1216
		.amdhsa_private_segment_fixed_size 624
		.amdhsa_kernarg_size 32
		.amdhsa_user_sgpr_count 6
		.amdhsa_user_sgpr_private_segment_buffer 1
		.amdhsa_user_sgpr_dispatch_ptr 0
		.amdhsa_user_sgpr_queue_ptr 0
		.amdhsa_user_sgpr_kernarg_segment_ptr 1
		.amdhsa_user_sgpr_dispatch_id 0
		.amdhsa_user_sgpr_flat_scratch_init 0
		.amdhsa_user_sgpr_private_segment_size 0
		.amdhsa_wavefront_size32 1
		.amdhsa_uses_dynamic_stack 0
		.amdhsa_system_sgpr_private_segment_wavefront_offset 1
		.amdhsa_system_sgpr_workgroup_id_x 1
		.amdhsa_system_sgpr_workgroup_id_y 0
		.amdhsa_system_sgpr_workgroup_id_z 0
		.amdhsa_system_sgpr_workgroup_info 0
		.amdhsa_system_vgpr_workitem_id 0
		.amdhsa_next_free_vgpr 98
		.amdhsa_next_free_sgpr 62
		.amdhsa_reserve_vcc 1
		.amdhsa_reserve_flat_scratch 0
		.amdhsa_float_round_mode_32 0
		.amdhsa_float_round_mode_16_64 0
		.amdhsa_float_denorm_mode_32 3
		.amdhsa_float_denorm_mode_16_64 3
		.amdhsa_dx10_clamp 1
		.amdhsa_ieee_mode 1
		.amdhsa_fp16_overflow 0
		.amdhsa_workgroup_processor_mode 1
		.amdhsa_memory_ordered 1
		.amdhsa_forward_progress 1
		.amdhsa_shared_vgpr_count 0
		.amdhsa_exception_fp_ieee_invalid_op 0
		.amdhsa_exception_fp_denorm_src 0
		.amdhsa_exception_fp_ieee_div_zero 0
		.amdhsa_exception_fp_ieee_overflow 0
		.amdhsa_exception_fp_ieee_underflow 0
		.amdhsa_exception_fp_ieee_inexact 0
		.amdhsa_exception_int_div_zero 0
	.end_amdhsa_kernel
	.section	.text._ZN9rocsolver6v33100L18trti2_kernel_smallILi38E19rocblas_complex_numIdEPKPS3_EEv13rocblas_fill_17rocblas_diagonal_T1_iil,"axG",@progbits,_ZN9rocsolver6v33100L18trti2_kernel_smallILi38E19rocblas_complex_numIdEPKPS3_EEv13rocblas_fill_17rocblas_diagonal_T1_iil,comdat
.Lfunc_end101:
	.size	_ZN9rocsolver6v33100L18trti2_kernel_smallILi38E19rocblas_complex_numIdEPKPS3_EEv13rocblas_fill_17rocblas_diagonal_T1_iil, .Lfunc_end101-_ZN9rocsolver6v33100L18trti2_kernel_smallILi38E19rocblas_complex_numIdEPKPS3_EEv13rocblas_fill_17rocblas_diagonal_T1_iil
                                        ; -- End function
	.set _ZN9rocsolver6v33100L18trti2_kernel_smallILi38E19rocblas_complex_numIdEPKPS3_EEv13rocblas_fill_17rocblas_diagonal_T1_iil.num_vgpr, 98
	.set _ZN9rocsolver6v33100L18trti2_kernel_smallILi38E19rocblas_complex_numIdEPKPS3_EEv13rocblas_fill_17rocblas_diagonal_T1_iil.num_agpr, 0
	.set _ZN9rocsolver6v33100L18trti2_kernel_smallILi38E19rocblas_complex_numIdEPKPS3_EEv13rocblas_fill_17rocblas_diagonal_T1_iil.numbered_sgpr, 62
	.set _ZN9rocsolver6v33100L18trti2_kernel_smallILi38E19rocblas_complex_numIdEPKPS3_EEv13rocblas_fill_17rocblas_diagonal_T1_iil.num_named_barrier, 0
	.set _ZN9rocsolver6v33100L18trti2_kernel_smallILi38E19rocblas_complex_numIdEPKPS3_EEv13rocblas_fill_17rocblas_diagonal_T1_iil.private_seg_size, 624
	.set _ZN9rocsolver6v33100L18trti2_kernel_smallILi38E19rocblas_complex_numIdEPKPS3_EEv13rocblas_fill_17rocblas_diagonal_T1_iil.uses_vcc, 1
	.set _ZN9rocsolver6v33100L18trti2_kernel_smallILi38E19rocblas_complex_numIdEPKPS3_EEv13rocblas_fill_17rocblas_diagonal_T1_iil.uses_flat_scratch, 0
	.set _ZN9rocsolver6v33100L18trti2_kernel_smallILi38E19rocblas_complex_numIdEPKPS3_EEv13rocblas_fill_17rocblas_diagonal_T1_iil.has_dyn_sized_stack, 0
	.set _ZN9rocsolver6v33100L18trti2_kernel_smallILi38E19rocblas_complex_numIdEPKPS3_EEv13rocblas_fill_17rocblas_diagonal_T1_iil.has_recursion, 0
	.set _ZN9rocsolver6v33100L18trti2_kernel_smallILi38E19rocblas_complex_numIdEPKPS3_EEv13rocblas_fill_17rocblas_diagonal_T1_iil.has_indirect_call, 0
	.section	.AMDGPU.csdata,"",@progbits
; Kernel info:
; codeLenInByte = 38572
; TotalNumSgprs: 64
; NumVgprs: 98
; ScratchSize: 624
; MemoryBound: 0
; FloatMode: 240
; IeeeMode: 1
; LDSByteSize: 1216 bytes/workgroup (compile time only)
; SGPRBlocks: 0
; VGPRBlocks: 12
; NumSGPRsForWavesPerEU: 64
; NumVGPRsForWavesPerEU: 98
; Occupancy: 9
; WaveLimiterHint : 1
; COMPUTE_PGM_RSRC2:SCRATCH_EN: 1
; COMPUTE_PGM_RSRC2:USER_SGPR: 6
; COMPUTE_PGM_RSRC2:TRAP_HANDLER: 0
; COMPUTE_PGM_RSRC2:TGID_X_EN: 1
; COMPUTE_PGM_RSRC2:TGID_Y_EN: 0
; COMPUTE_PGM_RSRC2:TGID_Z_EN: 0
; COMPUTE_PGM_RSRC2:TIDIG_COMP_CNT: 0
	.section	.text._ZN9rocsolver6v33100L18trti2_kernel_smallILi39E19rocblas_complex_numIdEPKPS3_EEv13rocblas_fill_17rocblas_diagonal_T1_iil,"axG",@progbits,_ZN9rocsolver6v33100L18trti2_kernel_smallILi39E19rocblas_complex_numIdEPKPS3_EEv13rocblas_fill_17rocblas_diagonal_T1_iil,comdat
	.globl	_ZN9rocsolver6v33100L18trti2_kernel_smallILi39E19rocblas_complex_numIdEPKPS3_EEv13rocblas_fill_17rocblas_diagonal_T1_iil ; -- Begin function _ZN9rocsolver6v33100L18trti2_kernel_smallILi39E19rocblas_complex_numIdEPKPS3_EEv13rocblas_fill_17rocblas_diagonal_T1_iil
	.p2align	8
	.type	_ZN9rocsolver6v33100L18trti2_kernel_smallILi39E19rocblas_complex_numIdEPKPS3_EEv13rocblas_fill_17rocblas_diagonal_T1_iil,@function
_ZN9rocsolver6v33100L18trti2_kernel_smallILi39E19rocblas_complex_numIdEPKPS3_EEv13rocblas_fill_17rocblas_diagonal_T1_iil: ; @_ZN9rocsolver6v33100L18trti2_kernel_smallILi39E19rocblas_complex_numIdEPKPS3_EEv13rocblas_fill_17rocblas_diagonal_T1_iil
; %bb.0:
	s_add_u32 s0, s0, s7
	s_addc_u32 s1, s1, 0
	s_mov_b32 s7, exec_lo
	v_cmpx_gt_u32_e32 39, v0
	s_cbranch_execz .LBB102_611
; %bb.1:
	s_clause 0x1
	s_load_dwordx2 s[12:13], s[4:5], 0x10
	s_load_dwordx4 s[8:11], s[4:5], 0x0
	s_ashr_i32 s7, s6, 31
	v_lshlrev_b32_e32 v89, 4, v0
	s_lshl_b64 s[4:5], s[6:7], 3
	s_movk_i32 s14, 0xd0
	s_movk_i32 s15, 0xe0
	s_movk_i32 s16, 0xf0
	s_movk_i32 s17, 0x100
	s_movk_i32 s18, 0x110
	s_movk_i32 s19, 0x120
	s_movk_i32 s20, 0x130
	s_movk_i32 s21, 0x140
	s_movk_i32 s22, 0x150
	s_movk_i32 s23, 0x160
	s_movk_i32 s47, 0x170
	s_movk_i32 s48, 0x180
	s_movk_i32 s49, 0x190
	s_movk_i32 s50, 0x1a0
	s_movk_i32 s51, 0x1b0
	s_waitcnt lgkmcnt(0)
	s_ashr_i32 s7, s12, 31
	s_add_u32 s4, s10, s4
	s_addc_u32 s5, s11, s5
	s_mov_b32 s6, s12
	s_load_dwordx2 s[4:5], s[4:5], 0x0
	s_lshl_b64 s[6:7], s[6:7], 4
	v_add3_u32 v7, s13, s13, v0
	s_movk_i32 s10, 0x90
	s_movk_i32 s11, 0xa0
	;; [unrolled: 1-line block ×4, first 2 shown]
	v_ashrrev_i32_e32 v8, 31, v7
	s_movk_i32 s53, 0x1d0
	s_movk_i32 s54, 0x1e0
	s_movk_i32 s55, 0x1f0
	s_movk_i32 s56, 0x200
	v_lshlrev_b64 v[8:9], 4, v[7:8]
	v_add_nc_u32_e32 v7, s13, v7
	s_movk_i32 s57, 0x210
	s_movk_i32 s58, 0x220
	;; [unrolled: 1-line block ×6, first 2 shown]
	s_waitcnt lgkmcnt(0)
	s_add_u32 s6, s4, s6
	s_addc_u32 s7, s5, s7
	v_add_co_u32 v5, s4, s6, v89
	v_add_co_ci_u32_e64 v6, null, s7, 0, s4
	s_mov_b32 s4, s13
	s_ashr_i32 s5, s13, 31
	s_lshl_b64 s[4:5], s[4:5], 4
	flat_load_dwordx4 v[1:4], v[5:6]
	v_add_co_u32 v59, vcc_lo, v5, s4
	v_add_co_ci_u32_e64 v60, null, s5, v6, vcc_lo
	v_add_co_u32 v57, vcc_lo, s6, v8
	v_add_co_ci_u32_e64 v58, null, s7, v9, vcc_lo
	v_ashrrev_i32_e32 v8, 31, v7
	s_cmpk_lg_i32 s9, 0x84
	s_movk_i32 s4, 0x50
	s_movk_i32 s5, 0x60
	s_cselect_b32 s46, -1, 0
	v_lshlrev_b64 v[8:9], 4, v[7:8]
	v_add_nc_u32_e32 v7, s13, v7
	s_cmpk_eq_i32 s9, 0x84
	s_waitcnt vmcnt(0) lgkmcnt(0)
	buffer_store_dword v4, off, s[0:3], 0 offset:12
	buffer_store_dword v3, off, s[0:3], 0 offset:8
	;; [unrolled: 1-line block ×3, first 2 shown]
	buffer_store_dword v1, off, s[0:3], 0
	flat_load_dwordx4 v[1:4], v[59:60]
	v_add_co_u32 v55, vcc_lo, s6, v8
	v_add_co_ci_u32_e64 v56, null, s7, v9, vcc_lo
	v_ashrrev_i32_e32 v8, 31, v7
	s_waitcnt vmcnt(0) lgkmcnt(0)
	buffer_store_dword v4, off, s[0:3], 0 offset:28
	buffer_store_dword v3, off, s[0:3], 0 offset:24
	;; [unrolled: 1-line block ×4, first 2 shown]
	flat_load_dwordx4 v[1:4], v[57:58]
	v_lshlrev_b64 v[8:9], 4, v[7:8]
	v_add_nc_u32_e32 v7, s13, v7
	s_waitcnt vmcnt(0) lgkmcnt(0)
	buffer_store_dword v4, off, s[0:3], 0 offset:44
	buffer_store_dword v3, off, s[0:3], 0 offset:40
	;; [unrolled: 1-line block ×4, first 2 shown]
	flat_load_dwordx4 v[1:4], v[55:56]
	v_add_co_u32 v53, vcc_lo, s6, v8
	v_add_co_ci_u32_e64 v54, null, s7, v9, vcc_lo
	v_ashrrev_i32_e32 v8, 31, v7
	s_waitcnt vmcnt(0) lgkmcnt(0)
	buffer_store_dword v4, off, s[0:3], 0 offset:60
	buffer_store_dword v3, off, s[0:3], 0 offset:56
	;; [unrolled: 1-line block ×4, first 2 shown]
	flat_load_dwordx4 v[1:4], v[53:54]
	v_lshlrev_b64 v[8:9], 4, v[7:8]
	v_add_nc_u32_e32 v7, s13, v7
	s_waitcnt vmcnt(0) lgkmcnt(0)
	buffer_store_dword v4, off, s[0:3], 0 offset:76
	buffer_store_dword v3, off, s[0:3], 0 offset:72
	;; [unrolled: 1-line block ×4, first 2 shown]
	v_add_co_u32 v49, vcc_lo, s6, v8
	v_add_co_ci_u32_e64 v50, null, s7, v9, vcc_lo
	v_ashrrev_i32_e32 v8, 31, v7
	flat_load_dwordx4 v[1:4], v[49:50]
	s_waitcnt vmcnt(0) lgkmcnt(0)
	buffer_store_dword v4, off, s[0:3], 0 offset:92
	buffer_store_dword v3, off, s[0:3], 0 offset:88
	buffer_store_dword v2, off, s[0:3], 0 offset:84
	buffer_store_dword v1, off, s[0:3], 0 offset:80
	v_lshlrev_b64 v[8:9], 4, v[7:8]
	v_add_nc_u32_e32 v7, s13, v7
	v_add_co_u32 v47, vcc_lo, s6, v8
	v_add_co_ci_u32_e64 v48, null, s7, v9, vcc_lo
	v_ashrrev_i32_e32 v8, 31, v7
	flat_load_dwordx4 v[1:4], v[47:48]
	s_waitcnt vmcnt(0) lgkmcnt(0)
	buffer_store_dword v4, off, s[0:3], 0 offset:108
	buffer_store_dword v3, off, s[0:3], 0 offset:104
	buffer_store_dword v2, off, s[0:3], 0 offset:100
	buffer_store_dword v1, off, s[0:3], 0 offset:96
	v_lshlrev_b64 v[8:9], 4, v[7:8]
	v_add_nc_u32_e32 v7, s13, v7
	;; [unrolled: 11-line block ×18, first 2 shown]
	v_add_co_u32 v11, vcc_lo, s6, v8
	v_add_co_ci_u32_e64 v12, null, s7, v9, vcc_lo
	v_ashrrev_i32_e32 v8, 31, v7
	v_add_nc_u32_e32 v33, s13, v7
	flat_load_dwordx4 v[1:4], v[11:12]
	s_waitcnt vmcnt(0) lgkmcnt(0)
	buffer_store_dword v4, off, s[0:3], 0 offset:380
	buffer_store_dword v3, off, s[0:3], 0 offset:376
	;; [unrolled: 1-line block ×4, first 2 shown]
	v_lshlrev_b64 v[9:10], 4, v[7:8]
	v_ashrrev_i32_e32 v34, 31, v33
	v_add_nc_u32_e32 v51, s13, v33
	v_add_co_u32 v9, vcc_lo, s6, v9
	v_add_co_ci_u32_e64 v10, null, s7, v10, vcc_lo
	v_lshlrev_b64 v[7:8], 4, v[33:34]
	v_ashrrev_i32_e32 v52, 31, v51
	v_add_nc_u32_e32 v61, s13, v51
	flat_load_dwordx4 v[1:4], v[9:10]
	s_waitcnt vmcnt(0) lgkmcnt(0)
	buffer_store_dword v4, off, s[0:3], 0 offset:396
	buffer_store_dword v3, off, s[0:3], 0 offset:392
	buffer_store_dword v2, off, s[0:3], 0 offset:388
	buffer_store_dword v1, off, s[0:3], 0 offset:384
	v_add_co_u32 v7, vcc_lo, s6, v7
	v_add_co_ci_u32_e64 v8, null, s7, v8, vcc_lo
	v_lshlrev_b64 v[33:34], 4, v[51:52]
	v_ashrrev_i32_e32 v62, 31, v61
	v_add_nc_u32_e32 v63, s13, v61
	flat_load_dwordx4 v[1:4], v[7:8]
	s_waitcnt vmcnt(0) lgkmcnt(0)
	buffer_store_dword v4, off, s[0:3], 0 offset:412
	buffer_store_dword v3, off, s[0:3], 0 offset:408
	buffer_store_dword v2, off, s[0:3], 0 offset:404
	buffer_store_dword v1, off, s[0:3], 0 offset:400
	;; [unrolled: 11-line block ×11, first 2 shown]
	v_add_co_u32 v75, vcc_lo, s6, v75
	v_add_co_ci_u32_e64 v76, null, s7, v76, vcc_lo
	v_lshlrev_b64 v[77:78], 4, v[79:80]
	v_ashrrev_i32_e32 v82, 31, v81
	flat_load_dwordx4 v[1:4], v[75:76]
	s_waitcnt vmcnt(0) lgkmcnt(0)
	buffer_store_dword v4, off, s[0:3], 0 offset:572
	buffer_store_dword v3, off, s[0:3], 0 offset:568
	;; [unrolled: 1-line block ×4, first 2 shown]
	v_add_co_u32 v77, vcc_lo, s6, v77
	v_add_co_ci_u32_e64 v78, null, s7, v78, vcc_lo
	v_lshlrev_b64 v[79:80], 4, v[81:82]
	v_add_nc_u32_e32 v81, s13, v81
	s_movk_i32 s13, 0xc0
	flat_load_dwordx4 v[1:4], v[77:78]
	s_waitcnt vmcnt(0) lgkmcnt(0)
	buffer_store_dword v4, off, s[0:3], 0 offset:588
	buffer_store_dword v3, off, s[0:3], 0 offset:584
	;; [unrolled: 1-line block ×4, first 2 shown]
	v_add_co_u32 v79, vcc_lo, s6, v79
	v_add_co_ci_u32_e64 v80, null, s7, v80, vcc_lo
	v_ashrrev_i32_e32 v82, 31, v81
	flat_load_dwordx4 v[1:4], v[79:80]
	s_waitcnt vmcnt(0) lgkmcnt(0)
	buffer_store_dword v4, off, s[0:3], 0 offset:604
	buffer_store_dword v3, off, s[0:3], 0 offset:600
	;; [unrolled: 1-line block ×4, first 2 shown]
	v_lshlrev_b64 v[81:82], 4, v[81:82]
	v_add_co_u32 v81, vcc_lo, s6, v81
	v_add_co_ci_u32_e64 v82, null, s7, v82, vcc_lo
	s_movk_i32 s6, 0x70
	s_movk_i32 s7, 0x80
	flat_load_dwordx4 v[1:4], v[81:82]
	s_waitcnt vmcnt(0) lgkmcnt(0)
	buffer_store_dword v4, off, s[0:3], 0 offset:620
	buffer_store_dword v3, off, s[0:3], 0 offset:616
	;; [unrolled: 1-line block ×4, first 2 shown]
	s_cbranch_scc1 .LBB102_7
; %bb.2:
	v_lshl_add_u32 v90, v0, 4, 0
                                        ; implicit-def: $vgpr85_vgpr86
                                        ; implicit-def: $vgpr3_vgpr4
	s_clause 0x3
	buffer_load_dword v83, v90, s[0:3], 0 offen
	buffer_load_dword v84, v90, s[0:3], 0 offen offset:4
	buffer_load_dword v87, v90, s[0:3], 0 offen offset:8
	;; [unrolled: 1-line block ×3, first 2 shown]
	s_waitcnt vmcnt(0)
	v_cmp_ngt_f64_e64 s9, |v[83:84]|, |v[87:88]|
	s_and_saveexec_b32 s24, s9
	s_xor_b32 s9, exec_lo, s24
	s_cbranch_execz .LBB102_4
; %bb.3:
	v_div_scale_f64 v[1:2], null, v[87:88], v[87:88], v[83:84]
	v_div_scale_f64 v[91:92], vcc_lo, v[83:84], v[87:88], v[83:84]
	v_rcp_f64_e32 v[3:4], v[1:2]
	v_fma_f64 v[85:86], -v[1:2], v[3:4], 1.0
	v_fma_f64 v[3:4], v[3:4], v[85:86], v[3:4]
	v_fma_f64 v[85:86], -v[1:2], v[3:4], 1.0
	v_fma_f64 v[3:4], v[3:4], v[85:86], v[3:4]
	v_mul_f64 v[85:86], v[91:92], v[3:4]
	v_fma_f64 v[1:2], -v[1:2], v[85:86], v[91:92]
	v_div_fmas_f64 v[1:2], v[1:2], v[3:4], v[85:86]
	v_div_fixup_f64 v[1:2], v[1:2], v[87:88], v[83:84]
	v_fma_f64 v[3:4], v[83:84], v[1:2], v[87:88]
	v_div_scale_f64 v[83:84], null, v[3:4], v[3:4], 1.0
	v_div_scale_f64 v[91:92], vcc_lo, 1.0, v[3:4], 1.0
	v_rcp_f64_e32 v[85:86], v[83:84]
	v_fma_f64 v[87:88], -v[83:84], v[85:86], 1.0
	v_fma_f64 v[85:86], v[85:86], v[87:88], v[85:86]
	v_fma_f64 v[87:88], -v[83:84], v[85:86], 1.0
	v_fma_f64 v[85:86], v[85:86], v[87:88], v[85:86]
	v_mul_f64 v[87:88], v[91:92], v[85:86]
	v_fma_f64 v[83:84], -v[83:84], v[87:88], v[91:92]
	v_div_fmas_f64 v[83:84], v[83:84], v[85:86], v[87:88]
                                        ; implicit-def: $vgpr87_vgpr88
	v_div_fixup_f64 v[3:4], v[83:84], v[3:4], 1.0
                                        ; implicit-def: $vgpr83_vgpr84
	v_mul_f64 v[85:86], v[1:2], v[3:4]
	v_xor_b32_e32 v4, 0x80000000, v4
	v_xor_b32_e32 v2, 0x80000000, v86
	v_mov_b32_e32 v1, v85
.LBB102_4:
	s_andn2_saveexec_b32 s9, s9
	s_cbranch_execz .LBB102_6
; %bb.5:
	v_div_scale_f64 v[1:2], null, v[83:84], v[83:84], v[87:88]
	v_div_scale_f64 v[91:92], vcc_lo, v[87:88], v[83:84], v[87:88]
	v_rcp_f64_e32 v[3:4], v[1:2]
	v_fma_f64 v[85:86], -v[1:2], v[3:4], 1.0
	v_fma_f64 v[3:4], v[3:4], v[85:86], v[3:4]
	v_fma_f64 v[85:86], -v[1:2], v[3:4], 1.0
	v_fma_f64 v[3:4], v[3:4], v[85:86], v[3:4]
	v_mul_f64 v[85:86], v[91:92], v[3:4]
	v_fma_f64 v[1:2], -v[1:2], v[85:86], v[91:92]
	v_div_fmas_f64 v[1:2], v[1:2], v[3:4], v[85:86]
	v_div_fixup_f64 v[1:2], v[1:2], v[83:84], v[87:88]
	v_fma_f64 v[3:4], v[87:88], v[1:2], v[83:84]
	v_div_scale_f64 v[83:84], null, v[3:4], v[3:4], 1.0
	v_rcp_f64_e32 v[85:86], v[83:84]
	v_fma_f64 v[87:88], -v[83:84], v[85:86], 1.0
	v_fma_f64 v[85:86], v[85:86], v[87:88], v[85:86]
	v_fma_f64 v[87:88], -v[83:84], v[85:86], 1.0
	v_fma_f64 v[85:86], v[85:86], v[87:88], v[85:86]
	v_div_scale_f64 v[87:88], vcc_lo, 1.0, v[3:4], 1.0
	v_mul_f64 v[91:92], v[87:88], v[85:86]
	v_fma_f64 v[83:84], -v[83:84], v[91:92], v[87:88]
	v_div_fmas_f64 v[83:84], v[83:84], v[85:86], v[91:92]
	v_div_fixup_f64 v[85:86], v[83:84], v[3:4], 1.0
	v_mul_f64 v[3:4], v[1:2], -v[85:86]
	v_xor_b32_e32 v2, 0x80000000, v86
	v_mov_b32_e32 v1, v85
.LBB102_6:
	s_or_b32 exec_lo, exec_lo, s9
	buffer_store_dword v4, v90, s[0:3], 0 offen offset:12
	v_xor_b32_e32 v4, 0x80000000, v4
	buffer_store_dword v86, v90, s[0:3], 0 offen offset:4
	buffer_store_dword v85, v90, s[0:3], 0 offen
	buffer_store_dword v3, v90, s[0:3], 0 offen offset:8
	s_branch .LBB102_8
.LBB102_7:
	v_mov_b32_e32 v1, 0
	v_mov_b32_e32 v3, 0
	;; [unrolled: 1-line block ×4, first 2 shown]
.LBB102_8:
	v_add_nc_u32_e32 v84, 0x270, v89
	v_mov_b32_e32 v83, v89
	s_mov_b32 s45, 16
	s_mov_b32 s44, 32
	;; [unrolled: 1-line block ×37, first 2 shown]
	s_cmpk_eq_i32 s8, 0x79
	ds_write_b128 v89, v[1:4]
	s_cbranch_scc1 .LBB102_308
; %bb.9:
	v_mov_b32_e32 v4, s7
	v_cmp_eq_u32_e64 s4, 38, v0
	s_clause 0x3
	buffer_load_dword v1, v4, s[0:3], 0 offen
	buffer_load_dword v2, v4, s[0:3], 0 offen offset:4
	buffer_load_dword v3, v4, s[0:3], 0 offen offset:8
	buffer_load_dword v4, v4, s[0:3], 0 offen offset:12
	s_waitcnt vmcnt(0)
	ds_write_b128 v84, v[1:4]
	s_waitcnt lgkmcnt(0)
	s_waitcnt_vscnt null, 0x0
	s_barrier
	buffer_gl0_inv
	s_and_saveexec_b32 s5, s4
	s_cbranch_execz .LBB102_13
; %bb.10:
	ds_read_b128 v[1:4], v84
	s_andn2_b32 vcc_lo, exec_lo, s46
	s_cbranch_vccnz .LBB102_12
; %bb.11:
	s_clause 0x3
	buffer_load_dword v85, v83, s[0:3], 0 offen offset:8
	buffer_load_dword v86, v83, s[0:3], 0 offen offset:12
	buffer_load_dword v87, v83, s[0:3], 0 offen
	buffer_load_dword v88, v83, s[0:3], 0 offen offset:4
	s_waitcnt vmcnt(2) lgkmcnt(0)
	v_mul_f64 v[90:91], v[3:4], v[85:86]
	v_mul_f64 v[85:86], v[1:2], v[85:86]
	s_waitcnt vmcnt(0)
	v_fma_f64 v[1:2], v[1:2], v[87:88], -v[90:91]
	v_fma_f64 v[3:4], v[3:4], v[87:88], v[85:86]
.LBB102_12:
	v_mov_b32_e32 v85, 0
	ds_read_b128 v[85:88], v85 offset:592
	s_waitcnt lgkmcnt(0)
	v_mul_f64 v[90:91], v[3:4], v[87:88]
	v_mul_f64 v[87:88], v[1:2], v[87:88]
	v_fma_f64 v[1:2], v[1:2], v[85:86], -v[90:91]
	v_fma_f64 v[3:4], v[3:4], v[85:86], v[87:88]
	buffer_store_dword v2, off, s[0:3], 0 offset:596
	buffer_store_dword v1, off, s[0:3], 0 offset:592
	;; [unrolled: 1-line block ×4, first 2 shown]
.LBB102_13:
	s_or_b32 exec_lo, exec_lo, s5
	v_mov_b32_e32 v4, s9
	v_cmp_lt_u32_e64 s5, 36, v0
	s_clause 0x3
	buffer_load_dword v1, v4, s[0:3], 0 offen
	buffer_load_dword v2, v4, s[0:3], 0 offen offset:4
	buffer_load_dword v3, v4, s[0:3], 0 offen offset:8
	;; [unrolled: 1-line block ×3, first 2 shown]
	s_waitcnt vmcnt(0)
	ds_write_b128 v84, v[1:4]
	s_waitcnt lgkmcnt(0)
	s_waitcnt_vscnt null, 0x0
	s_barrier
	buffer_gl0_inv
	s_and_saveexec_b32 s8, s5
	s_cbranch_execz .LBB102_19
; %bb.14:
	ds_read_b128 v[1:4], v84
	s_andn2_b32 vcc_lo, exec_lo, s46
	s_cbranch_vccnz .LBB102_16
; %bb.15:
	s_clause 0x3
	buffer_load_dword v85, v83, s[0:3], 0 offen offset:8
	buffer_load_dword v86, v83, s[0:3], 0 offen offset:12
	buffer_load_dword v87, v83, s[0:3], 0 offen
	buffer_load_dword v88, v83, s[0:3], 0 offen offset:4
	s_waitcnt vmcnt(2) lgkmcnt(0)
	v_mul_f64 v[90:91], v[3:4], v[85:86]
	v_mul_f64 v[85:86], v[1:2], v[85:86]
	s_waitcnt vmcnt(0)
	v_fma_f64 v[1:2], v[1:2], v[87:88], -v[90:91]
	v_fma_f64 v[3:4], v[3:4], v[87:88], v[85:86]
.LBB102_16:
	s_and_saveexec_b32 s47, s4
	s_cbranch_execz .LBB102_18
; %bb.17:
	s_clause 0x3
	buffer_load_dword v90, off, s[0:3], 0 offset:600
	buffer_load_dword v91, off, s[0:3], 0 offset:604
	;; [unrolled: 1-line block ×4, first 2 shown]
	v_mov_b32_e32 v85, 0
	ds_read_b128 v[85:88], v85 offset:1216
	s_waitcnt vmcnt(2) lgkmcnt(0)
	v_mul_f64 v[94:95], v[85:86], v[90:91]
	v_mul_f64 v[90:91], v[87:88], v[90:91]
	s_waitcnt vmcnt(0)
	v_fma_f64 v[87:88], v[87:88], v[92:93], v[94:95]
	v_fma_f64 v[85:86], v[85:86], v[92:93], -v[90:91]
	v_add_f64 v[3:4], v[3:4], v[87:88]
	v_add_f64 v[1:2], v[1:2], v[85:86]
.LBB102_18:
	s_or_b32 exec_lo, exec_lo, s47
	v_mov_b32_e32 v85, 0
	ds_read_b128 v[85:88], v85 offset:576
	s_waitcnt lgkmcnt(0)
	v_mul_f64 v[90:91], v[3:4], v[87:88]
	v_mul_f64 v[87:88], v[1:2], v[87:88]
	v_fma_f64 v[1:2], v[1:2], v[85:86], -v[90:91]
	v_fma_f64 v[3:4], v[3:4], v[85:86], v[87:88]
	buffer_store_dword v2, off, s[0:3], 0 offset:580
	buffer_store_dword v1, off, s[0:3], 0 offset:576
	;; [unrolled: 1-line block ×4, first 2 shown]
.LBB102_19:
	s_or_b32 exec_lo, exec_lo, s8
	v_mov_b32_e32 v4, s10
	v_cmp_lt_u32_e64 s4, 35, v0
	s_clause 0x3
	buffer_load_dword v1, v4, s[0:3], 0 offen
	buffer_load_dword v2, v4, s[0:3], 0 offen offset:4
	buffer_load_dword v3, v4, s[0:3], 0 offen offset:8
	;; [unrolled: 1-line block ×3, first 2 shown]
	s_waitcnt vmcnt(0)
	ds_write_b128 v84, v[1:4]
	s_waitcnt lgkmcnt(0)
	s_waitcnt_vscnt null, 0x0
	s_barrier
	buffer_gl0_inv
	s_and_saveexec_b32 s8, s4
	s_cbranch_execz .LBB102_27
; %bb.20:
	ds_read_b128 v[1:4], v84
	s_andn2_b32 vcc_lo, exec_lo, s46
	s_cbranch_vccnz .LBB102_22
; %bb.21:
	s_clause 0x3
	buffer_load_dword v85, v83, s[0:3], 0 offen offset:8
	buffer_load_dword v86, v83, s[0:3], 0 offen offset:12
	buffer_load_dword v87, v83, s[0:3], 0 offen
	buffer_load_dword v88, v83, s[0:3], 0 offen offset:4
	s_waitcnt vmcnt(2) lgkmcnt(0)
	v_mul_f64 v[90:91], v[3:4], v[85:86]
	v_mul_f64 v[85:86], v[1:2], v[85:86]
	s_waitcnt vmcnt(0)
	v_fma_f64 v[1:2], v[1:2], v[87:88], -v[90:91]
	v_fma_f64 v[3:4], v[3:4], v[87:88], v[85:86]
.LBB102_22:
	s_and_saveexec_b32 s47, s5
	s_cbranch_execz .LBB102_26
; %bb.23:
	v_subrev_nc_u32_e32 v85, 36, v0
	s_movk_i32 s48, 0x4b0
	s_mov_b32 s5, 0
	s_mov_b32 s49, s9
	.p2align	6
.LBB102_24:                             ; =>This Inner Loop Header: Depth=1
	v_mov_b32_e32 v88, s49
	v_add_nc_u32_e32 v85, -1, v85
	s_add_i32 s49, s49, 16
	s_clause 0x3
	buffer_load_dword v86, v88, s[0:3], 0 offen offset:8
	buffer_load_dword v87, v88, s[0:3], 0 offen offset:12
	buffer_load_dword v94, v88, s[0:3], 0 offen
	buffer_load_dword v95, v88, s[0:3], 0 offen offset:4
	v_mov_b32_e32 v88, s48
	v_cmp_eq_u32_e32 vcc_lo, 0, v85
	s_add_i32 s48, s48, 16
	ds_read_b128 v[90:93], v88
	s_or_b32 s5, vcc_lo, s5
	s_waitcnt vmcnt(2) lgkmcnt(0)
	v_mul_f64 v[96:97], v[92:93], v[86:87]
	v_mul_f64 v[86:87], v[90:91], v[86:87]
	s_waitcnt vmcnt(0)
	v_fma_f64 v[90:91], v[90:91], v[94:95], -v[96:97]
	v_fma_f64 v[86:87], v[92:93], v[94:95], v[86:87]
	v_add_f64 v[1:2], v[1:2], v[90:91]
	v_add_f64 v[3:4], v[3:4], v[86:87]
	s_andn2_b32 exec_lo, exec_lo, s5
	s_cbranch_execnz .LBB102_24
; %bb.25:
	s_or_b32 exec_lo, exec_lo, s5
.LBB102_26:
	s_or_b32 exec_lo, exec_lo, s47
	v_mov_b32_e32 v85, 0
	ds_read_b128 v[85:88], v85 offset:560
	s_waitcnt lgkmcnt(0)
	v_mul_f64 v[90:91], v[3:4], v[87:88]
	v_mul_f64 v[87:88], v[1:2], v[87:88]
	v_fma_f64 v[1:2], v[1:2], v[85:86], -v[90:91]
	v_fma_f64 v[3:4], v[3:4], v[85:86], v[87:88]
	buffer_store_dword v2, off, s[0:3], 0 offset:564
	buffer_store_dword v1, off, s[0:3], 0 offset:560
	buffer_store_dword v4, off, s[0:3], 0 offset:572
	buffer_store_dword v3, off, s[0:3], 0 offset:568
.LBB102_27:
	s_or_b32 exec_lo, exec_lo, s8
	v_mov_b32_e32 v4, s11
	v_cmp_lt_u32_e64 s5, 34, v0
	s_clause 0x3
	buffer_load_dword v1, v4, s[0:3], 0 offen
	buffer_load_dword v2, v4, s[0:3], 0 offen offset:4
	buffer_load_dword v3, v4, s[0:3], 0 offen offset:8
	;; [unrolled: 1-line block ×3, first 2 shown]
	s_waitcnt vmcnt(0)
	ds_write_b128 v84, v[1:4]
	s_waitcnt lgkmcnt(0)
	s_waitcnt_vscnt null, 0x0
	s_barrier
	buffer_gl0_inv
	s_and_saveexec_b32 s8, s5
	s_cbranch_execz .LBB102_35
; %bb.28:
	ds_read_b128 v[1:4], v84
	s_andn2_b32 vcc_lo, exec_lo, s46
	s_cbranch_vccnz .LBB102_30
; %bb.29:
	s_clause 0x3
	buffer_load_dword v85, v83, s[0:3], 0 offen offset:8
	buffer_load_dword v86, v83, s[0:3], 0 offen offset:12
	buffer_load_dword v87, v83, s[0:3], 0 offen
	buffer_load_dword v88, v83, s[0:3], 0 offen offset:4
	s_waitcnt vmcnt(2) lgkmcnt(0)
	v_mul_f64 v[90:91], v[3:4], v[85:86]
	v_mul_f64 v[85:86], v[1:2], v[85:86]
	s_waitcnt vmcnt(0)
	v_fma_f64 v[1:2], v[1:2], v[87:88], -v[90:91]
	v_fma_f64 v[3:4], v[3:4], v[87:88], v[85:86]
.LBB102_30:
	s_and_saveexec_b32 s47, s4
	s_cbranch_execz .LBB102_34
; %bb.31:
	v_subrev_nc_u32_e32 v85, 35, v0
	s_movk_i32 s48, 0x4a0
	s_mov_b32 s4, 0
	s_mov_b32 s49, s10
	.p2align	6
.LBB102_32:                             ; =>This Inner Loop Header: Depth=1
	v_mov_b32_e32 v88, s49
	v_add_nc_u32_e32 v85, -1, v85
	s_add_i32 s49, s49, 16
	s_clause 0x3
	buffer_load_dword v86, v88, s[0:3], 0 offen offset:8
	buffer_load_dword v87, v88, s[0:3], 0 offen offset:12
	buffer_load_dword v94, v88, s[0:3], 0 offen
	buffer_load_dword v95, v88, s[0:3], 0 offen offset:4
	v_mov_b32_e32 v88, s48
	v_cmp_eq_u32_e32 vcc_lo, 0, v85
	s_add_i32 s48, s48, 16
	ds_read_b128 v[90:93], v88
	s_or_b32 s4, vcc_lo, s4
	s_waitcnt vmcnt(2) lgkmcnt(0)
	v_mul_f64 v[96:97], v[92:93], v[86:87]
	v_mul_f64 v[86:87], v[90:91], v[86:87]
	s_waitcnt vmcnt(0)
	v_fma_f64 v[90:91], v[90:91], v[94:95], -v[96:97]
	v_fma_f64 v[86:87], v[92:93], v[94:95], v[86:87]
	v_add_f64 v[1:2], v[1:2], v[90:91]
	v_add_f64 v[3:4], v[3:4], v[86:87]
	s_andn2_b32 exec_lo, exec_lo, s4
	s_cbranch_execnz .LBB102_32
; %bb.33:
	s_or_b32 exec_lo, exec_lo, s4
.LBB102_34:
	s_or_b32 exec_lo, exec_lo, s47
	v_mov_b32_e32 v85, 0
	ds_read_b128 v[85:88], v85 offset:544
	s_waitcnt lgkmcnt(0)
	v_mul_f64 v[90:91], v[3:4], v[87:88]
	v_mul_f64 v[87:88], v[1:2], v[87:88]
	v_fma_f64 v[1:2], v[1:2], v[85:86], -v[90:91]
	v_fma_f64 v[3:4], v[3:4], v[85:86], v[87:88]
	buffer_store_dword v2, off, s[0:3], 0 offset:548
	buffer_store_dword v1, off, s[0:3], 0 offset:544
	;; [unrolled: 1-line block ×4, first 2 shown]
.LBB102_35:
	s_or_b32 exec_lo, exec_lo, s8
	v_mov_b32_e32 v4, s12
	v_cmp_lt_u32_e64 s4, 33, v0
	s_clause 0x3
	buffer_load_dword v1, v4, s[0:3], 0 offen
	buffer_load_dword v2, v4, s[0:3], 0 offen offset:4
	buffer_load_dword v3, v4, s[0:3], 0 offen offset:8
	;; [unrolled: 1-line block ×3, first 2 shown]
	s_waitcnt vmcnt(0)
	ds_write_b128 v84, v[1:4]
	s_waitcnt lgkmcnt(0)
	s_waitcnt_vscnt null, 0x0
	s_barrier
	buffer_gl0_inv
	s_and_saveexec_b32 s8, s4
	s_cbranch_execz .LBB102_43
; %bb.36:
	ds_read_b128 v[1:4], v84
	s_andn2_b32 vcc_lo, exec_lo, s46
	s_cbranch_vccnz .LBB102_38
; %bb.37:
	s_clause 0x3
	buffer_load_dword v85, v83, s[0:3], 0 offen offset:8
	buffer_load_dword v86, v83, s[0:3], 0 offen offset:12
	buffer_load_dword v87, v83, s[0:3], 0 offen
	buffer_load_dword v88, v83, s[0:3], 0 offen offset:4
	s_waitcnt vmcnt(2) lgkmcnt(0)
	v_mul_f64 v[90:91], v[3:4], v[85:86]
	v_mul_f64 v[85:86], v[1:2], v[85:86]
	s_waitcnt vmcnt(0)
	v_fma_f64 v[1:2], v[1:2], v[87:88], -v[90:91]
	v_fma_f64 v[3:4], v[3:4], v[87:88], v[85:86]
.LBB102_38:
	s_and_saveexec_b32 s47, s5
	s_cbranch_execz .LBB102_42
; %bb.39:
	v_subrev_nc_u32_e32 v85, 34, v0
	s_movk_i32 s48, 0x490
	s_mov_b32 s5, 0
	s_mov_b32 s49, s11
	.p2align	6
.LBB102_40:                             ; =>This Inner Loop Header: Depth=1
	v_mov_b32_e32 v88, s49
	v_add_nc_u32_e32 v85, -1, v85
	s_add_i32 s49, s49, 16
	s_clause 0x3
	buffer_load_dword v86, v88, s[0:3], 0 offen offset:8
	buffer_load_dword v87, v88, s[0:3], 0 offen offset:12
	buffer_load_dword v94, v88, s[0:3], 0 offen
	buffer_load_dword v95, v88, s[0:3], 0 offen offset:4
	v_mov_b32_e32 v88, s48
	v_cmp_eq_u32_e32 vcc_lo, 0, v85
	s_add_i32 s48, s48, 16
	ds_read_b128 v[90:93], v88
	s_or_b32 s5, vcc_lo, s5
	s_waitcnt vmcnt(2) lgkmcnt(0)
	v_mul_f64 v[96:97], v[92:93], v[86:87]
	v_mul_f64 v[86:87], v[90:91], v[86:87]
	s_waitcnt vmcnt(0)
	v_fma_f64 v[90:91], v[90:91], v[94:95], -v[96:97]
	v_fma_f64 v[86:87], v[92:93], v[94:95], v[86:87]
	v_add_f64 v[1:2], v[1:2], v[90:91]
	v_add_f64 v[3:4], v[3:4], v[86:87]
	s_andn2_b32 exec_lo, exec_lo, s5
	s_cbranch_execnz .LBB102_40
; %bb.41:
	s_or_b32 exec_lo, exec_lo, s5
.LBB102_42:
	s_or_b32 exec_lo, exec_lo, s47
	v_mov_b32_e32 v85, 0
	ds_read_b128 v[85:88], v85 offset:528
	s_waitcnt lgkmcnt(0)
	v_mul_f64 v[90:91], v[3:4], v[87:88]
	v_mul_f64 v[87:88], v[1:2], v[87:88]
	v_fma_f64 v[1:2], v[1:2], v[85:86], -v[90:91]
	v_fma_f64 v[3:4], v[3:4], v[85:86], v[87:88]
	buffer_store_dword v2, off, s[0:3], 0 offset:532
	buffer_store_dword v1, off, s[0:3], 0 offset:528
	;; [unrolled: 1-line block ×4, first 2 shown]
.LBB102_43:
	s_or_b32 exec_lo, exec_lo, s8
	v_mov_b32_e32 v4, s13
	v_cmp_lt_u32_e64 s5, 32, v0
	s_clause 0x3
	buffer_load_dword v1, v4, s[0:3], 0 offen
	buffer_load_dword v2, v4, s[0:3], 0 offen offset:4
	buffer_load_dword v3, v4, s[0:3], 0 offen offset:8
	;; [unrolled: 1-line block ×3, first 2 shown]
	s_waitcnt vmcnt(0)
	ds_write_b128 v84, v[1:4]
	s_waitcnt lgkmcnt(0)
	s_waitcnt_vscnt null, 0x0
	s_barrier
	buffer_gl0_inv
	s_and_saveexec_b32 s8, s5
	s_cbranch_execz .LBB102_51
; %bb.44:
	ds_read_b128 v[1:4], v84
	s_andn2_b32 vcc_lo, exec_lo, s46
	s_cbranch_vccnz .LBB102_46
; %bb.45:
	s_clause 0x3
	buffer_load_dword v85, v83, s[0:3], 0 offen offset:8
	buffer_load_dword v86, v83, s[0:3], 0 offen offset:12
	buffer_load_dword v87, v83, s[0:3], 0 offen
	buffer_load_dword v88, v83, s[0:3], 0 offen offset:4
	s_waitcnt vmcnt(2) lgkmcnt(0)
	v_mul_f64 v[90:91], v[3:4], v[85:86]
	v_mul_f64 v[85:86], v[1:2], v[85:86]
	s_waitcnt vmcnt(0)
	v_fma_f64 v[1:2], v[1:2], v[87:88], -v[90:91]
	v_fma_f64 v[3:4], v[3:4], v[87:88], v[85:86]
.LBB102_46:
	s_and_saveexec_b32 s47, s4
	s_cbranch_execz .LBB102_50
; %bb.47:
	v_subrev_nc_u32_e32 v85, 33, v0
	s_movk_i32 s48, 0x480
	s_mov_b32 s4, 0
	s_mov_b32 s49, s12
	.p2align	6
.LBB102_48:                             ; =>This Inner Loop Header: Depth=1
	v_mov_b32_e32 v88, s49
	v_add_nc_u32_e32 v85, -1, v85
	s_add_i32 s49, s49, 16
	s_clause 0x3
	buffer_load_dword v86, v88, s[0:3], 0 offen offset:8
	buffer_load_dword v87, v88, s[0:3], 0 offen offset:12
	buffer_load_dword v94, v88, s[0:3], 0 offen
	buffer_load_dword v95, v88, s[0:3], 0 offen offset:4
	v_mov_b32_e32 v88, s48
	v_cmp_eq_u32_e32 vcc_lo, 0, v85
	s_add_i32 s48, s48, 16
	ds_read_b128 v[90:93], v88
	s_or_b32 s4, vcc_lo, s4
	s_waitcnt vmcnt(2) lgkmcnt(0)
	v_mul_f64 v[96:97], v[92:93], v[86:87]
	v_mul_f64 v[86:87], v[90:91], v[86:87]
	s_waitcnt vmcnt(0)
	v_fma_f64 v[90:91], v[90:91], v[94:95], -v[96:97]
	v_fma_f64 v[86:87], v[92:93], v[94:95], v[86:87]
	v_add_f64 v[1:2], v[1:2], v[90:91]
	v_add_f64 v[3:4], v[3:4], v[86:87]
	s_andn2_b32 exec_lo, exec_lo, s4
	s_cbranch_execnz .LBB102_48
; %bb.49:
	s_or_b32 exec_lo, exec_lo, s4
.LBB102_50:
	s_or_b32 exec_lo, exec_lo, s47
	v_mov_b32_e32 v85, 0
	ds_read_b128 v[85:88], v85 offset:512
	s_waitcnt lgkmcnt(0)
	v_mul_f64 v[90:91], v[3:4], v[87:88]
	v_mul_f64 v[87:88], v[1:2], v[87:88]
	v_fma_f64 v[1:2], v[1:2], v[85:86], -v[90:91]
	v_fma_f64 v[3:4], v[3:4], v[85:86], v[87:88]
	buffer_store_dword v2, off, s[0:3], 0 offset:516
	buffer_store_dword v1, off, s[0:3], 0 offset:512
	;; [unrolled: 1-line block ×4, first 2 shown]
.LBB102_51:
	s_or_b32 exec_lo, exec_lo, s8
	v_mov_b32_e32 v4, s14
	v_cmp_lt_u32_e64 s4, 31, v0
	s_clause 0x3
	buffer_load_dword v1, v4, s[0:3], 0 offen
	buffer_load_dword v2, v4, s[0:3], 0 offen offset:4
	buffer_load_dword v3, v4, s[0:3], 0 offen offset:8
	;; [unrolled: 1-line block ×3, first 2 shown]
	s_waitcnt vmcnt(0)
	ds_write_b128 v84, v[1:4]
	s_waitcnt lgkmcnt(0)
	s_waitcnt_vscnt null, 0x0
	s_barrier
	buffer_gl0_inv
	s_and_saveexec_b32 s8, s4
	s_cbranch_execz .LBB102_59
; %bb.52:
	ds_read_b128 v[1:4], v84
	s_andn2_b32 vcc_lo, exec_lo, s46
	s_cbranch_vccnz .LBB102_54
; %bb.53:
	s_clause 0x3
	buffer_load_dword v85, v83, s[0:3], 0 offen offset:8
	buffer_load_dword v86, v83, s[0:3], 0 offen offset:12
	buffer_load_dword v87, v83, s[0:3], 0 offen
	buffer_load_dword v88, v83, s[0:3], 0 offen offset:4
	s_waitcnt vmcnt(2) lgkmcnt(0)
	v_mul_f64 v[90:91], v[3:4], v[85:86]
	v_mul_f64 v[85:86], v[1:2], v[85:86]
	s_waitcnt vmcnt(0)
	v_fma_f64 v[1:2], v[1:2], v[87:88], -v[90:91]
	v_fma_f64 v[3:4], v[3:4], v[87:88], v[85:86]
.LBB102_54:
	s_and_saveexec_b32 s47, s5
	s_cbranch_execz .LBB102_58
; %bb.55:
	v_subrev_nc_u32_e32 v85, 32, v0
	s_movk_i32 s48, 0x470
	s_mov_b32 s5, 0
	s_mov_b32 s49, s13
	.p2align	6
.LBB102_56:                             ; =>This Inner Loop Header: Depth=1
	v_mov_b32_e32 v88, s49
	v_add_nc_u32_e32 v85, -1, v85
	s_add_i32 s49, s49, 16
	s_clause 0x3
	buffer_load_dword v86, v88, s[0:3], 0 offen offset:8
	buffer_load_dword v87, v88, s[0:3], 0 offen offset:12
	buffer_load_dword v94, v88, s[0:3], 0 offen
	buffer_load_dword v95, v88, s[0:3], 0 offen offset:4
	v_mov_b32_e32 v88, s48
	v_cmp_eq_u32_e32 vcc_lo, 0, v85
	s_add_i32 s48, s48, 16
	ds_read_b128 v[90:93], v88
	s_or_b32 s5, vcc_lo, s5
	s_waitcnt vmcnt(2) lgkmcnt(0)
	v_mul_f64 v[96:97], v[92:93], v[86:87]
	v_mul_f64 v[86:87], v[90:91], v[86:87]
	s_waitcnt vmcnt(0)
	v_fma_f64 v[90:91], v[90:91], v[94:95], -v[96:97]
	v_fma_f64 v[86:87], v[92:93], v[94:95], v[86:87]
	v_add_f64 v[1:2], v[1:2], v[90:91]
	v_add_f64 v[3:4], v[3:4], v[86:87]
	s_andn2_b32 exec_lo, exec_lo, s5
	s_cbranch_execnz .LBB102_56
; %bb.57:
	s_or_b32 exec_lo, exec_lo, s5
.LBB102_58:
	s_or_b32 exec_lo, exec_lo, s47
	v_mov_b32_e32 v85, 0
	ds_read_b128 v[85:88], v85 offset:496
	s_waitcnt lgkmcnt(0)
	v_mul_f64 v[90:91], v[3:4], v[87:88]
	v_mul_f64 v[87:88], v[1:2], v[87:88]
	v_fma_f64 v[1:2], v[1:2], v[85:86], -v[90:91]
	v_fma_f64 v[3:4], v[3:4], v[85:86], v[87:88]
	buffer_store_dword v2, off, s[0:3], 0 offset:500
	buffer_store_dword v1, off, s[0:3], 0 offset:496
	;; [unrolled: 1-line block ×4, first 2 shown]
.LBB102_59:
	s_or_b32 exec_lo, exec_lo, s8
	v_mov_b32_e32 v4, s15
	v_cmp_lt_u32_e64 s5, 30, v0
	s_clause 0x3
	buffer_load_dword v1, v4, s[0:3], 0 offen
	buffer_load_dword v2, v4, s[0:3], 0 offen offset:4
	buffer_load_dword v3, v4, s[0:3], 0 offen offset:8
	;; [unrolled: 1-line block ×3, first 2 shown]
	s_waitcnt vmcnt(0)
	ds_write_b128 v84, v[1:4]
	s_waitcnt lgkmcnt(0)
	s_waitcnt_vscnt null, 0x0
	s_barrier
	buffer_gl0_inv
	s_and_saveexec_b32 s8, s5
	s_cbranch_execz .LBB102_67
; %bb.60:
	ds_read_b128 v[1:4], v84
	s_andn2_b32 vcc_lo, exec_lo, s46
	s_cbranch_vccnz .LBB102_62
; %bb.61:
	s_clause 0x3
	buffer_load_dword v85, v83, s[0:3], 0 offen offset:8
	buffer_load_dword v86, v83, s[0:3], 0 offen offset:12
	buffer_load_dword v87, v83, s[0:3], 0 offen
	buffer_load_dword v88, v83, s[0:3], 0 offen offset:4
	s_waitcnt vmcnt(2) lgkmcnt(0)
	v_mul_f64 v[90:91], v[3:4], v[85:86]
	v_mul_f64 v[85:86], v[1:2], v[85:86]
	s_waitcnt vmcnt(0)
	v_fma_f64 v[1:2], v[1:2], v[87:88], -v[90:91]
	v_fma_f64 v[3:4], v[3:4], v[87:88], v[85:86]
.LBB102_62:
	s_and_saveexec_b32 s47, s4
	s_cbranch_execz .LBB102_66
; %bb.63:
	v_subrev_nc_u32_e32 v85, 31, v0
	s_movk_i32 s48, 0x460
	s_mov_b32 s4, 0
	s_mov_b32 s49, s14
	.p2align	6
.LBB102_64:                             ; =>This Inner Loop Header: Depth=1
	v_mov_b32_e32 v88, s49
	v_add_nc_u32_e32 v85, -1, v85
	s_add_i32 s49, s49, 16
	s_clause 0x3
	buffer_load_dword v86, v88, s[0:3], 0 offen offset:8
	buffer_load_dword v87, v88, s[0:3], 0 offen offset:12
	buffer_load_dword v94, v88, s[0:3], 0 offen
	buffer_load_dword v95, v88, s[0:3], 0 offen offset:4
	v_mov_b32_e32 v88, s48
	v_cmp_eq_u32_e32 vcc_lo, 0, v85
	s_add_i32 s48, s48, 16
	ds_read_b128 v[90:93], v88
	s_or_b32 s4, vcc_lo, s4
	s_waitcnt vmcnt(2) lgkmcnt(0)
	v_mul_f64 v[96:97], v[92:93], v[86:87]
	v_mul_f64 v[86:87], v[90:91], v[86:87]
	s_waitcnt vmcnt(0)
	v_fma_f64 v[90:91], v[90:91], v[94:95], -v[96:97]
	v_fma_f64 v[86:87], v[92:93], v[94:95], v[86:87]
	v_add_f64 v[1:2], v[1:2], v[90:91]
	v_add_f64 v[3:4], v[3:4], v[86:87]
	s_andn2_b32 exec_lo, exec_lo, s4
	s_cbranch_execnz .LBB102_64
; %bb.65:
	s_or_b32 exec_lo, exec_lo, s4
.LBB102_66:
	s_or_b32 exec_lo, exec_lo, s47
	v_mov_b32_e32 v85, 0
	ds_read_b128 v[85:88], v85 offset:480
	s_waitcnt lgkmcnt(0)
	v_mul_f64 v[90:91], v[3:4], v[87:88]
	v_mul_f64 v[87:88], v[1:2], v[87:88]
	v_fma_f64 v[1:2], v[1:2], v[85:86], -v[90:91]
	v_fma_f64 v[3:4], v[3:4], v[85:86], v[87:88]
	buffer_store_dword v2, off, s[0:3], 0 offset:484
	buffer_store_dword v1, off, s[0:3], 0 offset:480
	;; [unrolled: 1-line block ×4, first 2 shown]
.LBB102_67:
	s_or_b32 exec_lo, exec_lo, s8
	v_mov_b32_e32 v4, s16
	v_cmp_lt_u32_e64 s4, 29, v0
	s_clause 0x3
	buffer_load_dword v1, v4, s[0:3], 0 offen
	buffer_load_dword v2, v4, s[0:3], 0 offen offset:4
	buffer_load_dword v3, v4, s[0:3], 0 offen offset:8
	;; [unrolled: 1-line block ×3, first 2 shown]
	s_waitcnt vmcnt(0)
	ds_write_b128 v84, v[1:4]
	s_waitcnt lgkmcnt(0)
	s_waitcnt_vscnt null, 0x0
	s_barrier
	buffer_gl0_inv
	s_and_saveexec_b32 s8, s4
	s_cbranch_execz .LBB102_75
; %bb.68:
	ds_read_b128 v[1:4], v84
	s_andn2_b32 vcc_lo, exec_lo, s46
	s_cbranch_vccnz .LBB102_70
; %bb.69:
	s_clause 0x3
	buffer_load_dword v85, v83, s[0:3], 0 offen offset:8
	buffer_load_dword v86, v83, s[0:3], 0 offen offset:12
	buffer_load_dword v87, v83, s[0:3], 0 offen
	buffer_load_dword v88, v83, s[0:3], 0 offen offset:4
	s_waitcnt vmcnt(2) lgkmcnt(0)
	v_mul_f64 v[90:91], v[3:4], v[85:86]
	v_mul_f64 v[85:86], v[1:2], v[85:86]
	s_waitcnt vmcnt(0)
	v_fma_f64 v[1:2], v[1:2], v[87:88], -v[90:91]
	v_fma_f64 v[3:4], v[3:4], v[87:88], v[85:86]
.LBB102_70:
	s_and_saveexec_b32 s47, s5
	s_cbranch_execz .LBB102_74
; %bb.71:
	v_subrev_nc_u32_e32 v85, 30, v0
	s_movk_i32 s48, 0x450
	s_mov_b32 s5, 0
	s_mov_b32 s49, s15
	.p2align	6
.LBB102_72:                             ; =>This Inner Loop Header: Depth=1
	v_mov_b32_e32 v88, s49
	v_add_nc_u32_e32 v85, -1, v85
	s_add_i32 s49, s49, 16
	s_clause 0x3
	buffer_load_dword v86, v88, s[0:3], 0 offen offset:8
	buffer_load_dword v87, v88, s[0:3], 0 offen offset:12
	buffer_load_dword v94, v88, s[0:3], 0 offen
	buffer_load_dword v95, v88, s[0:3], 0 offen offset:4
	v_mov_b32_e32 v88, s48
	v_cmp_eq_u32_e32 vcc_lo, 0, v85
	s_add_i32 s48, s48, 16
	ds_read_b128 v[90:93], v88
	s_or_b32 s5, vcc_lo, s5
	s_waitcnt vmcnt(2) lgkmcnt(0)
	v_mul_f64 v[96:97], v[92:93], v[86:87]
	v_mul_f64 v[86:87], v[90:91], v[86:87]
	s_waitcnt vmcnt(0)
	v_fma_f64 v[90:91], v[90:91], v[94:95], -v[96:97]
	v_fma_f64 v[86:87], v[92:93], v[94:95], v[86:87]
	v_add_f64 v[1:2], v[1:2], v[90:91]
	v_add_f64 v[3:4], v[3:4], v[86:87]
	s_andn2_b32 exec_lo, exec_lo, s5
	s_cbranch_execnz .LBB102_72
; %bb.73:
	s_or_b32 exec_lo, exec_lo, s5
.LBB102_74:
	s_or_b32 exec_lo, exec_lo, s47
	v_mov_b32_e32 v85, 0
	ds_read_b128 v[85:88], v85 offset:464
	s_waitcnt lgkmcnt(0)
	v_mul_f64 v[90:91], v[3:4], v[87:88]
	v_mul_f64 v[87:88], v[1:2], v[87:88]
	v_fma_f64 v[1:2], v[1:2], v[85:86], -v[90:91]
	v_fma_f64 v[3:4], v[3:4], v[85:86], v[87:88]
	buffer_store_dword v2, off, s[0:3], 0 offset:468
	buffer_store_dword v1, off, s[0:3], 0 offset:464
	;; [unrolled: 1-line block ×4, first 2 shown]
.LBB102_75:
	s_or_b32 exec_lo, exec_lo, s8
	v_mov_b32_e32 v4, s17
	v_cmp_lt_u32_e64 s5, 28, v0
	s_clause 0x3
	buffer_load_dword v1, v4, s[0:3], 0 offen
	buffer_load_dword v2, v4, s[0:3], 0 offen offset:4
	buffer_load_dword v3, v4, s[0:3], 0 offen offset:8
	;; [unrolled: 1-line block ×3, first 2 shown]
	s_waitcnt vmcnt(0)
	ds_write_b128 v84, v[1:4]
	s_waitcnt lgkmcnt(0)
	s_waitcnt_vscnt null, 0x0
	s_barrier
	buffer_gl0_inv
	s_and_saveexec_b32 s8, s5
	s_cbranch_execz .LBB102_83
; %bb.76:
	ds_read_b128 v[1:4], v84
	s_andn2_b32 vcc_lo, exec_lo, s46
	s_cbranch_vccnz .LBB102_78
; %bb.77:
	s_clause 0x3
	buffer_load_dword v85, v83, s[0:3], 0 offen offset:8
	buffer_load_dword v86, v83, s[0:3], 0 offen offset:12
	buffer_load_dword v87, v83, s[0:3], 0 offen
	buffer_load_dword v88, v83, s[0:3], 0 offen offset:4
	s_waitcnt vmcnt(2) lgkmcnt(0)
	v_mul_f64 v[90:91], v[3:4], v[85:86]
	v_mul_f64 v[85:86], v[1:2], v[85:86]
	s_waitcnt vmcnt(0)
	v_fma_f64 v[1:2], v[1:2], v[87:88], -v[90:91]
	v_fma_f64 v[3:4], v[3:4], v[87:88], v[85:86]
.LBB102_78:
	s_and_saveexec_b32 s47, s4
	s_cbranch_execz .LBB102_82
; %bb.79:
	v_subrev_nc_u32_e32 v85, 29, v0
	s_movk_i32 s48, 0x440
	s_mov_b32 s4, 0
	s_mov_b32 s49, s16
	.p2align	6
.LBB102_80:                             ; =>This Inner Loop Header: Depth=1
	v_mov_b32_e32 v88, s49
	v_add_nc_u32_e32 v85, -1, v85
	s_add_i32 s49, s49, 16
	s_clause 0x3
	buffer_load_dword v86, v88, s[0:3], 0 offen offset:8
	buffer_load_dword v87, v88, s[0:3], 0 offen offset:12
	buffer_load_dword v94, v88, s[0:3], 0 offen
	buffer_load_dword v95, v88, s[0:3], 0 offen offset:4
	v_mov_b32_e32 v88, s48
	v_cmp_eq_u32_e32 vcc_lo, 0, v85
	s_add_i32 s48, s48, 16
	ds_read_b128 v[90:93], v88
	s_or_b32 s4, vcc_lo, s4
	s_waitcnt vmcnt(2) lgkmcnt(0)
	v_mul_f64 v[96:97], v[92:93], v[86:87]
	v_mul_f64 v[86:87], v[90:91], v[86:87]
	s_waitcnt vmcnt(0)
	v_fma_f64 v[90:91], v[90:91], v[94:95], -v[96:97]
	v_fma_f64 v[86:87], v[92:93], v[94:95], v[86:87]
	v_add_f64 v[1:2], v[1:2], v[90:91]
	v_add_f64 v[3:4], v[3:4], v[86:87]
	s_andn2_b32 exec_lo, exec_lo, s4
	s_cbranch_execnz .LBB102_80
; %bb.81:
	s_or_b32 exec_lo, exec_lo, s4
.LBB102_82:
	s_or_b32 exec_lo, exec_lo, s47
	v_mov_b32_e32 v85, 0
	ds_read_b128 v[85:88], v85 offset:448
	s_waitcnt lgkmcnt(0)
	v_mul_f64 v[90:91], v[3:4], v[87:88]
	v_mul_f64 v[87:88], v[1:2], v[87:88]
	v_fma_f64 v[1:2], v[1:2], v[85:86], -v[90:91]
	v_fma_f64 v[3:4], v[3:4], v[85:86], v[87:88]
	buffer_store_dword v2, off, s[0:3], 0 offset:452
	buffer_store_dword v1, off, s[0:3], 0 offset:448
	;; [unrolled: 1-line block ×4, first 2 shown]
.LBB102_83:
	s_or_b32 exec_lo, exec_lo, s8
	v_mov_b32_e32 v4, s18
	v_cmp_lt_u32_e64 s4, 27, v0
	s_clause 0x3
	buffer_load_dword v1, v4, s[0:3], 0 offen
	buffer_load_dword v2, v4, s[0:3], 0 offen offset:4
	buffer_load_dword v3, v4, s[0:3], 0 offen offset:8
	;; [unrolled: 1-line block ×3, first 2 shown]
	s_waitcnt vmcnt(0)
	ds_write_b128 v84, v[1:4]
	s_waitcnt lgkmcnt(0)
	s_waitcnt_vscnt null, 0x0
	s_barrier
	buffer_gl0_inv
	s_and_saveexec_b32 s8, s4
	s_cbranch_execz .LBB102_91
; %bb.84:
	ds_read_b128 v[1:4], v84
	s_andn2_b32 vcc_lo, exec_lo, s46
	s_cbranch_vccnz .LBB102_86
; %bb.85:
	s_clause 0x3
	buffer_load_dword v85, v83, s[0:3], 0 offen offset:8
	buffer_load_dword v86, v83, s[0:3], 0 offen offset:12
	buffer_load_dword v87, v83, s[0:3], 0 offen
	buffer_load_dword v88, v83, s[0:3], 0 offen offset:4
	s_waitcnt vmcnt(2) lgkmcnt(0)
	v_mul_f64 v[90:91], v[3:4], v[85:86]
	v_mul_f64 v[85:86], v[1:2], v[85:86]
	s_waitcnt vmcnt(0)
	v_fma_f64 v[1:2], v[1:2], v[87:88], -v[90:91]
	v_fma_f64 v[3:4], v[3:4], v[87:88], v[85:86]
.LBB102_86:
	s_and_saveexec_b32 s47, s5
	s_cbranch_execz .LBB102_90
; %bb.87:
	v_subrev_nc_u32_e32 v85, 28, v0
	s_movk_i32 s48, 0x430
	s_mov_b32 s5, 0
	s_mov_b32 s49, s17
	.p2align	6
.LBB102_88:                             ; =>This Inner Loop Header: Depth=1
	v_mov_b32_e32 v88, s49
	v_add_nc_u32_e32 v85, -1, v85
	s_add_i32 s49, s49, 16
	s_clause 0x3
	buffer_load_dword v86, v88, s[0:3], 0 offen offset:8
	buffer_load_dword v87, v88, s[0:3], 0 offen offset:12
	buffer_load_dword v94, v88, s[0:3], 0 offen
	buffer_load_dword v95, v88, s[0:3], 0 offen offset:4
	v_mov_b32_e32 v88, s48
	v_cmp_eq_u32_e32 vcc_lo, 0, v85
	s_add_i32 s48, s48, 16
	ds_read_b128 v[90:93], v88
	s_or_b32 s5, vcc_lo, s5
	s_waitcnt vmcnt(2) lgkmcnt(0)
	v_mul_f64 v[96:97], v[92:93], v[86:87]
	v_mul_f64 v[86:87], v[90:91], v[86:87]
	s_waitcnt vmcnt(0)
	v_fma_f64 v[90:91], v[90:91], v[94:95], -v[96:97]
	v_fma_f64 v[86:87], v[92:93], v[94:95], v[86:87]
	v_add_f64 v[1:2], v[1:2], v[90:91]
	v_add_f64 v[3:4], v[3:4], v[86:87]
	s_andn2_b32 exec_lo, exec_lo, s5
	s_cbranch_execnz .LBB102_88
; %bb.89:
	s_or_b32 exec_lo, exec_lo, s5
.LBB102_90:
	s_or_b32 exec_lo, exec_lo, s47
	v_mov_b32_e32 v85, 0
	ds_read_b128 v[85:88], v85 offset:432
	s_waitcnt lgkmcnt(0)
	v_mul_f64 v[90:91], v[3:4], v[87:88]
	v_mul_f64 v[87:88], v[1:2], v[87:88]
	v_fma_f64 v[1:2], v[1:2], v[85:86], -v[90:91]
	v_fma_f64 v[3:4], v[3:4], v[85:86], v[87:88]
	buffer_store_dword v2, off, s[0:3], 0 offset:436
	buffer_store_dword v1, off, s[0:3], 0 offset:432
	;; [unrolled: 1-line block ×4, first 2 shown]
.LBB102_91:
	s_or_b32 exec_lo, exec_lo, s8
	v_mov_b32_e32 v4, s19
	v_cmp_lt_u32_e64 s5, 26, v0
	s_clause 0x3
	buffer_load_dword v1, v4, s[0:3], 0 offen
	buffer_load_dword v2, v4, s[0:3], 0 offen offset:4
	buffer_load_dword v3, v4, s[0:3], 0 offen offset:8
	;; [unrolled: 1-line block ×3, first 2 shown]
	s_waitcnt vmcnt(0)
	ds_write_b128 v84, v[1:4]
	s_waitcnt lgkmcnt(0)
	s_waitcnt_vscnt null, 0x0
	s_barrier
	buffer_gl0_inv
	s_and_saveexec_b32 s8, s5
	s_cbranch_execz .LBB102_99
; %bb.92:
	ds_read_b128 v[1:4], v84
	s_andn2_b32 vcc_lo, exec_lo, s46
	s_cbranch_vccnz .LBB102_94
; %bb.93:
	s_clause 0x3
	buffer_load_dword v85, v83, s[0:3], 0 offen offset:8
	buffer_load_dword v86, v83, s[0:3], 0 offen offset:12
	buffer_load_dword v87, v83, s[0:3], 0 offen
	buffer_load_dword v88, v83, s[0:3], 0 offen offset:4
	s_waitcnt vmcnt(2) lgkmcnt(0)
	v_mul_f64 v[90:91], v[3:4], v[85:86]
	v_mul_f64 v[85:86], v[1:2], v[85:86]
	s_waitcnt vmcnt(0)
	v_fma_f64 v[1:2], v[1:2], v[87:88], -v[90:91]
	v_fma_f64 v[3:4], v[3:4], v[87:88], v[85:86]
.LBB102_94:
	s_and_saveexec_b32 s47, s4
	s_cbranch_execz .LBB102_98
; %bb.95:
	v_subrev_nc_u32_e32 v85, 27, v0
	s_movk_i32 s48, 0x420
	s_mov_b32 s4, 0
	s_mov_b32 s49, s18
	.p2align	6
.LBB102_96:                             ; =>This Inner Loop Header: Depth=1
	v_mov_b32_e32 v88, s49
	v_add_nc_u32_e32 v85, -1, v85
	s_add_i32 s49, s49, 16
	s_clause 0x3
	buffer_load_dword v86, v88, s[0:3], 0 offen offset:8
	buffer_load_dword v87, v88, s[0:3], 0 offen offset:12
	buffer_load_dword v94, v88, s[0:3], 0 offen
	buffer_load_dword v95, v88, s[0:3], 0 offen offset:4
	v_mov_b32_e32 v88, s48
	v_cmp_eq_u32_e32 vcc_lo, 0, v85
	s_add_i32 s48, s48, 16
	ds_read_b128 v[90:93], v88
	s_or_b32 s4, vcc_lo, s4
	s_waitcnt vmcnt(2) lgkmcnt(0)
	v_mul_f64 v[96:97], v[92:93], v[86:87]
	v_mul_f64 v[86:87], v[90:91], v[86:87]
	s_waitcnt vmcnt(0)
	v_fma_f64 v[90:91], v[90:91], v[94:95], -v[96:97]
	v_fma_f64 v[86:87], v[92:93], v[94:95], v[86:87]
	v_add_f64 v[1:2], v[1:2], v[90:91]
	v_add_f64 v[3:4], v[3:4], v[86:87]
	s_andn2_b32 exec_lo, exec_lo, s4
	s_cbranch_execnz .LBB102_96
; %bb.97:
	s_or_b32 exec_lo, exec_lo, s4
.LBB102_98:
	s_or_b32 exec_lo, exec_lo, s47
	v_mov_b32_e32 v85, 0
	ds_read_b128 v[85:88], v85 offset:416
	s_waitcnt lgkmcnt(0)
	v_mul_f64 v[90:91], v[3:4], v[87:88]
	v_mul_f64 v[87:88], v[1:2], v[87:88]
	v_fma_f64 v[1:2], v[1:2], v[85:86], -v[90:91]
	v_fma_f64 v[3:4], v[3:4], v[85:86], v[87:88]
	buffer_store_dword v2, off, s[0:3], 0 offset:420
	buffer_store_dword v1, off, s[0:3], 0 offset:416
	;; [unrolled: 1-line block ×4, first 2 shown]
.LBB102_99:
	s_or_b32 exec_lo, exec_lo, s8
	v_mov_b32_e32 v4, s20
	v_cmp_lt_u32_e64 s4, 25, v0
	s_clause 0x3
	buffer_load_dword v1, v4, s[0:3], 0 offen
	buffer_load_dword v2, v4, s[0:3], 0 offen offset:4
	buffer_load_dword v3, v4, s[0:3], 0 offen offset:8
	;; [unrolled: 1-line block ×3, first 2 shown]
	s_waitcnt vmcnt(0)
	ds_write_b128 v84, v[1:4]
	s_waitcnt lgkmcnt(0)
	s_waitcnt_vscnt null, 0x0
	s_barrier
	buffer_gl0_inv
	s_and_saveexec_b32 s8, s4
	s_cbranch_execz .LBB102_107
; %bb.100:
	ds_read_b128 v[1:4], v84
	s_andn2_b32 vcc_lo, exec_lo, s46
	s_cbranch_vccnz .LBB102_102
; %bb.101:
	s_clause 0x3
	buffer_load_dword v85, v83, s[0:3], 0 offen offset:8
	buffer_load_dword v86, v83, s[0:3], 0 offen offset:12
	buffer_load_dword v87, v83, s[0:3], 0 offen
	buffer_load_dword v88, v83, s[0:3], 0 offen offset:4
	s_waitcnt vmcnt(2) lgkmcnt(0)
	v_mul_f64 v[90:91], v[3:4], v[85:86]
	v_mul_f64 v[85:86], v[1:2], v[85:86]
	s_waitcnt vmcnt(0)
	v_fma_f64 v[1:2], v[1:2], v[87:88], -v[90:91]
	v_fma_f64 v[3:4], v[3:4], v[87:88], v[85:86]
.LBB102_102:
	s_and_saveexec_b32 s47, s5
	s_cbranch_execz .LBB102_106
; %bb.103:
	v_subrev_nc_u32_e32 v85, 26, v0
	s_movk_i32 s48, 0x410
	s_mov_b32 s5, 0
	s_mov_b32 s49, s19
	.p2align	6
.LBB102_104:                            ; =>This Inner Loop Header: Depth=1
	v_mov_b32_e32 v88, s49
	v_add_nc_u32_e32 v85, -1, v85
	s_add_i32 s49, s49, 16
	s_clause 0x3
	buffer_load_dword v86, v88, s[0:3], 0 offen offset:8
	buffer_load_dword v87, v88, s[0:3], 0 offen offset:12
	buffer_load_dword v94, v88, s[0:3], 0 offen
	buffer_load_dword v95, v88, s[0:3], 0 offen offset:4
	v_mov_b32_e32 v88, s48
	v_cmp_eq_u32_e32 vcc_lo, 0, v85
	s_add_i32 s48, s48, 16
	ds_read_b128 v[90:93], v88
	s_or_b32 s5, vcc_lo, s5
	s_waitcnt vmcnt(2) lgkmcnt(0)
	v_mul_f64 v[96:97], v[92:93], v[86:87]
	v_mul_f64 v[86:87], v[90:91], v[86:87]
	s_waitcnt vmcnt(0)
	v_fma_f64 v[90:91], v[90:91], v[94:95], -v[96:97]
	v_fma_f64 v[86:87], v[92:93], v[94:95], v[86:87]
	v_add_f64 v[1:2], v[1:2], v[90:91]
	v_add_f64 v[3:4], v[3:4], v[86:87]
	s_andn2_b32 exec_lo, exec_lo, s5
	s_cbranch_execnz .LBB102_104
; %bb.105:
	s_or_b32 exec_lo, exec_lo, s5
.LBB102_106:
	s_or_b32 exec_lo, exec_lo, s47
	v_mov_b32_e32 v85, 0
	ds_read_b128 v[85:88], v85 offset:400
	s_waitcnt lgkmcnt(0)
	v_mul_f64 v[90:91], v[3:4], v[87:88]
	v_mul_f64 v[87:88], v[1:2], v[87:88]
	v_fma_f64 v[1:2], v[1:2], v[85:86], -v[90:91]
	v_fma_f64 v[3:4], v[3:4], v[85:86], v[87:88]
	buffer_store_dword v2, off, s[0:3], 0 offset:404
	buffer_store_dword v1, off, s[0:3], 0 offset:400
	;; [unrolled: 1-line block ×4, first 2 shown]
.LBB102_107:
	s_or_b32 exec_lo, exec_lo, s8
	v_mov_b32_e32 v4, s21
	v_cmp_lt_u32_e64 s5, 24, v0
	s_clause 0x3
	buffer_load_dword v1, v4, s[0:3], 0 offen
	buffer_load_dword v2, v4, s[0:3], 0 offen offset:4
	buffer_load_dword v3, v4, s[0:3], 0 offen offset:8
	;; [unrolled: 1-line block ×3, first 2 shown]
	s_waitcnt vmcnt(0)
	ds_write_b128 v84, v[1:4]
	s_waitcnt lgkmcnt(0)
	s_waitcnt_vscnt null, 0x0
	s_barrier
	buffer_gl0_inv
	s_and_saveexec_b32 s8, s5
	s_cbranch_execz .LBB102_115
; %bb.108:
	ds_read_b128 v[1:4], v84
	s_andn2_b32 vcc_lo, exec_lo, s46
	s_cbranch_vccnz .LBB102_110
; %bb.109:
	s_clause 0x3
	buffer_load_dword v85, v83, s[0:3], 0 offen offset:8
	buffer_load_dword v86, v83, s[0:3], 0 offen offset:12
	buffer_load_dword v87, v83, s[0:3], 0 offen
	buffer_load_dword v88, v83, s[0:3], 0 offen offset:4
	s_waitcnt vmcnt(2) lgkmcnt(0)
	v_mul_f64 v[90:91], v[3:4], v[85:86]
	v_mul_f64 v[85:86], v[1:2], v[85:86]
	s_waitcnt vmcnt(0)
	v_fma_f64 v[1:2], v[1:2], v[87:88], -v[90:91]
	v_fma_f64 v[3:4], v[3:4], v[87:88], v[85:86]
.LBB102_110:
	s_and_saveexec_b32 s47, s4
	s_cbranch_execz .LBB102_114
; %bb.111:
	v_subrev_nc_u32_e32 v85, 25, v0
	s_movk_i32 s48, 0x400
	s_mov_b32 s4, 0
	s_mov_b32 s49, s20
	.p2align	6
.LBB102_112:                            ; =>This Inner Loop Header: Depth=1
	v_mov_b32_e32 v88, s49
	v_add_nc_u32_e32 v85, -1, v85
	s_add_i32 s49, s49, 16
	s_clause 0x3
	buffer_load_dword v86, v88, s[0:3], 0 offen offset:8
	buffer_load_dword v87, v88, s[0:3], 0 offen offset:12
	buffer_load_dword v94, v88, s[0:3], 0 offen
	buffer_load_dword v95, v88, s[0:3], 0 offen offset:4
	v_mov_b32_e32 v88, s48
	v_cmp_eq_u32_e32 vcc_lo, 0, v85
	s_add_i32 s48, s48, 16
	ds_read_b128 v[90:93], v88
	s_or_b32 s4, vcc_lo, s4
	s_waitcnt vmcnt(2) lgkmcnt(0)
	v_mul_f64 v[96:97], v[92:93], v[86:87]
	v_mul_f64 v[86:87], v[90:91], v[86:87]
	s_waitcnt vmcnt(0)
	v_fma_f64 v[90:91], v[90:91], v[94:95], -v[96:97]
	v_fma_f64 v[86:87], v[92:93], v[94:95], v[86:87]
	v_add_f64 v[1:2], v[1:2], v[90:91]
	v_add_f64 v[3:4], v[3:4], v[86:87]
	s_andn2_b32 exec_lo, exec_lo, s4
	s_cbranch_execnz .LBB102_112
; %bb.113:
	s_or_b32 exec_lo, exec_lo, s4
.LBB102_114:
	s_or_b32 exec_lo, exec_lo, s47
	v_mov_b32_e32 v85, 0
	ds_read_b128 v[85:88], v85 offset:384
	s_waitcnt lgkmcnt(0)
	v_mul_f64 v[90:91], v[3:4], v[87:88]
	v_mul_f64 v[87:88], v[1:2], v[87:88]
	v_fma_f64 v[1:2], v[1:2], v[85:86], -v[90:91]
	v_fma_f64 v[3:4], v[3:4], v[85:86], v[87:88]
	buffer_store_dword v2, off, s[0:3], 0 offset:388
	buffer_store_dword v1, off, s[0:3], 0 offset:384
	;; [unrolled: 1-line block ×4, first 2 shown]
.LBB102_115:
	s_or_b32 exec_lo, exec_lo, s8
	v_mov_b32_e32 v4, s22
	v_cmp_lt_u32_e64 s4, 23, v0
	s_clause 0x3
	buffer_load_dword v1, v4, s[0:3], 0 offen
	buffer_load_dword v2, v4, s[0:3], 0 offen offset:4
	buffer_load_dword v3, v4, s[0:3], 0 offen offset:8
	;; [unrolled: 1-line block ×3, first 2 shown]
	s_waitcnt vmcnt(0)
	ds_write_b128 v84, v[1:4]
	s_waitcnt lgkmcnt(0)
	s_waitcnt_vscnt null, 0x0
	s_barrier
	buffer_gl0_inv
	s_and_saveexec_b32 s8, s4
	s_cbranch_execz .LBB102_123
; %bb.116:
	ds_read_b128 v[1:4], v84
	s_andn2_b32 vcc_lo, exec_lo, s46
	s_cbranch_vccnz .LBB102_118
; %bb.117:
	s_clause 0x3
	buffer_load_dword v85, v83, s[0:3], 0 offen offset:8
	buffer_load_dword v86, v83, s[0:3], 0 offen offset:12
	buffer_load_dword v87, v83, s[0:3], 0 offen
	buffer_load_dword v88, v83, s[0:3], 0 offen offset:4
	s_waitcnt vmcnt(2) lgkmcnt(0)
	v_mul_f64 v[90:91], v[3:4], v[85:86]
	v_mul_f64 v[85:86], v[1:2], v[85:86]
	s_waitcnt vmcnt(0)
	v_fma_f64 v[1:2], v[1:2], v[87:88], -v[90:91]
	v_fma_f64 v[3:4], v[3:4], v[87:88], v[85:86]
.LBB102_118:
	s_and_saveexec_b32 s47, s5
	s_cbranch_execz .LBB102_122
; %bb.119:
	v_subrev_nc_u32_e32 v85, 24, v0
	s_movk_i32 s48, 0x3f0
	s_mov_b32 s5, 0
	s_mov_b32 s49, s21
	.p2align	6
.LBB102_120:                            ; =>This Inner Loop Header: Depth=1
	v_mov_b32_e32 v88, s49
	v_add_nc_u32_e32 v85, -1, v85
	s_add_i32 s49, s49, 16
	s_clause 0x3
	buffer_load_dword v86, v88, s[0:3], 0 offen offset:8
	buffer_load_dword v87, v88, s[0:3], 0 offen offset:12
	buffer_load_dword v94, v88, s[0:3], 0 offen
	buffer_load_dword v95, v88, s[0:3], 0 offen offset:4
	v_mov_b32_e32 v88, s48
	v_cmp_eq_u32_e32 vcc_lo, 0, v85
	s_add_i32 s48, s48, 16
	ds_read_b128 v[90:93], v88
	s_or_b32 s5, vcc_lo, s5
	s_waitcnt vmcnt(2) lgkmcnt(0)
	v_mul_f64 v[96:97], v[92:93], v[86:87]
	v_mul_f64 v[86:87], v[90:91], v[86:87]
	s_waitcnt vmcnt(0)
	v_fma_f64 v[90:91], v[90:91], v[94:95], -v[96:97]
	v_fma_f64 v[86:87], v[92:93], v[94:95], v[86:87]
	v_add_f64 v[1:2], v[1:2], v[90:91]
	v_add_f64 v[3:4], v[3:4], v[86:87]
	s_andn2_b32 exec_lo, exec_lo, s5
	s_cbranch_execnz .LBB102_120
; %bb.121:
	s_or_b32 exec_lo, exec_lo, s5
.LBB102_122:
	s_or_b32 exec_lo, exec_lo, s47
	v_mov_b32_e32 v85, 0
	ds_read_b128 v[85:88], v85 offset:368
	s_waitcnt lgkmcnt(0)
	v_mul_f64 v[90:91], v[3:4], v[87:88]
	v_mul_f64 v[87:88], v[1:2], v[87:88]
	v_fma_f64 v[1:2], v[1:2], v[85:86], -v[90:91]
	v_fma_f64 v[3:4], v[3:4], v[85:86], v[87:88]
	buffer_store_dword v2, off, s[0:3], 0 offset:372
	buffer_store_dword v1, off, s[0:3], 0 offset:368
	;; [unrolled: 1-line block ×4, first 2 shown]
.LBB102_123:
	s_or_b32 exec_lo, exec_lo, s8
	v_mov_b32_e32 v4, s23
	v_cmp_lt_u32_e64 s5, 22, v0
	s_clause 0x3
	buffer_load_dword v1, v4, s[0:3], 0 offen
	buffer_load_dword v2, v4, s[0:3], 0 offen offset:4
	buffer_load_dword v3, v4, s[0:3], 0 offen offset:8
	;; [unrolled: 1-line block ×3, first 2 shown]
	s_waitcnt vmcnt(0)
	ds_write_b128 v84, v[1:4]
	s_waitcnt lgkmcnt(0)
	s_waitcnt_vscnt null, 0x0
	s_barrier
	buffer_gl0_inv
	s_and_saveexec_b32 s8, s5
	s_cbranch_execz .LBB102_131
; %bb.124:
	ds_read_b128 v[1:4], v84
	s_andn2_b32 vcc_lo, exec_lo, s46
	s_cbranch_vccnz .LBB102_126
; %bb.125:
	s_clause 0x3
	buffer_load_dword v85, v83, s[0:3], 0 offen offset:8
	buffer_load_dword v86, v83, s[0:3], 0 offen offset:12
	buffer_load_dword v87, v83, s[0:3], 0 offen
	buffer_load_dword v88, v83, s[0:3], 0 offen offset:4
	s_waitcnt vmcnt(2) lgkmcnt(0)
	v_mul_f64 v[90:91], v[3:4], v[85:86]
	v_mul_f64 v[85:86], v[1:2], v[85:86]
	s_waitcnt vmcnt(0)
	v_fma_f64 v[1:2], v[1:2], v[87:88], -v[90:91]
	v_fma_f64 v[3:4], v[3:4], v[87:88], v[85:86]
.LBB102_126:
	s_and_saveexec_b32 s47, s4
	s_cbranch_execz .LBB102_130
; %bb.127:
	v_subrev_nc_u32_e32 v85, 23, v0
	s_movk_i32 s48, 0x3e0
	s_mov_b32 s4, 0
	s_mov_b32 s49, s22
	.p2align	6
.LBB102_128:                            ; =>This Inner Loop Header: Depth=1
	v_mov_b32_e32 v88, s49
	v_add_nc_u32_e32 v85, -1, v85
	s_add_i32 s49, s49, 16
	s_clause 0x3
	buffer_load_dword v86, v88, s[0:3], 0 offen offset:8
	buffer_load_dword v87, v88, s[0:3], 0 offen offset:12
	buffer_load_dword v94, v88, s[0:3], 0 offen
	buffer_load_dword v95, v88, s[0:3], 0 offen offset:4
	v_mov_b32_e32 v88, s48
	v_cmp_eq_u32_e32 vcc_lo, 0, v85
	s_add_i32 s48, s48, 16
	ds_read_b128 v[90:93], v88
	s_or_b32 s4, vcc_lo, s4
	s_waitcnt vmcnt(2) lgkmcnt(0)
	v_mul_f64 v[96:97], v[92:93], v[86:87]
	v_mul_f64 v[86:87], v[90:91], v[86:87]
	s_waitcnt vmcnt(0)
	v_fma_f64 v[90:91], v[90:91], v[94:95], -v[96:97]
	v_fma_f64 v[86:87], v[92:93], v[94:95], v[86:87]
	v_add_f64 v[1:2], v[1:2], v[90:91]
	v_add_f64 v[3:4], v[3:4], v[86:87]
	s_andn2_b32 exec_lo, exec_lo, s4
	s_cbranch_execnz .LBB102_128
; %bb.129:
	s_or_b32 exec_lo, exec_lo, s4
.LBB102_130:
	s_or_b32 exec_lo, exec_lo, s47
	v_mov_b32_e32 v85, 0
	ds_read_b128 v[85:88], v85 offset:352
	s_waitcnt lgkmcnt(0)
	v_mul_f64 v[90:91], v[3:4], v[87:88]
	v_mul_f64 v[87:88], v[1:2], v[87:88]
	v_fma_f64 v[1:2], v[1:2], v[85:86], -v[90:91]
	v_fma_f64 v[3:4], v[3:4], v[85:86], v[87:88]
	buffer_store_dword v2, off, s[0:3], 0 offset:356
	buffer_store_dword v1, off, s[0:3], 0 offset:352
	;; [unrolled: 1-line block ×4, first 2 shown]
.LBB102_131:
	s_or_b32 exec_lo, exec_lo, s8
	v_mov_b32_e32 v4, s24
	v_cmp_lt_u32_e64 s4, 21, v0
	s_clause 0x3
	buffer_load_dword v1, v4, s[0:3], 0 offen
	buffer_load_dword v2, v4, s[0:3], 0 offen offset:4
	buffer_load_dword v3, v4, s[0:3], 0 offen offset:8
	;; [unrolled: 1-line block ×3, first 2 shown]
	s_waitcnt vmcnt(0)
	ds_write_b128 v84, v[1:4]
	s_waitcnt lgkmcnt(0)
	s_waitcnt_vscnt null, 0x0
	s_barrier
	buffer_gl0_inv
	s_and_saveexec_b32 s8, s4
	s_cbranch_execz .LBB102_139
; %bb.132:
	ds_read_b128 v[1:4], v84
	s_andn2_b32 vcc_lo, exec_lo, s46
	s_cbranch_vccnz .LBB102_134
; %bb.133:
	s_clause 0x3
	buffer_load_dword v85, v83, s[0:3], 0 offen offset:8
	buffer_load_dword v86, v83, s[0:3], 0 offen offset:12
	buffer_load_dword v87, v83, s[0:3], 0 offen
	buffer_load_dword v88, v83, s[0:3], 0 offen offset:4
	s_waitcnt vmcnt(2) lgkmcnt(0)
	v_mul_f64 v[90:91], v[3:4], v[85:86]
	v_mul_f64 v[85:86], v[1:2], v[85:86]
	s_waitcnt vmcnt(0)
	v_fma_f64 v[1:2], v[1:2], v[87:88], -v[90:91]
	v_fma_f64 v[3:4], v[3:4], v[87:88], v[85:86]
.LBB102_134:
	s_and_saveexec_b32 s47, s5
	s_cbranch_execz .LBB102_138
; %bb.135:
	v_subrev_nc_u32_e32 v85, 22, v0
	s_movk_i32 s48, 0x3d0
	s_mov_b32 s5, 0
	s_mov_b32 s49, s23
	.p2align	6
.LBB102_136:                            ; =>This Inner Loop Header: Depth=1
	v_mov_b32_e32 v88, s49
	v_add_nc_u32_e32 v85, -1, v85
	s_add_i32 s49, s49, 16
	s_clause 0x3
	buffer_load_dword v86, v88, s[0:3], 0 offen offset:8
	buffer_load_dword v87, v88, s[0:3], 0 offen offset:12
	buffer_load_dword v94, v88, s[0:3], 0 offen
	buffer_load_dword v95, v88, s[0:3], 0 offen offset:4
	v_mov_b32_e32 v88, s48
	v_cmp_eq_u32_e32 vcc_lo, 0, v85
	s_add_i32 s48, s48, 16
	ds_read_b128 v[90:93], v88
	s_or_b32 s5, vcc_lo, s5
	s_waitcnt vmcnt(2) lgkmcnt(0)
	v_mul_f64 v[96:97], v[92:93], v[86:87]
	v_mul_f64 v[86:87], v[90:91], v[86:87]
	s_waitcnt vmcnt(0)
	v_fma_f64 v[90:91], v[90:91], v[94:95], -v[96:97]
	v_fma_f64 v[86:87], v[92:93], v[94:95], v[86:87]
	v_add_f64 v[1:2], v[1:2], v[90:91]
	v_add_f64 v[3:4], v[3:4], v[86:87]
	s_andn2_b32 exec_lo, exec_lo, s5
	s_cbranch_execnz .LBB102_136
; %bb.137:
	s_or_b32 exec_lo, exec_lo, s5
.LBB102_138:
	s_or_b32 exec_lo, exec_lo, s47
	v_mov_b32_e32 v85, 0
	ds_read_b128 v[85:88], v85 offset:336
	s_waitcnt lgkmcnt(0)
	v_mul_f64 v[90:91], v[3:4], v[87:88]
	v_mul_f64 v[87:88], v[1:2], v[87:88]
	v_fma_f64 v[1:2], v[1:2], v[85:86], -v[90:91]
	v_fma_f64 v[3:4], v[3:4], v[85:86], v[87:88]
	buffer_store_dword v2, off, s[0:3], 0 offset:340
	buffer_store_dword v1, off, s[0:3], 0 offset:336
	;; [unrolled: 1-line block ×4, first 2 shown]
.LBB102_139:
	s_or_b32 exec_lo, exec_lo, s8
	v_mov_b32_e32 v4, s25
	v_cmp_lt_u32_e64 s5, 20, v0
	s_clause 0x3
	buffer_load_dword v1, v4, s[0:3], 0 offen
	buffer_load_dword v2, v4, s[0:3], 0 offen offset:4
	buffer_load_dword v3, v4, s[0:3], 0 offen offset:8
	;; [unrolled: 1-line block ×3, first 2 shown]
	s_waitcnt vmcnt(0)
	ds_write_b128 v84, v[1:4]
	s_waitcnt lgkmcnt(0)
	s_waitcnt_vscnt null, 0x0
	s_barrier
	buffer_gl0_inv
	s_and_saveexec_b32 s8, s5
	s_cbranch_execz .LBB102_147
; %bb.140:
	ds_read_b128 v[1:4], v84
	s_andn2_b32 vcc_lo, exec_lo, s46
	s_cbranch_vccnz .LBB102_142
; %bb.141:
	s_clause 0x3
	buffer_load_dword v85, v83, s[0:3], 0 offen offset:8
	buffer_load_dword v86, v83, s[0:3], 0 offen offset:12
	buffer_load_dword v87, v83, s[0:3], 0 offen
	buffer_load_dword v88, v83, s[0:3], 0 offen offset:4
	s_waitcnt vmcnt(2) lgkmcnt(0)
	v_mul_f64 v[90:91], v[3:4], v[85:86]
	v_mul_f64 v[85:86], v[1:2], v[85:86]
	s_waitcnt vmcnt(0)
	v_fma_f64 v[1:2], v[1:2], v[87:88], -v[90:91]
	v_fma_f64 v[3:4], v[3:4], v[87:88], v[85:86]
.LBB102_142:
	s_and_saveexec_b32 s47, s4
	s_cbranch_execz .LBB102_146
; %bb.143:
	v_subrev_nc_u32_e32 v85, 21, v0
	s_movk_i32 s48, 0x3c0
	s_mov_b32 s4, 0
	s_mov_b32 s49, s24
	.p2align	6
.LBB102_144:                            ; =>This Inner Loop Header: Depth=1
	v_mov_b32_e32 v88, s49
	v_add_nc_u32_e32 v85, -1, v85
	s_add_i32 s49, s49, 16
	s_clause 0x3
	buffer_load_dword v86, v88, s[0:3], 0 offen offset:8
	buffer_load_dword v87, v88, s[0:3], 0 offen offset:12
	buffer_load_dword v94, v88, s[0:3], 0 offen
	buffer_load_dword v95, v88, s[0:3], 0 offen offset:4
	v_mov_b32_e32 v88, s48
	v_cmp_eq_u32_e32 vcc_lo, 0, v85
	s_add_i32 s48, s48, 16
	ds_read_b128 v[90:93], v88
	s_or_b32 s4, vcc_lo, s4
	s_waitcnt vmcnt(2) lgkmcnt(0)
	v_mul_f64 v[96:97], v[92:93], v[86:87]
	v_mul_f64 v[86:87], v[90:91], v[86:87]
	s_waitcnt vmcnt(0)
	v_fma_f64 v[90:91], v[90:91], v[94:95], -v[96:97]
	v_fma_f64 v[86:87], v[92:93], v[94:95], v[86:87]
	v_add_f64 v[1:2], v[1:2], v[90:91]
	v_add_f64 v[3:4], v[3:4], v[86:87]
	s_andn2_b32 exec_lo, exec_lo, s4
	s_cbranch_execnz .LBB102_144
; %bb.145:
	s_or_b32 exec_lo, exec_lo, s4
.LBB102_146:
	s_or_b32 exec_lo, exec_lo, s47
	v_mov_b32_e32 v85, 0
	ds_read_b128 v[85:88], v85 offset:320
	s_waitcnt lgkmcnt(0)
	v_mul_f64 v[90:91], v[3:4], v[87:88]
	v_mul_f64 v[87:88], v[1:2], v[87:88]
	v_fma_f64 v[1:2], v[1:2], v[85:86], -v[90:91]
	v_fma_f64 v[3:4], v[3:4], v[85:86], v[87:88]
	buffer_store_dword v2, off, s[0:3], 0 offset:324
	buffer_store_dword v1, off, s[0:3], 0 offset:320
	;; [unrolled: 1-line block ×4, first 2 shown]
.LBB102_147:
	s_or_b32 exec_lo, exec_lo, s8
	v_mov_b32_e32 v4, s26
	v_cmp_lt_u32_e64 s4, 19, v0
	s_clause 0x3
	buffer_load_dword v1, v4, s[0:3], 0 offen
	buffer_load_dword v2, v4, s[0:3], 0 offen offset:4
	buffer_load_dword v3, v4, s[0:3], 0 offen offset:8
	;; [unrolled: 1-line block ×3, first 2 shown]
	s_waitcnt vmcnt(0)
	ds_write_b128 v84, v[1:4]
	s_waitcnt lgkmcnt(0)
	s_waitcnt_vscnt null, 0x0
	s_barrier
	buffer_gl0_inv
	s_and_saveexec_b32 s8, s4
	s_cbranch_execz .LBB102_155
; %bb.148:
	ds_read_b128 v[1:4], v84
	s_andn2_b32 vcc_lo, exec_lo, s46
	s_cbranch_vccnz .LBB102_150
; %bb.149:
	s_clause 0x3
	buffer_load_dword v85, v83, s[0:3], 0 offen offset:8
	buffer_load_dword v86, v83, s[0:3], 0 offen offset:12
	buffer_load_dword v87, v83, s[0:3], 0 offen
	buffer_load_dword v88, v83, s[0:3], 0 offen offset:4
	s_waitcnt vmcnt(2) lgkmcnt(0)
	v_mul_f64 v[90:91], v[3:4], v[85:86]
	v_mul_f64 v[85:86], v[1:2], v[85:86]
	s_waitcnt vmcnt(0)
	v_fma_f64 v[1:2], v[1:2], v[87:88], -v[90:91]
	v_fma_f64 v[3:4], v[3:4], v[87:88], v[85:86]
.LBB102_150:
	s_and_saveexec_b32 s47, s5
	s_cbranch_execz .LBB102_154
; %bb.151:
	v_subrev_nc_u32_e32 v85, 20, v0
	s_movk_i32 s48, 0x3b0
	s_mov_b32 s5, 0
	s_mov_b32 s49, s25
	.p2align	6
.LBB102_152:                            ; =>This Inner Loop Header: Depth=1
	v_mov_b32_e32 v88, s49
	v_add_nc_u32_e32 v85, -1, v85
	s_add_i32 s49, s49, 16
	s_clause 0x3
	buffer_load_dword v86, v88, s[0:3], 0 offen offset:8
	buffer_load_dword v87, v88, s[0:3], 0 offen offset:12
	buffer_load_dword v94, v88, s[0:3], 0 offen
	buffer_load_dword v95, v88, s[0:3], 0 offen offset:4
	v_mov_b32_e32 v88, s48
	v_cmp_eq_u32_e32 vcc_lo, 0, v85
	s_add_i32 s48, s48, 16
	ds_read_b128 v[90:93], v88
	s_or_b32 s5, vcc_lo, s5
	s_waitcnt vmcnt(2) lgkmcnt(0)
	v_mul_f64 v[96:97], v[92:93], v[86:87]
	v_mul_f64 v[86:87], v[90:91], v[86:87]
	s_waitcnt vmcnt(0)
	v_fma_f64 v[90:91], v[90:91], v[94:95], -v[96:97]
	v_fma_f64 v[86:87], v[92:93], v[94:95], v[86:87]
	v_add_f64 v[1:2], v[1:2], v[90:91]
	v_add_f64 v[3:4], v[3:4], v[86:87]
	s_andn2_b32 exec_lo, exec_lo, s5
	s_cbranch_execnz .LBB102_152
; %bb.153:
	s_or_b32 exec_lo, exec_lo, s5
.LBB102_154:
	s_or_b32 exec_lo, exec_lo, s47
	v_mov_b32_e32 v85, 0
	ds_read_b128 v[85:88], v85 offset:304
	s_waitcnt lgkmcnt(0)
	v_mul_f64 v[90:91], v[3:4], v[87:88]
	v_mul_f64 v[87:88], v[1:2], v[87:88]
	v_fma_f64 v[1:2], v[1:2], v[85:86], -v[90:91]
	v_fma_f64 v[3:4], v[3:4], v[85:86], v[87:88]
	buffer_store_dword v2, off, s[0:3], 0 offset:308
	buffer_store_dword v1, off, s[0:3], 0 offset:304
	buffer_store_dword v4, off, s[0:3], 0 offset:316
	buffer_store_dword v3, off, s[0:3], 0 offset:312
.LBB102_155:
	s_or_b32 exec_lo, exec_lo, s8
	v_mov_b32_e32 v4, s27
	v_cmp_lt_u32_e64 s5, 18, v0
	s_clause 0x3
	buffer_load_dword v1, v4, s[0:3], 0 offen
	buffer_load_dword v2, v4, s[0:3], 0 offen offset:4
	buffer_load_dword v3, v4, s[0:3], 0 offen offset:8
	;; [unrolled: 1-line block ×3, first 2 shown]
	s_waitcnt vmcnt(0)
	ds_write_b128 v84, v[1:4]
	s_waitcnt lgkmcnt(0)
	s_waitcnt_vscnt null, 0x0
	s_barrier
	buffer_gl0_inv
	s_and_saveexec_b32 s8, s5
	s_cbranch_execz .LBB102_163
; %bb.156:
	ds_read_b128 v[1:4], v84
	s_andn2_b32 vcc_lo, exec_lo, s46
	s_cbranch_vccnz .LBB102_158
; %bb.157:
	s_clause 0x3
	buffer_load_dword v85, v83, s[0:3], 0 offen offset:8
	buffer_load_dword v86, v83, s[0:3], 0 offen offset:12
	buffer_load_dword v87, v83, s[0:3], 0 offen
	buffer_load_dword v88, v83, s[0:3], 0 offen offset:4
	s_waitcnt vmcnt(2) lgkmcnt(0)
	v_mul_f64 v[90:91], v[3:4], v[85:86]
	v_mul_f64 v[85:86], v[1:2], v[85:86]
	s_waitcnt vmcnt(0)
	v_fma_f64 v[1:2], v[1:2], v[87:88], -v[90:91]
	v_fma_f64 v[3:4], v[3:4], v[87:88], v[85:86]
.LBB102_158:
	s_and_saveexec_b32 s47, s4
	s_cbranch_execz .LBB102_162
; %bb.159:
	v_subrev_nc_u32_e32 v85, 19, v0
	s_movk_i32 s48, 0x3a0
	s_mov_b32 s4, 0
	s_mov_b32 s49, s26
	.p2align	6
.LBB102_160:                            ; =>This Inner Loop Header: Depth=1
	v_mov_b32_e32 v88, s49
	v_add_nc_u32_e32 v85, -1, v85
	s_add_i32 s49, s49, 16
	s_clause 0x3
	buffer_load_dword v86, v88, s[0:3], 0 offen offset:8
	buffer_load_dword v87, v88, s[0:3], 0 offen offset:12
	buffer_load_dword v94, v88, s[0:3], 0 offen
	buffer_load_dword v95, v88, s[0:3], 0 offen offset:4
	v_mov_b32_e32 v88, s48
	v_cmp_eq_u32_e32 vcc_lo, 0, v85
	s_add_i32 s48, s48, 16
	ds_read_b128 v[90:93], v88
	s_or_b32 s4, vcc_lo, s4
	s_waitcnt vmcnt(2) lgkmcnt(0)
	v_mul_f64 v[96:97], v[92:93], v[86:87]
	v_mul_f64 v[86:87], v[90:91], v[86:87]
	s_waitcnt vmcnt(0)
	v_fma_f64 v[90:91], v[90:91], v[94:95], -v[96:97]
	v_fma_f64 v[86:87], v[92:93], v[94:95], v[86:87]
	v_add_f64 v[1:2], v[1:2], v[90:91]
	v_add_f64 v[3:4], v[3:4], v[86:87]
	s_andn2_b32 exec_lo, exec_lo, s4
	s_cbranch_execnz .LBB102_160
; %bb.161:
	s_or_b32 exec_lo, exec_lo, s4
.LBB102_162:
	s_or_b32 exec_lo, exec_lo, s47
	v_mov_b32_e32 v85, 0
	ds_read_b128 v[85:88], v85 offset:288
	s_waitcnt lgkmcnt(0)
	v_mul_f64 v[90:91], v[3:4], v[87:88]
	v_mul_f64 v[87:88], v[1:2], v[87:88]
	v_fma_f64 v[1:2], v[1:2], v[85:86], -v[90:91]
	v_fma_f64 v[3:4], v[3:4], v[85:86], v[87:88]
	buffer_store_dword v2, off, s[0:3], 0 offset:292
	buffer_store_dword v1, off, s[0:3], 0 offset:288
	;; [unrolled: 1-line block ×4, first 2 shown]
.LBB102_163:
	s_or_b32 exec_lo, exec_lo, s8
	v_mov_b32_e32 v4, s28
	v_cmp_lt_u32_e64 s4, 17, v0
	s_clause 0x3
	buffer_load_dword v1, v4, s[0:3], 0 offen
	buffer_load_dword v2, v4, s[0:3], 0 offen offset:4
	buffer_load_dword v3, v4, s[0:3], 0 offen offset:8
	;; [unrolled: 1-line block ×3, first 2 shown]
	s_waitcnt vmcnt(0)
	ds_write_b128 v84, v[1:4]
	s_waitcnt lgkmcnt(0)
	s_waitcnt_vscnt null, 0x0
	s_barrier
	buffer_gl0_inv
	s_and_saveexec_b32 s8, s4
	s_cbranch_execz .LBB102_171
; %bb.164:
	ds_read_b128 v[1:4], v84
	s_andn2_b32 vcc_lo, exec_lo, s46
	s_cbranch_vccnz .LBB102_166
; %bb.165:
	s_clause 0x3
	buffer_load_dword v85, v83, s[0:3], 0 offen offset:8
	buffer_load_dword v86, v83, s[0:3], 0 offen offset:12
	buffer_load_dword v87, v83, s[0:3], 0 offen
	buffer_load_dword v88, v83, s[0:3], 0 offen offset:4
	s_waitcnt vmcnt(2) lgkmcnt(0)
	v_mul_f64 v[90:91], v[3:4], v[85:86]
	v_mul_f64 v[85:86], v[1:2], v[85:86]
	s_waitcnt vmcnt(0)
	v_fma_f64 v[1:2], v[1:2], v[87:88], -v[90:91]
	v_fma_f64 v[3:4], v[3:4], v[87:88], v[85:86]
.LBB102_166:
	s_and_saveexec_b32 s47, s5
	s_cbranch_execz .LBB102_170
; %bb.167:
	v_subrev_nc_u32_e32 v85, 18, v0
	s_movk_i32 s48, 0x390
	s_mov_b32 s5, 0
	s_mov_b32 s49, s27
	.p2align	6
.LBB102_168:                            ; =>This Inner Loop Header: Depth=1
	v_mov_b32_e32 v88, s49
	v_add_nc_u32_e32 v85, -1, v85
	s_add_i32 s49, s49, 16
	s_clause 0x3
	buffer_load_dword v86, v88, s[0:3], 0 offen offset:8
	buffer_load_dword v87, v88, s[0:3], 0 offen offset:12
	buffer_load_dword v94, v88, s[0:3], 0 offen
	buffer_load_dword v95, v88, s[0:3], 0 offen offset:4
	v_mov_b32_e32 v88, s48
	v_cmp_eq_u32_e32 vcc_lo, 0, v85
	s_add_i32 s48, s48, 16
	ds_read_b128 v[90:93], v88
	s_or_b32 s5, vcc_lo, s5
	s_waitcnt vmcnt(2) lgkmcnt(0)
	v_mul_f64 v[96:97], v[92:93], v[86:87]
	v_mul_f64 v[86:87], v[90:91], v[86:87]
	s_waitcnt vmcnt(0)
	v_fma_f64 v[90:91], v[90:91], v[94:95], -v[96:97]
	v_fma_f64 v[86:87], v[92:93], v[94:95], v[86:87]
	v_add_f64 v[1:2], v[1:2], v[90:91]
	v_add_f64 v[3:4], v[3:4], v[86:87]
	s_andn2_b32 exec_lo, exec_lo, s5
	s_cbranch_execnz .LBB102_168
; %bb.169:
	s_or_b32 exec_lo, exec_lo, s5
.LBB102_170:
	s_or_b32 exec_lo, exec_lo, s47
	v_mov_b32_e32 v85, 0
	ds_read_b128 v[85:88], v85 offset:272
	s_waitcnt lgkmcnt(0)
	v_mul_f64 v[90:91], v[3:4], v[87:88]
	v_mul_f64 v[87:88], v[1:2], v[87:88]
	v_fma_f64 v[1:2], v[1:2], v[85:86], -v[90:91]
	v_fma_f64 v[3:4], v[3:4], v[85:86], v[87:88]
	buffer_store_dword v2, off, s[0:3], 0 offset:276
	buffer_store_dword v1, off, s[0:3], 0 offset:272
	;; [unrolled: 1-line block ×4, first 2 shown]
.LBB102_171:
	s_or_b32 exec_lo, exec_lo, s8
	v_mov_b32_e32 v4, s29
	v_cmp_lt_u32_e64 s5, 16, v0
	s_clause 0x3
	buffer_load_dword v1, v4, s[0:3], 0 offen
	buffer_load_dword v2, v4, s[0:3], 0 offen offset:4
	buffer_load_dword v3, v4, s[0:3], 0 offen offset:8
	;; [unrolled: 1-line block ×3, first 2 shown]
	s_waitcnt vmcnt(0)
	ds_write_b128 v84, v[1:4]
	s_waitcnt lgkmcnt(0)
	s_waitcnt_vscnt null, 0x0
	s_barrier
	buffer_gl0_inv
	s_and_saveexec_b32 s8, s5
	s_cbranch_execz .LBB102_179
; %bb.172:
	ds_read_b128 v[1:4], v84
	s_andn2_b32 vcc_lo, exec_lo, s46
	s_cbranch_vccnz .LBB102_174
; %bb.173:
	s_clause 0x3
	buffer_load_dword v85, v83, s[0:3], 0 offen offset:8
	buffer_load_dword v86, v83, s[0:3], 0 offen offset:12
	buffer_load_dword v87, v83, s[0:3], 0 offen
	buffer_load_dword v88, v83, s[0:3], 0 offen offset:4
	s_waitcnt vmcnt(2) lgkmcnt(0)
	v_mul_f64 v[90:91], v[3:4], v[85:86]
	v_mul_f64 v[85:86], v[1:2], v[85:86]
	s_waitcnt vmcnt(0)
	v_fma_f64 v[1:2], v[1:2], v[87:88], -v[90:91]
	v_fma_f64 v[3:4], v[3:4], v[87:88], v[85:86]
.LBB102_174:
	s_and_saveexec_b32 s47, s4
	s_cbranch_execz .LBB102_178
; %bb.175:
	v_subrev_nc_u32_e32 v85, 17, v0
	s_movk_i32 s48, 0x380
	s_mov_b32 s4, 0
	s_mov_b32 s49, s28
	.p2align	6
.LBB102_176:                            ; =>This Inner Loop Header: Depth=1
	v_mov_b32_e32 v88, s49
	v_add_nc_u32_e32 v85, -1, v85
	s_add_i32 s49, s49, 16
	s_clause 0x3
	buffer_load_dword v86, v88, s[0:3], 0 offen offset:8
	buffer_load_dword v87, v88, s[0:3], 0 offen offset:12
	buffer_load_dword v94, v88, s[0:3], 0 offen
	buffer_load_dword v95, v88, s[0:3], 0 offen offset:4
	v_mov_b32_e32 v88, s48
	v_cmp_eq_u32_e32 vcc_lo, 0, v85
	s_add_i32 s48, s48, 16
	ds_read_b128 v[90:93], v88
	s_or_b32 s4, vcc_lo, s4
	s_waitcnt vmcnt(2) lgkmcnt(0)
	v_mul_f64 v[96:97], v[92:93], v[86:87]
	v_mul_f64 v[86:87], v[90:91], v[86:87]
	s_waitcnt vmcnt(0)
	v_fma_f64 v[90:91], v[90:91], v[94:95], -v[96:97]
	v_fma_f64 v[86:87], v[92:93], v[94:95], v[86:87]
	v_add_f64 v[1:2], v[1:2], v[90:91]
	v_add_f64 v[3:4], v[3:4], v[86:87]
	s_andn2_b32 exec_lo, exec_lo, s4
	s_cbranch_execnz .LBB102_176
; %bb.177:
	s_or_b32 exec_lo, exec_lo, s4
.LBB102_178:
	s_or_b32 exec_lo, exec_lo, s47
	v_mov_b32_e32 v85, 0
	ds_read_b128 v[85:88], v85 offset:256
	s_waitcnt lgkmcnt(0)
	v_mul_f64 v[90:91], v[3:4], v[87:88]
	v_mul_f64 v[87:88], v[1:2], v[87:88]
	v_fma_f64 v[1:2], v[1:2], v[85:86], -v[90:91]
	v_fma_f64 v[3:4], v[3:4], v[85:86], v[87:88]
	buffer_store_dword v2, off, s[0:3], 0 offset:260
	buffer_store_dword v1, off, s[0:3], 0 offset:256
	buffer_store_dword v4, off, s[0:3], 0 offset:268
	buffer_store_dword v3, off, s[0:3], 0 offset:264
.LBB102_179:
	s_or_b32 exec_lo, exec_lo, s8
	v_mov_b32_e32 v4, s30
	v_cmp_lt_u32_e64 s4, 15, v0
	s_clause 0x3
	buffer_load_dword v1, v4, s[0:3], 0 offen
	buffer_load_dword v2, v4, s[0:3], 0 offen offset:4
	buffer_load_dword v3, v4, s[0:3], 0 offen offset:8
	;; [unrolled: 1-line block ×3, first 2 shown]
	s_waitcnt vmcnt(0)
	ds_write_b128 v84, v[1:4]
	s_waitcnt lgkmcnt(0)
	s_waitcnt_vscnt null, 0x0
	s_barrier
	buffer_gl0_inv
	s_and_saveexec_b32 s8, s4
	s_cbranch_execz .LBB102_187
; %bb.180:
	ds_read_b128 v[1:4], v84
	s_andn2_b32 vcc_lo, exec_lo, s46
	s_cbranch_vccnz .LBB102_182
; %bb.181:
	s_clause 0x3
	buffer_load_dword v85, v83, s[0:3], 0 offen offset:8
	buffer_load_dword v86, v83, s[0:3], 0 offen offset:12
	buffer_load_dword v87, v83, s[0:3], 0 offen
	buffer_load_dword v88, v83, s[0:3], 0 offen offset:4
	s_waitcnt vmcnt(2) lgkmcnt(0)
	v_mul_f64 v[90:91], v[3:4], v[85:86]
	v_mul_f64 v[85:86], v[1:2], v[85:86]
	s_waitcnt vmcnt(0)
	v_fma_f64 v[1:2], v[1:2], v[87:88], -v[90:91]
	v_fma_f64 v[3:4], v[3:4], v[87:88], v[85:86]
.LBB102_182:
	s_and_saveexec_b32 s47, s5
	s_cbranch_execz .LBB102_186
; %bb.183:
	v_add_nc_u32_e32 v85, -16, v0
	s_movk_i32 s48, 0x370
	s_mov_b32 s5, 0
	s_mov_b32 s49, s29
	.p2align	6
.LBB102_184:                            ; =>This Inner Loop Header: Depth=1
	v_mov_b32_e32 v88, s49
	v_add_nc_u32_e32 v85, -1, v85
	s_add_i32 s49, s49, 16
	s_clause 0x3
	buffer_load_dword v86, v88, s[0:3], 0 offen offset:8
	buffer_load_dword v87, v88, s[0:3], 0 offen offset:12
	buffer_load_dword v94, v88, s[0:3], 0 offen
	buffer_load_dword v95, v88, s[0:3], 0 offen offset:4
	v_mov_b32_e32 v88, s48
	v_cmp_eq_u32_e32 vcc_lo, 0, v85
	s_add_i32 s48, s48, 16
	ds_read_b128 v[90:93], v88
	s_or_b32 s5, vcc_lo, s5
	s_waitcnt vmcnt(2) lgkmcnt(0)
	v_mul_f64 v[96:97], v[92:93], v[86:87]
	v_mul_f64 v[86:87], v[90:91], v[86:87]
	s_waitcnt vmcnt(0)
	v_fma_f64 v[90:91], v[90:91], v[94:95], -v[96:97]
	v_fma_f64 v[86:87], v[92:93], v[94:95], v[86:87]
	v_add_f64 v[1:2], v[1:2], v[90:91]
	v_add_f64 v[3:4], v[3:4], v[86:87]
	s_andn2_b32 exec_lo, exec_lo, s5
	s_cbranch_execnz .LBB102_184
; %bb.185:
	s_or_b32 exec_lo, exec_lo, s5
.LBB102_186:
	s_or_b32 exec_lo, exec_lo, s47
	v_mov_b32_e32 v85, 0
	ds_read_b128 v[85:88], v85 offset:240
	s_waitcnt lgkmcnt(0)
	v_mul_f64 v[90:91], v[3:4], v[87:88]
	v_mul_f64 v[87:88], v[1:2], v[87:88]
	v_fma_f64 v[1:2], v[1:2], v[85:86], -v[90:91]
	v_fma_f64 v[3:4], v[3:4], v[85:86], v[87:88]
	buffer_store_dword v2, off, s[0:3], 0 offset:244
	buffer_store_dword v1, off, s[0:3], 0 offset:240
	;; [unrolled: 1-line block ×4, first 2 shown]
.LBB102_187:
	s_or_b32 exec_lo, exec_lo, s8
	v_mov_b32_e32 v4, s31
	v_cmp_lt_u32_e64 s5, 14, v0
	s_clause 0x3
	buffer_load_dword v1, v4, s[0:3], 0 offen
	buffer_load_dword v2, v4, s[0:3], 0 offen offset:4
	buffer_load_dword v3, v4, s[0:3], 0 offen offset:8
	;; [unrolled: 1-line block ×3, first 2 shown]
	s_waitcnt vmcnt(0)
	ds_write_b128 v84, v[1:4]
	s_waitcnt lgkmcnt(0)
	s_waitcnt_vscnt null, 0x0
	s_barrier
	buffer_gl0_inv
	s_and_saveexec_b32 s8, s5
	s_cbranch_execz .LBB102_195
; %bb.188:
	ds_read_b128 v[1:4], v84
	s_andn2_b32 vcc_lo, exec_lo, s46
	s_cbranch_vccnz .LBB102_190
; %bb.189:
	s_clause 0x3
	buffer_load_dword v85, v83, s[0:3], 0 offen offset:8
	buffer_load_dword v86, v83, s[0:3], 0 offen offset:12
	buffer_load_dword v87, v83, s[0:3], 0 offen
	buffer_load_dword v88, v83, s[0:3], 0 offen offset:4
	s_waitcnt vmcnt(2) lgkmcnt(0)
	v_mul_f64 v[90:91], v[3:4], v[85:86]
	v_mul_f64 v[85:86], v[1:2], v[85:86]
	s_waitcnt vmcnt(0)
	v_fma_f64 v[1:2], v[1:2], v[87:88], -v[90:91]
	v_fma_f64 v[3:4], v[3:4], v[87:88], v[85:86]
.LBB102_190:
	s_and_saveexec_b32 s47, s4
	s_cbranch_execz .LBB102_194
; %bb.191:
	v_add_nc_u32_e32 v85, -15, v0
	s_movk_i32 s48, 0x360
	s_mov_b32 s4, 0
	s_mov_b32 s49, s30
	.p2align	6
.LBB102_192:                            ; =>This Inner Loop Header: Depth=1
	v_mov_b32_e32 v88, s49
	v_add_nc_u32_e32 v85, -1, v85
	s_add_i32 s49, s49, 16
	s_clause 0x3
	buffer_load_dword v86, v88, s[0:3], 0 offen offset:8
	buffer_load_dword v87, v88, s[0:3], 0 offen offset:12
	buffer_load_dword v94, v88, s[0:3], 0 offen
	buffer_load_dword v95, v88, s[0:3], 0 offen offset:4
	v_mov_b32_e32 v88, s48
	v_cmp_eq_u32_e32 vcc_lo, 0, v85
	s_add_i32 s48, s48, 16
	ds_read_b128 v[90:93], v88
	s_or_b32 s4, vcc_lo, s4
	s_waitcnt vmcnt(2) lgkmcnt(0)
	v_mul_f64 v[96:97], v[92:93], v[86:87]
	v_mul_f64 v[86:87], v[90:91], v[86:87]
	s_waitcnt vmcnt(0)
	v_fma_f64 v[90:91], v[90:91], v[94:95], -v[96:97]
	v_fma_f64 v[86:87], v[92:93], v[94:95], v[86:87]
	v_add_f64 v[1:2], v[1:2], v[90:91]
	v_add_f64 v[3:4], v[3:4], v[86:87]
	s_andn2_b32 exec_lo, exec_lo, s4
	s_cbranch_execnz .LBB102_192
; %bb.193:
	s_or_b32 exec_lo, exec_lo, s4
.LBB102_194:
	s_or_b32 exec_lo, exec_lo, s47
	v_mov_b32_e32 v85, 0
	ds_read_b128 v[85:88], v85 offset:224
	s_waitcnt lgkmcnt(0)
	v_mul_f64 v[90:91], v[3:4], v[87:88]
	v_mul_f64 v[87:88], v[1:2], v[87:88]
	v_fma_f64 v[1:2], v[1:2], v[85:86], -v[90:91]
	v_fma_f64 v[3:4], v[3:4], v[85:86], v[87:88]
	buffer_store_dword v2, off, s[0:3], 0 offset:228
	buffer_store_dword v1, off, s[0:3], 0 offset:224
	;; [unrolled: 1-line block ×4, first 2 shown]
.LBB102_195:
	s_or_b32 exec_lo, exec_lo, s8
	v_mov_b32_e32 v4, s33
	v_cmp_lt_u32_e64 s4, 13, v0
	s_clause 0x3
	buffer_load_dword v1, v4, s[0:3], 0 offen
	buffer_load_dword v2, v4, s[0:3], 0 offen offset:4
	buffer_load_dword v3, v4, s[0:3], 0 offen offset:8
	;; [unrolled: 1-line block ×3, first 2 shown]
	s_waitcnt vmcnt(0)
	ds_write_b128 v84, v[1:4]
	s_waitcnt lgkmcnt(0)
	s_waitcnt_vscnt null, 0x0
	s_barrier
	buffer_gl0_inv
	s_and_saveexec_b32 s8, s4
	s_cbranch_execz .LBB102_203
; %bb.196:
	ds_read_b128 v[1:4], v84
	s_andn2_b32 vcc_lo, exec_lo, s46
	s_cbranch_vccnz .LBB102_198
; %bb.197:
	s_clause 0x3
	buffer_load_dword v85, v83, s[0:3], 0 offen offset:8
	buffer_load_dword v86, v83, s[0:3], 0 offen offset:12
	buffer_load_dword v87, v83, s[0:3], 0 offen
	buffer_load_dword v88, v83, s[0:3], 0 offen offset:4
	s_waitcnt vmcnt(2) lgkmcnt(0)
	v_mul_f64 v[90:91], v[3:4], v[85:86]
	v_mul_f64 v[85:86], v[1:2], v[85:86]
	s_waitcnt vmcnt(0)
	v_fma_f64 v[1:2], v[1:2], v[87:88], -v[90:91]
	v_fma_f64 v[3:4], v[3:4], v[87:88], v[85:86]
.LBB102_198:
	s_and_saveexec_b32 s47, s5
	s_cbranch_execz .LBB102_202
; %bb.199:
	v_add_nc_u32_e32 v85, -14, v0
	s_movk_i32 s48, 0x350
	s_mov_b32 s5, 0
	s_mov_b32 s49, s31
	.p2align	6
.LBB102_200:                            ; =>This Inner Loop Header: Depth=1
	v_mov_b32_e32 v88, s49
	v_add_nc_u32_e32 v85, -1, v85
	s_add_i32 s49, s49, 16
	s_clause 0x3
	buffer_load_dword v86, v88, s[0:3], 0 offen offset:8
	buffer_load_dword v87, v88, s[0:3], 0 offen offset:12
	buffer_load_dword v94, v88, s[0:3], 0 offen
	buffer_load_dword v95, v88, s[0:3], 0 offen offset:4
	v_mov_b32_e32 v88, s48
	v_cmp_eq_u32_e32 vcc_lo, 0, v85
	s_add_i32 s48, s48, 16
	ds_read_b128 v[90:93], v88
	s_or_b32 s5, vcc_lo, s5
	s_waitcnt vmcnt(2) lgkmcnt(0)
	v_mul_f64 v[96:97], v[92:93], v[86:87]
	v_mul_f64 v[86:87], v[90:91], v[86:87]
	s_waitcnt vmcnt(0)
	v_fma_f64 v[90:91], v[90:91], v[94:95], -v[96:97]
	v_fma_f64 v[86:87], v[92:93], v[94:95], v[86:87]
	v_add_f64 v[1:2], v[1:2], v[90:91]
	v_add_f64 v[3:4], v[3:4], v[86:87]
	s_andn2_b32 exec_lo, exec_lo, s5
	s_cbranch_execnz .LBB102_200
; %bb.201:
	s_or_b32 exec_lo, exec_lo, s5
.LBB102_202:
	s_or_b32 exec_lo, exec_lo, s47
	v_mov_b32_e32 v85, 0
	ds_read_b128 v[85:88], v85 offset:208
	s_waitcnt lgkmcnt(0)
	v_mul_f64 v[90:91], v[3:4], v[87:88]
	v_mul_f64 v[87:88], v[1:2], v[87:88]
	v_fma_f64 v[1:2], v[1:2], v[85:86], -v[90:91]
	v_fma_f64 v[3:4], v[3:4], v[85:86], v[87:88]
	buffer_store_dword v2, off, s[0:3], 0 offset:212
	buffer_store_dword v1, off, s[0:3], 0 offset:208
	;; [unrolled: 1-line block ×4, first 2 shown]
.LBB102_203:
	s_or_b32 exec_lo, exec_lo, s8
	v_mov_b32_e32 v4, s34
	v_cmp_lt_u32_e64 s5, 12, v0
	s_clause 0x3
	buffer_load_dword v1, v4, s[0:3], 0 offen
	buffer_load_dword v2, v4, s[0:3], 0 offen offset:4
	buffer_load_dword v3, v4, s[0:3], 0 offen offset:8
	;; [unrolled: 1-line block ×3, first 2 shown]
	s_waitcnt vmcnt(0)
	ds_write_b128 v84, v[1:4]
	s_waitcnt lgkmcnt(0)
	s_waitcnt_vscnt null, 0x0
	s_barrier
	buffer_gl0_inv
	s_and_saveexec_b32 s8, s5
	s_cbranch_execz .LBB102_211
; %bb.204:
	ds_read_b128 v[1:4], v84
	s_andn2_b32 vcc_lo, exec_lo, s46
	s_cbranch_vccnz .LBB102_206
; %bb.205:
	s_clause 0x3
	buffer_load_dword v85, v83, s[0:3], 0 offen offset:8
	buffer_load_dword v86, v83, s[0:3], 0 offen offset:12
	buffer_load_dword v87, v83, s[0:3], 0 offen
	buffer_load_dword v88, v83, s[0:3], 0 offen offset:4
	s_waitcnt vmcnt(2) lgkmcnt(0)
	v_mul_f64 v[90:91], v[3:4], v[85:86]
	v_mul_f64 v[85:86], v[1:2], v[85:86]
	s_waitcnt vmcnt(0)
	v_fma_f64 v[1:2], v[1:2], v[87:88], -v[90:91]
	v_fma_f64 v[3:4], v[3:4], v[87:88], v[85:86]
.LBB102_206:
	s_and_saveexec_b32 s47, s4
	s_cbranch_execz .LBB102_210
; %bb.207:
	v_add_nc_u32_e32 v85, -13, v0
	s_movk_i32 s48, 0x340
	s_mov_b32 s4, 0
	s_mov_b32 s49, s33
	.p2align	6
.LBB102_208:                            ; =>This Inner Loop Header: Depth=1
	v_mov_b32_e32 v88, s49
	v_add_nc_u32_e32 v85, -1, v85
	s_add_i32 s49, s49, 16
	s_clause 0x3
	buffer_load_dword v86, v88, s[0:3], 0 offen offset:8
	buffer_load_dword v87, v88, s[0:3], 0 offen offset:12
	buffer_load_dword v94, v88, s[0:3], 0 offen
	buffer_load_dword v95, v88, s[0:3], 0 offen offset:4
	v_mov_b32_e32 v88, s48
	v_cmp_eq_u32_e32 vcc_lo, 0, v85
	s_add_i32 s48, s48, 16
	ds_read_b128 v[90:93], v88
	s_or_b32 s4, vcc_lo, s4
	s_waitcnt vmcnt(2) lgkmcnt(0)
	v_mul_f64 v[96:97], v[92:93], v[86:87]
	v_mul_f64 v[86:87], v[90:91], v[86:87]
	s_waitcnt vmcnt(0)
	v_fma_f64 v[90:91], v[90:91], v[94:95], -v[96:97]
	v_fma_f64 v[86:87], v[92:93], v[94:95], v[86:87]
	v_add_f64 v[1:2], v[1:2], v[90:91]
	v_add_f64 v[3:4], v[3:4], v[86:87]
	s_andn2_b32 exec_lo, exec_lo, s4
	s_cbranch_execnz .LBB102_208
; %bb.209:
	s_or_b32 exec_lo, exec_lo, s4
.LBB102_210:
	s_or_b32 exec_lo, exec_lo, s47
	v_mov_b32_e32 v85, 0
	ds_read_b128 v[85:88], v85 offset:192
	s_waitcnt lgkmcnt(0)
	v_mul_f64 v[90:91], v[3:4], v[87:88]
	v_mul_f64 v[87:88], v[1:2], v[87:88]
	v_fma_f64 v[1:2], v[1:2], v[85:86], -v[90:91]
	v_fma_f64 v[3:4], v[3:4], v[85:86], v[87:88]
	buffer_store_dword v2, off, s[0:3], 0 offset:196
	buffer_store_dword v1, off, s[0:3], 0 offset:192
	;; [unrolled: 1-line block ×4, first 2 shown]
.LBB102_211:
	s_or_b32 exec_lo, exec_lo, s8
	v_mov_b32_e32 v4, s35
	v_cmp_lt_u32_e64 s4, 11, v0
	s_clause 0x3
	buffer_load_dword v1, v4, s[0:3], 0 offen
	buffer_load_dword v2, v4, s[0:3], 0 offen offset:4
	buffer_load_dword v3, v4, s[0:3], 0 offen offset:8
	;; [unrolled: 1-line block ×3, first 2 shown]
	s_waitcnt vmcnt(0)
	ds_write_b128 v84, v[1:4]
	s_waitcnt lgkmcnt(0)
	s_waitcnt_vscnt null, 0x0
	s_barrier
	buffer_gl0_inv
	s_and_saveexec_b32 s8, s4
	s_cbranch_execz .LBB102_219
; %bb.212:
	ds_read_b128 v[1:4], v84
	s_andn2_b32 vcc_lo, exec_lo, s46
	s_cbranch_vccnz .LBB102_214
; %bb.213:
	s_clause 0x3
	buffer_load_dword v85, v83, s[0:3], 0 offen offset:8
	buffer_load_dword v86, v83, s[0:3], 0 offen offset:12
	buffer_load_dword v87, v83, s[0:3], 0 offen
	buffer_load_dword v88, v83, s[0:3], 0 offen offset:4
	s_waitcnt vmcnt(2) lgkmcnt(0)
	v_mul_f64 v[90:91], v[3:4], v[85:86]
	v_mul_f64 v[85:86], v[1:2], v[85:86]
	s_waitcnt vmcnt(0)
	v_fma_f64 v[1:2], v[1:2], v[87:88], -v[90:91]
	v_fma_f64 v[3:4], v[3:4], v[87:88], v[85:86]
.LBB102_214:
	s_and_saveexec_b32 s47, s5
	s_cbranch_execz .LBB102_218
; %bb.215:
	v_add_nc_u32_e32 v85, -12, v0
	s_movk_i32 s48, 0x330
	s_mov_b32 s5, 0
	s_mov_b32 s49, s34
	.p2align	6
.LBB102_216:                            ; =>This Inner Loop Header: Depth=1
	v_mov_b32_e32 v88, s49
	v_add_nc_u32_e32 v85, -1, v85
	s_add_i32 s49, s49, 16
	s_clause 0x3
	buffer_load_dword v86, v88, s[0:3], 0 offen offset:8
	buffer_load_dword v87, v88, s[0:3], 0 offen offset:12
	buffer_load_dword v94, v88, s[0:3], 0 offen
	buffer_load_dword v95, v88, s[0:3], 0 offen offset:4
	v_mov_b32_e32 v88, s48
	v_cmp_eq_u32_e32 vcc_lo, 0, v85
	s_add_i32 s48, s48, 16
	ds_read_b128 v[90:93], v88
	s_or_b32 s5, vcc_lo, s5
	s_waitcnt vmcnt(2) lgkmcnt(0)
	v_mul_f64 v[96:97], v[92:93], v[86:87]
	v_mul_f64 v[86:87], v[90:91], v[86:87]
	s_waitcnt vmcnt(0)
	v_fma_f64 v[90:91], v[90:91], v[94:95], -v[96:97]
	v_fma_f64 v[86:87], v[92:93], v[94:95], v[86:87]
	v_add_f64 v[1:2], v[1:2], v[90:91]
	v_add_f64 v[3:4], v[3:4], v[86:87]
	s_andn2_b32 exec_lo, exec_lo, s5
	s_cbranch_execnz .LBB102_216
; %bb.217:
	s_or_b32 exec_lo, exec_lo, s5
.LBB102_218:
	s_or_b32 exec_lo, exec_lo, s47
	v_mov_b32_e32 v85, 0
	ds_read_b128 v[85:88], v85 offset:176
	s_waitcnt lgkmcnt(0)
	v_mul_f64 v[90:91], v[3:4], v[87:88]
	v_mul_f64 v[87:88], v[1:2], v[87:88]
	v_fma_f64 v[1:2], v[1:2], v[85:86], -v[90:91]
	v_fma_f64 v[3:4], v[3:4], v[85:86], v[87:88]
	buffer_store_dword v2, off, s[0:3], 0 offset:180
	buffer_store_dword v1, off, s[0:3], 0 offset:176
	;; [unrolled: 1-line block ×4, first 2 shown]
.LBB102_219:
	s_or_b32 exec_lo, exec_lo, s8
	v_mov_b32_e32 v4, s36
	v_cmp_lt_u32_e64 s5, 10, v0
	s_clause 0x3
	buffer_load_dword v1, v4, s[0:3], 0 offen
	buffer_load_dword v2, v4, s[0:3], 0 offen offset:4
	buffer_load_dword v3, v4, s[0:3], 0 offen offset:8
	;; [unrolled: 1-line block ×3, first 2 shown]
	s_waitcnt vmcnt(0)
	ds_write_b128 v84, v[1:4]
	s_waitcnt lgkmcnt(0)
	s_waitcnt_vscnt null, 0x0
	s_barrier
	buffer_gl0_inv
	s_and_saveexec_b32 s8, s5
	s_cbranch_execz .LBB102_227
; %bb.220:
	ds_read_b128 v[1:4], v84
	s_andn2_b32 vcc_lo, exec_lo, s46
	s_cbranch_vccnz .LBB102_222
; %bb.221:
	s_clause 0x3
	buffer_load_dword v85, v83, s[0:3], 0 offen offset:8
	buffer_load_dword v86, v83, s[0:3], 0 offen offset:12
	buffer_load_dword v87, v83, s[0:3], 0 offen
	buffer_load_dword v88, v83, s[0:3], 0 offen offset:4
	s_waitcnt vmcnt(2) lgkmcnt(0)
	v_mul_f64 v[90:91], v[3:4], v[85:86]
	v_mul_f64 v[85:86], v[1:2], v[85:86]
	s_waitcnt vmcnt(0)
	v_fma_f64 v[1:2], v[1:2], v[87:88], -v[90:91]
	v_fma_f64 v[3:4], v[3:4], v[87:88], v[85:86]
.LBB102_222:
	s_and_saveexec_b32 s47, s4
	s_cbranch_execz .LBB102_226
; %bb.223:
	v_add_nc_u32_e32 v85, -11, v0
	s_movk_i32 s48, 0x320
	s_mov_b32 s4, 0
	s_mov_b32 s49, s35
	.p2align	6
.LBB102_224:                            ; =>This Inner Loop Header: Depth=1
	v_mov_b32_e32 v88, s49
	v_add_nc_u32_e32 v85, -1, v85
	s_add_i32 s49, s49, 16
	s_clause 0x3
	buffer_load_dword v86, v88, s[0:3], 0 offen offset:8
	buffer_load_dword v87, v88, s[0:3], 0 offen offset:12
	buffer_load_dword v94, v88, s[0:3], 0 offen
	buffer_load_dword v95, v88, s[0:3], 0 offen offset:4
	v_mov_b32_e32 v88, s48
	v_cmp_eq_u32_e32 vcc_lo, 0, v85
	s_add_i32 s48, s48, 16
	ds_read_b128 v[90:93], v88
	s_or_b32 s4, vcc_lo, s4
	s_waitcnt vmcnt(2) lgkmcnt(0)
	v_mul_f64 v[96:97], v[92:93], v[86:87]
	v_mul_f64 v[86:87], v[90:91], v[86:87]
	s_waitcnt vmcnt(0)
	v_fma_f64 v[90:91], v[90:91], v[94:95], -v[96:97]
	v_fma_f64 v[86:87], v[92:93], v[94:95], v[86:87]
	v_add_f64 v[1:2], v[1:2], v[90:91]
	v_add_f64 v[3:4], v[3:4], v[86:87]
	s_andn2_b32 exec_lo, exec_lo, s4
	s_cbranch_execnz .LBB102_224
; %bb.225:
	s_or_b32 exec_lo, exec_lo, s4
.LBB102_226:
	s_or_b32 exec_lo, exec_lo, s47
	v_mov_b32_e32 v85, 0
	ds_read_b128 v[85:88], v85 offset:160
	s_waitcnt lgkmcnt(0)
	v_mul_f64 v[90:91], v[3:4], v[87:88]
	v_mul_f64 v[87:88], v[1:2], v[87:88]
	v_fma_f64 v[1:2], v[1:2], v[85:86], -v[90:91]
	v_fma_f64 v[3:4], v[3:4], v[85:86], v[87:88]
	buffer_store_dword v2, off, s[0:3], 0 offset:164
	buffer_store_dword v1, off, s[0:3], 0 offset:160
	;; [unrolled: 1-line block ×4, first 2 shown]
.LBB102_227:
	s_or_b32 exec_lo, exec_lo, s8
	v_mov_b32_e32 v4, s37
	v_cmp_lt_u32_e64 s4, 9, v0
	s_clause 0x3
	buffer_load_dword v1, v4, s[0:3], 0 offen
	buffer_load_dword v2, v4, s[0:3], 0 offen offset:4
	buffer_load_dword v3, v4, s[0:3], 0 offen offset:8
	;; [unrolled: 1-line block ×3, first 2 shown]
	s_waitcnt vmcnt(0)
	ds_write_b128 v84, v[1:4]
	s_waitcnt lgkmcnt(0)
	s_waitcnt_vscnt null, 0x0
	s_barrier
	buffer_gl0_inv
	s_and_saveexec_b32 s8, s4
	s_cbranch_execz .LBB102_235
; %bb.228:
	ds_read_b128 v[1:4], v84
	s_andn2_b32 vcc_lo, exec_lo, s46
	s_cbranch_vccnz .LBB102_230
; %bb.229:
	s_clause 0x3
	buffer_load_dword v85, v83, s[0:3], 0 offen offset:8
	buffer_load_dword v86, v83, s[0:3], 0 offen offset:12
	buffer_load_dword v87, v83, s[0:3], 0 offen
	buffer_load_dword v88, v83, s[0:3], 0 offen offset:4
	s_waitcnt vmcnt(2) lgkmcnt(0)
	v_mul_f64 v[90:91], v[3:4], v[85:86]
	v_mul_f64 v[85:86], v[1:2], v[85:86]
	s_waitcnt vmcnt(0)
	v_fma_f64 v[1:2], v[1:2], v[87:88], -v[90:91]
	v_fma_f64 v[3:4], v[3:4], v[87:88], v[85:86]
.LBB102_230:
	s_and_saveexec_b32 s47, s5
	s_cbranch_execz .LBB102_234
; %bb.231:
	v_add_nc_u32_e32 v85, -10, v0
	s_movk_i32 s48, 0x310
	s_mov_b32 s5, 0
	s_mov_b32 s49, s36
	.p2align	6
.LBB102_232:                            ; =>This Inner Loop Header: Depth=1
	v_mov_b32_e32 v88, s49
	v_add_nc_u32_e32 v85, -1, v85
	s_add_i32 s49, s49, 16
	s_clause 0x3
	buffer_load_dword v86, v88, s[0:3], 0 offen offset:8
	buffer_load_dword v87, v88, s[0:3], 0 offen offset:12
	buffer_load_dword v94, v88, s[0:3], 0 offen
	buffer_load_dword v95, v88, s[0:3], 0 offen offset:4
	v_mov_b32_e32 v88, s48
	v_cmp_eq_u32_e32 vcc_lo, 0, v85
	s_add_i32 s48, s48, 16
	ds_read_b128 v[90:93], v88
	s_or_b32 s5, vcc_lo, s5
	s_waitcnt vmcnt(2) lgkmcnt(0)
	v_mul_f64 v[96:97], v[92:93], v[86:87]
	v_mul_f64 v[86:87], v[90:91], v[86:87]
	s_waitcnt vmcnt(0)
	v_fma_f64 v[90:91], v[90:91], v[94:95], -v[96:97]
	v_fma_f64 v[86:87], v[92:93], v[94:95], v[86:87]
	v_add_f64 v[1:2], v[1:2], v[90:91]
	v_add_f64 v[3:4], v[3:4], v[86:87]
	s_andn2_b32 exec_lo, exec_lo, s5
	s_cbranch_execnz .LBB102_232
; %bb.233:
	s_or_b32 exec_lo, exec_lo, s5
.LBB102_234:
	s_or_b32 exec_lo, exec_lo, s47
	v_mov_b32_e32 v85, 0
	ds_read_b128 v[85:88], v85 offset:144
	s_waitcnt lgkmcnt(0)
	v_mul_f64 v[90:91], v[3:4], v[87:88]
	v_mul_f64 v[87:88], v[1:2], v[87:88]
	v_fma_f64 v[1:2], v[1:2], v[85:86], -v[90:91]
	v_fma_f64 v[3:4], v[3:4], v[85:86], v[87:88]
	buffer_store_dword v2, off, s[0:3], 0 offset:148
	buffer_store_dword v1, off, s[0:3], 0 offset:144
	;; [unrolled: 1-line block ×4, first 2 shown]
.LBB102_235:
	s_or_b32 exec_lo, exec_lo, s8
	v_mov_b32_e32 v4, s38
	v_cmp_lt_u32_e64 s5, 8, v0
	s_clause 0x3
	buffer_load_dword v1, v4, s[0:3], 0 offen
	buffer_load_dword v2, v4, s[0:3], 0 offen offset:4
	buffer_load_dword v3, v4, s[0:3], 0 offen offset:8
	;; [unrolled: 1-line block ×3, first 2 shown]
	s_waitcnt vmcnt(0)
	ds_write_b128 v84, v[1:4]
	s_waitcnt lgkmcnt(0)
	s_waitcnt_vscnt null, 0x0
	s_barrier
	buffer_gl0_inv
	s_and_saveexec_b32 s8, s5
	s_cbranch_execz .LBB102_243
; %bb.236:
	ds_read_b128 v[1:4], v84
	s_andn2_b32 vcc_lo, exec_lo, s46
	s_cbranch_vccnz .LBB102_238
; %bb.237:
	s_clause 0x3
	buffer_load_dword v85, v83, s[0:3], 0 offen offset:8
	buffer_load_dword v86, v83, s[0:3], 0 offen offset:12
	buffer_load_dword v87, v83, s[0:3], 0 offen
	buffer_load_dword v88, v83, s[0:3], 0 offen offset:4
	s_waitcnt vmcnt(2) lgkmcnt(0)
	v_mul_f64 v[90:91], v[3:4], v[85:86]
	v_mul_f64 v[85:86], v[1:2], v[85:86]
	s_waitcnt vmcnt(0)
	v_fma_f64 v[1:2], v[1:2], v[87:88], -v[90:91]
	v_fma_f64 v[3:4], v[3:4], v[87:88], v[85:86]
.LBB102_238:
	s_and_saveexec_b32 s47, s4
	s_cbranch_execz .LBB102_242
; %bb.239:
	v_add_nc_u32_e32 v85, -9, v0
	s_movk_i32 s48, 0x300
	s_mov_b32 s4, 0
	s_mov_b32 s49, s37
	.p2align	6
.LBB102_240:                            ; =>This Inner Loop Header: Depth=1
	v_mov_b32_e32 v88, s49
	v_add_nc_u32_e32 v85, -1, v85
	s_add_i32 s49, s49, 16
	s_clause 0x3
	buffer_load_dword v86, v88, s[0:3], 0 offen offset:8
	buffer_load_dword v87, v88, s[0:3], 0 offen offset:12
	buffer_load_dword v94, v88, s[0:3], 0 offen
	buffer_load_dword v95, v88, s[0:3], 0 offen offset:4
	v_mov_b32_e32 v88, s48
	v_cmp_eq_u32_e32 vcc_lo, 0, v85
	s_add_i32 s48, s48, 16
	ds_read_b128 v[90:93], v88
	s_or_b32 s4, vcc_lo, s4
	s_waitcnt vmcnt(2) lgkmcnt(0)
	v_mul_f64 v[96:97], v[92:93], v[86:87]
	v_mul_f64 v[86:87], v[90:91], v[86:87]
	s_waitcnt vmcnt(0)
	v_fma_f64 v[90:91], v[90:91], v[94:95], -v[96:97]
	v_fma_f64 v[86:87], v[92:93], v[94:95], v[86:87]
	v_add_f64 v[1:2], v[1:2], v[90:91]
	v_add_f64 v[3:4], v[3:4], v[86:87]
	s_andn2_b32 exec_lo, exec_lo, s4
	s_cbranch_execnz .LBB102_240
; %bb.241:
	s_or_b32 exec_lo, exec_lo, s4
.LBB102_242:
	s_or_b32 exec_lo, exec_lo, s47
	v_mov_b32_e32 v85, 0
	ds_read_b128 v[85:88], v85 offset:128
	s_waitcnt lgkmcnt(0)
	v_mul_f64 v[90:91], v[3:4], v[87:88]
	v_mul_f64 v[87:88], v[1:2], v[87:88]
	v_fma_f64 v[1:2], v[1:2], v[85:86], -v[90:91]
	v_fma_f64 v[3:4], v[3:4], v[85:86], v[87:88]
	buffer_store_dword v2, off, s[0:3], 0 offset:132
	buffer_store_dword v1, off, s[0:3], 0 offset:128
	;; [unrolled: 1-line block ×4, first 2 shown]
.LBB102_243:
	s_or_b32 exec_lo, exec_lo, s8
	v_mov_b32_e32 v4, s39
	v_cmp_lt_u32_e64 s4, 7, v0
	s_clause 0x3
	buffer_load_dword v1, v4, s[0:3], 0 offen
	buffer_load_dword v2, v4, s[0:3], 0 offen offset:4
	buffer_load_dword v3, v4, s[0:3], 0 offen offset:8
	;; [unrolled: 1-line block ×3, first 2 shown]
	s_waitcnt vmcnt(0)
	ds_write_b128 v84, v[1:4]
	s_waitcnt lgkmcnt(0)
	s_waitcnt_vscnt null, 0x0
	s_barrier
	buffer_gl0_inv
	s_and_saveexec_b32 s8, s4
	s_cbranch_execz .LBB102_251
; %bb.244:
	ds_read_b128 v[1:4], v84
	s_andn2_b32 vcc_lo, exec_lo, s46
	s_cbranch_vccnz .LBB102_246
; %bb.245:
	s_clause 0x3
	buffer_load_dword v85, v83, s[0:3], 0 offen offset:8
	buffer_load_dword v86, v83, s[0:3], 0 offen offset:12
	buffer_load_dword v87, v83, s[0:3], 0 offen
	buffer_load_dword v88, v83, s[0:3], 0 offen offset:4
	s_waitcnt vmcnt(2) lgkmcnt(0)
	v_mul_f64 v[90:91], v[3:4], v[85:86]
	v_mul_f64 v[85:86], v[1:2], v[85:86]
	s_waitcnt vmcnt(0)
	v_fma_f64 v[1:2], v[1:2], v[87:88], -v[90:91]
	v_fma_f64 v[3:4], v[3:4], v[87:88], v[85:86]
.LBB102_246:
	s_and_saveexec_b32 s47, s5
	s_cbranch_execz .LBB102_250
; %bb.247:
	v_add_nc_u32_e32 v85, -8, v0
	s_movk_i32 s48, 0x2f0
	s_mov_b32 s5, 0
	s_mov_b32 s49, s38
	.p2align	6
.LBB102_248:                            ; =>This Inner Loop Header: Depth=1
	v_mov_b32_e32 v88, s49
	v_add_nc_u32_e32 v85, -1, v85
	s_add_i32 s49, s49, 16
	s_clause 0x3
	buffer_load_dword v86, v88, s[0:3], 0 offen offset:8
	buffer_load_dword v87, v88, s[0:3], 0 offen offset:12
	buffer_load_dword v94, v88, s[0:3], 0 offen
	buffer_load_dword v95, v88, s[0:3], 0 offen offset:4
	v_mov_b32_e32 v88, s48
	v_cmp_eq_u32_e32 vcc_lo, 0, v85
	s_add_i32 s48, s48, 16
	ds_read_b128 v[90:93], v88
	s_or_b32 s5, vcc_lo, s5
	s_waitcnt vmcnt(2) lgkmcnt(0)
	v_mul_f64 v[96:97], v[92:93], v[86:87]
	v_mul_f64 v[86:87], v[90:91], v[86:87]
	s_waitcnt vmcnt(0)
	v_fma_f64 v[90:91], v[90:91], v[94:95], -v[96:97]
	v_fma_f64 v[86:87], v[92:93], v[94:95], v[86:87]
	v_add_f64 v[1:2], v[1:2], v[90:91]
	v_add_f64 v[3:4], v[3:4], v[86:87]
	s_andn2_b32 exec_lo, exec_lo, s5
	s_cbranch_execnz .LBB102_248
; %bb.249:
	s_or_b32 exec_lo, exec_lo, s5
.LBB102_250:
	s_or_b32 exec_lo, exec_lo, s47
	v_mov_b32_e32 v85, 0
	ds_read_b128 v[85:88], v85 offset:112
	s_waitcnt lgkmcnt(0)
	v_mul_f64 v[90:91], v[3:4], v[87:88]
	v_mul_f64 v[87:88], v[1:2], v[87:88]
	v_fma_f64 v[1:2], v[1:2], v[85:86], -v[90:91]
	v_fma_f64 v[3:4], v[3:4], v[85:86], v[87:88]
	buffer_store_dword v2, off, s[0:3], 0 offset:116
	buffer_store_dword v1, off, s[0:3], 0 offset:112
	;; [unrolled: 1-line block ×4, first 2 shown]
.LBB102_251:
	s_or_b32 exec_lo, exec_lo, s8
	v_mov_b32_e32 v4, s40
	v_cmp_lt_u32_e64 s5, 6, v0
	s_clause 0x3
	buffer_load_dword v1, v4, s[0:3], 0 offen
	buffer_load_dword v2, v4, s[0:3], 0 offen offset:4
	buffer_load_dword v3, v4, s[0:3], 0 offen offset:8
	;; [unrolled: 1-line block ×3, first 2 shown]
	s_waitcnt vmcnt(0)
	ds_write_b128 v84, v[1:4]
	s_waitcnt lgkmcnt(0)
	s_waitcnt_vscnt null, 0x0
	s_barrier
	buffer_gl0_inv
	s_and_saveexec_b32 s8, s5
	s_cbranch_execz .LBB102_259
; %bb.252:
	ds_read_b128 v[1:4], v84
	s_andn2_b32 vcc_lo, exec_lo, s46
	s_cbranch_vccnz .LBB102_254
; %bb.253:
	s_clause 0x3
	buffer_load_dword v85, v83, s[0:3], 0 offen offset:8
	buffer_load_dword v86, v83, s[0:3], 0 offen offset:12
	buffer_load_dword v87, v83, s[0:3], 0 offen
	buffer_load_dword v88, v83, s[0:3], 0 offen offset:4
	s_waitcnt vmcnt(2) lgkmcnt(0)
	v_mul_f64 v[90:91], v[3:4], v[85:86]
	v_mul_f64 v[85:86], v[1:2], v[85:86]
	s_waitcnt vmcnt(0)
	v_fma_f64 v[1:2], v[1:2], v[87:88], -v[90:91]
	v_fma_f64 v[3:4], v[3:4], v[87:88], v[85:86]
.LBB102_254:
	s_and_saveexec_b32 s47, s4
	s_cbranch_execz .LBB102_258
; %bb.255:
	v_add_nc_u32_e32 v85, -7, v0
	s_movk_i32 s48, 0x2e0
	s_mov_b32 s4, 0
	s_mov_b32 s49, s39
	.p2align	6
.LBB102_256:                            ; =>This Inner Loop Header: Depth=1
	v_mov_b32_e32 v88, s49
	v_add_nc_u32_e32 v85, -1, v85
	s_add_i32 s49, s49, 16
	s_clause 0x3
	buffer_load_dword v86, v88, s[0:3], 0 offen offset:8
	buffer_load_dword v87, v88, s[0:3], 0 offen offset:12
	buffer_load_dword v94, v88, s[0:3], 0 offen
	buffer_load_dword v95, v88, s[0:3], 0 offen offset:4
	v_mov_b32_e32 v88, s48
	v_cmp_eq_u32_e32 vcc_lo, 0, v85
	s_add_i32 s48, s48, 16
	ds_read_b128 v[90:93], v88
	s_or_b32 s4, vcc_lo, s4
	s_waitcnt vmcnt(2) lgkmcnt(0)
	v_mul_f64 v[96:97], v[92:93], v[86:87]
	v_mul_f64 v[86:87], v[90:91], v[86:87]
	s_waitcnt vmcnt(0)
	v_fma_f64 v[90:91], v[90:91], v[94:95], -v[96:97]
	v_fma_f64 v[86:87], v[92:93], v[94:95], v[86:87]
	v_add_f64 v[1:2], v[1:2], v[90:91]
	v_add_f64 v[3:4], v[3:4], v[86:87]
	s_andn2_b32 exec_lo, exec_lo, s4
	s_cbranch_execnz .LBB102_256
; %bb.257:
	s_or_b32 exec_lo, exec_lo, s4
.LBB102_258:
	s_or_b32 exec_lo, exec_lo, s47
	v_mov_b32_e32 v85, 0
	ds_read_b128 v[85:88], v85 offset:96
	s_waitcnt lgkmcnt(0)
	v_mul_f64 v[90:91], v[3:4], v[87:88]
	v_mul_f64 v[87:88], v[1:2], v[87:88]
	v_fma_f64 v[1:2], v[1:2], v[85:86], -v[90:91]
	v_fma_f64 v[3:4], v[3:4], v[85:86], v[87:88]
	buffer_store_dword v2, off, s[0:3], 0 offset:100
	buffer_store_dword v1, off, s[0:3], 0 offset:96
	buffer_store_dword v4, off, s[0:3], 0 offset:108
	buffer_store_dword v3, off, s[0:3], 0 offset:104
.LBB102_259:
	s_or_b32 exec_lo, exec_lo, s8
	v_mov_b32_e32 v4, s41
	v_cmp_lt_u32_e64 s4, 5, v0
	s_clause 0x3
	buffer_load_dword v1, v4, s[0:3], 0 offen
	buffer_load_dword v2, v4, s[0:3], 0 offen offset:4
	buffer_load_dword v3, v4, s[0:3], 0 offen offset:8
	;; [unrolled: 1-line block ×3, first 2 shown]
	s_waitcnt vmcnt(0)
	ds_write_b128 v84, v[1:4]
	s_waitcnt lgkmcnt(0)
	s_waitcnt_vscnt null, 0x0
	s_barrier
	buffer_gl0_inv
	s_and_saveexec_b32 s8, s4
	s_cbranch_execz .LBB102_267
; %bb.260:
	ds_read_b128 v[1:4], v84
	s_andn2_b32 vcc_lo, exec_lo, s46
	s_cbranch_vccnz .LBB102_262
; %bb.261:
	s_clause 0x3
	buffer_load_dword v85, v83, s[0:3], 0 offen offset:8
	buffer_load_dword v86, v83, s[0:3], 0 offen offset:12
	buffer_load_dword v87, v83, s[0:3], 0 offen
	buffer_load_dword v88, v83, s[0:3], 0 offen offset:4
	s_waitcnt vmcnt(2) lgkmcnt(0)
	v_mul_f64 v[90:91], v[3:4], v[85:86]
	v_mul_f64 v[85:86], v[1:2], v[85:86]
	s_waitcnt vmcnt(0)
	v_fma_f64 v[1:2], v[1:2], v[87:88], -v[90:91]
	v_fma_f64 v[3:4], v[3:4], v[87:88], v[85:86]
.LBB102_262:
	s_and_saveexec_b32 s47, s5
	s_cbranch_execz .LBB102_266
; %bb.263:
	v_add_nc_u32_e32 v85, -6, v0
	s_movk_i32 s48, 0x2d0
	s_mov_b32 s5, 0
	s_mov_b32 s49, s40
	.p2align	6
.LBB102_264:                            ; =>This Inner Loop Header: Depth=1
	v_mov_b32_e32 v88, s49
	v_add_nc_u32_e32 v85, -1, v85
	s_add_i32 s49, s49, 16
	s_clause 0x3
	buffer_load_dword v86, v88, s[0:3], 0 offen offset:8
	buffer_load_dword v87, v88, s[0:3], 0 offen offset:12
	buffer_load_dword v94, v88, s[0:3], 0 offen
	buffer_load_dword v95, v88, s[0:3], 0 offen offset:4
	v_mov_b32_e32 v88, s48
	v_cmp_eq_u32_e32 vcc_lo, 0, v85
	s_add_i32 s48, s48, 16
	ds_read_b128 v[90:93], v88
	s_or_b32 s5, vcc_lo, s5
	s_waitcnt vmcnt(2) lgkmcnt(0)
	v_mul_f64 v[96:97], v[92:93], v[86:87]
	v_mul_f64 v[86:87], v[90:91], v[86:87]
	s_waitcnt vmcnt(0)
	v_fma_f64 v[90:91], v[90:91], v[94:95], -v[96:97]
	v_fma_f64 v[86:87], v[92:93], v[94:95], v[86:87]
	v_add_f64 v[1:2], v[1:2], v[90:91]
	v_add_f64 v[3:4], v[3:4], v[86:87]
	s_andn2_b32 exec_lo, exec_lo, s5
	s_cbranch_execnz .LBB102_264
; %bb.265:
	s_or_b32 exec_lo, exec_lo, s5
.LBB102_266:
	s_or_b32 exec_lo, exec_lo, s47
	v_mov_b32_e32 v85, 0
	ds_read_b128 v[85:88], v85 offset:80
	s_waitcnt lgkmcnt(0)
	v_mul_f64 v[90:91], v[3:4], v[87:88]
	v_mul_f64 v[87:88], v[1:2], v[87:88]
	v_fma_f64 v[1:2], v[1:2], v[85:86], -v[90:91]
	v_fma_f64 v[3:4], v[3:4], v[85:86], v[87:88]
	buffer_store_dword v2, off, s[0:3], 0 offset:84
	buffer_store_dword v1, off, s[0:3], 0 offset:80
	;; [unrolled: 1-line block ×4, first 2 shown]
.LBB102_267:
	s_or_b32 exec_lo, exec_lo, s8
	v_mov_b32_e32 v4, s42
	v_cmp_lt_u32_e64 s5, 4, v0
	s_clause 0x3
	buffer_load_dword v1, v4, s[0:3], 0 offen
	buffer_load_dword v2, v4, s[0:3], 0 offen offset:4
	buffer_load_dword v3, v4, s[0:3], 0 offen offset:8
	;; [unrolled: 1-line block ×3, first 2 shown]
	s_waitcnt vmcnt(0)
	ds_write_b128 v84, v[1:4]
	s_waitcnt lgkmcnt(0)
	s_waitcnt_vscnt null, 0x0
	s_barrier
	buffer_gl0_inv
	s_and_saveexec_b32 s8, s5
	s_cbranch_execz .LBB102_275
; %bb.268:
	ds_read_b128 v[1:4], v84
	s_andn2_b32 vcc_lo, exec_lo, s46
	s_cbranch_vccnz .LBB102_270
; %bb.269:
	s_clause 0x3
	buffer_load_dword v85, v83, s[0:3], 0 offen offset:8
	buffer_load_dword v86, v83, s[0:3], 0 offen offset:12
	buffer_load_dword v87, v83, s[0:3], 0 offen
	buffer_load_dword v88, v83, s[0:3], 0 offen offset:4
	s_waitcnt vmcnt(2) lgkmcnt(0)
	v_mul_f64 v[90:91], v[3:4], v[85:86]
	v_mul_f64 v[85:86], v[1:2], v[85:86]
	s_waitcnt vmcnt(0)
	v_fma_f64 v[1:2], v[1:2], v[87:88], -v[90:91]
	v_fma_f64 v[3:4], v[3:4], v[87:88], v[85:86]
.LBB102_270:
	s_and_saveexec_b32 s47, s4
	s_cbranch_execz .LBB102_274
; %bb.271:
	v_add_nc_u32_e32 v85, -5, v0
	s_movk_i32 s48, 0x2c0
	s_mov_b32 s4, 0
	s_mov_b32 s49, s41
	.p2align	6
.LBB102_272:                            ; =>This Inner Loop Header: Depth=1
	v_mov_b32_e32 v88, s49
	v_add_nc_u32_e32 v85, -1, v85
	s_add_i32 s49, s49, 16
	s_clause 0x3
	buffer_load_dword v86, v88, s[0:3], 0 offen offset:8
	buffer_load_dword v87, v88, s[0:3], 0 offen offset:12
	buffer_load_dword v94, v88, s[0:3], 0 offen
	buffer_load_dword v95, v88, s[0:3], 0 offen offset:4
	v_mov_b32_e32 v88, s48
	v_cmp_eq_u32_e32 vcc_lo, 0, v85
	s_add_i32 s48, s48, 16
	ds_read_b128 v[90:93], v88
	s_or_b32 s4, vcc_lo, s4
	s_waitcnt vmcnt(2) lgkmcnt(0)
	v_mul_f64 v[96:97], v[92:93], v[86:87]
	v_mul_f64 v[86:87], v[90:91], v[86:87]
	s_waitcnt vmcnt(0)
	v_fma_f64 v[90:91], v[90:91], v[94:95], -v[96:97]
	v_fma_f64 v[86:87], v[92:93], v[94:95], v[86:87]
	v_add_f64 v[1:2], v[1:2], v[90:91]
	v_add_f64 v[3:4], v[3:4], v[86:87]
	s_andn2_b32 exec_lo, exec_lo, s4
	s_cbranch_execnz .LBB102_272
; %bb.273:
	s_or_b32 exec_lo, exec_lo, s4
.LBB102_274:
	s_or_b32 exec_lo, exec_lo, s47
	v_mov_b32_e32 v85, 0
	ds_read_b128 v[85:88], v85 offset:64
	s_waitcnt lgkmcnt(0)
	v_mul_f64 v[90:91], v[3:4], v[87:88]
	v_mul_f64 v[87:88], v[1:2], v[87:88]
	v_fma_f64 v[1:2], v[1:2], v[85:86], -v[90:91]
	v_fma_f64 v[3:4], v[3:4], v[85:86], v[87:88]
	buffer_store_dword v2, off, s[0:3], 0 offset:68
	buffer_store_dword v1, off, s[0:3], 0 offset:64
	;; [unrolled: 1-line block ×4, first 2 shown]
.LBB102_275:
	s_or_b32 exec_lo, exec_lo, s8
	v_mov_b32_e32 v4, s43
	v_cmp_lt_u32_e64 s4, 3, v0
	s_clause 0x3
	buffer_load_dword v1, v4, s[0:3], 0 offen
	buffer_load_dword v2, v4, s[0:3], 0 offen offset:4
	buffer_load_dword v3, v4, s[0:3], 0 offen offset:8
	buffer_load_dword v4, v4, s[0:3], 0 offen offset:12
	s_waitcnt vmcnt(0)
	ds_write_b128 v84, v[1:4]
	s_waitcnt lgkmcnt(0)
	s_waitcnt_vscnt null, 0x0
	s_barrier
	buffer_gl0_inv
	s_and_saveexec_b32 s8, s4
	s_cbranch_execz .LBB102_283
; %bb.276:
	ds_read_b128 v[1:4], v84
	s_andn2_b32 vcc_lo, exec_lo, s46
	s_cbranch_vccnz .LBB102_278
; %bb.277:
	s_clause 0x3
	buffer_load_dword v85, v83, s[0:3], 0 offen offset:8
	buffer_load_dword v86, v83, s[0:3], 0 offen offset:12
	buffer_load_dword v87, v83, s[0:3], 0 offen
	buffer_load_dword v88, v83, s[0:3], 0 offen offset:4
	s_waitcnt vmcnt(2) lgkmcnt(0)
	v_mul_f64 v[90:91], v[3:4], v[85:86]
	v_mul_f64 v[85:86], v[1:2], v[85:86]
	s_waitcnt vmcnt(0)
	v_fma_f64 v[1:2], v[1:2], v[87:88], -v[90:91]
	v_fma_f64 v[3:4], v[3:4], v[87:88], v[85:86]
.LBB102_278:
	s_and_saveexec_b32 s47, s5
	s_cbranch_execz .LBB102_282
; %bb.279:
	v_add_nc_u32_e32 v85, -4, v0
	s_movk_i32 s48, 0x2b0
	s_mov_b32 s5, 0
	s_mov_b32 s49, s42
	.p2align	6
.LBB102_280:                            ; =>This Inner Loop Header: Depth=1
	v_mov_b32_e32 v88, s49
	v_add_nc_u32_e32 v85, -1, v85
	s_add_i32 s49, s49, 16
	s_clause 0x3
	buffer_load_dword v86, v88, s[0:3], 0 offen offset:8
	buffer_load_dword v87, v88, s[0:3], 0 offen offset:12
	buffer_load_dword v94, v88, s[0:3], 0 offen
	buffer_load_dword v95, v88, s[0:3], 0 offen offset:4
	v_mov_b32_e32 v88, s48
	v_cmp_eq_u32_e32 vcc_lo, 0, v85
	s_add_i32 s48, s48, 16
	ds_read_b128 v[90:93], v88
	s_or_b32 s5, vcc_lo, s5
	s_waitcnt vmcnt(2) lgkmcnt(0)
	v_mul_f64 v[96:97], v[92:93], v[86:87]
	v_mul_f64 v[86:87], v[90:91], v[86:87]
	s_waitcnt vmcnt(0)
	v_fma_f64 v[90:91], v[90:91], v[94:95], -v[96:97]
	v_fma_f64 v[86:87], v[92:93], v[94:95], v[86:87]
	v_add_f64 v[1:2], v[1:2], v[90:91]
	v_add_f64 v[3:4], v[3:4], v[86:87]
	s_andn2_b32 exec_lo, exec_lo, s5
	s_cbranch_execnz .LBB102_280
; %bb.281:
	s_or_b32 exec_lo, exec_lo, s5
.LBB102_282:
	s_or_b32 exec_lo, exec_lo, s47
	v_mov_b32_e32 v85, 0
	ds_read_b128 v[85:88], v85 offset:48
	s_waitcnt lgkmcnt(0)
	v_mul_f64 v[90:91], v[3:4], v[87:88]
	v_mul_f64 v[87:88], v[1:2], v[87:88]
	v_fma_f64 v[1:2], v[1:2], v[85:86], -v[90:91]
	v_fma_f64 v[3:4], v[3:4], v[85:86], v[87:88]
	buffer_store_dword v2, off, s[0:3], 0 offset:52
	buffer_store_dword v1, off, s[0:3], 0 offset:48
	;; [unrolled: 1-line block ×4, first 2 shown]
.LBB102_283:
	s_or_b32 exec_lo, exec_lo, s8
	v_mov_b32_e32 v4, s44
	v_cmp_lt_u32_e64 s5, 2, v0
	s_clause 0x3
	buffer_load_dword v1, v4, s[0:3], 0 offen
	buffer_load_dword v2, v4, s[0:3], 0 offen offset:4
	buffer_load_dword v3, v4, s[0:3], 0 offen offset:8
	;; [unrolled: 1-line block ×3, first 2 shown]
	s_waitcnt vmcnt(0)
	ds_write_b128 v84, v[1:4]
	s_waitcnt lgkmcnt(0)
	s_waitcnt_vscnt null, 0x0
	s_barrier
	buffer_gl0_inv
	s_and_saveexec_b32 s8, s5
	s_cbranch_execz .LBB102_291
; %bb.284:
	ds_read_b128 v[1:4], v84
	s_andn2_b32 vcc_lo, exec_lo, s46
	s_cbranch_vccnz .LBB102_286
; %bb.285:
	s_clause 0x3
	buffer_load_dword v85, v83, s[0:3], 0 offen offset:8
	buffer_load_dword v86, v83, s[0:3], 0 offen offset:12
	buffer_load_dword v87, v83, s[0:3], 0 offen
	buffer_load_dword v88, v83, s[0:3], 0 offen offset:4
	s_waitcnt vmcnt(2) lgkmcnt(0)
	v_mul_f64 v[90:91], v[3:4], v[85:86]
	v_mul_f64 v[85:86], v[1:2], v[85:86]
	s_waitcnt vmcnt(0)
	v_fma_f64 v[1:2], v[1:2], v[87:88], -v[90:91]
	v_fma_f64 v[3:4], v[3:4], v[87:88], v[85:86]
.LBB102_286:
	s_and_saveexec_b32 s47, s4
	s_cbranch_execz .LBB102_290
; %bb.287:
	v_add_nc_u32_e32 v85, -3, v0
	s_movk_i32 s48, 0x2a0
	s_mov_b32 s4, 0
	s_mov_b32 s49, s43
	.p2align	6
.LBB102_288:                            ; =>This Inner Loop Header: Depth=1
	v_mov_b32_e32 v88, s49
	v_add_nc_u32_e32 v85, -1, v85
	s_add_i32 s49, s49, 16
	s_clause 0x3
	buffer_load_dword v86, v88, s[0:3], 0 offen offset:8
	buffer_load_dword v87, v88, s[0:3], 0 offen offset:12
	buffer_load_dword v94, v88, s[0:3], 0 offen
	buffer_load_dword v95, v88, s[0:3], 0 offen offset:4
	v_mov_b32_e32 v88, s48
	v_cmp_eq_u32_e32 vcc_lo, 0, v85
	s_add_i32 s48, s48, 16
	ds_read_b128 v[90:93], v88
	s_or_b32 s4, vcc_lo, s4
	s_waitcnt vmcnt(2) lgkmcnt(0)
	v_mul_f64 v[96:97], v[92:93], v[86:87]
	v_mul_f64 v[86:87], v[90:91], v[86:87]
	s_waitcnt vmcnt(0)
	v_fma_f64 v[90:91], v[90:91], v[94:95], -v[96:97]
	v_fma_f64 v[86:87], v[92:93], v[94:95], v[86:87]
	v_add_f64 v[1:2], v[1:2], v[90:91]
	v_add_f64 v[3:4], v[3:4], v[86:87]
	s_andn2_b32 exec_lo, exec_lo, s4
	s_cbranch_execnz .LBB102_288
; %bb.289:
	s_or_b32 exec_lo, exec_lo, s4
.LBB102_290:
	s_or_b32 exec_lo, exec_lo, s47
	v_mov_b32_e32 v85, 0
	ds_read_b128 v[85:88], v85 offset:32
	s_waitcnt lgkmcnt(0)
	v_mul_f64 v[90:91], v[3:4], v[87:88]
	v_mul_f64 v[87:88], v[1:2], v[87:88]
	v_fma_f64 v[1:2], v[1:2], v[85:86], -v[90:91]
	v_fma_f64 v[3:4], v[3:4], v[85:86], v[87:88]
	buffer_store_dword v2, off, s[0:3], 0 offset:36
	buffer_store_dword v1, off, s[0:3], 0 offset:32
	;; [unrolled: 1-line block ×4, first 2 shown]
.LBB102_291:
	s_or_b32 exec_lo, exec_lo, s8
	v_mov_b32_e32 v4, s45
	v_cmp_lt_u32_e64 s4, 1, v0
	s_clause 0x3
	buffer_load_dword v1, v4, s[0:3], 0 offen
	buffer_load_dword v2, v4, s[0:3], 0 offen offset:4
	buffer_load_dword v3, v4, s[0:3], 0 offen offset:8
	;; [unrolled: 1-line block ×3, first 2 shown]
	s_waitcnt vmcnt(0)
	ds_write_b128 v84, v[1:4]
	s_waitcnt lgkmcnt(0)
	s_waitcnt_vscnt null, 0x0
	s_barrier
	buffer_gl0_inv
	s_and_saveexec_b32 s8, s4
	s_cbranch_execz .LBB102_299
; %bb.292:
	ds_read_b128 v[1:4], v84
	s_andn2_b32 vcc_lo, exec_lo, s46
	s_cbranch_vccnz .LBB102_294
; %bb.293:
	s_clause 0x3
	buffer_load_dword v85, v83, s[0:3], 0 offen offset:8
	buffer_load_dword v86, v83, s[0:3], 0 offen offset:12
	buffer_load_dword v87, v83, s[0:3], 0 offen
	buffer_load_dword v88, v83, s[0:3], 0 offen offset:4
	s_waitcnt vmcnt(2) lgkmcnt(0)
	v_mul_f64 v[90:91], v[3:4], v[85:86]
	v_mul_f64 v[85:86], v[1:2], v[85:86]
	s_waitcnt vmcnt(0)
	v_fma_f64 v[1:2], v[1:2], v[87:88], -v[90:91]
	v_fma_f64 v[3:4], v[3:4], v[87:88], v[85:86]
.LBB102_294:
	s_and_saveexec_b32 s47, s5
	s_cbranch_execz .LBB102_298
; %bb.295:
	v_add_nc_u32_e32 v85, -2, v0
	s_movk_i32 s48, 0x290
	s_mov_b32 s5, 0
	s_mov_b32 s49, s44
	.p2align	6
.LBB102_296:                            ; =>This Inner Loop Header: Depth=1
	v_mov_b32_e32 v88, s49
	v_add_nc_u32_e32 v85, -1, v85
	s_add_i32 s49, s49, 16
	s_clause 0x3
	buffer_load_dword v86, v88, s[0:3], 0 offen offset:8
	buffer_load_dword v87, v88, s[0:3], 0 offen offset:12
	buffer_load_dword v94, v88, s[0:3], 0 offen
	buffer_load_dword v95, v88, s[0:3], 0 offen offset:4
	v_mov_b32_e32 v88, s48
	v_cmp_eq_u32_e32 vcc_lo, 0, v85
	s_add_i32 s48, s48, 16
	ds_read_b128 v[90:93], v88
	s_or_b32 s5, vcc_lo, s5
	s_waitcnt vmcnt(2) lgkmcnt(0)
	v_mul_f64 v[96:97], v[92:93], v[86:87]
	v_mul_f64 v[86:87], v[90:91], v[86:87]
	s_waitcnt vmcnt(0)
	v_fma_f64 v[90:91], v[90:91], v[94:95], -v[96:97]
	v_fma_f64 v[86:87], v[92:93], v[94:95], v[86:87]
	v_add_f64 v[1:2], v[1:2], v[90:91]
	v_add_f64 v[3:4], v[3:4], v[86:87]
	s_andn2_b32 exec_lo, exec_lo, s5
	s_cbranch_execnz .LBB102_296
; %bb.297:
	s_or_b32 exec_lo, exec_lo, s5
.LBB102_298:
	s_or_b32 exec_lo, exec_lo, s47
	v_mov_b32_e32 v85, 0
	ds_read_b128 v[85:88], v85 offset:16
	s_waitcnt lgkmcnt(0)
	v_mul_f64 v[90:91], v[3:4], v[87:88]
	v_mul_f64 v[87:88], v[1:2], v[87:88]
	v_fma_f64 v[1:2], v[1:2], v[85:86], -v[90:91]
	v_fma_f64 v[3:4], v[3:4], v[85:86], v[87:88]
	buffer_store_dword v2, off, s[0:3], 0 offset:20
	buffer_store_dword v1, off, s[0:3], 0 offset:16
	;; [unrolled: 1-line block ×4, first 2 shown]
.LBB102_299:
	s_or_b32 exec_lo, exec_lo, s8
	s_clause 0x3
	buffer_load_dword v1, off, s[0:3], 0
	buffer_load_dword v2, off, s[0:3], 0 offset:4
	buffer_load_dword v3, off, s[0:3], 0 offset:8
	;; [unrolled: 1-line block ×3, first 2 shown]
	s_mov_b32 s8, 0
	s_mov_b32 s5, 0
	s_mov_b32 s47, exec_lo
                                        ; implicit-def: $sgpr48
	s_waitcnt vmcnt(0)
	ds_write_b128 v84, v[1:4]
	s_waitcnt lgkmcnt(0)
	s_waitcnt_vscnt null, 0x0
	s_barrier
	buffer_gl0_inv
                                        ; implicit-def: $vgpr1_vgpr2
	v_cmpx_ne_u32_e32 0, v0
	s_cbranch_execz .LBB102_307
; %bb.300:
	ds_read_b128 v[1:4], v84
	s_andn2_b32 vcc_lo, exec_lo, s46
	s_cbranch_vccnz .LBB102_302
; %bb.301:
	s_clause 0x3
	buffer_load_dword v85, v83, s[0:3], 0 offen offset:8
	buffer_load_dword v86, v83, s[0:3], 0 offen offset:12
	buffer_load_dword v87, v83, s[0:3], 0 offen
	buffer_load_dword v88, v83, s[0:3], 0 offen offset:4
	s_waitcnt vmcnt(2) lgkmcnt(0)
	v_mul_f64 v[90:91], v[3:4], v[85:86]
	v_mul_f64 v[85:86], v[1:2], v[85:86]
	s_waitcnt vmcnt(0)
	v_fma_f64 v[1:2], v[1:2], v[87:88], -v[90:91]
	v_fma_f64 v[3:4], v[3:4], v[87:88], v[85:86]
.LBB102_302:
	s_and_saveexec_b32 s5, s4
	s_cbranch_execz .LBB102_306
; %bb.303:
	v_add_nc_u32_e32 v85, -1, v0
	s_movk_i32 s48, 0x280
	s_mov_b32 s4, 0
	s_mov_b32 s49, s45
	.p2align	6
.LBB102_304:                            ; =>This Inner Loop Header: Depth=1
	v_mov_b32_e32 v88, s49
	v_add_nc_u32_e32 v85, -1, v85
	s_add_i32 s49, s49, 16
	s_clause 0x3
	buffer_load_dword v86, v88, s[0:3], 0 offen offset:8
	buffer_load_dword v87, v88, s[0:3], 0 offen offset:12
	buffer_load_dword v94, v88, s[0:3], 0 offen
	buffer_load_dword v95, v88, s[0:3], 0 offen offset:4
	v_mov_b32_e32 v88, s48
	v_cmp_eq_u32_e32 vcc_lo, 0, v85
	s_add_i32 s48, s48, 16
	ds_read_b128 v[90:93], v88
	s_or_b32 s4, vcc_lo, s4
	s_waitcnt vmcnt(2) lgkmcnt(0)
	v_mul_f64 v[96:97], v[92:93], v[86:87]
	v_mul_f64 v[86:87], v[90:91], v[86:87]
	s_waitcnt vmcnt(0)
	v_fma_f64 v[90:91], v[90:91], v[94:95], -v[96:97]
	v_fma_f64 v[86:87], v[92:93], v[94:95], v[86:87]
	v_add_f64 v[1:2], v[1:2], v[90:91]
	v_add_f64 v[3:4], v[3:4], v[86:87]
	s_andn2_b32 exec_lo, exec_lo, s4
	s_cbranch_execnz .LBB102_304
; %bb.305:
	s_or_b32 exec_lo, exec_lo, s4
.LBB102_306:
	s_or_b32 exec_lo, exec_lo, s5
	v_mov_b32_e32 v85, 0
	s_mov_b32 s5, exec_lo
	s_or_b32 s48, 0, 8
	ds_read_b128 v[85:88], v85
	s_waitcnt lgkmcnt(0)
	v_mul_f64 v[90:91], v[3:4], v[87:88]
	v_mul_f64 v[87:88], v[1:2], v[87:88]
	v_fma_f64 v[90:91], v[1:2], v[85:86], -v[90:91]
	v_fma_f64 v[1:2], v[3:4], v[85:86], v[87:88]
	buffer_store_dword v91, off, s[0:3], 0 offset:4
	buffer_store_dword v90, off, s[0:3], 0
.LBB102_307:
	s_or_b32 exec_lo, exec_lo, s47
	s_and_b32 vcc_lo, exec_lo, s8
	s_cbranch_vccnz .LBB102_309
	s_branch .LBB102_608
.LBB102_308:
	s_mov_b32 s5, 0
                                        ; implicit-def: $vgpr1_vgpr2
                                        ; implicit-def: $sgpr48
	s_cbranch_execz .LBB102_608
.LBB102_309:
	v_mov_b32_e32 v4, s45
	v_cmp_eq_u32_e64 s4, 0, v0
	v_cndmask_b32_e64 v85, 0, 1, s46
	s_clause 0x3
	buffer_load_dword v1, v4, s[0:3], 0 offen
	buffer_load_dword v2, v4, s[0:3], 0 offen offset:4
	buffer_load_dword v3, v4, s[0:3], 0 offen offset:8
	;; [unrolled: 1-line block ×3, first 2 shown]
	s_waitcnt vmcnt(0)
	ds_write_b128 v84, v[1:4]
	s_waitcnt lgkmcnt(0)
	s_waitcnt_vscnt null, 0x0
	s_barrier
	buffer_gl0_inv
	s_and_saveexec_b32 s8, s4
	s_cbranch_execz .LBB102_313
; %bb.310:
	ds_read_b128 v[1:4], v84
	s_andn2_b32 vcc_lo, exec_lo, s46
	s_cbranch_vccnz .LBB102_312
; %bb.311:
	s_clause 0x3
	buffer_load_dword v86, v83, s[0:3], 0 offen offset:8
	buffer_load_dword v87, v83, s[0:3], 0 offen offset:12
	buffer_load_dword v90, v83, s[0:3], 0 offen
	buffer_load_dword v91, v83, s[0:3], 0 offen offset:4
	s_waitcnt vmcnt(2) lgkmcnt(0)
	v_mul_f64 v[92:93], v[3:4], v[86:87]
	v_mul_f64 v[86:87], v[1:2], v[86:87]
	s_waitcnt vmcnt(0)
	v_fma_f64 v[1:2], v[1:2], v[90:91], -v[92:93]
	v_fma_f64 v[3:4], v[3:4], v[90:91], v[86:87]
.LBB102_312:
	v_mov_b32_e32 v86, 0
	ds_read_b128 v[90:93], v86 offset:16
	s_waitcnt lgkmcnt(0)
	v_mul_f64 v[86:87], v[3:4], v[92:93]
	v_mul_f64 v[92:93], v[1:2], v[92:93]
	v_fma_f64 v[1:2], v[1:2], v[90:91], -v[86:87]
	v_fma_f64 v[3:4], v[3:4], v[90:91], v[92:93]
	buffer_store_dword v2, off, s[0:3], 0 offset:20
	buffer_store_dword v1, off, s[0:3], 0 offset:16
	buffer_store_dword v4, off, s[0:3], 0 offset:28
	buffer_store_dword v3, off, s[0:3], 0 offset:24
.LBB102_313:
	s_or_b32 exec_lo, exec_lo, s8
	v_mov_b32_e32 v4, s44
	s_mov_b32 s8, exec_lo
	s_clause 0x3
	buffer_load_dword v1, v4, s[0:3], 0 offen
	buffer_load_dword v2, v4, s[0:3], 0 offen offset:4
	buffer_load_dword v3, v4, s[0:3], 0 offen offset:8
	;; [unrolled: 1-line block ×3, first 2 shown]
	s_waitcnt vmcnt(0)
	ds_write_b128 v84, v[1:4]
	s_waitcnt lgkmcnt(0)
	s_waitcnt_vscnt null, 0x0
	s_barrier
	buffer_gl0_inv
	v_cmpx_gt_u32_e32 2, v0
	s_cbranch_execz .LBB102_319
; %bb.314:
	ds_read_b128 v[1:4], v84
	v_cmp_ne_u32_e32 vcc_lo, 1, v85
	s_cbranch_vccnz .LBB102_316
; %bb.315:
	s_clause 0x3
	buffer_load_dword v86, v83, s[0:3], 0 offen offset:8
	buffer_load_dword v87, v83, s[0:3], 0 offen offset:12
	buffer_load_dword v90, v83, s[0:3], 0 offen
	buffer_load_dword v91, v83, s[0:3], 0 offen offset:4
	s_waitcnt vmcnt(2) lgkmcnt(0)
	v_mul_f64 v[92:93], v[3:4], v[86:87]
	v_mul_f64 v[86:87], v[1:2], v[86:87]
	s_waitcnt vmcnt(0)
	v_fma_f64 v[1:2], v[1:2], v[90:91], -v[92:93]
	v_fma_f64 v[3:4], v[3:4], v[90:91], v[86:87]
.LBB102_316:
	s_and_saveexec_b32 s46, s4
	s_cbranch_execz .LBB102_318
; %bb.317:
	s_clause 0x3
	buffer_load_dword v86, off, s[0:3], 0 offset:24
	buffer_load_dword v87, off, s[0:3], 0 offset:28
	;; [unrolled: 1-line block ×4, first 2 shown]
	v_mov_b32_e32 v88, 0
	ds_read_b128 v[90:93], v88 offset:640
	s_waitcnt vmcnt(2) lgkmcnt(0)
	v_mul_f64 v[96:97], v[92:93], v[86:87]
	v_mul_f64 v[86:87], v[90:91], v[86:87]
	s_waitcnt vmcnt(0)
	v_fma_f64 v[90:91], v[90:91], v[94:95], -v[96:97]
	v_fma_f64 v[86:87], v[92:93], v[94:95], v[86:87]
	v_add_f64 v[1:2], v[1:2], v[90:91]
	v_add_f64 v[3:4], v[3:4], v[86:87]
.LBB102_318:
	s_or_b32 exec_lo, exec_lo, s46
	v_mov_b32_e32 v86, 0
	ds_read_b128 v[90:93], v86 offset:32
	s_waitcnt lgkmcnt(0)
	v_mul_f64 v[86:87], v[3:4], v[92:93]
	v_mul_f64 v[92:93], v[1:2], v[92:93]
	v_fma_f64 v[1:2], v[1:2], v[90:91], -v[86:87]
	v_fma_f64 v[3:4], v[3:4], v[90:91], v[92:93]
	buffer_store_dword v2, off, s[0:3], 0 offset:36
	buffer_store_dword v1, off, s[0:3], 0 offset:32
	;; [unrolled: 1-line block ×4, first 2 shown]
.LBB102_319:
	s_or_b32 exec_lo, exec_lo, s8
	v_mov_b32_e32 v4, s43
	s_mov_b32 s8, exec_lo
	s_clause 0x3
	buffer_load_dword v1, v4, s[0:3], 0 offen
	buffer_load_dword v2, v4, s[0:3], 0 offen offset:4
	buffer_load_dword v3, v4, s[0:3], 0 offen offset:8
	;; [unrolled: 1-line block ×3, first 2 shown]
	s_waitcnt vmcnt(0)
	ds_write_b128 v84, v[1:4]
	s_waitcnt lgkmcnt(0)
	s_waitcnt_vscnt null, 0x0
	s_barrier
	buffer_gl0_inv
	v_cmpx_gt_u32_e32 3, v0
	s_cbranch_execz .LBB102_327
; %bb.320:
	ds_read_b128 v[1:4], v84
	v_cmp_ne_u32_e32 vcc_lo, 1, v85
	s_cbranch_vccnz .LBB102_322
; %bb.321:
	s_clause 0x3
	buffer_load_dword v86, v83, s[0:3], 0 offen offset:8
	buffer_load_dword v87, v83, s[0:3], 0 offen offset:12
	buffer_load_dword v90, v83, s[0:3], 0 offen
	buffer_load_dword v91, v83, s[0:3], 0 offen offset:4
	s_waitcnt vmcnt(2) lgkmcnt(0)
	v_mul_f64 v[92:93], v[3:4], v[86:87]
	v_mul_f64 v[86:87], v[1:2], v[86:87]
	s_waitcnt vmcnt(0)
	v_fma_f64 v[1:2], v[1:2], v[90:91], -v[92:93]
	v_fma_f64 v[3:4], v[3:4], v[90:91], v[86:87]
.LBB102_322:
	s_mov_b32 s46, exec_lo
	v_cmpx_ne_u32_e32 2, v0
	s_cbranch_execz .LBB102_326
; %bb.323:
	s_clause 0x3
	buffer_load_dword v86, v83, s[0:3], 0 offen offset:24
	buffer_load_dword v87, v83, s[0:3], 0 offen offset:28
	;; [unrolled: 1-line block ×4, first 2 shown]
	ds_read_b128 v[90:93], v84 offset:16
	s_waitcnt vmcnt(2) lgkmcnt(0)
	v_mul_f64 v[96:97], v[92:93], v[86:87]
	v_mul_f64 v[86:87], v[90:91], v[86:87]
	s_waitcnt vmcnt(0)
	v_fma_f64 v[90:91], v[90:91], v[94:95], -v[96:97]
	v_fma_f64 v[86:87], v[92:93], v[94:95], v[86:87]
	v_add_f64 v[1:2], v[1:2], v[90:91]
	v_add_f64 v[3:4], v[3:4], v[86:87]
	s_and_saveexec_b32 s47, s4
	s_cbranch_execz .LBB102_325
; %bb.324:
	s_clause 0x3
	buffer_load_dword v86, off, s[0:3], 0 offset:40
	buffer_load_dword v87, off, s[0:3], 0 offset:44
	buffer_load_dword v94, off, s[0:3], 0 offset:32
	buffer_load_dword v95, off, s[0:3], 0 offset:36
	v_mov_b32_e32 v88, 0
	ds_read_b128 v[90:93], v88 offset:656
	s_waitcnt vmcnt(2) lgkmcnt(0)
	v_mul_f64 v[96:97], v[90:91], v[86:87]
	v_mul_f64 v[86:87], v[92:93], v[86:87]
	s_waitcnt vmcnt(0)
	v_fma_f64 v[92:93], v[92:93], v[94:95], v[96:97]
	v_fma_f64 v[86:87], v[90:91], v[94:95], -v[86:87]
	v_add_f64 v[3:4], v[3:4], v[92:93]
	v_add_f64 v[1:2], v[1:2], v[86:87]
.LBB102_325:
	s_or_b32 exec_lo, exec_lo, s47
.LBB102_326:
	s_or_b32 exec_lo, exec_lo, s46
	v_mov_b32_e32 v86, 0
	ds_read_b128 v[90:93], v86 offset:48
	s_waitcnt lgkmcnt(0)
	v_mul_f64 v[86:87], v[3:4], v[92:93]
	v_mul_f64 v[92:93], v[1:2], v[92:93]
	v_fma_f64 v[1:2], v[1:2], v[90:91], -v[86:87]
	v_fma_f64 v[3:4], v[3:4], v[90:91], v[92:93]
	buffer_store_dword v2, off, s[0:3], 0 offset:52
	buffer_store_dword v1, off, s[0:3], 0 offset:48
	;; [unrolled: 1-line block ×4, first 2 shown]
.LBB102_327:
	s_or_b32 exec_lo, exec_lo, s8
	v_mov_b32_e32 v4, s42
	s_mov_b32 s4, exec_lo
	s_clause 0x3
	buffer_load_dword v1, v4, s[0:3], 0 offen
	buffer_load_dword v2, v4, s[0:3], 0 offen offset:4
	buffer_load_dword v3, v4, s[0:3], 0 offen offset:8
	;; [unrolled: 1-line block ×3, first 2 shown]
	s_waitcnt vmcnt(0)
	ds_write_b128 v84, v[1:4]
	s_waitcnt lgkmcnt(0)
	s_waitcnt_vscnt null, 0x0
	s_barrier
	buffer_gl0_inv
	v_cmpx_gt_u32_e32 4, v0
	s_cbranch_execz .LBB102_335
; %bb.328:
	ds_read_b128 v[1:4], v84
	v_cmp_ne_u32_e32 vcc_lo, 1, v85
	s_cbranch_vccnz .LBB102_330
; %bb.329:
	s_clause 0x3
	buffer_load_dword v86, v83, s[0:3], 0 offen offset:8
	buffer_load_dword v87, v83, s[0:3], 0 offen offset:12
	buffer_load_dword v90, v83, s[0:3], 0 offen
	buffer_load_dword v91, v83, s[0:3], 0 offen offset:4
	s_waitcnt vmcnt(2) lgkmcnt(0)
	v_mul_f64 v[92:93], v[3:4], v[86:87]
	v_mul_f64 v[86:87], v[1:2], v[86:87]
	s_waitcnt vmcnt(0)
	v_fma_f64 v[1:2], v[1:2], v[90:91], -v[92:93]
	v_fma_f64 v[3:4], v[3:4], v[90:91], v[86:87]
.LBB102_330:
	s_mov_b32 s8, exec_lo
	v_cmpx_ne_u32_e32 3, v0
	s_cbranch_execz .LBB102_334
; %bb.331:
	v_add_nc_u32_e32 v86, 0x280, v89
	v_add3_u32 v87, 0, v89, 16
	v_mov_b32_e32 v88, v0
	s_mov_b32 s46, 0
	.p2align	6
.LBB102_332:                            ; =>This Inner Loop Header: Depth=1
	s_clause 0x3
	buffer_load_dword v94, v87, s[0:3], 0 offen offset:8
	buffer_load_dword v95, v87, s[0:3], 0 offen offset:12
	buffer_load_dword v96, v87, s[0:3], 0 offen
	buffer_load_dword v97, v87, s[0:3], 0 offen offset:4
	ds_read_b128 v[90:93], v86
	v_add_nc_u32_e32 v88, 1, v88
	v_add_nc_u32_e32 v86, 16, v86
	;; [unrolled: 1-line block ×3, first 2 shown]
	v_cmp_lt_u32_e32 vcc_lo, 2, v88
	s_or_b32 s46, vcc_lo, s46
	s_waitcnt vmcnt(2) lgkmcnt(0)
	v_mul_f64 v[98:99], v[92:93], v[94:95]
	v_mul_f64 v[94:95], v[90:91], v[94:95]
	s_waitcnt vmcnt(0)
	v_fma_f64 v[90:91], v[90:91], v[96:97], -v[98:99]
	v_fma_f64 v[92:93], v[92:93], v[96:97], v[94:95]
	v_add_f64 v[1:2], v[1:2], v[90:91]
	v_add_f64 v[3:4], v[3:4], v[92:93]
	s_andn2_b32 exec_lo, exec_lo, s46
	s_cbranch_execnz .LBB102_332
; %bb.333:
	s_or_b32 exec_lo, exec_lo, s46
.LBB102_334:
	s_or_b32 exec_lo, exec_lo, s8
	v_mov_b32_e32 v86, 0
	ds_read_b128 v[90:93], v86 offset:64
	s_waitcnt lgkmcnt(0)
	v_mul_f64 v[86:87], v[3:4], v[92:93]
	v_mul_f64 v[92:93], v[1:2], v[92:93]
	v_fma_f64 v[1:2], v[1:2], v[90:91], -v[86:87]
	v_fma_f64 v[3:4], v[3:4], v[90:91], v[92:93]
	buffer_store_dword v2, off, s[0:3], 0 offset:68
	buffer_store_dword v1, off, s[0:3], 0 offset:64
	;; [unrolled: 1-line block ×4, first 2 shown]
.LBB102_335:
	s_or_b32 exec_lo, exec_lo, s4
	v_mov_b32_e32 v4, s41
	s_mov_b32 s4, exec_lo
	s_clause 0x3
	buffer_load_dword v1, v4, s[0:3], 0 offen
	buffer_load_dword v2, v4, s[0:3], 0 offen offset:4
	buffer_load_dword v3, v4, s[0:3], 0 offen offset:8
	;; [unrolled: 1-line block ×3, first 2 shown]
	s_waitcnt vmcnt(0)
	ds_write_b128 v84, v[1:4]
	s_waitcnt lgkmcnt(0)
	s_waitcnt_vscnt null, 0x0
	s_barrier
	buffer_gl0_inv
	v_cmpx_gt_u32_e32 5, v0
	s_cbranch_execz .LBB102_343
; %bb.336:
	ds_read_b128 v[1:4], v84
	v_cmp_ne_u32_e32 vcc_lo, 1, v85
	s_cbranch_vccnz .LBB102_338
; %bb.337:
	s_clause 0x3
	buffer_load_dword v86, v83, s[0:3], 0 offen offset:8
	buffer_load_dword v87, v83, s[0:3], 0 offen offset:12
	buffer_load_dword v90, v83, s[0:3], 0 offen
	buffer_load_dword v91, v83, s[0:3], 0 offen offset:4
	s_waitcnt vmcnt(2) lgkmcnt(0)
	v_mul_f64 v[92:93], v[3:4], v[86:87]
	v_mul_f64 v[86:87], v[1:2], v[86:87]
	s_waitcnt vmcnt(0)
	v_fma_f64 v[1:2], v[1:2], v[90:91], -v[92:93]
	v_fma_f64 v[3:4], v[3:4], v[90:91], v[86:87]
.LBB102_338:
	s_mov_b32 s8, exec_lo
	v_cmpx_ne_u32_e32 4, v0
	s_cbranch_execz .LBB102_342
; %bb.339:
	v_add_nc_u32_e32 v86, 0x280, v89
	v_add3_u32 v87, 0, v89, 16
	v_mov_b32_e32 v88, v0
	s_mov_b32 s46, 0
	.p2align	6
.LBB102_340:                            ; =>This Inner Loop Header: Depth=1
	s_clause 0x3
	buffer_load_dword v94, v87, s[0:3], 0 offen offset:8
	buffer_load_dword v95, v87, s[0:3], 0 offen offset:12
	buffer_load_dword v96, v87, s[0:3], 0 offen
	buffer_load_dword v97, v87, s[0:3], 0 offen offset:4
	ds_read_b128 v[90:93], v86
	v_add_nc_u32_e32 v88, 1, v88
	v_add_nc_u32_e32 v86, 16, v86
	;; [unrolled: 1-line block ×3, first 2 shown]
	v_cmp_lt_u32_e32 vcc_lo, 3, v88
	s_or_b32 s46, vcc_lo, s46
	s_waitcnt vmcnt(2) lgkmcnt(0)
	v_mul_f64 v[98:99], v[92:93], v[94:95]
	v_mul_f64 v[94:95], v[90:91], v[94:95]
	s_waitcnt vmcnt(0)
	v_fma_f64 v[90:91], v[90:91], v[96:97], -v[98:99]
	v_fma_f64 v[92:93], v[92:93], v[96:97], v[94:95]
	v_add_f64 v[1:2], v[1:2], v[90:91]
	v_add_f64 v[3:4], v[3:4], v[92:93]
	s_andn2_b32 exec_lo, exec_lo, s46
	s_cbranch_execnz .LBB102_340
; %bb.341:
	s_or_b32 exec_lo, exec_lo, s46
.LBB102_342:
	s_or_b32 exec_lo, exec_lo, s8
	v_mov_b32_e32 v86, 0
	ds_read_b128 v[90:93], v86 offset:80
	s_waitcnt lgkmcnt(0)
	v_mul_f64 v[86:87], v[3:4], v[92:93]
	v_mul_f64 v[92:93], v[1:2], v[92:93]
	v_fma_f64 v[1:2], v[1:2], v[90:91], -v[86:87]
	v_fma_f64 v[3:4], v[3:4], v[90:91], v[92:93]
	buffer_store_dword v2, off, s[0:3], 0 offset:84
	buffer_store_dword v1, off, s[0:3], 0 offset:80
	;; [unrolled: 1-line block ×4, first 2 shown]
.LBB102_343:
	s_or_b32 exec_lo, exec_lo, s4
	v_mov_b32_e32 v4, s40
	s_mov_b32 s4, exec_lo
	s_clause 0x3
	buffer_load_dword v1, v4, s[0:3], 0 offen
	buffer_load_dword v2, v4, s[0:3], 0 offen offset:4
	buffer_load_dword v3, v4, s[0:3], 0 offen offset:8
	;; [unrolled: 1-line block ×3, first 2 shown]
	s_waitcnt vmcnt(0)
	ds_write_b128 v84, v[1:4]
	s_waitcnt lgkmcnt(0)
	s_waitcnt_vscnt null, 0x0
	s_barrier
	buffer_gl0_inv
	v_cmpx_gt_u32_e32 6, v0
	s_cbranch_execz .LBB102_351
; %bb.344:
	ds_read_b128 v[1:4], v84
	v_cmp_ne_u32_e32 vcc_lo, 1, v85
	s_cbranch_vccnz .LBB102_346
; %bb.345:
	s_clause 0x3
	buffer_load_dword v86, v83, s[0:3], 0 offen offset:8
	buffer_load_dword v87, v83, s[0:3], 0 offen offset:12
	buffer_load_dword v90, v83, s[0:3], 0 offen
	buffer_load_dword v91, v83, s[0:3], 0 offen offset:4
	s_waitcnt vmcnt(2) lgkmcnt(0)
	v_mul_f64 v[92:93], v[3:4], v[86:87]
	v_mul_f64 v[86:87], v[1:2], v[86:87]
	s_waitcnt vmcnt(0)
	v_fma_f64 v[1:2], v[1:2], v[90:91], -v[92:93]
	v_fma_f64 v[3:4], v[3:4], v[90:91], v[86:87]
.LBB102_346:
	s_mov_b32 s8, exec_lo
	v_cmpx_ne_u32_e32 5, v0
	s_cbranch_execz .LBB102_350
; %bb.347:
	v_add_nc_u32_e32 v86, 0x280, v89
	v_add3_u32 v87, 0, v89, 16
	v_mov_b32_e32 v88, v0
	s_mov_b32 s46, 0
	.p2align	6
.LBB102_348:                            ; =>This Inner Loop Header: Depth=1
	s_clause 0x3
	buffer_load_dword v94, v87, s[0:3], 0 offen offset:8
	buffer_load_dword v95, v87, s[0:3], 0 offen offset:12
	buffer_load_dword v96, v87, s[0:3], 0 offen
	buffer_load_dword v97, v87, s[0:3], 0 offen offset:4
	ds_read_b128 v[90:93], v86
	v_add_nc_u32_e32 v88, 1, v88
	v_add_nc_u32_e32 v86, 16, v86
	;; [unrolled: 1-line block ×3, first 2 shown]
	v_cmp_lt_u32_e32 vcc_lo, 4, v88
	s_or_b32 s46, vcc_lo, s46
	s_waitcnt vmcnt(2) lgkmcnt(0)
	v_mul_f64 v[98:99], v[92:93], v[94:95]
	v_mul_f64 v[94:95], v[90:91], v[94:95]
	s_waitcnt vmcnt(0)
	v_fma_f64 v[90:91], v[90:91], v[96:97], -v[98:99]
	v_fma_f64 v[92:93], v[92:93], v[96:97], v[94:95]
	v_add_f64 v[1:2], v[1:2], v[90:91]
	v_add_f64 v[3:4], v[3:4], v[92:93]
	s_andn2_b32 exec_lo, exec_lo, s46
	s_cbranch_execnz .LBB102_348
; %bb.349:
	s_or_b32 exec_lo, exec_lo, s46
.LBB102_350:
	s_or_b32 exec_lo, exec_lo, s8
	v_mov_b32_e32 v86, 0
	ds_read_b128 v[90:93], v86 offset:96
	s_waitcnt lgkmcnt(0)
	v_mul_f64 v[86:87], v[3:4], v[92:93]
	v_mul_f64 v[92:93], v[1:2], v[92:93]
	v_fma_f64 v[1:2], v[1:2], v[90:91], -v[86:87]
	v_fma_f64 v[3:4], v[3:4], v[90:91], v[92:93]
	buffer_store_dword v2, off, s[0:3], 0 offset:100
	buffer_store_dword v1, off, s[0:3], 0 offset:96
	;; [unrolled: 1-line block ×4, first 2 shown]
.LBB102_351:
	s_or_b32 exec_lo, exec_lo, s4
	v_mov_b32_e32 v4, s39
	s_mov_b32 s4, exec_lo
	s_clause 0x3
	buffer_load_dword v1, v4, s[0:3], 0 offen
	buffer_load_dword v2, v4, s[0:3], 0 offen offset:4
	buffer_load_dword v3, v4, s[0:3], 0 offen offset:8
	;; [unrolled: 1-line block ×3, first 2 shown]
	s_waitcnt vmcnt(0)
	ds_write_b128 v84, v[1:4]
	s_waitcnt lgkmcnt(0)
	s_waitcnt_vscnt null, 0x0
	s_barrier
	buffer_gl0_inv
	v_cmpx_gt_u32_e32 7, v0
	s_cbranch_execz .LBB102_359
; %bb.352:
	ds_read_b128 v[1:4], v84
	v_cmp_ne_u32_e32 vcc_lo, 1, v85
	s_cbranch_vccnz .LBB102_354
; %bb.353:
	s_clause 0x3
	buffer_load_dword v86, v83, s[0:3], 0 offen offset:8
	buffer_load_dword v87, v83, s[0:3], 0 offen offset:12
	buffer_load_dword v90, v83, s[0:3], 0 offen
	buffer_load_dword v91, v83, s[0:3], 0 offen offset:4
	s_waitcnt vmcnt(2) lgkmcnt(0)
	v_mul_f64 v[92:93], v[3:4], v[86:87]
	v_mul_f64 v[86:87], v[1:2], v[86:87]
	s_waitcnt vmcnt(0)
	v_fma_f64 v[1:2], v[1:2], v[90:91], -v[92:93]
	v_fma_f64 v[3:4], v[3:4], v[90:91], v[86:87]
.LBB102_354:
	s_mov_b32 s8, exec_lo
	v_cmpx_ne_u32_e32 6, v0
	s_cbranch_execz .LBB102_358
; %bb.355:
	v_add_nc_u32_e32 v86, 0x280, v89
	v_add3_u32 v87, 0, v89, 16
	v_mov_b32_e32 v88, v0
	s_mov_b32 s46, 0
	.p2align	6
.LBB102_356:                            ; =>This Inner Loop Header: Depth=1
	s_clause 0x3
	buffer_load_dword v94, v87, s[0:3], 0 offen offset:8
	buffer_load_dword v95, v87, s[0:3], 0 offen offset:12
	buffer_load_dword v96, v87, s[0:3], 0 offen
	buffer_load_dword v97, v87, s[0:3], 0 offen offset:4
	ds_read_b128 v[90:93], v86
	v_add_nc_u32_e32 v88, 1, v88
	v_add_nc_u32_e32 v86, 16, v86
	;; [unrolled: 1-line block ×3, first 2 shown]
	v_cmp_lt_u32_e32 vcc_lo, 5, v88
	s_or_b32 s46, vcc_lo, s46
	s_waitcnt vmcnt(2) lgkmcnt(0)
	v_mul_f64 v[98:99], v[92:93], v[94:95]
	v_mul_f64 v[94:95], v[90:91], v[94:95]
	s_waitcnt vmcnt(0)
	v_fma_f64 v[90:91], v[90:91], v[96:97], -v[98:99]
	v_fma_f64 v[92:93], v[92:93], v[96:97], v[94:95]
	v_add_f64 v[1:2], v[1:2], v[90:91]
	v_add_f64 v[3:4], v[3:4], v[92:93]
	s_andn2_b32 exec_lo, exec_lo, s46
	s_cbranch_execnz .LBB102_356
; %bb.357:
	s_or_b32 exec_lo, exec_lo, s46
.LBB102_358:
	s_or_b32 exec_lo, exec_lo, s8
	v_mov_b32_e32 v86, 0
	ds_read_b128 v[90:93], v86 offset:112
	s_waitcnt lgkmcnt(0)
	v_mul_f64 v[86:87], v[3:4], v[92:93]
	v_mul_f64 v[92:93], v[1:2], v[92:93]
	v_fma_f64 v[1:2], v[1:2], v[90:91], -v[86:87]
	v_fma_f64 v[3:4], v[3:4], v[90:91], v[92:93]
	buffer_store_dword v2, off, s[0:3], 0 offset:116
	buffer_store_dword v1, off, s[0:3], 0 offset:112
	;; [unrolled: 1-line block ×4, first 2 shown]
.LBB102_359:
	s_or_b32 exec_lo, exec_lo, s4
	v_mov_b32_e32 v4, s38
	s_mov_b32 s4, exec_lo
	s_clause 0x3
	buffer_load_dword v1, v4, s[0:3], 0 offen
	buffer_load_dword v2, v4, s[0:3], 0 offen offset:4
	buffer_load_dword v3, v4, s[0:3], 0 offen offset:8
	;; [unrolled: 1-line block ×3, first 2 shown]
	s_waitcnt vmcnt(0)
	ds_write_b128 v84, v[1:4]
	s_waitcnt lgkmcnt(0)
	s_waitcnt_vscnt null, 0x0
	s_barrier
	buffer_gl0_inv
	v_cmpx_gt_u32_e32 8, v0
	s_cbranch_execz .LBB102_367
; %bb.360:
	ds_read_b128 v[1:4], v84
	v_cmp_ne_u32_e32 vcc_lo, 1, v85
	s_cbranch_vccnz .LBB102_362
; %bb.361:
	s_clause 0x3
	buffer_load_dword v86, v83, s[0:3], 0 offen offset:8
	buffer_load_dword v87, v83, s[0:3], 0 offen offset:12
	buffer_load_dword v90, v83, s[0:3], 0 offen
	buffer_load_dword v91, v83, s[0:3], 0 offen offset:4
	s_waitcnt vmcnt(2) lgkmcnt(0)
	v_mul_f64 v[92:93], v[3:4], v[86:87]
	v_mul_f64 v[86:87], v[1:2], v[86:87]
	s_waitcnt vmcnt(0)
	v_fma_f64 v[1:2], v[1:2], v[90:91], -v[92:93]
	v_fma_f64 v[3:4], v[3:4], v[90:91], v[86:87]
.LBB102_362:
	s_mov_b32 s8, exec_lo
	v_cmpx_ne_u32_e32 7, v0
	s_cbranch_execz .LBB102_366
; %bb.363:
	v_add_nc_u32_e32 v86, 0x280, v89
	v_add3_u32 v87, 0, v89, 16
	v_mov_b32_e32 v88, v0
	s_mov_b32 s46, 0
	.p2align	6
.LBB102_364:                            ; =>This Inner Loop Header: Depth=1
	s_clause 0x3
	buffer_load_dword v94, v87, s[0:3], 0 offen offset:8
	buffer_load_dword v95, v87, s[0:3], 0 offen offset:12
	buffer_load_dword v96, v87, s[0:3], 0 offen
	buffer_load_dword v97, v87, s[0:3], 0 offen offset:4
	ds_read_b128 v[90:93], v86
	v_add_nc_u32_e32 v88, 1, v88
	v_add_nc_u32_e32 v86, 16, v86
	;; [unrolled: 1-line block ×3, first 2 shown]
	v_cmp_lt_u32_e32 vcc_lo, 6, v88
	s_or_b32 s46, vcc_lo, s46
	s_waitcnt vmcnt(2) lgkmcnt(0)
	v_mul_f64 v[98:99], v[92:93], v[94:95]
	v_mul_f64 v[94:95], v[90:91], v[94:95]
	s_waitcnt vmcnt(0)
	v_fma_f64 v[90:91], v[90:91], v[96:97], -v[98:99]
	v_fma_f64 v[92:93], v[92:93], v[96:97], v[94:95]
	v_add_f64 v[1:2], v[1:2], v[90:91]
	v_add_f64 v[3:4], v[3:4], v[92:93]
	s_andn2_b32 exec_lo, exec_lo, s46
	s_cbranch_execnz .LBB102_364
; %bb.365:
	s_or_b32 exec_lo, exec_lo, s46
.LBB102_366:
	s_or_b32 exec_lo, exec_lo, s8
	v_mov_b32_e32 v86, 0
	ds_read_b128 v[90:93], v86 offset:128
	s_waitcnt lgkmcnt(0)
	v_mul_f64 v[86:87], v[3:4], v[92:93]
	v_mul_f64 v[92:93], v[1:2], v[92:93]
	v_fma_f64 v[1:2], v[1:2], v[90:91], -v[86:87]
	v_fma_f64 v[3:4], v[3:4], v[90:91], v[92:93]
	buffer_store_dword v2, off, s[0:3], 0 offset:132
	buffer_store_dword v1, off, s[0:3], 0 offset:128
	;; [unrolled: 1-line block ×4, first 2 shown]
.LBB102_367:
	s_or_b32 exec_lo, exec_lo, s4
	v_mov_b32_e32 v4, s37
	s_mov_b32 s4, exec_lo
	s_clause 0x3
	buffer_load_dword v1, v4, s[0:3], 0 offen
	buffer_load_dword v2, v4, s[0:3], 0 offen offset:4
	buffer_load_dword v3, v4, s[0:3], 0 offen offset:8
	;; [unrolled: 1-line block ×3, first 2 shown]
	s_waitcnt vmcnt(0)
	ds_write_b128 v84, v[1:4]
	s_waitcnt lgkmcnt(0)
	s_waitcnt_vscnt null, 0x0
	s_barrier
	buffer_gl0_inv
	v_cmpx_gt_u32_e32 9, v0
	s_cbranch_execz .LBB102_375
; %bb.368:
	ds_read_b128 v[1:4], v84
	v_cmp_ne_u32_e32 vcc_lo, 1, v85
	s_cbranch_vccnz .LBB102_370
; %bb.369:
	s_clause 0x3
	buffer_load_dword v86, v83, s[0:3], 0 offen offset:8
	buffer_load_dword v87, v83, s[0:3], 0 offen offset:12
	buffer_load_dword v90, v83, s[0:3], 0 offen
	buffer_load_dword v91, v83, s[0:3], 0 offen offset:4
	s_waitcnt vmcnt(2) lgkmcnt(0)
	v_mul_f64 v[92:93], v[3:4], v[86:87]
	v_mul_f64 v[86:87], v[1:2], v[86:87]
	s_waitcnt vmcnt(0)
	v_fma_f64 v[1:2], v[1:2], v[90:91], -v[92:93]
	v_fma_f64 v[3:4], v[3:4], v[90:91], v[86:87]
.LBB102_370:
	s_mov_b32 s8, exec_lo
	v_cmpx_ne_u32_e32 8, v0
	s_cbranch_execz .LBB102_374
; %bb.371:
	v_add_nc_u32_e32 v86, 0x280, v89
	v_add3_u32 v87, 0, v89, 16
	v_mov_b32_e32 v88, v0
	s_mov_b32 s46, 0
	.p2align	6
.LBB102_372:                            ; =>This Inner Loop Header: Depth=1
	s_clause 0x3
	buffer_load_dword v94, v87, s[0:3], 0 offen offset:8
	buffer_load_dword v95, v87, s[0:3], 0 offen offset:12
	buffer_load_dword v96, v87, s[0:3], 0 offen
	buffer_load_dword v97, v87, s[0:3], 0 offen offset:4
	ds_read_b128 v[90:93], v86
	v_add_nc_u32_e32 v88, 1, v88
	v_add_nc_u32_e32 v86, 16, v86
	;; [unrolled: 1-line block ×3, first 2 shown]
	v_cmp_lt_u32_e32 vcc_lo, 7, v88
	s_or_b32 s46, vcc_lo, s46
	s_waitcnt vmcnt(2) lgkmcnt(0)
	v_mul_f64 v[98:99], v[92:93], v[94:95]
	v_mul_f64 v[94:95], v[90:91], v[94:95]
	s_waitcnt vmcnt(0)
	v_fma_f64 v[90:91], v[90:91], v[96:97], -v[98:99]
	v_fma_f64 v[92:93], v[92:93], v[96:97], v[94:95]
	v_add_f64 v[1:2], v[1:2], v[90:91]
	v_add_f64 v[3:4], v[3:4], v[92:93]
	s_andn2_b32 exec_lo, exec_lo, s46
	s_cbranch_execnz .LBB102_372
; %bb.373:
	s_or_b32 exec_lo, exec_lo, s46
.LBB102_374:
	s_or_b32 exec_lo, exec_lo, s8
	v_mov_b32_e32 v86, 0
	ds_read_b128 v[90:93], v86 offset:144
	s_waitcnt lgkmcnt(0)
	v_mul_f64 v[86:87], v[3:4], v[92:93]
	v_mul_f64 v[92:93], v[1:2], v[92:93]
	v_fma_f64 v[1:2], v[1:2], v[90:91], -v[86:87]
	v_fma_f64 v[3:4], v[3:4], v[90:91], v[92:93]
	buffer_store_dword v2, off, s[0:3], 0 offset:148
	buffer_store_dword v1, off, s[0:3], 0 offset:144
	;; [unrolled: 1-line block ×4, first 2 shown]
.LBB102_375:
	s_or_b32 exec_lo, exec_lo, s4
	v_mov_b32_e32 v4, s36
	s_mov_b32 s4, exec_lo
	s_clause 0x3
	buffer_load_dword v1, v4, s[0:3], 0 offen
	buffer_load_dword v2, v4, s[0:3], 0 offen offset:4
	buffer_load_dword v3, v4, s[0:3], 0 offen offset:8
	;; [unrolled: 1-line block ×3, first 2 shown]
	s_waitcnt vmcnt(0)
	ds_write_b128 v84, v[1:4]
	s_waitcnt lgkmcnt(0)
	s_waitcnt_vscnt null, 0x0
	s_barrier
	buffer_gl0_inv
	v_cmpx_gt_u32_e32 10, v0
	s_cbranch_execz .LBB102_383
; %bb.376:
	ds_read_b128 v[1:4], v84
	v_cmp_ne_u32_e32 vcc_lo, 1, v85
	s_cbranch_vccnz .LBB102_378
; %bb.377:
	s_clause 0x3
	buffer_load_dword v86, v83, s[0:3], 0 offen offset:8
	buffer_load_dword v87, v83, s[0:3], 0 offen offset:12
	buffer_load_dword v90, v83, s[0:3], 0 offen
	buffer_load_dword v91, v83, s[0:3], 0 offen offset:4
	s_waitcnt vmcnt(2) lgkmcnt(0)
	v_mul_f64 v[92:93], v[3:4], v[86:87]
	v_mul_f64 v[86:87], v[1:2], v[86:87]
	s_waitcnt vmcnt(0)
	v_fma_f64 v[1:2], v[1:2], v[90:91], -v[92:93]
	v_fma_f64 v[3:4], v[3:4], v[90:91], v[86:87]
.LBB102_378:
	s_mov_b32 s8, exec_lo
	v_cmpx_ne_u32_e32 9, v0
	s_cbranch_execz .LBB102_382
; %bb.379:
	v_add_nc_u32_e32 v86, 0x280, v89
	v_add3_u32 v87, 0, v89, 16
	v_mov_b32_e32 v88, v0
	s_mov_b32 s46, 0
	.p2align	6
.LBB102_380:                            ; =>This Inner Loop Header: Depth=1
	s_clause 0x3
	buffer_load_dword v94, v87, s[0:3], 0 offen offset:8
	buffer_load_dword v95, v87, s[0:3], 0 offen offset:12
	buffer_load_dword v96, v87, s[0:3], 0 offen
	buffer_load_dword v97, v87, s[0:3], 0 offen offset:4
	ds_read_b128 v[90:93], v86
	v_add_nc_u32_e32 v88, 1, v88
	v_add_nc_u32_e32 v86, 16, v86
	;; [unrolled: 1-line block ×3, first 2 shown]
	v_cmp_lt_u32_e32 vcc_lo, 8, v88
	s_or_b32 s46, vcc_lo, s46
	s_waitcnt vmcnt(2) lgkmcnt(0)
	v_mul_f64 v[98:99], v[92:93], v[94:95]
	v_mul_f64 v[94:95], v[90:91], v[94:95]
	s_waitcnt vmcnt(0)
	v_fma_f64 v[90:91], v[90:91], v[96:97], -v[98:99]
	v_fma_f64 v[92:93], v[92:93], v[96:97], v[94:95]
	v_add_f64 v[1:2], v[1:2], v[90:91]
	v_add_f64 v[3:4], v[3:4], v[92:93]
	s_andn2_b32 exec_lo, exec_lo, s46
	s_cbranch_execnz .LBB102_380
; %bb.381:
	s_or_b32 exec_lo, exec_lo, s46
.LBB102_382:
	s_or_b32 exec_lo, exec_lo, s8
	v_mov_b32_e32 v86, 0
	ds_read_b128 v[90:93], v86 offset:160
	s_waitcnt lgkmcnt(0)
	v_mul_f64 v[86:87], v[3:4], v[92:93]
	v_mul_f64 v[92:93], v[1:2], v[92:93]
	v_fma_f64 v[1:2], v[1:2], v[90:91], -v[86:87]
	v_fma_f64 v[3:4], v[3:4], v[90:91], v[92:93]
	buffer_store_dword v2, off, s[0:3], 0 offset:164
	buffer_store_dword v1, off, s[0:3], 0 offset:160
	buffer_store_dword v4, off, s[0:3], 0 offset:172
	buffer_store_dword v3, off, s[0:3], 0 offset:168
.LBB102_383:
	s_or_b32 exec_lo, exec_lo, s4
	v_mov_b32_e32 v4, s35
	s_mov_b32 s4, exec_lo
	s_clause 0x3
	buffer_load_dword v1, v4, s[0:3], 0 offen
	buffer_load_dword v2, v4, s[0:3], 0 offen offset:4
	buffer_load_dword v3, v4, s[0:3], 0 offen offset:8
	;; [unrolled: 1-line block ×3, first 2 shown]
	s_waitcnt vmcnt(0)
	ds_write_b128 v84, v[1:4]
	s_waitcnt lgkmcnt(0)
	s_waitcnt_vscnt null, 0x0
	s_barrier
	buffer_gl0_inv
	v_cmpx_gt_u32_e32 11, v0
	s_cbranch_execz .LBB102_391
; %bb.384:
	ds_read_b128 v[1:4], v84
	v_cmp_ne_u32_e32 vcc_lo, 1, v85
	s_cbranch_vccnz .LBB102_386
; %bb.385:
	s_clause 0x3
	buffer_load_dword v86, v83, s[0:3], 0 offen offset:8
	buffer_load_dword v87, v83, s[0:3], 0 offen offset:12
	buffer_load_dword v90, v83, s[0:3], 0 offen
	buffer_load_dword v91, v83, s[0:3], 0 offen offset:4
	s_waitcnt vmcnt(2) lgkmcnt(0)
	v_mul_f64 v[92:93], v[3:4], v[86:87]
	v_mul_f64 v[86:87], v[1:2], v[86:87]
	s_waitcnt vmcnt(0)
	v_fma_f64 v[1:2], v[1:2], v[90:91], -v[92:93]
	v_fma_f64 v[3:4], v[3:4], v[90:91], v[86:87]
.LBB102_386:
	s_mov_b32 s8, exec_lo
	v_cmpx_ne_u32_e32 10, v0
	s_cbranch_execz .LBB102_390
; %bb.387:
	v_add_nc_u32_e32 v86, 0x280, v89
	v_add3_u32 v87, 0, v89, 16
	v_mov_b32_e32 v88, v0
	s_mov_b32 s46, 0
	.p2align	6
.LBB102_388:                            ; =>This Inner Loop Header: Depth=1
	s_clause 0x3
	buffer_load_dword v94, v87, s[0:3], 0 offen offset:8
	buffer_load_dword v95, v87, s[0:3], 0 offen offset:12
	buffer_load_dword v96, v87, s[0:3], 0 offen
	buffer_load_dword v97, v87, s[0:3], 0 offen offset:4
	ds_read_b128 v[90:93], v86
	v_add_nc_u32_e32 v88, 1, v88
	v_add_nc_u32_e32 v86, 16, v86
	;; [unrolled: 1-line block ×3, first 2 shown]
	v_cmp_lt_u32_e32 vcc_lo, 9, v88
	s_or_b32 s46, vcc_lo, s46
	s_waitcnt vmcnt(2) lgkmcnt(0)
	v_mul_f64 v[98:99], v[92:93], v[94:95]
	v_mul_f64 v[94:95], v[90:91], v[94:95]
	s_waitcnt vmcnt(0)
	v_fma_f64 v[90:91], v[90:91], v[96:97], -v[98:99]
	v_fma_f64 v[92:93], v[92:93], v[96:97], v[94:95]
	v_add_f64 v[1:2], v[1:2], v[90:91]
	v_add_f64 v[3:4], v[3:4], v[92:93]
	s_andn2_b32 exec_lo, exec_lo, s46
	s_cbranch_execnz .LBB102_388
; %bb.389:
	s_or_b32 exec_lo, exec_lo, s46
.LBB102_390:
	s_or_b32 exec_lo, exec_lo, s8
	v_mov_b32_e32 v86, 0
	ds_read_b128 v[90:93], v86 offset:176
	s_waitcnt lgkmcnt(0)
	v_mul_f64 v[86:87], v[3:4], v[92:93]
	v_mul_f64 v[92:93], v[1:2], v[92:93]
	v_fma_f64 v[1:2], v[1:2], v[90:91], -v[86:87]
	v_fma_f64 v[3:4], v[3:4], v[90:91], v[92:93]
	buffer_store_dword v2, off, s[0:3], 0 offset:180
	buffer_store_dword v1, off, s[0:3], 0 offset:176
	;; [unrolled: 1-line block ×4, first 2 shown]
.LBB102_391:
	s_or_b32 exec_lo, exec_lo, s4
	v_mov_b32_e32 v4, s34
	s_mov_b32 s4, exec_lo
	s_clause 0x3
	buffer_load_dword v1, v4, s[0:3], 0 offen
	buffer_load_dword v2, v4, s[0:3], 0 offen offset:4
	buffer_load_dword v3, v4, s[0:3], 0 offen offset:8
	;; [unrolled: 1-line block ×3, first 2 shown]
	s_waitcnt vmcnt(0)
	ds_write_b128 v84, v[1:4]
	s_waitcnt lgkmcnt(0)
	s_waitcnt_vscnt null, 0x0
	s_barrier
	buffer_gl0_inv
	v_cmpx_gt_u32_e32 12, v0
	s_cbranch_execz .LBB102_399
; %bb.392:
	ds_read_b128 v[1:4], v84
	v_cmp_ne_u32_e32 vcc_lo, 1, v85
	s_cbranch_vccnz .LBB102_394
; %bb.393:
	s_clause 0x3
	buffer_load_dword v86, v83, s[0:3], 0 offen offset:8
	buffer_load_dword v87, v83, s[0:3], 0 offen offset:12
	buffer_load_dword v90, v83, s[0:3], 0 offen
	buffer_load_dword v91, v83, s[0:3], 0 offen offset:4
	s_waitcnt vmcnt(2) lgkmcnt(0)
	v_mul_f64 v[92:93], v[3:4], v[86:87]
	v_mul_f64 v[86:87], v[1:2], v[86:87]
	s_waitcnt vmcnt(0)
	v_fma_f64 v[1:2], v[1:2], v[90:91], -v[92:93]
	v_fma_f64 v[3:4], v[3:4], v[90:91], v[86:87]
.LBB102_394:
	s_mov_b32 s8, exec_lo
	v_cmpx_ne_u32_e32 11, v0
	s_cbranch_execz .LBB102_398
; %bb.395:
	v_add_nc_u32_e32 v86, 0x280, v89
	v_add3_u32 v87, 0, v89, 16
	v_mov_b32_e32 v88, v0
	s_mov_b32 s46, 0
	.p2align	6
.LBB102_396:                            ; =>This Inner Loop Header: Depth=1
	s_clause 0x3
	buffer_load_dword v94, v87, s[0:3], 0 offen offset:8
	buffer_load_dword v95, v87, s[0:3], 0 offen offset:12
	buffer_load_dword v96, v87, s[0:3], 0 offen
	buffer_load_dword v97, v87, s[0:3], 0 offen offset:4
	ds_read_b128 v[90:93], v86
	v_add_nc_u32_e32 v88, 1, v88
	v_add_nc_u32_e32 v86, 16, v86
	;; [unrolled: 1-line block ×3, first 2 shown]
	v_cmp_lt_u32_e32 vcc_lo, 10, v88
	s_or_b32 s46, vcc_lo, s46
	s_waitcnt vmcnt(2) lgkmcnt(0)
	v_mul_f64 v[98:99], v[92:93], v[94:95]
	v_mul_f64 v[94:95], v[90:91], v[94:95]
	s_waitcnt vmcnt(0)
	v_fma_f64 v[90:91], v[90:91], v[96:97], -v[98:99]
	v_fma_f64 v[92:93], v[92:93], v[96:97], v[94:95]
	v_add_f64 v[1:2], v[1:2], v[90:91]
	v_add_f64 v[3:4], v[3:4], v[92:93]
	s_andn2_b32 exec_lo, exec_lo, s46
	s_cbranch_execnz .LBB102_396
; %bb.397:
	s_or_b32 exec_lo, exec_lo, s46
.LBB102_398:
	s_or_b32 exec_lo, exec_lo, s8
	v_mov_b32_e32 v86, 0
	ds_read_b128 v[90:93], v86 offset:192
	s_waitcnt lgkmcnt(0)
	v_mul_f64 v[86:87], v[3:4], v[92:93]
	v_mul_f64 v[92:93], v[1:2], v[92:93]
	v_fma_f64 v[1:2], v[1:2], v[90:91], -v[86:87]
	v_fma_f64 v[3:4], v[3:4], v[90:91], v[92:93]
	buffer_store_dword v2, off, s[0:3], 0 offset:196
	buffer_store_dword v1, off, s[0:3], 0 offset:192
	;; [unrolled: 1-line block ×4, first 2 shown]
.LBB102_399:
	s_or_b32 exec_lo, exec_lo, s4
	v_mov_b32_e32 v4, s33
	s_mov_b32 s4, exec_lo
	s_clause 0x3
	buffer_load_dword v1, v4, s[0:3], 0 offen
	buffer_load_dword v2, v4, s[0:3], 0 offen offset:4
	buffer_load_dword v3, v4, s[0:3], 0 offen offset:8
	;; [unrolled: 1-line block ×3, first 2 shown]
	s_waitcnt vmcnt(0)
	ds_write_b128 v84, v[1:4]
	s_waitcnt lgkmcnt(0)
	s_waitcnt_vscnt null, 0x0
	s_barrier
	buffer_gl0_inv
	v_cmpx_gt_u32_e32 13, v0
	s_cbranch_execz .LBB102_407
; %bb.400:
	ds_read_b128 v[1:4], v84
	v_cmp_ne_u32_e32 vcc_lo, 1, v85
	s_cbranch_vccnz .LBB102_402
; %bb.401:
	s_clause 0x3
	buffer_load_dword v86, v83, s[0:3], 0 offen offset:8
	buffer_load_dword v87, v83, s[0:3], 0 offen offset:12
	buffer_load_dword v90, v83, s[0:3], 0 offen
	buffer_load_dword v91, v83, s[0:3], 0 offen offset:4
	s_waitcnt vmcnt(2) lgkmcnt(0)
	v_mul_f64 v[92:93], v[3:4], v[86:87]
	v_mul_f64 v[86:87], v[1:2], v[86:87]
	s_waitcnt vmcnt(0)
	v_fma_f64 v[1:2], v[1:2], v[90:91], -v[92:93]
	v_fma_f64 v[3:4], v[3:4], v[90:91], v[86:87]
.LBB102_402:
	s_mov_b32 s8, exec_lo
	v_cmpx_ne_u32_e32 12, v0
	s_cbranch_execz .LBB102_406
; %bb.403:
	v_add_nc_u32_e32 v86, 0x280, v89
	v_add3_u32 v87, 0, v89, 16
	v_mov_b32_e32 v88, v0
	s_mov_b32 s46, 0
	.p2align	6
.LBB102_404:                            ; =>This Inner Loop Header: Depth=1
	s_clause 0x3
	buffer_load_dword v94, v87, s[0:3], 0 offen offset:8
	buffer_load_dword v95, v87, s[0:3], 0 offen offset:12
	buffer_load_dword v96, v87, s[0:3], 0 offen
	buffer_load_dword v97, v87, s[0:3], 0 offen offset:4
	ds_read_b128 v[90:93], v86
	v_add_nc_u32_e32 v88, 1, v88
	v_add_nc_u32_e32 v86, 16, v86
	;; [unrolled: 1-line block ×3, first 2 shown]
	v_cmp_lt_u32_e32 vcc_lo, 11, v88
	s_or_b32 s46, vcc_lo, s46
	s_waitcnt vmcnt(2) lgkmcnt(0)
	v_mul_f64 v[98:99], v[92:93], v[94:95]
	v_mul_f64 v[94:95], v[90:91], v[94:95]
	s_waitcnt vmcnt(0)
	v_fma_f64 v[90:91], v[90:91], v[96:97], -v[98:99]
	v_fma_f64 v[92:93], v[92:93], v[96:97], v[94:95]
	v_add_f64 v[1:2], v[1:2], v[90:91]
	v_add_f64 v[3:4], v[3:4], v[92:93]
	s_andn2_b32 exec_lo, exec_lo, s46
	s_cbranch_execnz .LBB102_404
; %bb.405:
	s_or_b32 exec_lo, exec_lo, s46
.LBB102_406:
	s_or_b32 exec_lo, exec_lo, s8
	v_mov_b32_e32 v86, 0
	ds_read_b128 v[90:93], v86 offset:208
	s_waitcnt lgkmcnt(0)
	v_mul_f64 v[86:87], v[3:4], v[92:93]
	v_mul_f64 v[92:93], v[1:2], v[92:93]
	v_fma_f64 v[1:2], v[1:2], v[90:91], -v[86:87]
	v_fma_f64 v[3:4], v[3:4], v[90:91], v[92:93]
	buffer_store_dword v2, off, s[0:3], 0 offset:212
	buffer_store_dword v1, off, s[0:3], 0 offset:208
	;; [unrolled: 1-line block ×4, first 2 shown]
.LBB102_407:
	s_or_b32 exec_lo, exec_lo, s4
	v_mov_b32_e32 v4, s31
	s_mov_b32 s4, exec_lo
	s_clause 0x3
	buffer_load_dword v1, v4, s[0:3], 0 offen
	buffer_load_dword v2, v4, s[0:3], 0 offen offset:4
	buffer_load_dword v3, v4, s[0:3], 0 offen offset:8
	buffer_load_dword v4, v4, s[0:3], 0 offen offset:12
	s_waitcnt vmcnt(0)
	ds_write_b128 v84, v[1:4]
	s_waitcnt lgkmcnt(0)
	s_waitcnt_vscnt null, 0x0
	s_barrier
	buffer_gl0_inv
	v_cmpx_gt_u32_e32 14, v0
	s_cbranch_execz .LBB102_415
; %bb.408:
	ds_read_b128 v[1:4], v84
	v_cmp_ne_u32_e32 vcc_lo, 1, v85
	s_cbranch_vccnz .LBB102_410
; %bb.409:
	s_clause 0x3
	buffer_load_dword v86, v83, s[0:3], 0 offen offset:8
	buffer_load_dword v87, v83, s[0:3], 0 offen offset:12
	buffer_load_dword v90, v83, s[0:3], 0 offen
	buffer_load_dword v91, v83, s[0:3], 0 offen offset:4
	s_waitcnt vmcnt(2) lgkmcnt(0)
	v_mul_f64 v[92:93], v[3:4], v[86:87]
	v_mul_f64 v[86:87], v[1:2], v[86:87]
	s_waitcnt vmcnt(0)
	v_fma_f64 v[1:2], v[1:2], v[90:91], -v[92:93]
	v_fma_f64 v[3:4], v[3:4], v[90:91], v[86:87]
.LBB102_410:
	s_mov_b32 s8, exec_lo
	v_cmpx_ne_u32_e32 13, v0
	s_cbranch_execz .LBB102_414
; %bb.411:
	v_add_nc_u32_e32 v86, 0x280, v89
	v_add3_u32 v87, 0, v89, 16
	v_mov_b32_e32 v88, v0
	s_mov_b32 s46, 0
	.p2align	6
.LBB102_412:                            ; =>This Inner Loop Header: Depth=1
	s_clause 0x3
	buffer_load_dword v94, v87, s[0:3], 0 offen offset:8
	buffer_load_dword v95, v87, s[0:3], 0 offen offset:12
	buffer_load_dword v96, v87, s[0:3], 0 offen
	buffer_load_dword v97, v87, s[0:3], 0 offen offset:4
	ds_read_b128 v[90:93], v86
	v_add_nc_u32_e32 v88, 1, v88
	v_add_nc_u32_e32 v86, 16, v86
	;; [unrolled: 1-line block ×3, first 2 shown]
	v_cmp_lt_u32_e32 vcc_lo, 12, v88
	s_or_b32 s46, vcc_lo, s46
	s_waitcnt vmcnt(2) lgkmcnt(0)
	v_mul_f64 v[98:99], v[92:93], v[94:95]
	v_mul_f64 v[94:95], v[90:91], v[94:95]
	s_waitcnt vmcnt(0)
	v_fma_f64 v[90:91], v[90:91], v[96:97], -v[98:99]
	v_fma_f64 v[92:93], v[92:93], v[96:97], v[94:95]
	v_add_f64 v[1:2], v[1:2], v[90:91]
	v_add_f64 v[3:4], v[3:4], v[92:93]
	s_andn2_b32 exec_lo, exec_lo, s46
	s_cbranch_execnz .LBB102_412
; %bb.413:
	s_or_b32 exec_lo, exec_lo, s46
.LBB102_414:
	s_or_b32 exec_lo, exec_lo, s8
	v_mov_b32_e32 v86, 0
	ds_read_b128 v[90:93], v86 offset:224
	s_waitcnt lgkmcnt(0)
	v_mul_f64 v[86:87], v[3:4], v[92:93]
	v_mul_f64 v[92:93], v[1:2], v[92:93]
	v_fma_f64 v[1:2], v[1:2], v[90:91], -v[86:87]
	v_fma_f64 v[3:4], v[3:4], v[90:91], v[92:93]
	buffer_store_dword v2, off, s[0:3], 0 offset:228
	buffer_store_dword v1, off, s[0:3], 0 offset:224
	;; [unrolled: 1-line block ×4, first 2 shown]
.LBB102_415:
	s_or_b32 exec_lo, exec_lo, s4
	v_mov_b32_e32 v4, s30
	s_mov_b32 s4, exec_lo
	s_clause 0x3
	buffer_load_dword v1, v4, s[0:3], 0 offen
	buffer_load_dword v2, v4, s[0:3], 0 offen offset:4
	buffer_load_dword v3, v4, s[0:3], 0 offen offset:8
	;; [unrolled: 1-line block ×3, first 2 shown]
	s_waitcnt vmcnt(0)
	ds_write_b128 v84, v[1:4]
	s_waitcnt lgkmcnt(0)
	s_waitcnt_vscnt null, 0x0
	s_barrier
	buffer_gl0_inv
	v_cmpx_gt_u32_e32 15, v0
	s_cbranch_execz .LBB102_423
; %bb.416:
	ds_read_b128 v[1:4], v84
	v_cmp_ne_u32_e32 vcc_lo, 1, v85
	s_cbranch_vccnz .LBB102_418
; %bb.417:
	s_clause 0x3
	buffer_load_dword v86, v83, s[0:3], 0 offen offset:8
	buffer_load_dword v87, v83, s[0:3], 0 offen offset:12
	buffer_load_dword v90, v83, s[0:3], 0 offen
	buffer_load_dword v91, v83, s[0:3], 0 offen offset:4
	s_waitcnt vmcnt(2) lgkmcnt(0)
	v_mul_f64 v[92:93], v[3:4], v[86:87]
	v_mul_f64 v[86:87], v[1:2], v[86:87]
	s_waitcnt vmcnt(0)
	v_fma_f64 v[1:2], v[1:2], v[90:91], -v[92:93]
	v_fma_f64 v[3:4], v[3:4], v[90:91], v[86:87]
.LBB102_418:
	s_mov_b32 s8, exec_lo
	v_cmpx_ne_u32_e32 14, v0
	s_cbranch_execz .LBB102_422
; %bb.419:
	v_add_nc_u32_e32 v86, 0x280, v89
	v_add3_u32 v87, 0, v89, 16
	v_mov_b32_e32 v88, v0
	s_mov_b32 s46, 0
	.p2align	6
.LBB102_420:                            ; =>This Inner Loop Header: Depth=1
	s_clause 0x3
	buffer_load_dword v94, v87, s[0:3], 0 offen offset:8
	buffer_load_dword v95, v87, s[0:3], 0 offen offset:12
	buffer_load_dword v96, v87, s[0:3], 0 offen
	buffer_load_dword v97, v87, s[0:3], 0 offen offset:4
	ds_read_b128 v[90:93], v86
	v_add_nc_u32_e32 v88, 1, v88
	v_add_nc_u32_e32 v86, 16, v86
	;; [unrolled: 1-line block ×3, first 2 shown]
	v_cmp_lt_u32_e32 vcc_lo, 13, v88
	s_or_b32 s46, vcc_lo, s46
	s_waitcnt vmcnt(2) lgkmcnt(0)
	v_mul_f64 v[98:99], v[92:93], v[94:95]
	v_mul_f64 v[94:95], v[90:91], v[94:95]
	s_waitcnt vmcnt(0)
	v_fma_f64 v[90:91], v[90:91], v[96:97], -v[98:99]
	v_fma_f64 v[92:93], v[92:93], v[96:97], v[94:95]
	v_add_f64 v[1:2], v[1:2], v[90:91]
	v_add_f64 v[3:4], v[3:4], v[92:93]
	s_andn2_b32 exec_lo, exec_lo, s46
	s_cbranch_execnz .LBB102_420
; %bb.421:
	s_or_b32 exec_lo, exec_lo, s46
.LBB102_422:
	s_or_b32 exec_lo, exec_lo, s8
	v_mov_b32_e32 v86, 0
	ds_read_b128 v[90:93], v86 offset:240
	s_waitcnt lgkmcnt(0)
	v_mul_f64 v[86:87], v[3:4], v[92:93]
	v_mul_f64 v[92:93], v[1:2], v[92:93]
	v_fma_f64 v[1:2], v[1:2], v[90:91], -v[86:87]
	v_fma_f64 v[3:4], v[3:4], v[90:91], v[92:93]
	buffer_store_dword v2, off, s[0:3], 0 offset:244
	buffer_store_dword v1, off, s[0:3], 0 offset:240
	;; [unrolled: 1-line block ×4, first 2 shown]
.LBB102_423:
	s_or_b32 exec_lo, exec_lo, s4
	v_mov_b32_e32 v4, s29
	s_mov_b32 s4, exec_lo
	s_clause 0x3
	buffer_load_dword v1, v4, s[0:3], 0 offen
	buffer_load_dword v2, v4, s[0:3], 0 offen offset:4
	buffer_load_dword v3, v4, s[0:3], 0 offen offset:8
	;; [unrolled: 1-line block ×3, first 2 shown]
	s_waitcnt vmcnt(0)
	ds_write_b128 v84, v[1:4]
	s_waitcnt lgkmcnt(0)
	s_waitcnt_vscnt null, 0x0
	s_barrier
	buffer_gl0_inv
	v_cmpx_gt_u32_e32 16, v0
	s_cbranch_execz .LBB102_431
; %bb.424:
	ds_read_b128 v[1:4], v84
	v_cmp_ne_u32_e32 vcc_lo, 1, v85
	s_cbranch_vccnz .LBB102_426
; %bb.425:
	s_clause 0x3
	buffer_load_dword v86, v83, s[0:3], 0 offen offset:8
	buffer_load_dword v87, v83, s[0:3], 0 offen offset:12
	buffer_load_dword v90, v83, s[0:3], 0 offen
	buffer_load_dword v91, v83, s[0:3], 0 offen offset:4
	s_waitcnt vmcnt(2) lgkmcnt(0)
	v_mul_f64 v[92:93], v[3:4], v[86:87]
	v_mul_f64 v[86:87], v[1:2], v[86:87]
	s_waitcnt vmcnt(0)
	v_fma_f64 v[1:2], v[1:2], v[90:91], -v[92:93]
	v_fma_f64 v[3:4], v[3:4], v[90:91], v[86:87]
.LBB102_426:
	s_mov_b32 s8, exec_lo
	v_cmpx_ne_u32_e32 15, v0
	s_cbranch_execz .LBB102_430
; %bb.427:
	v_add_nc_u32_e32 v86, 0x280, v89
	v_add3_u32 v87, 0, v89, 16
	v_mov_b32_e32 v88, v0
	s_mov_b32 s46, 0
	.p2align	6
.LBB102_428:                            ; =>This Inner Loop Header: Depth=1
	s_clause 0x3
	buffer_load_dword v94, v87, s[0:3], 0 offen offset:8
	buffer_load_dword v95, v87, s[0:3], 0 offen offset:12
	buffer_load_dword v96, v87, s[0:3], 0 offen
	buffer_load_dword v97, v87, s[0:3], 0 offen offset:4
	ds_read_b128 v[90:93], v86
	v_add_nc_u32_e32 v88, 1, v88
	v_add_nc_u32_e32 v86, 16, v86
	;; [unrolled: 1-line block ×3, first 2 shown]
	v_cmp_lt_u32_e32 vcc_lo, 14, v88
	s_or_b32 s46, vcc_lo, s46
	s_waitcnt vmcnt(2) lgkmcnt(0)
	v_mul_f64 v[98:99], v[92:93], v[94:95]
	v_mul_f64 v[94:95], v[90:91], v[94:95]
	s_waitcnt vmcnt(0)
	v_fma_f64 v[90:91], v[90:91], v[96:97], -v[98:99]
	v_fma_f64 v[92:93], v[92:93], v[96:97], v[94:95]
	v_add_f64 v[1:2], v[1:2], v[90:91]
	v_add_f64 v[3:4], v[3:4], v[92:93]
	s_andn2_b32 exec_lo, exec_lo, s46
	s_cbranch_execnz .LBB102_428
; %bb.429:
	s_or_b32 exec_lo, exec_lo, s46
.LBB102_430:
	s_or_b32 exec_lo, exec_lo, s8
	v_mov_b32_e32 v86, 0
	ds_read_b128 v[90:93], v86 offset:256
	s_waitcnt lgkmcnt(0)
	v_mul_f64 v[86:87], v[3:4], v[92:93]
	v_mul_f64 v[92:93], v[1:2], v[92:93]
	v_fma_f64 v[1:2], v[1:2], v[90:91], -v[86:87]
	v_fma_f64 v[3:4], v[3:4], v[90:91], v[92:93]
	buffer_store_dword v2, off, s[0:3], 0 offset:260
	buffer_store_dword v1, off, s[0:3], 0 offset:256
	;; [unrolled: 1-line block ×4, first 2 shown]
.LBB102_431:
	s_or_b32 exec_lo, exec_lo, s4
	v_mov_b32_e32 v4, s28
	s_mov_b32 s4, exec_lo
	s_clause 0x3
	buffer_load_dword v1, v4, s[0:3], 0 offen
	buffer_load_dword v2, v4, s[0:3], 0 offen offset:4
	buffer_load_dword v3, v4, s[0:3], 0 offen offset:8
	buffer_load_dword v4, v4, s[0:3], 0 offen offset:12
	s_waitcnt vmcnt(0)
	ds_write_b128 v84, v[1:4]
	s_waitcnt lgkmcnt(0)
	s_waitcnt_vscnt null, 0x0
	s_barrier
	buffer_gl0_inv
	v_cmpx_gt_u32_e32 17, v0
	s_cbranch_execz .LBB102_439
; %bb.432:
	ds_read_b128 v[1:4], v84
	v_cmp_ne_u32_e32 vcc_lo, 1, v85
	s_cbranch_vccnz .LBB102_434
; %bb.433:
	s_clause 0x3
	buffer_load_dword v86, v83, s[0:3], 0 offen offset:8
	buffer_load_dword v87, v83, s[0:3], 0 offen offset:12
	buffer_load_dword v90, v83, s[0:3], 0 offen
	buffer_load_dword v91, v83, s[0:3], 0 offen offset:4
	s_waitcnt vmcnt(2) lgkmcnt(0)
	v_mul_f64 v[92:93], v[3:4], v[86:87]
	v_mul_f64 v[86:87], v[1:2], v[86:87]
	s_waitcnt vmcnt(0)
	v_fma_f64 v[1:2], v[1:2], v[90:91], -v[92:93]
	v_fma_f64 v[3:4], v[3:4], v[90:91], v[86:87]
.LBB102_434:
	s_mov_b32 s8, exec_lo
	v_cmpx_ne_u32_e32 16, v0
	s_cbranch_execz .LBB102_438
; %bb.435:
	v_add_nc_u32_e32 v86, 0x280, v89
	v_add3_u32 v87, 0, v89, 16
	v_mov_b32_e32 v88, v0
	s_mov_b32 s46, 0
	.p2align	6
.LBB102_436:                            ; =>This Inner Loop Header: Depth=1
	s_clause 0x3
	buffer_load_dword v94, v87, s[0:3], 0 offen offset:8
	buffer_load_dword v95, v87, s[0:3], 0 offen offset:12
	buffer_load_dword v96, v87, s[0:3], 0 offen
	buffer_load_dword v97, v87, s[0:3], 0 offen offset:4
	ds_read_b128 v[90:93], v86
	v_add_nc_u32_e32 v88, 1, v88
	v_add_nc_u32_e32 v86, 16, v86
	;; [unrolled: 1-line block ×3, first 2 shown]
	v_cmp_lt_u32_e32 vcc_lo, 15, v88
	s_or_b32 s46, vcc_lo, s46
	s_waitcnt vmcnt(2) lgkmcnt(0)
	v_mul_f64 v[98:99], v[92:93], v[94:95]
	v_mul_f64 v[94:95], v[90:91], v[94:95]
	s_waitcnt vmcnt(0)
	v_fma_f64 v[90:91], v[90:91], v[96:97], -v[98:99]
	v_fma_f64 v[92:93], v[92:93], v[96:97], v[94:95]
	v_add_f64 v[1:2], v[1:2], v[90:91]
	v_add_f64 v[3:4], v[3:4], v[92:93]
	s_andn2_b32 exec_lo, exec_lo, s46
	s_cbranch_execnz .LBB102_436
; %bb.437:
	s_or_b32 exec_lo, exec_lo, s46
.LBB102_438:
	s_or_b32 exec_lo, exec_lo, s8
	v_mov_b32_e32 v86, 0
	ds_read_b128 v[90:93], v86 offset:272
	s_waitcnt lgkmcnt(0)
	v_mul_f64 v[86:87], v[3:4], v[92:93]
	v_mul_f64 v[92:93], v[1:2], v[92:93]
	v_fma_f64 v[1:2], v[1:2], v[90:91], -v[86:87]
	v_fma_f64 v[3:4], v[3:4], v[90:91], v[92:93]
	buffer_store_dword v2, off, s[0:3], 0 offset:276
	buffer_store_dword v1, off, s[0:3], 0 offset:272
	;; [unrolled: 1-line block ×4, first 2 shown]
.LBB102_439:
	s_or_b32 exec_lo, exec_lo, s4
	v_mov_b32_e32 v4, s27
	s_mov_b32 s4, exec_lo
	s_clause 0x3
	buffer_load_dword v1, v4, s[0:3], 0 offen
	buffer_load_dword v2, v4, s[0:3], 0 offen offset:4
	buffer_load_dword v3, v4, s[0:3], 0 offen offset:8
	;; [unrolled: 1-line block ×3, first 2 shown]
	s_waitcnt vmcnt(0)
	ds_write_b128 v84, v[1:4]
	s_waitcnt lgkmcnt(0)
	s_waitcnt_vscnt null, 0x0
	s_barrier
	buffer_gl0_inv
	v_cmpx_gt_u32_e32 18, v0
	s_cbranch_execz .LBB102_447
; %bb.440:
	ds_read_b128 v[1:4], v84
	v_cmp_ne_u32_e32 vcc_lo, 1, v85
	s_cbranch_vccnz .LBB102_442
; %bb.441:
	s_clause 0x3
	buffer_load_dword v86, v83, s[0:3], 0 offen offset:8
	buffer_load_dword v87, v83, s[0:3], 0 offen offset:12
	buffer_load_dword v90, v83, s[0:3], 0 offen
	buffer_load_dword v91, v83, s[0:3], 0 offen offset:4
	s_waitcnt vmcnt(2) lgkmcnt(0)
	v_mul_f64 v[92:93], v[3:4], v[86:87]
	v_mul_f64 v[86:87], v[1:2], v[86:87]
	s_waitcnt vmcnt(0)
	v_fma_f64 v[1:2], v[1:2], v[90:91], -v[92:93]
	v_fma_f64 v[3:4], v[3:4], v[90:91], v[86:87]
.LBB102_442:
	s_mov_b32 s8, exec_lo
	v_cmpx_ne_u32_e32 17, v0
	s_cbranch_execz .LBB102_446
; %bb.443:
	v_add_nc_u32_e32 v86, 0x280, v89
	v_add3_u32 v87, 0, v89, 16
	v_mov_b32_e32 v88, v0
	s_mov_b32 s46, 0
	.p2align	6
.LBB102_444:                            ; =>This Inner Loop Header: Depth=1
	s_clause 0x3
	buffer_load_dword v94, v87, s[0:3], 0 offen offset:8
	buffer_load_dword v95, v87, s[0:3], 0 offen offset:12
	buffer_load_dword v96, v87, s[0:3], 0 offen
	buffer_load_dword v97, v87, s[0:3], 0 offen offset:4
	ds_read_b128 v[90:93], v86
	v_add_nc_u32_e32 v88, 1, v88
	v_add_nc_u32_e32 v86, 16, v86
	;; [unrolled: 1-line block ×3, first 2 shown]
	v_cmp_lt_u32_e32 vcc_lo, 16, v88
	s_or_b32 s46, vcc_lo, s46
	s_waitcnt vmcnt(2) lgkmcnt(0)
	v_mul_f64 v[98:99], v[92:93], v[94:95]
	v_mul_f64 v[94:95], v[90:91], v[94:95]
	s_waitcnt vmcnt(0)
	v_fma_f64 v[90:91], v[90:91], v[96:97], -v[98:99]
	v_fma_f64 v[92:93], v[92:93], v[96:97], v[94:95]
	v_add_f64 v[1:2], v[1:2], v[90:91]
	v_add_f64 v[3:4], v[3:4], v[92:93]
	s_andn2_b32 exec_lo, exec_lo, s46
	s_cbranch_execnz .LBB102_444
; %bb.445:
	s_or_b32 exec_lo, exec_lo, s46
.LBB102_446:
	s_or_b32 exec_lo, exec_lo, s8
	v_mov_b32_e32 v86, 0
	ds_read_b128 v[90:93], v86 offset:288
	s_waitcnt lgkmcnt(0)
	v_mul_f64 v[86:87], v[3:4], v[92:93]
	v_mul_f64 v[92:93], v[1:2], v[92:93]
	v_fma_f64 v[1:2], v[1:2], v[90:91], -v[86:87]
	v_fma_f64 v[3:4], v[3:4], v[90:91], v[92:93]
	buffer_store_dword v2, off, s[0:3], 0 offset:292
	buffer_store_dword v1, off, s[0:3], 0 offset:288
	;; [unrolled: 1-line block ×4, first 2 shown]
.LBB102_447:
	s_or_b32 exec_lo, exec_lo, s4
	v_mov_b32_e32 v4, s26
	s_mov_b32 s4, exec_lo
	s_clause 0x3
	buffer_load_dword v1, v4, s[0:3], 0 offen
	buffer_load_dword v2, v4, s[0:3], 0 offen offset:4
	buffer_load_dword v3, v4, s[0:3], 0 offen offset:8
	;; [unrolled: 1-line block ×3, first 2 shown]
	s_waitcnt vmcnt(0)
	ds_write_b128 v84, v[1:4]
	s_waitcnt lgkmcnt(0)
	s_waitcnt_vscnt null, 0x0
	s_barrier
	buffer_gl0_inv
	v_cmpx_gt_u32_e32 19, v0
	s_cbranch_execz .LBB102_455
; %bb.448:
	ds_read_b128 v[1:4], v84
	v_cmp_ne_u32_e32 vcc_lo, 1, v85
	s_cbranch_vccnz .LBB102_450
; %bb.449:
	s_clause 0x3
	buffer_load_dword v86, v83, s[0:3], 0 offen offset:8
	buffer_load_dword v87, v83, s[0:3], 0 offen offset:12
	buffer_load_dword v90, v83, s[0:3], 0 offen
	buffer_load_dword v91, v83, s[0:3], 0 offen offset:4
	s_waitcnt vmcnt(2) lgkmcnt(0)
	v_mul_f64 v[92:93], v[3:4], v[86:87]
	v_mul_f64 v[86:87], v[1:2], v[86:87]
	s_waitcnt vmcnt(0)
	v_fma_f64 v[1:2], v[1:2], v[90:91], -v[92:93]
	v_fma_f64 v[3:4], v[3:4], v[90:91], v[86:87]
.LBB102_450:
	s_mov_b32 s8, exec_lo
	v_cmpx_ne_u32_e32 18, v0
	s_cbranch_execz .LBB102_454
; %bb.451:
	v_add_nc_u32_e32 v86, 0x280, v89
	v_add3_u32 v87, 0, v89, 16
	v_mov_b32_e32 v88, v0
	s_mov_b32 s46, 0
	.p2align	6
.LBB102_452:                            ; =>This Inner Loop Header: Depth=1
	s_clause 0x3
	buffer_load_dword v94, v87, s[0:3], 0 offen offset:8
	buffer_load_dword v95, v87, s[0:3], 0 offen offset:12
	buffer_load_dword v96, v87, s[0:3], 0 offen
	buffer_load_dword v97, v87, s[0:3], 0 offen offset:4
	ds_read_b128 v[90:93], v86
	v_add_nc_u32_e32 v88, 1, v88
	v_add_nc_u32_e32 v86, 16, v86
	;; [unrolled: 1-line block ×3, first 2 shown]
	v_cmp_lt_u32_e32 vcc_lo, 17, v88
	s_or_b32 s46, vcc_lo, s46
	s_waitcnt vmcnt(2) lgkmcnt(0)
	v_mul_f64 v[98:99], v[92:93], v[94:95]
	v_mul_f64 v[94:95], v[90:91], v[94:95]
	s_waitcnt vmcnt(0)
	v_fma_f64 v[90:91], v[90:91], v[96:97], -v[98:99]
	v_fma_f64 v[92:93], v[92:93], v[96:97], v[94:95]
	v_add_f64 v[1:2], v[1:2], v[90:91]
	v_add_f64 v[3:4], v[3:4], v[92:93]
	s_andn2_b32 exec_lo, exec_lo, s46
	s_cbranch_execnz .LBB102_452
; %bb.453:
	s_or_b32 exec_lo, exec_lo, s46
.LBB102_454:
	s_or_b32 exec_lo, exec_lo, s8
	v_mov_b32_e32 v86, 0
	ds_read_b128 v[90:93], v86 offset:304
	s_waitcnt lgkmcnt(0)
	v_mul_f64 v[86:87], v[3:4], v[92:93]
	v_mul_f64 v[92:93], v[1:2], v[92:93]
	v_fma_f64 v[1:2], v[1:2], v[90:91], -v[86:87]
	v_fma_f64 v[3:4], v[3:4], v[90:91], v[92:93]
	buffer_store_dword v2, off, s[0:3], 0 offset:308
	buffer_store_dword v1, off, s[0:3], 0 offset:304
	;; [unrolled: 1-line block ×4, first 2 shown]
.LBB102_455:
	s_or_b32 exec_lo, exec_lo, s4
	v_mov_b32_e32 v4, s25
	s_mov_b32 s4, exec_lo
	s_clause 0x3
	buffer_load_dword v1, v4, s[0:3], 0 offen
	buffer_load_dword v2, v4, s[0:3], 0 offen offset:4
	buffer_load_dword v3, v4, s[0:3], 0 offen offset:8
	;; [unrolled: 1-line block ×3, first 2 shown]
	s_waitcnt vmcnt(0)
	ds_write_b128 v84, v[1:4]
	s_waitcnt lgkmcnt(0)
	s_waitcnt_vscnt null, 0x0
	s_barrier
	buffer_gl0_inv
	v_cmpx_gt_u32_e32 20, v0
	s_cbranch_execz .LBB102_463
; %bb.456:
	ds_read_b128 v[1:4], v84
	v_cmp_ne_u32_e32 vcc_lo, 1, v85
	s_cbranch_vccnz .LBB102_458
; %bb.457:
	s_clause 0x3
	buffer_load_dword v86, v83, s[0:3], 0 offen offset:8
	buffer_load_dword v87, v83, s[0:3], 0 offen offset:12
	buffer_load_dword v90, v83, s[0:3], 0 offen
	buffer_load_dword v91, v83, s[0:3], 0 offen offset:4
	s_waitcnt vmcnt(2) lgkmcnt(0)
	v_mul_f64 v[92:93], v[3:4], v[86:87]
	v_mul_f64 v[86:87], v[1:2], v[86:87]
	s_waitcnt vmcnt(0)
	v_fma_f64 v[1:2], v[1:2], v[90:91], -v[92:93]
	v_fma_f64 v[3:4], v[3:4], v[90:91], v[86:87]
.LBB102_458:
	s_mov_b32 s8, exec_lo
	v_cmpx_ne_u32_e32 19, v0
	s_cbranch_execz .LBB102_462
; %bb.459:
	v_add_nc_u32_e32 v86, 0x280, v89
	v_add3_u32 v87, 0, v89, 16
	v_mov_b32_e32 v88, v0
	s_mov_b32 s46, 0
	.p2align	6
.LBB102_460:                            ; =>This Inner Loop Header: Depth=1
	s_clause 0x3
	buffer_load_dword v94, v87, s[0:3], 0 offen offset:8
	buffer_load_dword v95, v87, s[0:3], 0 offen offset:12
	buffer_load_dword v96, v87, s[0:3], 0 offen
	buffer_load_dword v97, v87, s[0:3], 0 offen offset:4
	ds_read_b128 v[90:93], v86
	v_add_nc_u32_e32 v88, 1, v88
	v_add_nc_u32_e32 v86, 16, v86
	;; [unrolled: 1-line block ×3, first 2 shown]
	v_cmp_lt_u32_e32 vcc_lo, 18, v88
	s_or_b32 s46, vcc_lo, s46
	s_waitcnt vmcnt(2) lgkmcnt(0)
	v_mul_f64 v[98:99], v[92:93], v[94:95]
	v_mul_f64 v[94:95], v[90:91], v[94:95]
	s_waitcnt vmcnt(0)
	v_fma_f64 v[90:91], v[90:91], v[96:97], -v[98:99]
	v_fma_f64 v[92:93], v[92:93], v[96:97], v[94:95]
	v_add_f64 v[1:2], v[1:2], v[90:91]
	v_add_f64 v[3:4], v[3:4], v[92:93]
	s_andn2_b32 exec_lo, exec_lo, s46
	s_cbranch_execnz .LBB102_460
; %bb.461:
	s_or_b32 exec_lo, exec_lo, s46
.LBB102_462:
	s_or_b32 exec_lo, exec_lo, s8
	v_mov_b32_e32 v86, 0
	ds_read_b128 v[90:93], v86 offset:320
	s_waitcnt lgkmcnt(0)
	v_mul_f64 v[86:87], v[3:4], v[92:93]
	v_mul_f64 v[92:93], v[1:2], v[92:93]
	v_fma_f64 v[1:2], v[1:2], v[90:91], -v[86:87]
	v_fma_f64 v[3:4], v[3:4], v[90:91], v[92:93]
	buffer_store_dword v2, off, s[0:3], 0 offset:324
	buffer_store_dword v1, off, s[0:3], 0 offset:320
	;; [unrolled: 1-line block ×4, first 2 shown]
.LBB102_463:
	s_or_b32 exec_lo, exec_lo, s4
	v_mov_b32_e32 v4, s24
	s_mov_b32 s4, exec_lo
	s_clause 0x3
	buffer_load_dword v1, v4, s[0:3], 0 offen
	buffer_load_dword v2, v4, s[0:3], 0 offen offset:4
	buffer_load_dword v3, v4, s[0:3], 0 offen offset:8
	;; [unrolled: 1-line block ×3, first 2 shown]
	s_waitcnt vmcnt(0)
	ds_write_b128 v84, v[1:4]
	s_waitcnt lgkmcnt(0)
	s_waitcnt_vscnt null, 0x0
	s_barrier
	buffer_gl0_inv
	v_cmpx_gt_u32_e32 21, v0
	s_cbranch_execz .LBB102_471
; %bb.464:
	ds_read_b128 v[1:4], v84
	v_cmp_ne_u32_e32 vcc_lo, 1, v85
	s_cbranch_vccnz .LBB102_466
; %bb.465:
	s_clause 0x3
	buffer_load_dword v86, v83, s[0:3], 0 offen offset:8
	buffer_load_dword v87, v83, s[0:3], 0 offen offset:12
	buffer_load_dword v90, v83, s[0:3], 0 offen
	buffer_load_dword v91, v83, s[0:3], 0 offen offset:4
	s_waitcnt vmcnt(2) lgkmcnt(0)
	v_mul_f64 v[92:93], v[3:4], v[86:87]
	v_mul_f64 v[86:87], v[1:2], v[86:87]
	s_waitcnt vmcnt(0)
	v_fma_f64 v[1:2], v[1:2], v[90:91], -v[92:93]
	v_fma_f64 v[3:4], v[3:4], v[90:91], v[86:87]
.LBB102_466:
	s_mov_b32 s8, exec_lo
	v_cmpx_ne_u32_e32 20, v0
	s_cbranch_execz .LBB102_470
; %bb.467:
	v_add_nc_u32_e32 v86, 0x280, v89
	v_add3_u32 v87, 0, v89, 16
	v_mov_b32_e32 v88, v0
	s_mov_b32 s46, 0
	.p2align	6
.LBB102_468:                            ; =>This Inner Loop Header: Depth=1
	s_clause 0x3
	buffer_load_dword v94, v87, s[0:3], 0 offen offset:8
	buffer_load_dword v95, v87, s[0:3], 0 offen offset:12
	buffer_load_dword v96, v87, s[0:3], 0 offen
	buffer_load_dword v97, v87, s[0:3], 0 offen offset:4
	ds_read_b128 v[90:93], v86
	v_add_nc_u32_e32 v88, 1, v88
	v_add_nc_u32_e32 v86, 16, v86
	;; [unrolled: 1-line block ×3, first 2 shown]
	v_cmp_lt_u32_e32 vcc_lo, 19, v88
	s_or_b32 s46, vcc_lo, s46
	s_waitcnt vmcnt(2) lgkmcnt(0)
	v_mul_f64 v[98:99], v[92:93], v[94:95]
	v_mul_f64 v[94:95], v[90:91], v[94:95]
	s_waitcnt vmcnt(0)
	v_fma_f64 v[90:91], v[90:91], v[96:97], -v[98:99]
	v_fma_f64 v[92:93], v[92:93], v[96:97], v[94:95]
	v_add_f64 v[1:2], v[1:2], v[90:91]
	v_add_f64 v[3:4], v[3:4], v[92:93]
	s_andn2_b32 exec_lo, exec_lo, s46
	s_cbranch_execnz .LBB102_468
; %bb.469:
	s_or_b32 exec_lo, exec_lo, s46
.LBB102_470:
	s_or_b32 exec_lo, exec_lo, s8
	v_mov_b32_e32 v86, 0
	ds_read_b128 v[90:93], v86 offset:336
	s_waitcnt lgkmcnt(0)
	v_mul_f64 v[86:87], v[3:4], v[92:93]
	v_mul_f64 v[92:93], v[1:2], v[92:93]
	v_fma_f64 v[1:2], v[1:2], v[90:91], -v[86:87]
	v_fma_f64 v[3:4], v[3:4], v[90:91], v[92:93]
	buffer_store_dword v2, off, s[0:3], 0 offset:340
	buffer_store_dword v1, off, s[0:3], 0 offset:336
	;; [unrolled: 1-line block ×4, first 2 shown]
.LBB102_471:
	s_or_b32 exec_lo, exec_lo, s4
	v_mov_b32_e32 v4, s23
	s_mov_b32 s4, exec_lo
	s_clause 0x3
	buffer_load_dword v1, v4, s[0:3], 0 offen
	buffer_load_dword v2, v4, s[0:3], 0 offen offset:4
	buffer_load_dword v3, v4, s[0:3], 0 offen offset:8
	;; [unrolled: 1-line block ×3, first 2 shown]
	s_waitcnt vmcnt(0)
	ds_write_b128 v84, v[1:4]
	s_waitcnt lgkmcnt(0)
	s_waitcnt_vscnt null, 0x0
	s_barrier
	buffer_gl0_inv
	v_cmpx_gt_u32_e32 22, v0
	s_cbranch_execz .LBB102_479
; %bb.472:
	ds_read_b128 v[1:4], v84
	v_cmp_ne_u32_e32 vcc_lo, 1, v85
	s_cbranch_vccnz .LBB102_474
; %bb.473:
	s_clause 0x3
	buffer_load_dword v86, v83, s[0:3], 0 offen offset:8
	buffer_load_dword v87, v83, s[0:3], 0 offen offset:12
	buffer_load_dword v90, v83, s[0:3], 0 offen
	buffer_load_dword v91, v83, s[0:3], 0 offen offset:4
	s_waitcnt vmcnt(2) lgkmcnt(0)
	v_mul_f64 v[92:93], v[3:4], v[86:87]
	v_mul_f64 v[86:87], v[1:2], v[86:87]
	s_waitcnt vmcnt(0)
	v_fma_f64 v[1:2], v[1:2], v[90:91], -v[92:93]
	v_fma_f64 v[3:4], v[3:4], v[90:91], v[86:87]
.LBB102_474:
	s_mov_b32 s8, exec_lo
	v_cmpx_ne_u32_e32 21, v0
	s_cbranch_execz .LBB102_478
; %bb.475:
	v_add_nc_u32_e32 v86, 0x280, v89
	v_add3_u32 v87, 0, v89, 16
	v_mov_b32_e32 v88, v0
	s_mov_b32 s46, 0
	.p2align	6
.LBB102_476:                            ; =>This Inner Loop Header: Depth=1
	s_clause 0x3
	buffer_load_dword v94, v87, s[0:3], 0 offen offset:8
	buffer_load_dword v95, v87, s[0:3], 0 offen offset:12
	buffer_load_dword v96, v87, s[0:3], 0 offen
	buffer_load_dword v97, v87, s[0:3], 0 offen offset:4
	ds_read_b128 v[90:93], v86
	v_add_nc_u32_e32 v88, 1, v88
	v_add_nc_u32_e32 v86, 16, v86
	;; [unrolled: 1-line block ×3, first 2 shown]
	v_cmp_lt_u32_e32 vcc_lo, 20, v88
	s_or_b32 s46, vcc_lo, s46
	s_waitcnt vmcnt(2) lgkmcnt(0)
	v_mul_f64 v[98:99], v[92:93], v[94:95]
	v_mul_f64 v[94:95], v[90:91], v[94:95]
	s_waitcnt vmcnt(0)
	v_fma_f64 v[90:91], v[90:91], v[96:97], -v[98:99]
	v_fma_f64 v[92:93], v[92:93], v[96:97], v[94:95]
	v_add_f64 v[1:2], v[1:2], v[90:91]
	v_add_f64 v[3:4], v[3:4], v[92:93]
	s_andn2_b32 exec_lo, exec_lo, s46
	s_cbranch_execnz .LBB102_476
; %bb.477:
	s_or_b32 exec_lo, exec_lo, s46
.LBB102_478:
	s_or_b32 exec_lo, exec_lo, s8
	v_mov_b32_e32 v86, 0
	ds_read_b128 v[90:93], v86 offset:352
	s_waitcnt lgkmcnt(0)
	v_mul_f64 v[86:87], v[3:4], v[92:93]
	v_mul_f64 v[92:93], v[1:2], v[92:93]
	v_fma_f64 v[1:2], v[1:2], v[90:91], -v[86:87]
	v_fma_f64 v[3:4], v[3:4], v[90:91], v[92:93]
	buffer_store_dword v2, off, s[0:3], 0 offset:356
	buffer_store_dword v1, off, s[0:3], 0 offset:352
	buffer_store_dword v4, off, s[0:3], 0 offset:364
	buffer_store_dword v3, off, s[0:3], 0 offset:360
.LBB102_479:
	s_or_b32 exec_lo, exec_lo, s4
	v_mov_b32_e32 v4, s22
	s_mov_b32 s4, exec_lo
	s_clause 0x3
	buffer_load_dword v1, v4, s[0:3], 0 offen
	buffer_load_dword v2, v4, s[0:3], 0 offen offset:4
	buffer_load_dword v3, v4, s[0:3], 0 offen offset:8
	;; [unrolled: 1-line block ×3, first 2 shown]
	s_waitcnt vmcnt(0)
	ds_write_b128 v84, v[1:4]
	s_waitcnt lgkmcnt(0)
	s_waitcnt_vscnt null, 0x0
	s_barrier
	buffer_gl0_inv
	v_cmpx_gt_u32_e32 23, v0
	s_cbranch_execz .LBB102_487
; %bb.480:
	ds_read_b128 v[1:4], v84
	v_cmp_ne_u32_e32 vcc_lo, 1, v85
	s_cbranch_vccnz .LBB102_482
; %bb.481:
	s_clause 0x3
	buffer_load_dword v86, v83, s[0:3], 0 offen offset:8
	buffer_load_dword v87, v83, s[0:3], 0 offen offset:12
	buffer_load_dword v90, v83, s[0:3], 0 offen
	buffer_load_dword v91, v83, s[0:3], 0 offen offset:4
	s_waitcnt vmcnt(2) lgkmcnt(0)
	v_mul_f64 v[92:93], v[3:4], v[86:87]
	v_mul_f64 v[86:87], v[1:2], v[86:87]
	s_waitcnt vmcnt(0)
	v_fma_f64 v[1:2], v[1:2], v[90:91], -v[92:93]
	v_fma_f64 v[3:4], v[3:4], v[90:91], v[86:87]
.LBB102_482:
	s_mov_b32 s8, exec_lo
	v_cmpx_ne_u32_e32 22, v0
	s_cbranch_execz .LBB102_486
; %bb.483:
	v_add_nc_u32_e32 v86, 0x280, v89
	v_add3_u32 v87, 0, v89, 16
	v_mov_b32_e32 v88, v0
	s_mov_b32 s46, 0
	.p2align	6
.LBB102_484:                            ; =>This Inner Loop Header: Depth=1
	s_clause 0x3
	buffer_load_dword v94, v87, s[0:3], 0 offen offset:8
	buffer_load_dword v95, v87, s[0:3], 0 offen offset:12
	buffer_load_dword v96, v87, s[0:3], 0 offen
	buffer_load_dword v97, v87, s[0:3], 0 offen offset:4
	ds_read_b128 v[90:93], v86
	v_add_nc_u32_e32 v88, 1, v88
	v_add_nc_u32_e32 v86, 16, v86
	;; [unrolled: 1-line block ×3, first 2 shown]
	v_cmp_lt_u32_e32 vcc_lo, 21, v88
	s_or_b32 s46, vcc_lo, s46
	s_waitcnt vmcnt(2) lgkmcnt(0)
	v_mul_f64 v[98:99], v[92:93], v[94:95]
	v_mul_f64 v[94:95], v[90:91], v[94:95]
	s_waitcnt vmcnt(0)
	v_fma_f64 v[90:91], v[90:91], v[96:97], -v[98:99]
	v_fma_f64 v[92:93], v[92:93], v[96:97], v[94:95]
	v_add_f64 v[1:2], v[1:2], v[90:91]
	v_add_f64 v[3:4], v[3:4], v[92:93]
	s_andn2_b32 exec_lo, exec_lo, s46
	s_cbranch_execnz .LBB102_484
; %bb.485:
	s_or_b32 exec_lo, exec_lo, s46
.LBB102_486:
	s_or_b32 exec_lo, exec_lo, s8
	v_mov_b32_e32 v86, 0
	ds_read_b128 v[90:93], v86 offset:368
	s_waitcnt lgkmcnt(0)
	v_mul_f64 v[86:87], v[3:4], v[92:93]
	v_mul_f64 v[92:93], v[1:2], v[92:93]
	v_fma_f64 v[1:2], v[1:2], v[90:91], -v[86:87]
	v_fma_f64 v[3:4], v[3:4], v[90:91], v[92:93]
	buffer_store_dword v2, off, s[0:3], 0 offset:372
	buffer_store_dword v1, off, s[0:3], 0 offset:368
	;; [unrolled: 1-line block ×4, first 2 shown]
.LBB102_487:
	s_or_b32 exec_lo, exec_lo, s4
	v_mov_b32_e32 v4, s21
	s_mov_b32 s4, exec_lo
	s_clause 0x3
	buffer_load_dword v1, v4, s[0:3], 0 offen
	buffer_load_dword v2, v4, s[0:3], 0 offen offset:4
	buffer_load_dword v3, v4, s[0:3], 0 offen offset:8
	;; [unrolled: 1-line block ×3, first 2 shown]
	s_waitcnt vmcnt(0)
	ds_write_b128 v84, v[1:4]
	s_waitcnt lgkmcnt(0)
	s_waitcnt_vscnt null, 0x0
	s_barrier
	buffer_gl0_inv
	v_cmpx_gt_u32_e32 24, v0
	s_cbranch_execz .LBB102_495
; %bb.488:
	ds_read_b128 v[1:4], v84
	v_cmp_ne_u32_e32 vcc_lo, 1, v85
	s_cbranch_vccnz .LBB102_490
; %bb.489:
	s_clause 0x3
	buffer_load_dword v86, v83, s[0:3], 0 offen offset:8
	buffer_load_dword v87, v83, s[0:3], 0 offen offset:12
	buffer_load_dword v90, v83, s[0:3], 0 offen
	buffer_load_dword v91, v83, s[0:3], 0 offen offset:4
	s_waitcnt vmcnt(2) lgkmcnt(0)
	v_mul_f64 v[92:93], v[3:4], v[86:87]
	v_mul_f64 v[86:87], v[1:2], v[86:87]
	s_waitcnt vmcnt(0)
	v_fma_f64 v[1:2], v[1:2], v[90:91], -v[92:93]
	v_fma_f64 v[3:4], v[3:4], v[90:91], v[86:87]
.LBB102_490:
	s_mov_b32 s8, exec_lo
	v_cmpx_ne_u32_e32 23, v0
	s_cbranch_execz .LBB102_494
; %bb.491:
	v_add_nc_u32_e32 v86, 0x280, v89
	v_add3_u32 v87, 0, v89, 16
	v_mov_b32_e32 v88, v0
	s_mov_b32 s46, 0
	.p2align	6
.LBB102_492:                            ; =>This Inner Loop Header: Depth=1
	s_clause 0x3
	buffer_load_dword v94, v87, s[0:3], 0 offen offset:8
	buffer_load_dword v95, v87, s[0:3], 0 offen offset:12
	buffer_load_dword v96, v87, s[0:3], 0 offen
	buffer_load_dword v97, v87, s[0:3], 0 offen offset:4
	ds_read_b128 v[90:93], v86
	v_add_nc_u32_e32 v88, 1, v88
	v_add_nc_u32_e32 v86, 16, v86
	;; [unrolled: 1-line block ×3, first 2 shown]
	v_cmp_lt_u32_e32 vcc_lo, 22, v88
	s_or_b32 s46, vcc_lo, s46
	s_waitcnt vmcnt(2) lgkmcnt(0)
	v_mul_f64 v[98:99], v[92:93], v[94:95]
	v_mul_f64 v[94:95], v[90:91], v[94:95]
	s_waitcnt vmcnt(0)
	v_fma_f64 v[90:91], v[90:91], v[96:97], -v[98:99]
	v_fma_f64 v[92:93], v[92:93], v[96:97], v[94:95]
	v_add_f64 v[1:2], v[1:2], v[90:91]
	v_add_f64 v[3:4], v[3:4], v[92:93]
	s_andn2_b32 exec_lo, exec_lo, s46
	s_cbranch_execnz .LBB102_492
; %bb.493:
	s_or_b32 exec_lo, exec_lo, s46
.LBB102_494:
	s_or_b32 exec_lo, exec_lo, s8
	v_mov_b32_e32 v86, 0
	ds_read_b128 v[90:93], v86 offset:384
	s_waitcnt lgkmcnt(0)
	v_mul_f64 v[86:87], v[3:4], v[92:93]
	v_mul_f64 v[92:93], v[1:2], v[92:93]
	v_fma_f64 v[1:2], v[1:2], v[90:91], -v[86:87]
	v_fma_f64 v[3:4], v[3:4], v[90:91], v[92:93]
	buffer_store_dword v2, off, s[0:3], 0 offset:388
	buffer_store_dword v1, off, s[0:3], 0 offset:384
	;; [unrolled: 1-line block ×4, first 2 shown]
.LBB102_495:
	s_or_b32 exec_lo, exec_lo, s4
	v_mov_b32_e32 v4, s20
	s_mov_b32 s4, exec_lo
	s_clause 0x3
	buffer_load_dword v1, v4, s[0:3], 0 offen
	buffer_load_dword v2, v4, s[0:3], 0 offen offset:4
	buffer_load_dword v3, v4, s[0:3], 0 offen offset:8
	;; [unrolled: 1-line block ×3, first 2 shown]
	s_waitcnt vmcnt(0)
	ds_write_b128 v84, v[1:4]
	s_waitcnt lgkmcnt(0)
	s_waitcnt_vscnt null, 0x0
	s_barrier
	buffer_gl0_inv
	v_cmpx_gt_u32_e32 25, v0
	s_cbranch_execz .LBB102_503
; %bb.496:
	ds_read_b128 v[1:4], v84
	v_cmp_ne_u32_e32 vcc_lo, 1, v85
	s_cbranch_vccnz .LBB102_498
; %bb.497:
	s_clause 0x3
	buffer_load_dword v86, v83, s[0:3], 0 offen offset:8
	buffer_load_dword v87, v83, s[0:3], 0 offen offset:12
	buffer_load_dword v90, v83, s[0:3], 0 offen
	buffer_load_dword v91, v83, s[0:3], 0 offen offset:4
	s_waitcnt vmcnt(2) lgkmcnt(0)
	v_mul_f64 v[92:93], v[3:4], v[86:87]
	v_mul_f64 v[86:87], v[1:2], v[86:87]
	s_waitcnt vmcnt(0)
	v_fma_f64 v[1:2], v[1:2], v[90:91], -v[92:93]
	v_fma_f64 v[3:4], v[3:4], v[90:91], v[86:87]
.LBB102_498:
	s_mov_b32 s8, exec_lo
	v_cmpx_ne_u32_e32 24, v0
	s_cbranch_execz .LBB102_502
; %bb.499:
	v_add_nc_u32_e32 v86, 0x280, v89
	v_add3_u32 v87, 0, v89, 16
	v_mov_b32_e32 v88, v0
	s_mov_b32 s46, 0
	.p2align	6
.LBB102_500:                            ; =>This Inner Loop Header: Depth=1
	s_clause 0x3
	buffer_load_dword v94, v87, s[0:3], 0 offen offset:8
	buffer_load_dword v95, v87, s[0:3], 0 offen offset:12
	buffer_load_dword v96, v87, s[0:3], 0 offen
	buffer_load_dword v97, v87, s[0:3], 0 offen offset:4
	ds_read_b128 v[90:93], v86
	v_add_nc_u32_e32 v88, 1, v88
	v_add_nc_u32_e32 v86, 16, v86
	;; [unrolled: 1-line block ×3, first 2 shown]
	v_cmp_lt_u32_e32 vcc_lo, 23, v88
	s_or_b32 s46, vcc_lo, s46
	s_waitcnt vmcnt(2) lgkmcnt(0)
	v_mul_f64 v[98:99], v[92:93], v[94:95]
	v_mul_f64 v[94:95], v[90:91], v[94:95]
	s_waitcnt vmcnt(0)
	v_fma_f64 v[90:91], v[90:91], v[96:97], -v[98:99]
	v_fma_f64 v[92:93], v[92:93], v[96:97], v[94:95]
	v_add_f64 v[1:2], v[1:2], v[90:91]
	v_add_f64 v[3:4], v[3:4], v[92:93]
	s_andn2_b32 exec_lo, exec_lo, s46
	s_cbranch_execnz .LBB102_500
; %bb.501:
	s_or_b32 exec_lo, exec_lo, s46
.LBB102_502:
	s_or_b32 exec_lo, exec_lo, s8
	v_mov_b32_e32 v86, 0
	ds_read_b128 v[90:93], v86 offset:400
	s_waitcnt lgkmcnt(0)
	v_mul_f64 v[86:87], v[3:4], v[92:93]
	v_mul_f64 v[92:93], v[1:2], v[92:93]
	v_fma_f64 v[1:2], v[1:2], v[90:91], -v[86:87]
	v_fma_f64 v[3:4], v[3:4], v[90:91], v[92:93]
	buffer_store_dword v2, off, s[0:3], 0 offset:404
	buffer_store_dword v1, off, s[0:3], 0 offset:400
	;; [unrolled: 1-line block ×4, first 2 shown]
.LBB102_503:
	s_or_b32 exec_lo, exec_lo, s4
	v_mov_b32_e32 v4, s19
	s_mov_b32 s4, exec_lo
	s_clause 0x3
	buffer_load_dword v1, v4, s[0:3], 0 offen
	buffer_load_dword v2, v4, s[0:3], 0 offen offset:4
	buffer_load_dword v3, v4, s[0:3], 0 offen offset:8
	buffer_load_dword v4, v4, s[0:3], 0 offen offset:12
	s_waitcnt vmcnt(0)
	ds_write_b128 v84, v[1:4]
	s_waitcnt lgkmcnt(0)
	s_waitcnt_vscnt null, 0x0
	s_barrier
	buffer_gl0_inv
	v_cmpx_gt_u32_e32 26, v0
	s_cbranch_execz .LBB102_511
; %bb.504:
	ds_read_b128 v[1:4], v84
	v_cmp_ne_u32_e32 vcc_lo, 1, v85
	s_cbranch_vccnz .LBB102_506
; %bb.505:
	s_clause 0x3
	buffer_load_dword v86, v83, s[0:3], 0 offen offset:8
	buffer_load_dword v87, v83, s[0:3], 0 offen offset:12
	buffer_load_dword v90, v83, s[0:3], 0 offen
	buffer_load_dword v91, v83, s[0:3], 0 offen offset:4
	s_waitcnt vmcnt(2) lgkmcnt(0)
	v_mul_f64 v[92:93], v[3:4], v[86:87]
	v_mul_f64 v[86:87], v[1:2], v[86:87]
	s_waitcnt vmcnt(0)
	v_fma_f64 v[1:2], v[1:2], v[90:91], -v[92:93]
	v_fma_f64 v[3:4], v[3:4], v[90:91], v[86:87]
.LBB102_506:
	s_mov_b32 s8, exec_lo
	v_cmpx_ne_u32_e32 25, v0
	s_cbranch_execz .LBB102_510
; %bb.507:
	v_add_nc_u32_e32 v86, 0x280, v89
	v_add3_u32 v87, 0, v89, 16
	v_mov_b32_e32 v88, v0
	s_mov_b32 s46, 0
	.p2align	6
.LBB102_508:                            ; =>This Inner Loop Header: Depth=1
	s_clause 0x3
	buffer_load_dword v94, v87, s[0:3], 0 offen offset:8
	buffer_load_dword v95, v87, s[0:3], 0 offen offset:12
	buffer_load_dword v96, v87, s[0:3], 0 offen
	buffer_load_dword v97, v87, s[0:3], 0 offen offset:4
	ds_read_b128 v[90:93], v86
	v_add_nc_u32_e32 v88, 1, v88
	v_add_nc_u32_e32 v86, 16, v86
	;; [unrolled: 1-line block ×3, first 2 shown]
	v_cmp_lt_u32_e32 vcc_lo, 24, v88
	s_or_b32 s46, vcc_lo, s46
	s_waitcnt vmcnt(2) lgkmcnt(0)
	v_mul_f64 v[98:99], v[92:93], v[94:95]
	v_mul_f64 v[94:95], v[90:91], v[94:95]
	s_waitcnt vmcnt(0)
	v_fma_f64 v[90:91], v[90:91], v[96:97], -v[98:99]
	v_fma_f64 v[92:93], v[92:93], v[96:97], v[94:95]
	v_add_f64 v[1:2], v[1:2], v[90:91]
	v_add_f64 v[3:4], v[3:4], v[92:93]
	s_andn2_b32 exec_lo, exec_lo, s46
	s_cbranch_execnz .LBB102_508
; %bb.509:
	s_or_b32 exec_lo, exec_lo, s46
.LBB102_510:
	s_or_b32 exec_lo, exec_lo, s8
	v_mov_b32_e32 v86, 0
	ds_read_b128 v[90:93], v86 offset:416
	s_waitcnt lgkmcnt(0)
	v_mul_f64 v[86:87], v[3:4], v[92:93]
	v_mul_f64 v[92:93], v[1:2], v[92:93]
	v_fma_f64 v[1:2], v[1:2], v[90:91], -v[86:87]
	v_fma_f64 v[3:4], v[3:4], v[90:91], v[92:93]
	buffer_store_dword v2, off, s[0:3], 0 offset:420
	buffer_store_dword v1, off, s[0:3], 0 offset:416
	;; [unrolled: 1-line block ×4, first 2 shown]
.LBB102_511:
	s_or_b32 exec_lo, exec_lo, s4
	v_mov_b32_e32 v4, s18
	s_mov_b32 s4, exec_lo
	s_clause 0x3
	buffer_load_dword v1, v4, s[0:3], 0 offen
	buffer_load_dword v2, v4, s[0:3], 0 offen offset:4
	buffer_load_dword v3, v4, s[0:3], 0 offen offset:8
	;; [unrolled: 1-line block ×3, first 2 shown]
	s_waitcnt vmcnt(0)
	ds_write_b128 v84, v[1:4]
	s_waitcnt lgkmcnt(0)
	s_waitcnt_vscnt null, 0x0
	s_barrier
	buffer_gl0_inv
	v_cmpx_gt_u32_e32 27, v0
	s_cbranch_execz .LBB102_519
; %bb.512:
	ds_read_b128 v[1:4], v84
	v_cmp_ne_u32_e32 vcc_lo, 1, v85
	s_cbranch_vccnz .LBB102_514
; %bb.513:
	s_clause 0x3
	buffer_load_dword v86, v83, s[0:3], 0 offen offset:8
	buffer_load_dword v87, v83, s[0:3], 0 offen offset:12
	buffer_load_dword v90, v83, s[0:3], 0 offen
	buffer_load_dword v91, v83, s[0:3], 0 offen offset:4
	s_waitcnt vmcnt(2) lgkmcnt(0)
	v_mul_f64 v[92:93], v[3:4], v[86:87]
	v_mul_f64 v[86:87], v[1:2], v[86:87]
	s_waitcnt vmcnt(0)
	v_fma_f64 v[1:2], v[1:2], v[90:91], -v[92:93]
	v_fma_f64 v[3:4], v[3:4], v[90:91], v[86:87]
.LBB102_514:
	s_mov_b32 s8, exec_lo
	v_cmpx_ne_u32_e32 26, v0
	s_cbranch_execz .LBB102_518
; %bb.515:
	v_add_nc_u32_e32 v86, 0x280, v89
	v_add3_u32 v87, 0, v89, 16
	v_mov_b32_e32 v88, v0
	s_mov_b32 s46, 0
	.p2align	6
.LBB102_516:                            ; =>This Inner Loop Header: Depth=1
	s_clause 0x3
	buffer_load_dword v94, v87, s[0:3], 0 offen offset:8
	buffer_load_dword v95, v87, s[0:3], 0 offen offset:12
	buffer_load_dword v96, v87, s[0:3], 0 offen
	buffer_load_dword v97, v87, s[0:3], 0 offen offset:4
	ds_read_b128 v[90:93], v86
	v_add_nc_u32_e32 v88, 1, v88
	v_add_nc_u32_e32 v86, 16, v86
	;; [unrolled: 1-line block ×3, first 2 shown]
	v_cmp_lt_u32_e32 vcc_lo, 25, v88
	s_or_b32 s46, vcc_lo, s46
	s_waitcnt vmcnt(2) lgkmcnt(0)
	v_mul_f64 v[98:99], v[92:93], v[94:95]
	v_mul_f64 v[94:95], v[90:91], v[94:95]
	s_waitcnt vmcnt(0)
	v_fma_f64 v[90:91], v[90:91], v[96:97], -v[98:99]
	v_fma_f64 v[92:93], v[92:93], v[96:97], v[94:95]
	v_add_f64 v[1:2], v[1:2], v[90:91]
	v_add_f64 v[3:4], v[3:4], v[92:93]
	s_andn2_b32 exec_lo, exec_lo, s46
	s_cbranch_execnz .LBB102_516
; %bb.517:
	s_or_b32 exec_lo, exec_lo, s46
.LBB102_518:
	s_or_b32 exec_lo, exec_lo, s8
	v_mov_b32_e32 v86, 0
	ds_read_b128 v[90:93], v86 offset:432
	s_waitcnt lgkmcnt(0)
	v_mul_f64 v[86:87], v[3:4], v[92:93]
	v_mul_f64 v[92:93], v[1:2], v[92:93]
	v_fma_f64 v[1:2], v[1:2], v[90:91], -v[86:87]
	v_fma_f64 v[3:4], v[3:4], v[90:91], v[92:93]
	buffer_store_dword v2, off, s[0:3], 0 offset:436
	buffer_store_dword v1, off, s[0:3], 0 offset:432
	;; [unrolled: 1-line block ×4, first 2 shown]
.LBB102_519:
	s_or_b32 exec_lo, exec_lo, s4
	v_mov_b32_e32 v4, s17
	s_mov_b32 s4, exec_lo
	s_clause 0x3
	buffer_load_dword v1, v4, s[0:3], 0 offen
	buffer_load_dword v2, v4, s[0:3], 0 offen offset:4
	buffer_load_dword v3, v4, s[0:3], 0 offen offset:8
	;; [unrolled: 1-line block ×3, first 2 shown]
	s_waitcnt vmcnt(0)
	ds_write_b128 v84, v[1:4]
	s_waitcnt lgkmcnt(0)
	s_waitcnt_vscnt null, 0x0
	s_barrier
	buffer_gl0_inv
	v_cmpx_gt_u32_e32 28, v0
	s_cbranch_execz .LBB102_527
; %bb.520:
	ds_read_b128 v[1:4], v84
	v_cmp_ne_u32_e32 vcc_lo, 1, v85
	s_cbranch_vccnz .LBB102_522
; %bb.521:
	s_clause 0x3
	buffer_load_dword v86, v83, s[0:3], 0 offen offset:8
	buffer_load_dword v87, v83, s[0:3], 0 offen offset:12
	buffer_load_dword v90, v83, s[0:3], 0 offen
	buffer_load_dword v91, v83, s[0:3], 0 offen offset:4
	s_waitcnt vmcnt(2) lgkmcnt(0)
	v_mul_f64 v[92:93], v[3:4], v[86:87]
	v_mul_f64 v[86:87], v[1:2], v[86:87]
	s_waitcnt vmcnt(0)
	v_fma_f64 v[1:2], v[1:2], v[90:91], -v[92:93]
	v_fma_f64 v[3:4], v[3:4], v[90:91], v[86:87]
.LBB102_522:
	s_mov_b32 s8, exec_lo
	v_cmpx_ne_u32_e32 27, v0
	s_cbranch_execz .LBB102_526
; %bb.523:
	v_add_nc_u32_e32 v86, 0x280, v89
	v_add3_u32 v87, 0, v89, 16
	v_mov_b32_e32 v88, v0
	s_mov_b32 s46, 0
	.p2align	6
.LBB102_524:                            ; =>This Inner Loop Header: Depth=1
	s_clause 0x3
	buffer_load_dword v94, v87, s[0:3], 0 offen offset:8
	buffer_load_dword v95, v87, s[0:3], 0 offen offset:12
	buffer_load_dword v96, v87, s[0:3], 0 offen
	buffer_load_dword v97, v87, s[0:3], 0 offen offset:4
	ds_read_b128 v[90:93], v86
	v_add_nc_u32_e32 v88, 1, v88
	v_add_nc_u32_e32 v86, 16, v86
	;; [unrolled: 1-line block ×3, first 2 shown]
	v_cmp_lt_u32_e32 vcc_lo, 26, v88
	s_or_b32 s46, vcc_lo, s46
	s_waitcnt vmcnt(2) lgkmcnt(0)
	v_mul_f64 v[98:99], v[92:93], v[94:95]
	v_mul_f64 v[94:95], v[90:91], v[94:95]
	s_waitcnt vmcnt(0)
	v_fma_f64 v[90:91], v[90:91], v[96:97], -v[98:99]
	v_fma_f64 v[92:93], v[92:93], v[96:97], v[94:95]
	v_add_f64 v[1:2], v[1:2], v[90:91]
	v_add_f64 v[3:4], v[3:4], v[92:93]
	s_andn2_b32 exec_lo, exec_lo, s46
	s_cbranch_execnz .LBB102_524
; %bb.525:
	s_or_b32 exec_lo, exec_lo, s46
.LBB102_526:
	s_or_b32 exec_lo, exec_lo, s8
	v_mov_b32_e32 v86, 0
	ds_read_b128 v[90:93], v86 offset:448
	s_waitcnt lgkmcnt(0)
	v_mul_f64 v[86:87], v[3:4], v[92:93]
	v_mul_f64 v[92:93], v[1:2], v[92:93]
	v_fma_f64 v[1:2], v[1:2], v[90:91], -v[86:87]
	v_fma_f64 v[3:4], v[3:4], v[90:91], v[92:93]
	buffer_store_dword v2, off, s[0:3], 0 offset:452
	buffer_store_dword v1, off, s[0:3], 0 offset:448
	;; [unrolled: 1-line block ×4, first 2 shown]
.LBB102_527:
	s_or_b32 exec_lo, exec_lo, s4
	v_mov_b32_e32 v4, s16
	s_mov_b32 s4, exec_lo
	s_clause 0x3
	buffer_load_dword v1, v4, s[0:3], 0 offen
	buffer_load_dword v2, v4, s[0:3], 0 offen offset:4
	buffer_load_dword v3, v4, s[0:3], 0 offen offset:8
	;; [unrolled: 1-line block ×3, first 2 shown]
	s_waitcnt vmcnt(0)
	ds_write_b128 v84, v[1:4]
	s_waitcnt lgkmcnt(0)
	s_waitcnt_vscnt null, 0x0
	s_barrier
	buffer_gl0_inv
	v_cmpx_gt_u32_e32 29, v0
	s_cbranch_execz .LBB102_535
; %bb.528:
	ds_read_b128 v[1:4], v84
	v_cmp_ne_u32_e32 vcc_lo, 1, v85
	s_cbranch_vccnz .LBB102_530
; %bb.529:
	s_clause 0x3
	buffer_load_dword v86, v83, s[0:3], 0 offen offset:8
	buffer_load_dword v87, v83, s[0:3], 0 offen offset:12
	buffer_load_dword v90, v83, s[0:3], 0 offen
	buffer_load_dword v91, v83, s[0:3], 0 offen offset:4
	s_waitcnt vmcnt(2) lgkmcnt(0)
	v_mul_f64 v[92:93], v[3:4], v[86:87]
	v_mul_f64 v[86:87], v[1:2], v[86:87]
	s_waitcnt vmcnt(0)
	v_fma_f64 v[1:2], v[1:2], v[90:91], -v[92:93]
	v_fma_f64 v[3:4], v[3:4], v[90:91], v[86:87]
.LBB102_530:
	s_mov_b32 s8, exec_lo
	v_cmpx_ne_u32_e32 28, v0
	s_cbranch_execz .LBB102_534
; %bb.531:
	v_add_nc_u32_e32 v86, 0x280, v89
	v_add3_u32 v87, 0, v89, 16
	v_mov_b32_e32 v88, v0
	s_mov_b32 s46, 0
	.p2align	6
.LBB102_532:                            ; =>This Inner Loop Header: Depth=1
	s_clause 0x3
	buffer_load_dword v94, v87, s[0:3], 0 offen offset:8
	buffer_load_dword v95, v87, s[0:3], 0 offen offset:12
	buffer_load_dword v96, v87, s[0:3], 0 offen
	buffer_load_dword v97, v87, s[0:3], 0 offen offset:4
	ds_read_b128 v[90:93], v86
	v_add_nc_u32_e32 v88, 1, v88
	v_add_nc_u32_e32 v86, 16, v86
	;; [unrolled: 1-line block ×3, first 2 shown]
	v_cmp_lt_u32_e32 vcc_lo, 27, v88
	s_or_b32 s46, vcc_lo, s46
	s_waitcnt vmcnt(2) lgkmcnt(0)
	v_mul_f64 v[98:99], v[92:93], v[94:95]
	v_mul_f64 v[94:95], v[90:91], v[94:95]
	s_waitcnt vmcnt(0)
	v_fma_f64 v[90:91], v[90:91], v[96:97], -v[98:99]
	v_fma_f64 v[92:93], v[92:93], v[96:97], v[94:95]
	v_add_f64 v[1:2], v[1:2], v[90:91]
	v_add_f64 v[3:4], v[3:4], v[92:93]
	s_andn2_b32 exec_lo, exec_lo, s46
	s_cbranch_execnz .LBB102_532
; %bb.533:
	s_or_b32 exec_lo, exec_lo, s46
.LBB102_534:
	s_or_b32 exec_lo, exec_lo, s8
	v_mov_b32_e32 v86, 0
	ds_read_b128 v[90:93], v86 offset:464
	s_waitcnt lgkmcnt(0)
	v_mul_f64 v[86:87], v[3:4], v[92:93]
	v_mul_f64 v[92:93], v[1:2], v[92:93]
	v_fma_f64 v[1:2], v[1:2], v[90:91], -v[86:87]
	v_fma_f64 v[3:4], v[3:4], v[90:91], v[92:93]
	buffer_store_dword v2, off, s[0:3], 0 offset:468
	buffer_store_dword v1, off, s[0:3], 0 offset:464
	;; [unrolled: 1-line block ×4, first 2 shown]
.LBB102_535:
	s_or_b32 exec_lo, exec_lo, s4
	v_mov_b32_e32 v4, s15
	s_mov_b32 s4, exec_lo
	s_clause 0x3
	buffer_load_dword v1, v4, s[0:3], 0 offen
	buffer_load_dword v2, v4, s[0:3], 0 offen offset:4
	buffer_load_dword v3, v4, s[0:3], 0 offen offset:8
	;; [unrolled: 1-line block ×3, first 2 shown]
	s_waitcnt vmcnt(0)
	ds_write_b128 v84, v[1:4]
	s_waitcnt lgkmcnt(0)
	s_waitcnt_vscnt null, 0x0
	s_barrier
	buffer_gl0_inv
	v_cmpx_gt_u32_e32 30, v0
	s_cbranch_execz .LBB102_543
; %bb.536:
	ds_read_b128 v[1:4], v84
	v_cmp_ne_u32_e32 vcc_lo, 1, v85
	s_cbranch_vccnz .LBB102_538
; %bb.537:
	s_clause 0x3
	buffer_load_dword v86, v83, s[0:3], 0 offen offset:8
	buffer_load_dword v87, v83, s[0:3], 0 offen offset:12
	buffer_load_dword v90, v83, s[0:3], 0 offen
	buffer_load_dword v91, v83, s[0:3], 0 offen offset:4
	s_waitcnt vmcnt(2) lgkmcnt(0)
	v_mul_f64 v[92:93], v[3:4], v[86:87]
	v_mul_f64 v[86:87], v[1:2], v[86:87]
	s_waitcnt vmcnt(0)
	v_fma_f64 v[1:2], v[1:2], v[90:91], -v[92:93]
	v_fma_f64 v[3:4], v[3:4], v[90:91], v[86:87]
.LBB102_538:
	s_mov_b32 s8, exec_lo
	v_cmpx_ne_u32_e32 29, v0
	s_cbranch_execz .LBB102_542
; %bb.539:
	v_add_nc_u32_e32 v86, 0x280, v89
	v_add3_u32 v87, 0, v89, 16
	v_mov_b32_e32 v88, v0
	s_mov_b32 s46, 0
	.p2align	6
.LBB102_540:                            ; =>This Inner Loop Header: Depth=1
	s_clause 0x3
	buffer_load_dword v94, v87, s[0:3], 0 offen offset:8
	buffer_load_dword v95, v87, s[0:3], 0 offen offset:12
	buffer_load_dword v96, v87, s[0:3], 0 offen
	buffer_load_dword v97, v87, s[0:3], 0 offen offset:4
	ds_read_b128 v[90:93], v86
	v_add_nc_u32_e32 v88, 1, v88
	v_add_nc_u32_e32 v86, 16, v86
	;; [unrolled: 1-line block ×3, first 2 shown]
	v_cmp_lt_u32_e32 vcc_lo, 28, v88
	s_or_b32 s46, vcc_lo, s46
	s_waitcnt vmcnt(2) lgkmcnt(0)
	v_mul_f64 v[98:99], v[92:93], v[94:95]
	v_mul_f64 v[94:95], v[90:91], v[94:95]
	s_waitcnt vmcnt(0)
	v_fma_f64 v[90:91], v[90:91], v[96:97], -v[98:99]
	v_fma_f64 v[92:93], v[92:93], v[96:97], v[94:95]
	v_add_f64 v[1:2], v[1:2], v[90:91]
	v_add_f64 v[3:4], v[3:4], v[92:93]
	s_andn2_b32 exec_lo, exec_lo, s46
	s_cbranch_execnz .LBB102_540
; %bb.541:
	s_or_b32 exec_lo, exec_lo, s46
.LBB102_542:
	s_or_b32 exec_lo, exec_lo, s8
	v_mov_b32_e32 v86, 0
	ds_read_b128 v[90:93], v86 offset:480
	s_waitcnt lgkmcnt(0)
	v_mul_f64 v[86:87], v[3:4], v[92:93]
	v_mul_f64 v[92:93], v[1:2], v[92:93]
	v_fma_f64 v[1:2], v[1:2], v[90:91], -v[86:87]
	v_fma_f64 v[3:4], v[3:4], v[90:91], v[92:93]
	buffer_store_dword v2, off, s[0:3], 0 offset:484
	buffer_store_dword v1, off, s[0:3], 0 offset:480
	;; [unrolled: 1-line block ×4, first 2 shown]
.LBB102_543:
	s_or_b32 exec_lo, exec_lo, s4
	v_mov_b32_e32 v4, s14
	s_mov_b32 s4, exec_lo
	s_clause 0x3
	buffer_load_dword v1, v4, s[0:3], 0 offen
	buffer_load_dword v2, v4, s[0:3], 0 offen offset:4
	buffer_load_dword v3, v4, s[0:3], 0 offen offset:8
	;; [unrolled: 1-line block ×3, first 2 shown]
	s_waitcnt vmcnt(0)
	ds_write_b128 v84, v[1:4]
	s_waitcnt lgkmcnt(0)
	s_waitcnt_vscnt null, 0x0
	s_barrier
	buffer_gl0_inv
	v_cmpx_gt_u32_e32 31, v0
	s_cbranch_execz .LBB102_551
; %bb.544:
	ds_read_b128 v[1:4], v84
	v_cmp_ne_u32_e32 vcc_lo, 1, v85
	s_cbranch_vccnz .LBB102_546
; %bb.545:
	s_clause 0x3
	buffer_load_dword v86, v83, s[0:3], 0 offen offset:8
	buffer_load_dword v87, v83, s[0:3], 0 offen offset:12
	buffer_load_dword v90, v83, s[0:3], 0 offen
	buffer_load_dword v91, v83, s[0:3], 0 offen offset:4
	s_waitcnt vmcnt(2) lgkmcnt(0)
	v_mul_f64 v[92:93], v[3:4], v[86:87]
	v_mul_f64 v[86:87], v[1:2], v[86:87]
	s_waitcnt vmcnt(0)
	v_fma_f64 v[1:2], v[1:2], v[90:91], -v[92:93]
	v_fma_f64 v[3:4], v[3:4], v[90:91], v[86:87]
.LBB102_546:
	s_mov_b32 s8, exec_lo
	v_cmpx_ne_u32_e32 30, v0
	s_cbranch_execz .LBB102_550
; %bb.547:
	v_add_nc_u32_e32 v86, 0x280, v89
	v_add3_u32 v87, 0, v89, 16
	v_mov_b32_e32 v88, v0
	s_mov_b32 s46, 0
	.p2align	6
.LBB102_548:                            ; =>This Inner Loop Header: Depth=1
	s_clause 0x3
	buffer_load_dword v94, v87, s[0:3], 0 offen offset:8
	buffer_load_dword v95, v87, s[0:3], 0 offen offset:12
	buffer_load_dword v96, v87, s[0:3], 0 offen
	buffer_load_dword v97, v87, s[0:3], 0 offen offset:4
	ds_read_b128 v[90:93], v86
	v_add_nc_u32_e32 v88, 1, v88
	v_add_nc_u32_e32 v86, 16, v86
	;; [unrolled: 1-line block ×3, first 2 shown]
	v_cmp_lt_u32_e32 vcc_lo, 29, v88
	s_or_b32 s46, vcc_lo, s46
	s_waitcnt vmcnt(2) lgkmcnt(0)
	v_mul_f64 v[98:99], v[92:93], v[94:95]
	v_mul_f64 v[94:95], v[90:91], v[94:95]
	s_waitcnt vmcnt(0)
	v_fma_f64 v[90:91], v[90:91], v[96:97], -v[98:99]
	v_fma_f64 v[92:93], v[92:93], v[96:97], v[94:95]
	v_add_f64 v[1:2], v[1:2], v[90:91]
	v_add_f64 v[3:4], v[3:4], v[92:93]
	s_andn2_b32 exec_lo, exec_lo, s46
	s_cbranch_execnz .LBB102_548
; %bb.549:
	s_or_b32 exec_lo, exec_lo, s46
.LBB102_550:
	s_or_b32 exec_lo, exec_lo, s8
	v_mov_b32_e32 v86, 0
	ds_read_b128 v[90:93], v86 offset:496
	s_waitcnt lgkmcnt(0)
	v_mul_f64 v[86:87], v[3:4], v[92:93]
	v_mul_f64 v[92:93], v[1:2], v[92:93]
	v_fma_f64 v[1:2], v[1:2], v[90:91], -v[86:87]
	v_fma_f64 v[3:4], v[3:4], v[90:91], v[92:93]
	buffer_store_dword v2, off, s[0:3], 0 offset:500
	buffer_store_dword v1, off, s[0:3], 0 offset:496
	;; [unrolled: 1-line block ×4, first 2 shown]
.LBB102_551:
	s_or_b32 exec_lo, exec_lo, s4
	v_mov_b32_e32 v4, s13
	s_mov_b32 s4, exec_lo
	s_clause 0x3
	buffer_load_dword v1, v4, s[0:3], 0 offen
	buffer_load_dword v2, v4, s[0:3], 0 offen offset:4
	buffer_load_dword v3, v4, s[0:3], 0 offen offset:8
	;; [unrolled: 1-line block ×3, first 2 shown]
	s_waitcnt vmcnt(0)
	ds_write_b128 v84, v[1:4]
	s_waitcnt lgkmcnt(0)
	s_waitcnt_vscnt null, 0x0
	s_barrier
	buffer_gl0_inv
	v_cmpx_gt_u32_e32 32, v0
	s_cbranch_execz .LBB102_559
; %bb.552:
	ds_read_b128 v[1:4], v84
	v_cmp_ne_u32_e32 vcc_lo, 1, v85
	s_cbranch_vccnz .LBB102_554
; %bb.553:
	s_clause 0x3
	buffer_load_dword v86, v83, s[0:3], 0 offen offset:8
	buffer_load_dword v87, v83, s[0:3], 0 offen offset:12
	buffer_load_dword v90, v83, s[0:3], 0 offen
	buffer_load_dword v91, v83, s[0:3], 0 offen offset:4
	s_waitcnt vmcnt(2) lgkmcnt(0)
	v_mul_f64 v[92:93], v[3:4], v[86:87]
	v_mul_f64 v[86:87], v[1:2], v[86:87]
	s_waitcnt vmcnt(0)
	v_fma_f64 v[1:2], v[1:2], v[90:91], -v[92:93]
	v_fma_f64 v[3:4], v[3:4], v[90:91], v[86:87]
.LBB102_554:
	s_mov_b32 s8, exec_lo
	v_cmpx_ne_u32_e32 31, v0
	s_cbranch_execz .LBB102_558
; %bb.555:
	v_add_nc_u32_e32 v86, 0x280, v89
	v_add3_u32 v87, 0, v89, 16
	v_mov_b32_e32 v88, v0
	s_mov_b32 s46, 0
	.p2align	6
.LBB102_556:                            ; =>This Inner Loop Header: Depth=1
	s_clause 0x3
	buffer_load_dword v94, v87, s[0:3], 0 offen offset:8
	buffer_load_dword v95, v87, s[0:3], 0 offen offset:12
	buffer_load_dword v96, v87, s[0:3], 0 offen
	buffer_load_dword v97, v87, s[0:3], 0 offen offset:4
	ds_read_b128 v[90:93], v86
	v_add_nc_u32_e32 v88, 1, v88
	v_add_nc_u32_e32 v86, 16, v86
	;; [unrolled: 1-line block ×3, first 2 shown]
	v_cmp_lt_u32_e32 vcc_lo, 30, v88
	s_or_b32 s46, vcc_lo, s46
	s_waitcnt vmcnt(2) lgkmcnt(0)
	v_mul_f64 v[98:99], v[92:93], v[94:95]
	v_mul_f64 v[94:95], v[90:91], v[94:95]
	s_waitcnt vmcnt(0)
	v_fma_f64 v[90:91], v[90:91], v[96:97], -v[98:99]
	v_fma_f64 v[92:93], v[92:93], v[96:97], v[94:95]
	v_add_f64 v[1:2], v[1:2], v[90:91]
	v_add_f64 v[3:4], v[3:4], v[92:93]
	s_andn2_b32 exec_lo, exec_lo, s46
	s_cbranch_execnz .LBB102_556
; %bb.557:
	s_or_b32 exec_lo, exec_lo, s46
.LBB102_558:
	s_or_b32 exec_lo, exec_lo, s8
	v_mov_b32_e32 v86, 0
	ds_read_b128 v[90:93], v86 offset:512
	s_waitcnt lgkmcnt(0)
	v_mul_f64 v[86:87], v[3:4], v[92:93]
	v_mul_f64 v[92:93], v[1:2], v[92:93]
	v_fma_f64 v[1:2], v[1:2], v[90:91], -v[86:87]
	v_fma_f64 v[3:4], v[3:4], v[90:91], v[92:93]
	buffer_store_dword v2, off, s[0:3], 0 offset:516
	buffer_store_dword v1, off, s[0:3], 0 offset:512
	;; [unrolled: 1-line block ×4, first 2 shown]
.LBB102_559:
	s_or_b32 exec_lo, exec_lo, s4
	v_mov_b32_e32 v4, s12
	s_mov_b32 s4, exec_lo
	s_clause 0x3
	buffer_load_dword v1, v4, s[0:3], 0 offen
	buffer_load_dword v2, v4, s[0:3], 0 offen offset:4
	buffer_load_dword v3, v4, s[0:3], 0 offen offset:8
	;; [unrolled: 1-line block ×3, first 2 shown]
	s_waitcnt vmcnt(0)
	ds_write_b128 v84, v[1:4]
	s_waitcnt lgkmcnt(0)
	s_waitcnt_vscnt null, 0x0
	s_barrier
	buffer_gl0_inv
	v_cmpx_gt_u32_e32 33, v0
	s_cbranch_execz .LBB102_567
; %bb.560:
	ds_read_b128 v[1:4], v84
	v_cmp_ne_u32_e32 vcc_lo, 1, v85
	s_cbranch_vccnz .LBB102_562
; %bb.561:
	s_clause 0x3
	buffer_load_dword v86, v83, s[0:3], 0 offen offset:8
	buffer_load_dword v87, v83, s[0:3], 0 offen offset:12
	buffer_load_dword v90, v83, s[0:3], 0 offen
	buffer_load_dword v91, v83, s[0:3], 0 offen offset:4
	s_waitcnt vmcnt(2) lgkmcnt(0)
	v_mul_f64 v[92:93], v[3:4], v[86:87]
	v_mul_f64 v[86:87], v[1:2], v[86:87]
	s_waitcnt vmcnt(0)
	v_fma_f64 v[1:2], v[1:2], v[90:91], -v[92:93]
	v_fma_f64 v[3:4], v[3:4], v[90:91], v[86:87]
.LBB102_562:
	s_mov_b32 s8, exec_lo
	v_cmpx_ne_u32_e32 32, v0
	s_cbranch_execz .LBB102_566
; %bb.563:
	v_add_nc_u32_e32 v86, 0x280, v89
	v_add3_u32 v87, 0, v89, 16
	v_mov_b32_e32 v88, v0
	s_mov_b32 s46, 0
	.p2align	6
.LBB102_564:                            ; =>This Inner Loop Header: Depth=1
	s_clause 0x3
	buffer_load_dword v94, v87, s[0:3], 0 offen offset:8
	buffer_load_dword v95, v87, s[0:3], 0 offen offset:12
	buffer_load_dword v96, v87, s[0:3], 0 offen
	buffer_load_dword v97, v87, s[0:3], 0 offen offset:4
	ds_read_b128 v[90:93], v86
	v_add_nc_u32_e32 v88, 1, v88
	v_add_nc_u32_e32 v86, 16, v86
	;; [unrolled: 1-line block ×3, first 2 shown]
	v_cmp_lt_u32_e32 vcc_lo, 31, v88
	s_or_b32 s46, vcc_lo, s46
	s_waitcnt vmcnt(2) lgkmcnt(0)
	v_mul_f64 v[98:99], v[92:93], v[94:95]
	v_mul_f64 v[94:95], v[90:91], v[94:95]
	s_waitcnt vmcnt(0)
	v_fma_f64 v[90:91], v[90:91], v[96:97], -v[98:99]
	v_fma_f64 v[92:93], v[92:93], v[96:97], v[94:95]
	v_add_f64 v[1:2], v[1:2], v[90:91]
	v_add_f64 v[3:4], v[3:4], v[92:93]
	s_andn2_b32 exec_lo, exec_lo, s46
	s_cbranch_execnz .LBB102_564
; %bb.565:
	s_or_b32 exec_lo, exec_lo, s46
.LBB102_566:
	s_or_b32 exec_lo, exec_lo, s8
	v_mov_b32_e32 v86, 0
	ds_read_b128 v[90:93], v86 offset:528
	s_waitcnt lgkmcnt(0)
	v_mul_f64 v[86:87], v[3:4], v[92:93]
	v_mul_f64 v[92:93], v[1:2], v[92:93]
	v_fma_f64 v[1:2], v[1:2], v[90:91], -v[86:87]
	v_fma_f64 v[3:4], v[3:4], v[90:91], v[92:93]
	buffer_store_dword v2, off, s[0:3], 0 offset:532
	buffer_store_dword v1, off, s[0:3], 0 offset:528
	buffer_store_dword v4, off, s[0:3], 0 offset:540
	buffer_store_dword v3, off, s[0:3], 0 offset:536
.LBB102_567:
	s_or_b32 exec_lo, exec_lo, s4
	v_mov_b32_e32 v4, s11
	s_mov_b32 s4, exec_lo
	s_clause 0x3
	buffer_load_dword v1, v4, s[0:3], 0 offen
	buffer_load_dword v2, v4, s[0:3], 0 offen offset:4
	buffer_load_dword v3, v4, s[0:3], 0 offen offset:8
	;; [unrolled: 1-line block ×3, first 2 shown]
	s_waitcnt vmcnt(0)
	ds_write_b128 v84, v[1:4]
	s_waitcnt lgkmcnt(0)
	s_waitcnt_vscnt null, 0x0
	s_barrier
	buffer_gl0_inv
	v_cmpx_gt_u32_e32 34, v0
	s_cbranch_execz .LBB102_575
; %bb.568:
	ds_read_b128 v[1:4], v84
	v_cmp_ne_u32_e32 vcc_lo, 1, v85
	s_cbranch_vccnz .LBB102_570
; %bb.569:
	s_clause 0x3
	buffer_load_dword v86, v83, s[0:3], 0 offen offset:8
	buffer_load_dword v87, v83, s[0:3], 0 offen offset:12
	buffer_load_dword v90, v83, s[0:3], 0 offen
	buffer_load_dword v91, v83, s[0:3], 0 offen offset:4
	s_waitcnt vmcnt(2) lgkmcnt(0)
	v_mul_f64 v[92:93], v[3:4], v[86:87]
	v_mul_f64 v[86:87], v[1:2], v[86:87]
	s_waitcnt vmcnt(0)
	v_fma_f64 v[1:2], v[1:2], v[90:91], -v[92:93]
	v_fma_f64 v[3:4], v[3:4], v[90:91], v[86:87]
.LBB102_570:
	s_mov_b32 s8, exec_lo
	v_cmpx_ne_u32_e32 33, v0
	s_cbranch_execz .LBB102_574
; %bb.571:
	v_add_nc_u32_e32 v86, 0x280, v89
	v_add3_u32 v87, 0, v89, 16
	v_mov_b32_e32 v88, v0
	s_mov_b32 s46, 0
	.p2align	6
.LBB102_572:                            ; =>This Inner Loop Header: Depth=1
	s_clause 0x3
	buffer_load_dword v94, v87, s[0:3], 0 offen offset:8
	buffer_load_dword v95, v87, s[0:3], 0 offen offset:12
	buffer_load_dword v96, v87, s[0:3], 0 offen
	buffer_load_dword v97, v87, s[0:3], 0 offen offset:4
	ds_read_b128 v[90:93], v86
	v_add_nc_u32_e32 v88, 1, v88
	v_add_nc_u32_e32 v86, 16, v86
	;; [unrolled: 1-line block ×3, first 2 shown]
	v_cmp_lt_u32_e32 vcc_lo, 32, v88
	s_or_b32 s46, vcc_lo, s46
	s_waitcnt vmcnt(2) lgkmcnt(0)
	v_mul_f64 v[98:99], v[92:93], v[94:95]
	v_mul_f64 v[94:95], v[90:91], v[94:95]
	s_waitcnt vmcnt(0)
	v_fma_f64 v[90:91], v[90:91], v[96:97], -v[98:99]
	v_fma_f64 v[92:93], v[92:93], v[96:97], v[94:95]
	v_add_f64 v[1:2], v[1:2], v[90:91]
	v_add_f64 v[3:4], v[3:4], v[92:93]
	s_andn2_b32 exec_lo, exec_lo, s46
	s_cbranch_execnz .LBB102_572
; %bb.573:
	s_or_b32 exec_lo, exec_lo, s46
.LBB102_574:
	s_or_b32 exec_lo, exec_lo, s8
	v_mov_b32_e32 v86, 0
	ds_read_b128 v[90:93], v86 offset:544
	s_waitcnt lgkmcnt(0)
	v_mul_f64 v[86:87], v[3:4], v[92:93]
	v_mul_f64 v[92:93], v[1:2], v[92:93]
	v_fma_f64 v[1:2], v[1:2], v[90:91], -v[86:87]
	v_fma_f64 v[3:4], v[3:4], v[90:91], v[92:93]
	buffer_store_dword v2, off, s[0:3], 0 offset:548
	buffer_store_dword v1, off, s[0:3], 0 offset:544
	;; [unrolled: 1-line block ×4, first 2 shown]
.LBB102_575:
	s_or_b32 exec_lo, exec_lo, s4
	v_mov_b32_e32 v4, s10
	s_mov_b32 s4, exec_lo
	s_clause 0x3
	buffer_load_dword v1, v4, s[0:3], 0 offen
	buffer_load_dword v2, v4, s[0:3], 0 offen offset:4
	buffer_load_dword v3, v4, s[0:3], 0 offen offset:8
	;; [unrolled: 1-line block ×3, first 2 shown]
	s_waitcnt vmcnt(0)
	ds_write_b128 v84, v[1:4]
	s_waitcnt lgkmcnt(0)
	s_waitcnt_vscnt null, 0x0
	s_barrier
	buffer_gl0_inv
	v_cmpx_gt_u32_e32 35, v0
	s_cbranch_execz .LBB102_583
; %bb.576:
	ds_read_b128 v[1:4], v84
	v_cmp_ne_u32_e32 vcc_lo, 1, v85
	s_cbranch_vccnz .LBB102_578
; %bb.577:
	s_clause 0x3
	buffer_load_dword v86, v83, s[0:3], 0 offen offset:8
	buffer_load_dword v87, v83, s[0:3], 0 offen offset:12
	buffer_load_dword v90, v83, s[0:3], 0 offen
	buffer_load_dword v91, v83, s[0:3], 0 offen offset:4
	s_waitcnt vmcnt(2) lgkmcnt(0)
	v_mul_f64 v[92:93], v[3:4], v[86:87]
	v_mul_f64 v[86:87], v[1:2], v[86:87]
	s_waitcnt vmcnt(0)
	v_fma_f64 v[1:2], v[1:2], v[90:91], -v[92:93]
	v_fma_f64 v[3:4], v[3:4], v[90:91], v[86:87]
.LBB102_578:
	s_mov_b32 s8, exec_lo
	v_cmpx_ne_u32_e32 34, v0
	s_cbranch_execz .LBB102_582
; %bb.579:
	v_add_nc_u32_e32 v86, 0x280, v89
	v_add3_u32 v87, 0, v89, 16
	v_mov_b32_e32 v88, v0
	s_mov_b32 s46, 0
	.p2align	6
.LBB102_580:                            ; =>This Inner Loop Header: Depth=1
	s_clause 0x3
	buffer_load_dword v94, v87, s[0:3], 0 offen offset:8
	buffer_load_dword v95, v87, s[0:3], 0 offen offset:12
	buffer_load_dword v96, v87, s[0:3], 0 offen
	buffer_load_dword v97, v87, s[0:3], 0 offen offset:4
	ds_read_b128 v[90:93], v86
	v_add_nc_u32_e32 v88, 1, v88
	v_add_nc_u32_e32 v86, 16, v86
	;; [unrolled: 1-line block ×3, first 2 shown]
	v_cmp_lt_u32_e32 vcc_lo, 33, v88
	s_or_b32 s46, vcc_lo, s46
	s_waitcnt vmcnt(2) lgkmcnt(0)
	v_mul_f64 v[98:99], v[92:93], v[94:95]
	v_mul_f64 v[94:95], v[90:91], v[94:95]
	s_waitcnt vmcnt(0)
	v_fma_f64 v[90:91], v[90:91], v[96:97], -v[98:99]
	v_fma_f64 v[92:93], v[92:93], v[96:97], v[94:95]
	v_add_f64 v[1:2], v[1:2], v[90:91]
	v_add_f64 v[3:4], v[3:4], v[92:93]
	s_andn2_b32 exec_lo, exec_lo, s46
	s_cbranch_execnz .LBB102_580
; %bb.581:
	s_or_b32 exec_lo, exec_lo, s46
.LBB102_582:
	s_or_b32 exec_lo, exec_lo, s8
	v_mov_b32_e32 v86, 0
	ds_read_b128 v[90:93], v86 offset:560
	s_waitcnt lgkmcnt(0)
	v_mul_f64 v[86:87], v[3:4], v[92:93]
	v_mul_f64 v[92:93], v[1:2], v[92:93]
	v_fma_f64 v[1:2], v[1:2], v[90:91], -v[86:87]
	v_fma_f64 v[3:4], v[3:4], v[90:91], v[92:93]
	buffer_store_dword v2, off, s[0:3], 0 offset:564
	buffer_store_dword v1, off, s[0:3], 0 offset:560
	;; [unrolled: 1-line block ×4, first 2 shown]
.LBB102_583:
	s_or_b32 exec_lo, exec_lo, s4
	v_mov_b32_e32 v4, s9
	s_mov_b32 s4, exec_lo
	s_clause 0x3
	buffer_load_dword v1, v4, s[0:3], 0 offen
	buffer_load_dword v2, v4, s[0:3], 0 offen offset:4
	buffer_load_dword v3, v4, s[0:3], 0 offen offset:8
	buffer_load_dword v4, v4, s[0:3], 0 offen offset:12
	s_waitcnt vmcnt(0)
	ds_write_b128 v84, v[1:4]
	s_waitcnt lgkmcnt(0)
	s_waitcnt_vscnt null, 0x0
	s_barrier
	buffer_gl0_inv
	v_cmpx_gt_u32_e32 36, v0
	s_cbranch_execz .LBB102_591
; %bb.584:
	ds_read_b128 v[1:4], v84
	v_cmp_ne_u32_e32 vcc_lo, 1, v85
	s_cbranch_vccnz .LBB102_586
; %bb.585:
	s_clause 0x3
	buffer_load_dword v86, v83, s[0:3], 0 offen offset:8
	buffer_load_dword v87, v83, s[0:3], 0 offen offset:12
	buffer_load_dword v90, v83, s[0:3], 0 offen
	buffer_load_dword v91, v83, s[0:3], 0 offen offset:4
	s_waitcnt vmcnt(2) lgkmcnt(0)
	v_mul_f64 v[92:93], v[3:4], v[86:87]
	v_mul_f64 v[86:87], v[1:2], v[86:87]
	s_waitcnt vmcnt(0)
	v_fma_f64 v[1:2], v[1:2], v[90:91], -v[92:93]
	v_fma_f64 v[3:4], v[3:4], v[90:91], v[86:87]
.LBB102_586:
	s_mov_b32 s8, exec_lo
	v_cmpx_ne_u32_e32 35, v0
	s_cbranch_execz .LBB102_590
; %bb.587:
	v_add_nc_u32_e32 v86, 0x280, v89
	v_add3_u32 v87, 0, v89, 16
	v_mov_b32_e32 v88, v0
	s_mov_b32 s46, 0
	.p2align	6
.LBB102_588:                            ; =>This Inner Loop Header: Depth=1
	s_clause 0x3
	buffer_load_dword v94, v87, s[0:3], 0 offen offset:8
	buffer_load_dword v95, v87, s[0:3], 0 offen offset:12
	buffer_load_dword v96, v87, s[0:3], 0 offen
	buffer_load_dword v97, v87, s[0:3], 0 offen offset:4
	ds_read_b128 v[90:93], v86
	v_add_nc_u32_e32 v88, 1, v88
	v_add_nc_u32_e32 v86, 16, v86
	v_add_nc_u32_e32 v87, 16, v87
	v_cmp_lt_u32_e32 vcc_lo, 34, v88
	s_or_b32 s46, vcc_lo, s46
	s_waitcnt vmcnt(2) lgkmcnt(0)
	v_mul_f64 v[98:99], v[92:93], v[94:95]
	v_mul_f64 v[94:95], v[90:91], v[94:95]
	s_waitcnt vmcnt(0)
	v_fma_f64 v[90:91], v[90:91], v[96:97], -v[98:99]
	v_fma_f64 v[92:93], v[92:93], v[96:97], v[94:95]
	v_add_f64 v[1:2], v[1:2], v[90:91]
	v_add_f64 v[3:4], v[3:4], v[92:93]
	s_andn2_b32 exec_lo, exec_lo, s46
	s_cbranch_execnz .LBB102_588
; %bb.589:
	s_or_b32 exec_lo, exec_lo, s46
.LBB102_590:
	s_or_b32 exec_lo, exec_lo, s8
	v_mov_b32_e32 v86, 0
	ds_read_b128 v[90:93], v86 offset:576
	s_waitcnt lgkmcnt(0)
	v_mul_f64 v[86:87], v[3:4], v[92:93]
	v_mul_f64 v[92:93], v[1:2], v[92:93]
	v_fma_f64 v[1:2], v[1:2], v[90:91], -v[86:87]
	v_fma_f64 v[3:4], v[3:4], v[90:91], v[92:93]
	buffer_store_dword v2, off, s[0:3], 0 offset:580
	buffer_store_dword v1, off, s[0:3], 0 offset:576
	;; [unrolled: 1-line block ×4, first 2 shown]
.LBB102_591:
	s_or_b32 exec_lo, exec_lo, s4
	v_mov_b32_e32 v4, s7
	v_cmp_gt_u32_e64 s4, 37, v0
	s_clause 0x3
	buffer_load_dword v1, v4, s[0:3], 0 offen
	buffer_load_dword v2, v4, s[0:3], 0 offen offset:4
	buffer_load_dword v3, v4, s[0:3], 0 offen offset:8
	;; [unrolled: 1-line block ×3, first 2 shown]
	s_waitcnt vmcnt(0)
	ds_write_b128 v84, v[1:4]
	s_waitcnt lgkmcnt(0)
	s_waitcnt_vscnt null, 0x0
	s_barrier
	buffer_gl0_inv
	s_and_saveexec_b32 s8, s4
	s_cbranch_execz .LBB102_599
; %bb.592:
	ds_read_b128 v[1:4], v84
	v_cmp_ne_u32_e32 vcc_lo, 1, v85
	s_cbranch_vccnz .LBB102_594
; %bb.593:
	s_clause 0x3
	buffer_load_dword v86, v83, s[0:3], 0 offen offset:8
	buffer_load_dword v87, v83, s[0:3], 0 offen offset:12
	buffer_load_dword v90, v83, s[0:3], 0 offen
	buffer_load_dword v91, v83, s[0:3], 0 offen offset:4
	s_waitcnt vmcnt(2) lgkmcnt(0)
	v_mul_f64 v[92:93], v[3:4], v[86:87]
	v_mul_f64 v[86:87], v[1:2], v[86:87]
	s_waitcnt vmcnt(0)
	v_fma_f64 v[1:2], v[1:2], v[90:91], -v[92:93]
	v_fma_f64 v[3:4], v[3:4], v[90:91], v[86:87]
.LBB102_594:
	s_mov_b32 s46, exec_lo
	v_cmpx_ne_u32_e32 36, v0
	s_cbranch_execz .LBB102_598
; %bb.595:
	v_add_nc_u32_e32 v86, 0x280, v89
	v_add3_u32 v87, 0, v89, 16
	v_mov_b32_e32 v88, v0
	s_mov_b32 s47, 0
	.p2align	6
.LBB102_596:                            ; =>This Inner Loop Header: Depth=1
	s_clause 0x3
	buffer_load_dword v94, v87, s[0:3], 0 offen offset:8
	buffer_load_dword v95, v87, s[0:3], 0 offen offset:12
	buffer_load_dword v96, v87, s[0:3], 0 offen
	buffer_load_dword v97, v87, s[0:3], 0 offen offset:4
	ds_read_b128 v[90:93], v86
	v_add_nc_u32_e32 v88, 1, v88
	v_add_nc_u32_e32 v86, 16, v86
	;; [unrolled: 1-line block ×3, first 2 shown]
	v_cmp_lt_u32_e32 vcc_lo, 35, v88
	s_or_b32 s47, vcc_lo, s47
	s_waitcnt vmcnt(2) lgkmcnt(0)
	v_mul_f64 v[98:99], v[92:93], v[94:95]
	v_mul_f64 v[94:95], v[90:91], v[94:95]
	s_waitcnt vmcnt(0)
	v_fma_f64 v[90:91], v[90:91], v[96:97], -v[98:99]
	v_fma_f64 v[92:93], v[92:93], v[96:97], v[94:95]
	v_add_f64 v[1:2], v[1:2], v[90:91]
	v_add_f64 v[3:4], v[3:4], v[92:93]
	s_andn2_b32 exec_lo, exec_lo, s47
	s_cbranch_execnz .LBB102_596
; %bb.597:
	s_or_b32 exec_lo, exec_lo, s47
.LBB102_598:
	s_or_b32 exec_lo, exec_lo, s46
	v_mov_b32_e32 v86, 0
	ds_read_b128 v[90:93], v86 offset:592
	s_waitcnt lgkmcnt(0)
	v_mul_f64 v[86:87], v[3:4], v[92:93]
	v_mul_f64 v[92:93], v[1:2], v[92:93]
	v_fma_f64 v[1:2], v[1:2], v[90:91], -v[86:87]
	v_fma_f64 v[3:4], v[3:4], v[90:91], v[92:93]
	buffer_store_dword v2, off, s[0:3], 0 offset:596
	buffer_store_dword v1, off, s[0:3], 0 offset:592
	;; [unrolled: 1-line block ×4, first 2 shown]
.LBB102_599:
	s_or_b32 exec_lo, exec_lo, s8
	v_mov_b32_e32 v4, s6
	s_mov_b32 s8, exec_lo
                                        ; implicit-def: $sgpr48
	s_clause 0x3
	buffer_load_dword v1, v4, s[0:3], 0 offen
	buffer_load_dword v2, v4, s[0:3], 0 offen offset:4
	buffer_load_dword v3, v4, s[0:3], 0 offen offset:8
	;; [unrolled: 1-line block ×3, first 2 shown]
	s_waitcnt vmcnt(0)
	ds_write_b128 v84, v[1:4]
	s_waitcnt lgkmcnt(0)
	s_waitcnt_vscnt null, 0x0
	s_barrier
	buffer_gl0_inv
                                        ; implicit-def: $vgpr1_vgpr2
	v_cmpx_ne_u32_e32 38, v0
	s_cbranch_execz .LBB102_607
; %bb.600:
	ds_read_b128 v[1:4], v84
	v_cmp_ne_u32_e32 vcc_lo, 1, v85
	s_cbranch_vccnz .LBB102_602
; %bb.601:
	s_clause 0x3
	buffer_load_dword v84, v83, s[0:3], 0 offen offset:8
	buffer_load_dword v85, v83, s[0:3], 0 offen offset:12
	buffer_load_dword v86, v83, s[0:3], 0 offen
	buffer_load_dword v87, v83, s[0:3], 0 offen offset:4
	s_waitcnt vmcnt(2) lgkmcnt(0)
	v_mul_f64 v[90:91], v[3:4], v[84:85]
	v_mul_f64 v[83:84], v[1:2], v[84:85]
	s_waitcnt vmcnt(0)
	v_fma_f64 v[1:2], v[1:2], v[86:87], -v[90:91]
	v_fma_f64 v[3:4], v[3:4], v[86:87], v[83:84]
.LBB102_602:
	s_and_saveexec_b32 s46, s4
	s_cbranch_execz .LBB102_606
; %bb.603:
	v_add_nc_u32_e32 v83, 0x280, v89
	v_add3_u32 v84, 0, v89, 16
	s_mov_b32 s4, 0
	.p2align	6
.LBB102_604:                            ; =>This Inner Loop Header: Depth=1
	s_clause 0x3
	buffer_load_dword v89, v84, s[0:3], 0 offen offset:8
	buffer_load_dword v90, v84, s[0:3], 0 offen offset:12
	buffer_load_dword v91, v84, s[0:3], 0 offen
	buffer_load_dword v92, v84, s[0:3], 0 offen offset:4
	ds_read_b128 v[85:88], v83
	v_add_nc_u32_e32 v0, 1, v0
	v_add_nc_u32_e32 v83, 16, v83
	v_add_nc_u32_e32 v84, 16, v84
	v_cmp_lt_u32_e32 vcc_lo, 36, v0
	s_or_b32 s4, vcc_lo, s4
	s_waitcnt vmcnt(2) lgkmcnt(0)
	v_mul_f64 v[93:94], v[87:88], v[89:90]
	v_mul_f64 v[89:90], v[85:86], v[89:90]
	s_waitcnt vmcnt(0)
	v_fma_f64 v[85:86], v[85:86], v[91:92], -v[93:94]
	v_fma_f64 v[87:88], v[87:88], v[91:92], v[89:90]
	v_add_f64 v[1:2], v[1:2], v[85:86]
	v_add_f64 v[3:4], v[3:4], v[87:88]
	s_andn2_b32 exec_lo, exec_lo, s4
	s_cbranch_execnz .LBB102_604
; %bb.605:
	s_or_b32 exec_lo, exec_lo, s4
.LBB102_606:
	s_or_b32 exec_lo, exec_lo, s46
	v_mov_b32_e32 v0, 0
	s_movk_i32 s48, 0x268
	s_or_b32 s5, s5, exec_lo
	ds_read_b128 v[83:86], v0 offset:608
	s_waitcnt lgkmcnt(0)
	v_mul_f64 v[87:88], v[3:4], v[85:86]
	v_mul_f64 v[85:86], v[1:2], v[85:86]
	v_fma_f64 v[87:88], v[1:2], v[83:84], -v[87:88]
	v_fma_f64 v[1:2], v[3:4], v[83:84], v[85:86]
	buffer_store_dword v88, off, s[0:3], 0 offset:612
	buffer_store_dword v87, off, s[0:3], 0 offset:608
.LBB102_607:
	s_or_b32 exec_lo, exec_lo, s8
.LBB102_608:
	s_and_saveexec_b32 s4, s5
	s_cbranch_execz .LBB102_610
; %bb.609:
	v_mov_b32_e32 v0, s48
	buffer_store_dword v2, v0, s[0:3], 0 offen offset:4
	buffer_store_dword v1, v0, s[0:3], 0 offen
.LBB102_610:
	s_or_b32 exec_lo, exec_lo, s4
	s_clause 0x3
	buffer_load_dword v0, off, s[0:3], 0
	buffer_load_dword v1, off, s[0:3], 0 offset:4
	buffer_load_dword v2, off, s[0:3], 0 offset:8
	;; [unrolled: 1-line block ×3, first 2 shown]
	v_mov_b32_e32 v4, s45
	s_waitcnt vmcnt(0)
	flat_store_dwordx4 v[5:6], v[0:3]
	s_clause 0x3
	buffer_load_dword v0, v4, s[0:3], 0 offen
	buffer_load_dword v1, v4, s[0:3], 0 offen offset:4
	buffer_load_dword v2, v4, s[0:3], 0 offen offset:8
	buffer_load_dword v3, v4, s[0:3], 0 offen offset:12
	v_mov_b32_e32 v4, s44
	s_waitcnt vmcnt(0)
	flat_store_dwordx4 v[59:60], v[0:3]
	s_clause 0x3
	buffer_load_dword v0, v4, s[0:3], 0 offen
	buffer_load_dword v1, v4, s[0:3], 0 offen offset:4
	buffer_load_dword v2, v4, s[0:3], 0 offen offset:8
	buffer_load_dword v3, v4, s[0:3], 0 offen offset:12
	;; [unrolled: 8-line block ×38, first 2 shown]
	s_waitcnt vmcnt(0)
	flat_store_dwordx4 v[81:82], v[0:3]
.LBB102_611:
	s_endpgm
	.section	.rodata,"a",@progbits
	.p2align	6, 0x0
	.amdhsa_kernel _ZN9rocsolver6v33100L18trti2_kernel_smallILi39E19rocblas_complex_numIdEPKPS3_EEv13rocblas_fill_17rocblas_diagonal_T1_iil
		.amdhsa_group_segment_fixed_size 1248
		.amdhsa_private_segment_fixed_size 640
		.amdhsa_kernarg_size 32
		.amdhsa_user_sgpr_count 6
		.amdhsa_user_sgpr_private_segment_buffer 1
		.amdhsa_user_sgpr_dispatch_ptr 0
		.amdhsa_user_sgpr_queue_ptr 0
		.amdhsa_user_sgpr_kernarg_segment_ptr 1
		.amdhsa_user_sgpr_dispatch_id 0
		.amdhsa_user_sgpr_flat_scratch_init 0
		.amdhsa_user_sgpr_private_segment_size 0
		.amdhsa_wavefront_size32 1
		.amdhsa_uses_dynamic_stack 0
		.amdhsa_system_sgpr_private_segment_wavefront_offset 1
		.amdhsa_system_sgpr_workgroup_id_x 1
		.amdhsa_system_sgpr_workgroup_id_y 0
		.amdhsa_system_sgpr_workgroup_id_z 0
		.amdhsa_system_sgpr_workgroup_info 0
		.amdhsa_system_vgpr_workitem_id 0
		.amdhsa_next_free_vgpr 100
		.amdhsa_next_free_sgpr 63
		.amdhsa_reserve_vcc 1
		.amdhsa_reserve_flat_scratch 0
		.amdhsa_float_round_mode_32 0
		.amdhsa_float_round_mode_16_64 0
		.amdhsa_float_denorm_mode_32 3
		.amdhsa_float_denorm_mode_16_64 3
		.amdhsa_dx10_clamp 1
		.amdhsa_ieee_mode 1
		.amdhsa_fp16_overflow 0
		.amdhsa_workgroup_processor_mode 1
		.amdhsa_memory_ordered 1
		.amdhsa_forward_progress 1
		.amdhsa_shared_vgpr_count 0
		.amdhsa_exception_fp_ieee_invalid_op 0
		.amdhsa_exception_fp_denorm_src 0
		.amdhsa_exception_fp_ieee_div_zero 0
		.amdhsa_exception_fp_ieee_overflow 0
		.amdhsa_exception_fp_ieee_underflow 0
		.amdhsa_exception_fp_ieee_inexact 0
		.amdhsa_exception_int_div_zero 0
	.end_amdhsa_kernel
	.section	.text._ZN9rocsolver6v33100L18trti2_kernel_smallILi39E19rocblas_complex_numIdEPKPS3_EEv13rocblas_fill_17rocblas_diagonal_T1_iil,"axG",@progbits,_ZN9rocsolver6v33100L18trti2_kernel_smallILi39E19rocblas_complex_numIdEPKPS3_EEv13rocblas_fill_17rocblas_diagonal_T1_iil,comdat
.Lfunc_end102:
	.size	_ZN9rocsolver6v33100L18trti2_kernel_smallILi39E19rocblas_complex_numIdEPKPS3_EEv13rocblas_fill_17rocblas_diagonal_T1_iil, .Lfunc_end102-_ZN9rocsolver6v33100L18trti2_kernel_smallILi39E19rocblas_complex_numIdEPKPS3_EEv13rocblas_fill_17rocblas_diagonal_T1_iil
                                        ; -- End function
	.set _ZN9rocsolver6v33100L18trti2_kernel_smallILi39E19rocblas_complex_numIdEPKPS3_EEv13rocblas_fill_17rocblas_diagonal_T1_iil.num_vgpr, 100
	.set _ZN9rocsolver6v33100L18trti2_kernel_smallILi39E19rocblas_complex_numIdEPKPS3_EEv13rocblas_fill_17rocblas_diagonal_T1_iil.num_agpr, 0
	.set _ZN9rocsolver6v33100L18trti2_kernel_smallILi39E19rocblas_complex_numIdEPKPS3_EEv13rocblas_fill_17rocblas_diagonal_T1_iil.numbered_sgpr, 63
	.set _ZN9rocsolver6v33100L18trti2_kernel_smallILi39E19rocblas_complex_numIdEPKPS3_EEv13rocblas_fill_17rocblas_diagonal_T1_iil.num_named_barrier, 0
	.set _ZN9rocsolver6v33100L18trti2_kernel_smallILi39E19rocblas_complex_numIdEPKPS3_EEv13rocblas_fill_17rocblas_diagonal_T1_iil.private_seg_size, 640
	.set _ZN9rocsolver6v33100L18trti2_kernel_smallILi39E19rocblas_complex_numIdEPKPS3_EEv13rocblas_fill_17rocblas_diagonal_T1_iil.uses_vcc, 1
	.set _ZN9rocsolver6v33100L18trti2_kernel_smallILi39E19rocblas_complex_numIdEPKPS3_EEv13rocblas_fill_17rocblas_diagonal_T1_iil.uses_flat_scratch, 0
	.set _ZN9rocsolver6v33100L18trti2_kernel_smallILi39E19rocblas_complex_numIdEPKPS3_EEv13rocblas_fill_17rocblas_diagonal_T1_iil.has_dyn_sized_stack, 0
	.set _ZN9rocsolver6v33100L18trti2_kernel_smallILi39E19rocblas_complex_numIdEPKPS3_EEv13rocblas_fill_17rocblas_diagonal_T1_iil.has_recursion, 0
	.set _ZN9rocsolver6v33100L18trti2_kernel_smallILi39E19rocblas_complex_numIdEPKPS3_EEv13rocblas_fill_17rocblas_diagonal_T1_iil.has_indirect_call, 0
	.section	.AMDGPU.csdata,"",@progbits
; Kernel info:
; codeLenInByte = 39584
; TotalNumSgprs: 65
; NumVgprs: 100
; ScratchSize: 640
; MemoryBound: 0
; FloatMode: 240
; IeeeMode: 1
; LDSByteSize: 1248 bytes/workgroup (compile time only)
; SGPRBlocks: 0
; VGPRBlocks: 12
; NumSGPRsForWavesPerEU: 65
; NumVGPRsForWavesPerEU: 100
; Occupancy: 9
; WaveLimiterHint : 1
; COMPUTE_PGM_RSRC2:SCRATCH_EN: 1
; COMPUTE_PGM_RSRC2:USER_SGPR: 6
; COMPUTE_PGM_RSRC2:TRAP_HANDLER: 0
; COMPUTE_PGM_RSRC2:TGID_X_EN: 1
; COMPUTE_PGM_RSRC2:TGID_Y_EN: 0
; COMPUTE_PGM_RSRC2:TGID_Z_EN: 0
; COMPUTE_PGM_RSRC2:TIDIG_COMP_CNT: 0
	.section	.text._ZN9rocsolver6v33100L18trti2_kernel_smallILi40E19rocblas_complex_numIdEPKPS3_EEv13rocblas_fill_17rocblas_diagonal_T1_iil,"axG",@progbits,_ZN9rocsolver6v33100L18trti2_kernel_smallILi40E19rocblas_complex_numIdEPKPS3_EEv13rocblas_fill_17rocblas_diagonal_T1_iil,comdat
	.globl	_ZN9rocsolver6v33100L18trti2_kernel_smallILi40E19rocblas_complex_numIdEPKPS3_EEv13rocblas_fill_17rocblas_diagonal_T1_iil ; -- Begin function _ZN9rocsolver6v33100L18trti2_kernel_smallILi40E19rocblas_complex_numIdEPKPS3_EEv13rocblas_fill_17rocblas_diagonal_T1_iil
	.p2align	8
	.type	_ZN9rocsolver6v33100L18trti2_kernel_smallILi40E19rocblas_complex_numIdEPKPS3_EEv13rocblas_fill_17rocblas_diagonal_T1_iil,@function
_ZN9rocsolver6v33100L18trti2_kernel_smallILi40E19rocblas_complex_numIdEPKPS3_EEv13rocblas_fill_17rocblas_diagonal_T1_iil: ; @_ZN9rocsolver6v33100L18trti2_kernel_smallILi40E19rocblas_complex_numIdEPKPS3_EEv13rocblas_fill_17rocblas_diagonal_T1_iil
; %bb.0:
	s_add_u32 s0, s0, s7
	s_addc_u32 s1, s1, 0
	s_mov_b32 s7, exec_lo
	v_cmpx_gt_u32_e32 40, v0
	s_cbranch_execz .LBB103_627
; %bb.1:
	s_clause 0x1
	s_load_dwordx2 s[12:13], s[4:5], 0x10
	s_load_dwordx4 s[8:11], s[4:5], 0x0
	s_ashr_i32 s7, s6, 31
	v_lshlrev_b32_e32 v91, 4, v0
	s_lshl_b64 s[4:5], s[6:7], 3
	s_movk_i32 s14, 0xd0
	s_movk_i32 s15, 0xe0
	;; [unrolled: 1-line block ×15, first 2 shown]
	s_waitcnt lgkmcnt(0)
	s_ashr_i32 s7, s12, 31
	s_add_u32 s4, s10, s4
	s_addc_u32 s5, s11, s5
	s_mov_b32 s6, s12
	s_load_dwordx2 s[4:5], s[4:5], 0x0
	s_lshl_b64 s[6:7], s[6:7], 4
	v_add3_u32 v7, s13, s13, v0
	s_movk_i32 s10, 0x90
	s_movk_i32 s11, 0xa0
	;; [unrolled: 1-line block ×4, first 2 shown]
	v_ashrrev_i32_e32 v8, 31, v7
	s_movk_i32 s54, 0x1d0
	s_movk_i32 s55, 0x1e0
	;; [unrolled: 1-line block ×4, first 2 shown]
	v_lshlrev_b64 v[8:9], 4, v[7:8]
	v_add_nc_u32_e32 v7, s13, v7
	s_movk_i32 s58, 0x210
	s_movk_i32 s59, 0x220
	;; [unrolled: 1-line block ×6, first 2 shown]
	s_waitcnt lgkmcnt(0)
	s_add_u32 s6, s4, s6
	s_addc_u32 s7, s5, s7
	v_add_co_u32 v5, s4, s6, v91
	v_add_co_ci_u32_e64 v6, null, s7, 0, s4
	s_mov_b32 s4, s13
	s_ashr_i32 s5, s13, 31
	s_movk_i32 s64, 0x270
	flat_load_dwordx4 v[1:4], v[5:6]
	s_lshl_b64 s[4:5], s[4:5], 4
	s_cmpk_lg_i32 s9, 0x84
	v_add_co_u32 v59, vcc_lo, v5, s4
	v_add_co_ci_u32_e64 v60, null, s5, v6, vcc_lo
	v_add_co_u32 v57, vcc_lo, s6, v8
	v_add_co_ci_u32_e64 v58, null, s7, v9, vcc_lo
	v_ashrrev_i32_e32 v8, 31, v7
	s_movk_i32 s4, 0x50
	s_movk_i32 s5, 0x60
	s_cselect_b32 s48, -1, 0
	s_cmpk_eq_i32 s9, 0x84
	v_lshlrev_b64 v[8:9], 4, v[7:8]
	v_add_nc_u32_e32 v7, s13, v7
	s_waitcnt vmcnt(0) lgkmcnt(0)
	buffer_store_dword v4, off, s[0:3], 0 offset:12
	buffer_store_dword v3, off, s[0:3], 0 offset:8
	;; [unrolled: 1-line block ×3, first 2 shown]
	buffer_store_dword v1, off, s[0:3], 0
	flat_load_dwordx4 v[1:4], v[59:60]
	v_add_co_u32 v55, vcc_lo, s6, v8
	v_add_co_ci_u32_e64 v56, null, s7, v9, vcc_lo
	v_ashrrev_i32_e32 v8, 31, v7
	s_waitcnt vmcnt(0) lgkmcnt(0)
	buffer_store_dword v4, off, s[0:3], 0 offset:28
	buffer_store_dword v3, off, s[0:3], 0 offset:24
	;; [unrolled: 1-line block ×4, first 2 shown]
	flat_load_dwordx4 v[1:4], v[57:58]
	v_lshlrev_b64 v[8:9], 4, v[7:8]
	v_add_nc_u32_e32 v7, s13, v7
	s_waitcnt vmcnt(0) lgkmcnt(0)
	buffer_store_dword v4, off, s[0:3], 0 offset:44
	buffer_store_dword v3, off, s[0:3], 0 offset:40
	;; [unrolled: 1-line block ×4, first 2 shown]
	flat_load_dwordx4 v[1:4], v[55:56]
	v_add_co_u32 v53, vcc_lo, s6, v8
	v_add_co_ci_u32_e64 v54, null, s7, v9, vcc_lo
	v_ashrrev_i32_e32 v8, 31, v7
	s_waitcnt vmcnt(0) lgkmcnt(0)
	buffer_store_dword v4, off, s[0:3], 0 offset:60
	buffer_store_dword v3, off, s[0:3], 0 offset:56
	;; [unrolled: 1-line block ×4, first 2 shown]
	flat_load_dwordx4 v[1:4], v[53:54]
	v_lshlrev_b64 v[8:9], 4, v[7:8]
	v_add_nc_u32_e32 v7, s13, v7
	s_waitcnt vmcnt(0) lgkmcnt(0)
	buffer_store_dword v4, off, s[0:3], 0 offset:76
	buffer_store_dword v3, off, s[0:3], 0 offset:72
	buffer_store_dword v2, off, s[0:3], 0 offset:68
	buffer_store_dword v1, off, s[0:3], 0 offset:64
	v_add_co_u32 v49, vcc_lo, s6, v8
	v_add_co_ci_u32_e64 v50, null, s7, v9, vcc_lo
	v_ashrrev_i32_e32 v8, 31, v7
	flat_load_dwordx4 v[1:4], v[49:50]
	s_waitcnt vmcnt(0) lgkmcnt(0)
	buffer_store_dword v4, off, s[0:3], 0 offset:92
	buffer_store_dword v3, off, s[0:3], 0 offset:88
	buffer_store_dword v2, off, s[0:3], 0 offset:84
	buffer_store_dword v1, off, s[0:3], 0 offset:80
	v_lshlrev_b64 v[8:9], 4, v[7:8]
	v_add_nc_u32_e32 v7, s13, v7
	v_add_co_u32 v47, vcc_lo, s6, v8
	v_add_co_ci_u32_e64 v48, null, s7, v9, vcc_lo
	v_ashrrev_i32_e32 v8, 31, v7
	flat_load_dwordx4 v[1:4], v[47:48]
	s_waitcnt vmcnt(0) lgkmcnt(0)
	buffer_store_dword v4, off, s[0:3], 0 offset:108
	buffer_store_dword v3, off, s[0:3], 0 offset:104
	buffer_store_dword v2, off, s[0:3], 0 offset:100
	buffer_store_dword v1, off, s[0:3], 0 offset:96
	v_lshlrev_b64 v[8:9], 4, v[7:8]
	v_add_nc_u32_e32 v7, s13, v7
	;; [unrolled: 11-line block ×18, first 2 shown]
	v_add_co_u32 v11, vcc_lo, s6, v8
	v_add_co_ci_u32_e64 v12, null, s7, v9, vcc_lo
	v_ashrrev_i32_e32 v8, 31, v7
	v_add_nc_u32_e32 v33, s13, v7
	flat_load_dwordx4 v[1:4], v[11:12]
	s_waitcnt vmcnt(0) lgkmcnt(0)
	buffer_store_dword v4, off, s[0:3], 0 offset:380
	buffer_store_dword v3, off, s[0:3], 0 offset:376
	;; [unrolled: 1-line block ×4, first 2 shown]
	v_lshlrev_b64 v[9:10], 4, v[7:8]
	v_ashrrev_i32_e32 v34, 31, v33
	v_add_nc_u32_e32 v51, s13, v33
	v_add_co_u32 v9, vcc_lo, s6, v9
	v_add_co_ci_u32_e64 v10, null, s7, v10, vcc_lo
	v_lshlrev_b64 v[7:8], 4, v[33:34]
	v_ashrrev_i32_e32 v52, 31, v51
	v_add_nc_u32_e32 v61, s13, v51
	flat_load_dwordx4 v[1:4], v[9:10]
	s_waitcnt vmcnt(0) lgkmcnt(0)
	buffer_store_dword v4, off, s[0:3], 0 offset:396
	buffer_store_dword v3, off, s[0:3], 0 offset:392
	buffer_store_dword v2, off, s[0:3], 0 offset:388
	buffer_store_dword v1, off, s[0:3], 0 offset:384
	v_add_co_u32 v7, vcc_lo, s6, v7
	v_add_co_ci_u32_e64 v8, null, s7, v8, vcc_lo
	v_lshlrev_b64 v[33:34], 4, v[51:52]
	v_ashrrev_i32_e32 v62, 31, v61
	v_add_nc_u32_e32 v63, s13, v61
	flat_load_dwordx4 v[1:4], v[7:8]
	s_waitcnt vmcnt(0) lgkmcnt(0)
	buffer_store_dword v4, off, s[0:3], 0 offset:412
	buffer_store_dword v3, off, s[0:3], 0 offset:408
	buffer_store_dword v2, off, s[0:3], 0 offset:404
	buffer_store_dword v1, off, s[0:3], 0 offset:400
	;; [unrolled: 11-line block ×12, first 2 shown]
	v_add_co_u32 v77, vcc_lo, s6, v77
	v_add_co_ci_u32_e64 v78, null, s7, v78, vcc_lo
	v_lshlrev_b64 v[79:80], 4, v[81:82]
	v_ashrrev_i32_e32 v84, 31, v83
	flat_load_dwordx4 v[1:4], v[77:78]
	s_waitcnt vmcnt(0) lgkmcnt(0)
	buffer_store_dword v4, off, s[0:3], 0 offset:588
	buffer_store_dword v3, off, s[0:3], 0 offset:584
	;; [unrolled: 1-line block ×4, first 2 shown]
	v_add_co_u32 v79, vcc_lo, s6, v79
	v_add_co_ci_u32_e64 v80, null, s7, v80, vcc_lo
	v_lshlrev_b64 v[81:82], 4, v[83:84]
	v_add_nc_u32_e32 v83, s13, v83
	s_movk_i32 s13, 0xc0
	flat_load_dwordx4 v[1:4], v[79:80]
	s_waitcnt vmcnt(0) lgkmcnt(0)
	buffer_store_dword v4, off, s[0:3], 0 offset:604
	buffer_store_dword v3, off, s[0:3], 0 offset:600
	;; [unrolled: 1-line block ×4, first 2 shown]
	v_add_co_u32 v81, vcc_lo, s6, v81
	v_add_co_ci_u32_e64 v82, null, s7, v82, vcc_lo
	v_ashrrev_i32_e32 v84, 31, v83
	flat_load_dwordx4 v[1:4], v[81:82]
	s_waitcnt vmcnt(0) lgkmcnt(0)
	buffer_store_dword v4, off, s[0:3], 0 offset:620
	buffer_store_dword v3, off, s[0:3], 0 offset:616
	;; [unrolled: 1-line block ×4, first 2 shown]
	v_lshlrev_b64 v[83:84], 4, v[83:84]
	v_add_co_u32 v83, vcc_lo, s6, v83
	v_add_co_ci_u32_e64 v84, null, s7, v84, vcc_lo
	s_movk_i32 s6, 0x70
	s_movk_i32 s7, 0x80
	flat_load_dwordx4 v[1:4], v[83:84]
	s_waitcnt vmcnt(0) lgkmcnt(0)
	buffer_store_dword v4, off, s[0:3], 0 offset:636
	buffer_store_dword v3, off, s[0:3], 0 offset:632
	;; [unrolled: 1-line block ×4, first 2 shown]
	s_cbranch_scc1 .LBB103_7
; %bb.2:
	v_lshl_add_u32 v92, v0, 4, 0
                                        ; implicit-def: $vgpr87_vgpr88
                                        ; implicit-def: $vgpr3_vgpr4
	s_clause 0x3
	buffer_load_dword v85, v92, s[0:3], 0 offen
	buffer_load_dword v86, v92, s[0:3], 0 offen offset:4
	buffer_load_dword v89, v92, s[0:3], 0 offen offset:8
	;; [unrolled: 1-line block ×3, first 2 shown]
	s_waitcnt vmcnt(0)
	v_cmp_ngt_f64_e64 s9, |v[85:86]|, |v[89:90]|
	s_and_saveexec_b32 s25, s9
	s_xor_b32 s9, exec_lo, s25
	s_cbranch_execz .LBB103_4
; %bb.3:
	v_div_scale_f64 v[1:2], null, v[89:90], v[89:90], v[85:86]
	v_div_scale_f64 v[93:94], vcc_lo, v[85:86], v[89:90], v[85:86]
	v_rcp_f64_e32 v[3:4], v[1:2]
	v_fma_f64 v[87:88], -v[1:2], v[3:4], 1.0
	v_fma_f64 v[3:4], v[3:4], v[87:88], v[3:4]
	v_fma_f64 v[87:88], -v[1:2], v[3:4], 1.0
	v_fma_f64 v[3:4], v[3:4], v[87:88], v[3:4]
	v_mul_f64 v[87:88], v[93:94], v[3:4]
	v_fma_f64 v[1:2], -v[1:2], v[87:88], v[93:94]
	v_div_fmas_f64 v[1:2], v[1:2], v[3:4], v[87:88]
	v_div_fixup_f64 v[1:2], v[1:2], v[89:90], v[85:86]
	v_fma_f64 v[3:4], v[85:86], v[1:2], v[89:90]
	v_div_scale_f64 v[85:86], null, v[3:4], v[3:4], 1.0
	v_div_scale_f64 v[93:94], vcc_lo, 1.0, v[3:4], 1.0
	v_rcp_f64_e32 v[87:88], v[85:86]
	v_fma_f64 v[89:90], -v[85:86], v[87:88], 1.0
	v_fma_f64 v[87:88], v[87:88], v[89:90], v[87:88]
	v_fma_f64 v[89:90], -v[85:86], v[87:88], 1.0
	v_fma_f64 v[87:88], v[87:88], v[89:90], v[87:88]
	v_mul_f64 v[89:90], v[93:94], v[87:88]
	v_fma_f64 v[85:86], -v[85:86], v[89:90], v[93:94]
	v_div_fmas_f64 v[85:86], v[85:86], v[87:88], v[89:90]
                                        ; implicit-def: $vgpr89_vgpr90
	v_div_fixup_f64 v[3:4], v[85:86], v[3:4], 1.0
                                        ; implicit-def: $vgpr85_vgpr86
	v_mul_f64 v[87:88], v[1:2], v[3:4]
	v_xor_b32_e32 v4, 0x80000000, v4
	v_xor_b32_e32 v2, 0x80000000, v88
	v_mov_b32_e32 v1, v87
.LBB103_4:
	s_andn2_saveexec_b32 s9, s9
	s_cbranch_execz .LBB103_6
; %bb.5:
	v_div_scale_f64 v[1:2], null, v[85:86], v[85:86], v[89:90]
	v_div_scale_f64 v[93:94], vcc_lo, v[89:90], v[85:86], v[89:90]
	v_rcp_f64_e32 v[3:4], v[1:2]
	v_fma_f64 v[87:88], -v[1:2], v[3:4], 1.0
	v_fma_f64 v[3:4], v[3:4], v[87:88], v[3:4]
	v_fma_f64 v[87:88], -v[1:2], v[3:4], 1.0
	v_fma_f64 v[3:4], v[3:4], v[87:88], v[3:4]
	v_mul_f64 v[87:88], v[93:94], v[3:4]
	v_fma_f64 v[1:2], -v[1:2], v[87:88], v[93:94]
	v_div_fmas_f64 v[1:2], v[1:2], v[3:4], v[87:88]
	v_div_fixup_f64 v[1:2], v[1:2], v[85:86], v[89:90]
	v_fma_f64 v[3:4], v[89:90], v[1:2], v[85:86]
	v_div_scale_f64 v[85:86], null, v[3:4], v[3:4], 1.0
	v_rcp_f64_e32 v[87:88], v[85:86]
	v_fma_f64 v[89:90], -v[85:86], v[87:88], 1.0
	v_fma_f64 v[87:88], v[87:88], v[89:90], v[87:88]
	v_fma_f64 v[89:90], -v[85:86], v[87:88], 1.0
	v_fma_f64 v[87:88], v[87:88], v[89:90], v[87:88]
	v_div_scale_f64 v[89:90], vcc_lo, 1.0, v[3:4], 1.0
	v_mul_f64 v[93:94], v[89:90], v[87:88]
	v_fma_f64 v[85:86], -v[85:86], v[93:94], v[89:90]
	v_div_fmas_f64 v[85:86], v[85:86], v[87:88], v[93:94]
	v_div_fixup_f64 v[87:88], v[85:86], v[3:4], 1.0
	v_mul_f64 v[3:4], v[1:2], -v[87:88]
	v_xor_b32_e32 v2, 0x80000000, v88
	v_mov_b32_e32 v1, v87
.LBB103_6:
	s_or_b32 exec_lo, exec_lo, s9
	buffer_store_dword v4, v92, s[0:3], 0 offen offset:12
	v_xor_b32_e32 v4, 0x80000000, v4
	buffer_store_dword v88, v92, s[0:3], 0 offen offset:4
	buffer_store_dword v87, v92, s[0:3], 0 offen
	buffer_store_dword v3, v92, s[0:3], 0 offen offset:8
	s_branch .LBB103_8
.LBB103_7:
	v_mov_b32_e32 v1, 0
	v_mov_b32_e32 v3, 0
	;; [unrolled: 1-line block ×4, first 2 shown]
.LBB103_8:
	v_add_nc_u32_e32 v86, 0x280, v91
	v_mov_b32_e32 v85, v91
	s_mov_b32 s47, 16
	s_mov_b32 s46, 32
	;; [unrolled: 1-line block ×38, first 2 shown]
	s_cmpk_eq_i32 s8, 0x79
	ds_write_b128 v91, v[1:4]
	s_cbranch_scc1 .LBB103_316
; %bb.9:
	v_mov_b32_e32 v4, s9
	v_cmp_eq_u32_e64 s4, 39, v0
	s_clause 0x3
	buffer_load_dword v1, v4, s[0:3], 0 offen
	buffer_load_dword v2, v4, s[0:3], 0 offen offset:4
	buffer_load_dword v3, v4, s[0:3], 0 offen offset:8
	;; [unrolled: 1-line block ×3, first 2 shown]
	s_waitcnt vmcnt(0)
	ds_write_b128 v86, v[1:4]
	s_waitcnt lgkmcnt(0)
	s_waitcnt_vscnt null, 0x0
	s_barrier
	buffer_gl0_inv
	s_and_saveexec_b32 s5, s4
	s_cbranch_execz .LBB103_13
; %bb.10:
	ds_read_b128 v[1:4], v86
	s_andn2_b32 vcc_lo, exec_lo, s48
	s_cbranch_vccnz .LBB103_12
; %bb.11:
	s_clause 0x3
	buffer_load_dword v87, v85, s[0:3], 0 offen offset:8
	buffer_load_dword v88, v85, s[0:3], 0 offen offset:12
	buffer_load_dword v89, v85, s[0:3], 0 offen
	buffer_load_dword v90, v85, s[0:3], 0 offen offset:4
	s_waitcnt vmcnt(2) lgkmcnt(0)
	v_mul_f64 v[92:93], v[3:4], v[87:88]
	v_mul_f64 v[87:88], v[1:2], v[87:88]
	s_waitcnt vmcnt(0)
	v_fma_f64 v[1:2], v[1:2], v[89:90], -v[92:93]
	v_fma_f64 v[3:4], v[3:4], v[89:90], v[87:88]
.LBB103_12:
	v_mov_b32_e32 v87, 0
	ds_read_b128 v[87:90], v87 offset:608
	s_waitcnt lgkmcnt(0)
	v_mul_f64 v[92:93], v[3:4], v[89:90]
	v_mul_f64 v[89:90], v[1:2], v[89:90]
	v_fma_f64 v[1:2], v[1:2], v[87:88], -v[92:93]
	v_fma_f64 v[3:4], v[3:4], v[87:88], v[89:90]
	buffer_store_dword v2, off, s[0:3], 0 offset:612
	buffer_store_dword v1, off, s[0:3], 0 offset:608
	;; [unrolled: 1-line block ×4, first 2 shown]
.LBB103_13:
	s_or_b32 exec_lo, exec_lo, s5
	v_mov_b32_e32 v4, s10
	v_cmp_lt_u32_e64 s5, 37, v0
	s_clause 0x3
	buffer_load_dword v1, v4, s[0:3], 0 offen
	buffer_load_dword v2, v4, s[0:3], 0 offen offset:4
	buffer_load_dword v3, v4, s[0:3], 0 offen offset:8
	;; [unrolled: 1-line block ×3, first 2 shown]
	s_waitcnt vmcnt(0)
	ds_write_b128 v86, v[1:4]
	s_waitcnt lgkmcnt(0)
	s_waitcnt_vscnt null, 0x0
	s_barrier
	buffer_gl0_inv
	s_and_saveexec_b32 s6, s5
	s_cbranch_execz .LBB103_19
; %bb.14:
	ds_read_b128 v[1:4], v86
	s_andn2_b32 vcc_lo, exec_lo, s48
	s_cbranch_vccnz .LBB103_16
; %bb.15:
	s_clause 0x3
	buffer_load_dword v87, v85, s[0:3], 0 offen offset:8
	buffer_load_dword v88, v85, s[0:3], 0 offen offset:12
	buffer_load_dword v89, v85, s[0:3], 0 offen
	buffer_load_dword v90, v85, s[0:3], 0 offen offset:4
	s_waitcnt vmcnt(2) lgkmcnt(0)
	v_mul_f64 v[92:93], v[3:4], v[87:88]
	v_mul_f64 v[87:88], v[1:2], v[87:88]
	s_waitcnt vmcnt(0)
	v_fma_f64 v[1:2], v[1:2], v[89:90], -v[92:93]
	v_fma_f64 v[3:4], v[3:4], v[89:90], v[87:88]
.LBB103_16:
	s_and_saveexec_b32 s8, s4
	s_cbranch_execz .LBB103_18
; %bb.17:
	s_clause 0x3
	buffer_load_dword v92, off, s[0:3], 0 offset:616
	buffer_load_dword v93, off, s[0:3], 0 offset:620
	buffer_load_dword v94, off, s[0:3], 0 offset:608
	buffer_load_dword v95, off, s[0:3], 0 offset:612
	v_mov_b32_e32 v87, 0
	ds_read_b128 v[87:90], v87 offset:1248
	s_waitcnt vmcnt(2) lgkmcnt(0)
	v_mul_f64 v[96:97], v[87:88], v[92:93]
	v_mul_f64 v[92:93], v[89:90], v[92:93]
	s_waitcnt vmcnt(0)
	v_fma_f64 v[89:90], v[89:90], v[94:95], v[96:97]
	v_fma_f64 v[87:88], v[87:88], v[94:95], -v[92:93]
	v_add_f64 v[3:4], v[3:4], v[89:90]
	v_add_f64 v[1:2], v[1:2], v[87:88]
.LBB103_18:
	s_or_b32 exec_lo, exec_lo, s8
	v_mov_b32_e32 v87, 0
	ds_read_b128 v[87:90], v87 offset:592
	s_waitcnt lgkmcnt(0)
	v_mul_f64 v[92:93], v[3:4], v[89:90]
	v_mul_f64 v[89:90], v[1:2], v[89:90]
	v_fma_f64 v[1:2], v[1:2], v[87:88], -v[92:93]
	v_fma_f64 v[3:4], v[3:4], v[87:88], v[89:90]
	buffer_store_dword v2, off, s[0:3], 0 offset:596
	buffer_store_dword v1, off, s[0:3], 0 offset:592
	;; [unrolled: 1-line block ×4, first 2 shown]
.LBB103_19:
	s_or_b32 exec_lo, exec_lo, s6
	v_mov_b32_e32 v4, s11
	v_cmp_lt_u32_e64 s4, 36, v0
	s_clause 0x3
	buffer_load_dword v1, v4, s[0:3], 0 offen
	buffer_load_dword v2, v4, s[0:3], 0 offen offset:4
	buffer_load_dword v3, v4, s[0:3], 0 offen offset:8
	;; [unrolled: 1-line block ×3, first 2 shown]
	s_waitcnt vmcnt(0)
	ds_write_b128 v86, v[1:4]
	s_waitcnt lgkmcnt(0)
	s_waitcnt_vscnt null, 0x0
	s_barrier
	buffer_gl0_inv
	s_and_saveexec_b32 s6, s4
	s_cbranch_execz .LBB103_27
; %bb.20:
	ds_read_b128 v[1:4], v86
	s_andn2_b32 vcc_lo, exec_lo, s48
	s_cbranch_vccnz .LBB103_22
; %bb.21:
	s_clause 0x3
	buffer_load_dword v87, v85, s[0:3], 0 offen offset:8
	buffer_load_dword v88, v85, s[0:3], 0 offen offset:12
	buffer_load_dword v89, v85, s[0:3], 0 offen
	buffer_load_dword v90, v85, s[0:3], 0 offen offset:4
	s_waitcnt vmcnt(2) lgkmcnt(0)
	v_mul_f64 v[92:93], v[3:4], v[87:88]
	v_mul_f64 v[87:88], v[1:2], v[87:88]
	s_waitcnt vmcnt(0)
	v_fma_f64 v[1:2], v[1:2], v[89:90], -v[92:93]
	v_fma_f64 v[3:4], v[3:4], v[89:90], v[87:88]
.LBB103_22:
	s_and_saveexec_b32 s8, s5
	s_cbranch_execz .LBB103_26
; %bb.23:
	v_subrev_nc_u32_e32 v87, 37, v0
	s_movk_i32 s49, 0x4d0
	s_mov_b32 s5, 0
	s_mov_b32 s50, s10
	.p2align	6
.LBB103_24:                             ; =>This Inner Loop Header: Depth=1
	v_mov_b32_e32 v90, s50
	v_add_nc_u32_e32 v87, -1, v87
	s_add_i32 s50, s50, 16
	s_clause 0x3
	buffer_load_dword v88, v90, s[0:3], 0 offen offset:8
	buffer_load_dword v89, v90, s[0:3], 0 offen offset:12
	buffer_load_dword v96, v90, s[0:3], 0 offen
	buffer_load_dword v97, v90, s[0:3], 0 offen offset:4
	v_mov_b32_e32 v90, s49
	v_cmp_eq_u32_e32 vcc_lo, 0, v87
	s_add_i32 s49, s49, 16
	ds_read_b128 v[92:95], v90
	s_or_b32 s5, vcc_lo, s5
	s_waitcnt vmcnt(2) lgkmcnt(0)
	v_mul_f64 v[98:99], v[94:95], v[88:89]
	v_mul_f64 v[88:89], v[92:93], v[88:89]
	s_waitcnt vmcnt(0)
	v_fma_f64 v[92:93], v[92:93], v[96:97], -v[98:99]
	v_fma_f64 v[88:89], v[94:95], v[96:97], v[88:89]
	v_add_f64 v[1:2], v[1:2], v[92:93]
	v_add_f64 v[3:4], v[3:4], v[88:89]
	s_andn2_b32 exec_lo, exec_lo, s5
	s_cbranch_execnz .LBB103_24
; %bb.25:
	s_or_b32 exec_lo, exec_lo, s5
.LBB103_26:
	s_or_b32 exec_lo, exec_lo, s8
	v_mov_b32_e32 v87, 0
	ds_read_b128 v[87:90], v87 offset:576
	s_waitcnt lgkmcnt(0)
	v_mul_f64 v[92:93], v[3:4], v[89:90]
	v_mul_f64 v[89:90], v[1:2], v[89:90]
	v_fma_f64 v[1:2], v[1:2], v[87:88], -v[92:93]
	v_fma_f64 v[3:4], v[3:4], v[87:88], v[89:90]
	buffer_store_dword v2, off, s[0:3], 0 offset:580
	buffer_store_dword v1, off, s[0:3], 0 offset:576
	;; [unrolled: 1-line block ×4, first 2 shown]
.LBB103_27:
	s_or_b32 exec_lo, exec_lo, s6
	v_mov_b32_e32 v4, s12
	v_cmp_lt_u32_e64 s5, 35, v0
	s_clause 0x3
	buffer_load_dword v1, v4, s[0:3], 0 offen
	buffer_load_dword v2, v4, s[0:3], 0 offen offset:4
	buffer_load_dword v3, v4, s[0:3], 0 offen offset:8
	;; [unrolled: 1-line block ×3, first 2 shown]
	s_waitcnt vmcnt(0)
	ds_write_b128 v86, v[1:4]
	s_waitcnt lgkmcnt(0)
	s_waitcnt_vscnt null, 0x0
	s_barrier
	buffer_gl0_inv
	s_and_saveexec_b32 s6, s5
	s_cbranch_execz .LBB103_35
; %bb.28:
	ds_read_b128 v[1:4], v86
	s_andn2_b32 vcc_lo, exec_lo, s48
	s_cbranch_vccnz .LBB103_30
; %bb.29:
	s_clause 0x3
	buffer_load_dword v87, v85, s[0:3], 0 offen offset:8
	buffer_load_dword v88, v85, s[0:3], 0 offen offset:12
	buffer_load_dword v89, v85, s[0:3], 0 offen
	buffer_load_dword v90, v85, s[0:3], 0 offen offset:4
	s_waitcnt vmcnt(2) lgkmcnt(0)
	v_mul_f64 v[92:93], v[3:4], v[87:88]
	v_mul_f64 v[87:88], v[1:2], v[87:88]
	s_waitcnt vmcnt(0)
	v_fma_f64 v[1:2], v[1:2], v[89:90], -v[92:93]
	v_fma_f64 v[3:4], v[3:4], v[89:90], v[87:88]
.LBB103_30:
	s_and_saveexec_b32 s8, s4
	s_cbranch_execz .LBB103_34
; %bb.31:
	v_subrev_nc_u32_e32 v87, 36, v0
	s_movk_i32 s49, 0x4c0
	s_mov_b32 s4, 0
	s_mov_b32 s50, s11
	.p2align	6
.LBB103_32:                             ; =>This Inner Loop Header: Depth=1
	v_mov_b32_e32 v90, s50
	v_add_nc_u32_e32 v87, -1, v87
	s_add_i32 s50, s50, 16
	s_clause 0x3
	buffer_load_dword v88, v90, s[0:3], 0 offen offset:8
	buffer_load_dword v89, v90, s[0:3], 0 offen offset:12
	buffer_load_dword v96, v90, s[0:3], 0 offen
	buffer_load_dword v97, v90, s[0:3], 0 offen offset:4
	v_mov_b32_e32 v90, s49
	v_cmp_eq_u32_e32 vcc_lo, 0, v87
	s_add_i32 s49, s49, 16
	ds_read_b128 v[92:95], v90
	s_or_b32 s4, vcc_lo, s4
	s_waitcnt vmcnt(2) lgkmcnt(0)
	v_mul_f64 v[98:99], v[94:95], v[88:89]
	v_mul_f64 v[88:89], v[92:93], v[88:89]
	s_waitcnt vmcnt(0)
	v_fma_f64 v[92:93], v[92:93], v[96:97], -v[98:99]
	v_fma_f64 v[88:89], v[94:95], v[96:97], v[88:89]
	v_add_f64 v[1:2], v[1:2], v[92:93]
	v_add_f64 v[3:4], v[3:4], v[88:89]
	s_andn2_b32 exec_lo, exec_lo, s4
	s_cbranch_execnz .LBB103_32
; %bb.33:
	s_or_b32 exec_lo, exec_lo, s4
.LBB103_34:
	s_or_b32 exec_lo, exec_lo, s8
	v_mov_b32_e32 v87, 0
	ds_read_b128 v[87:90], v87 offset:560
	s_waitcnt lgkmcnt(0)
	v_mul_f64 v[92:93], v[3:4], v[89:90]
	v_mul_f64 v[89:90], v[1:2], v[89:90]
	v_fma_f64 v[1:2], v[1:2], v[87:88], -v[92:93]
	v_fma_f64 v[3:4], v[3:4], v[87:88], v[89:90]
	buffer_store_dword v2, off, s[0:3], 0 offset:564
	buffer_store_dword v1, off, s[0:3], 0 offset:560
	;; [unrolled: 1-line block ×4, first 2 shown]
.LBB103_35:
	s_or_b32 exec_lo, exec_lo, s6
	v_mov_b32_e32 v4, s13
	v_cmp_lt_u32_e64 s4, 34, v0
	s_clause 0x3
	buffer_load_dword v1, v4, s[0:3], 0 offen
	buffer_load_dword v2, v4, s[0:3], 0 offen offset:4
	buffer_load_dword v3, v4, s[0:3], 0 offen offset:8
	;; [unrolled: 1-line block ×3, first 2 shown]
	s_waitcnt vmcnt(0)
	ds_write_b128 v86, v[1:4]
	s_waitcnt lgkmcnt(0)
	s_waitcnt_vscnt null, 0x0
	s_barrier
	buffer_gl0_inv
	s_and_saveexec_b32 s6, s4
	s_cbranch_execz .LBB103_43
; %bb.36:
	ds_read_b128 v[1:4], v86
	s_andn2_b32 vcc_lo, exec_lo, s48
	s_cbranch_vccnz .LBB103_38
; %bb.37:
	s_clause 0x3
	buffer_load_dword v87, v85, s[0:3], 0 offen offset:8
	buffer_load_dword v88, v85, s[0:3], 0 offen offset:12
	buffer_load_dword v89, v85, s[0:3], 0 offen
	buffer_load_dword v90, v85, s[0:3], 0 offen offset:4
	s_waitcnt vmcnt(2) lgkmcnt(0)
	v_mul_f64 v[92:93], v[3:4], v[87:88]
	v_mul_f64 v[87:88], v[1:2], v[87:88]
	s_waitcnt vmcnt(0)
	v_fma_f64 v[1:2], v[1:2], v[89:90], -v[92:93]
	v_fma_f64 v[3:4], v[3:4], v[89:90], v[87:88]
.LBB103_38:
	s_and_saveexec_b32 s8, s5
	s_cbranch_execz .LBB103_42
; %bb.39:
	v_subrev_nc_u32_e32 v87, 35, v0
	s_movk_i32 s49, 0x4b0
	s_mov_b32 s5, 0
	s_mov_b32 s50, s12
	.p2align	6
.LBB103_40:                             ; =>This Inner Loop Header: Depth=1
	v_mov_b32_e32 v90, s50
	v_add_nc_u32_e32 v87, -1, v87
	s_add_i32 s50, s50, 16
	s_clause 0x3
	buffer_load_dword v88, v90, s[0:3], 0 offen offset:8
	buffer_load_dword v89, v90, s[0:3], 0 offen offset:12
	buffer_load_dword v96, v90, s[0:3], 0 offen
	buffer_load_dword v97, v90, s[0:3], 0 offen offset:4
	v_mov_b32_e32 v90, s49
	v_cmp_eq_u32_e32 vcc_lo, 0, v87
	s_add_i32 s49, s49, 16
	ds_read_b128 v[92:95], v90
	s_or_b32 s5, vcc_lo, s5
	s_waitcnt vmcnt(2) lgkmcnt(0)
	v_mul_f64 v[98:99], v[94:95], v[88:89]
	v_mul_f64 v[88:89], v[92:93], v[88:89]
	s_waitcnt vmcnt(0)
	v_fma_f64 v[92:93], v[92:93], v[96:97], -v[98:99]
	v_fma_f64 v[88:89], v[94:95], v[96:97], v[88:89]
	v_add_f64 v[1:2], v[1:2], v[92:93]
	v_add_f64 v[3:4], v[3:4], v[88:89]
	s_andn2_b32 exec_lo, exec_lo, s5
	s_cbranch_execnz .LBB103_40
; %bb.41:
	s_or_b32 exec_lo, exec_lo, s5
.LBB103_42:
	s_or_b32 exec_lo, exec_lo, s8
	v_mov_b32_e32 v87, 0
	ds_read_b128 v[87:90], v87 offset:544
	s_waitcnt lgkmcnt(0)
	v_mul_f64 v[92:93], v[3:4], v[89:90]
	v_mul_f64 v[89:90], v[1:2], v[89:90]
	v_fma_f64 v[1:2], v[1:2], v[87:88], -v[92:93]
	v_fma_f64 v[3:4], v[3:4], v[87:88], v[89:90]
	buffer_store_dword v2, off, s[0:3], 0 offset:548
	buffer_store_dword v1, off, s[0:3], 0 offset:544
	buffer_store_dword v4, off, s[0:3], 0 offset:556
	buffer_store_dword v3, off, s[0:3], 0 offset:552
.LBB103_43:
	s_or_b32 exec_lo, exec_lo, s6
	v_mov_b32_e32 v4, s14
	v_cmp_lt_u32_e64 s5, 33, v0
	s_clause 0x3
	buffer_load_dword v1, v4, s[0:3], 0 offen
	buffer_load_dword v2, v4, s[0:3], 0 offen offset:4
	buffer_load_dword v3, v4, s[0:3], 0 offen offset:8
	;; [unrolled: 1-line block ×3, first 2 shown]
	s_waitcnt vmcnt(0)
	ds_write_b128 v86, v[1:4]
	s_waitcnt lgkmcnt(0)
	s_waitcnt_vscnt null, 0x0
	s_barrier
	buffer_gl0_inv
	s_and_saveexec_b32 s6, s5
	s_cbranch_execz .LBB103_51
; %bb.44:
	ds_read_b128 v[1:4], v86
	s_andn2_b32 vcc_lo, exec_lo, s48
	s_cbranch_vccnz .LBB103_46
; %bb.45:
	s_clause 0x3
	buffer_load_dword v87, v85, s[0:3], 0 offen offset:8
	buffer_load_dword v88, v85, s[0:3], 0 offen offset:12
	buffer_load_dword v89, v85, s[0:3], 0 offen
	buffer_load_dword v90, v85, s[0:3], 0 offen offset:4
	s_waitcnt vmcnt(2) lgkmcnt(0)
	v_mul_f64 v[92:93], v[3:4], v[87:88]
	v_mul_f64 v[87:88], v[1:2], v[87:88]
	s_waitcnt vmcnt(0)
	v_fma_f64 v[1:2], v[1:2], v[89:90], -v[92:93]
	v_fma_f64 v[3:4], v[3:4], v[89:90], v[87:88]
.LBB103_46:
	s_and_saveexec_b32 s8, s4
	s_cbranch_execz .LBB103_50
; %bb.47:
	v_subrev_nc_u32_e32 v87, 34, v0
	s_movk_i32 s49, 0x4a0
	s_mov_b32 s4, 0
	s_mov_b32 s50, s13
	.p2align	6
.LBB103_48:                             ; =>This Inner Loop Header: Depth=1
	v_mov_b32_e32 v90, s50
	v_add_nc_u32_e32 v87, -1, v87
	s_add_i32 s50, s50, 16
	s_clause 0x3
	buffer_load_dword v88, v90, s[0:3], 0 offen offset:8
	buffer_load_dword v89, v90, s[0:3], 0 offen offset:12
	buffer_load_dword v96, v90, s[0:3], 0 offen
	buffer_load_dword v97, v90, s[0:3], 0 offen offset:4
	v_mov_b32_e32 v90, s49
	v_cmp_eq_u32_e32 vcc_lo, 0, v87
	s_add_i32 s49, s49, 16
	ds_read_b128 v[92:95], v90
	s_or_b32 s4, vcc_lo, s4
	s_waitcnt vmcnt(2) lgkmcnt(0)
	v_mul_f64 v[98:99], v[94:95], v[88:89]
	v_mul_f64 v[88:89], v[92:93], v[88:89]
	s_waitcnt vmcnt(0)
	v_fma_f64 v[92:93], v[92:93], v[96:97], -v[98:99]
	v_fma_f64 v[88:89], v[94:95], v[96:97], v[88:89]
	v_add_f64 v[1:2], v[1:2], v[92:93]
	v_add_f64 v[3:4], v[3:4], v[88:89]
	s_andn2_b32 exec_lo, exec_lo, s4
	s_cbranch_execnz .LBB103_48
; %bb.49:
	s_or_b32 exec_lo, exec_lo, s4
.LBB103_50:
	s_or_b32 exec_lo, exec_lo, s8
	v_mov_b32_e32 v87, 0
	ds_read_b128 v[87:90], v87 offset:528
	s_waitcnt lgkmcnt(0)
	v_mul_f64 v[92:93], v[3:4], v[89:90]
	v_mul_f64 v[89:90], v[1:2], v[89:90]
	v_fma_f64 v[1:2], v[1:2], v[87:88], -v[92:93]
	v_fma_f64 v[3:4], v[3:4], v[87:88], v[89:90]
	buffer_store_dword v2, off, s[0:3], 0 offset:532
	buffer_store_dword v1, off, s[0:3], 0 offset:528
	;; [unrolled: 1-line block ×4, first 2 shown]
.LBB103_51:
	s_or_b32 exec_lo, exec_lo, s6
	v_mov_b32_e32 v4, s15
	v_cmp_lt_u32_e64 s4, 32, v0
	s_clause 0x3
	buffer_load_dword v1, v4, s[0:3], 0 offen
	buffer_load_dword v2, v4, s[0:3], 0 offen offset:4
	buffer_load_dword v3, v4, s[0:3], 0 offen offset:8
	;; [unrolled: 1-line block ×3, first 2 shown]
	s_waitcnt vmcnt(0)
	ds_write_b128 v86, v[1:4]
	s_waitcnt lgkmcnt(0)
	s_waitcnt_vscnt null, 0x0
	s_barrier
	buffer_gl0_inv
	s_and_saveexec_b32 s6, s4
	s_cbranch_execz .LBB103_59
; %bb.52:
	ds_read_b128 v[1:4], v86
	s_andn2_b32 vcc_lo, exec_lo, s48
	s_cbranch_vccnz .LBB103_54
; %bb.53:
	s_clause 0x3
	buffer_load_dword v87, v85, s[0:3], 0 offen offset:8
	buffer_load_dword v88, v85, s[0:3], 0 offen offset:12
	buffer_load_dword v89, v85, s[0:3], 0 offen
	buffer_load_dword v90, v85, s[0:3], 0 offen offset:4
	s_waitcnt vmcnt(2) lgkmcnt(0)
	v_mul_f64 v[92:93], v[3:4], v[87:88]
	v_mul_f64 v[87:88], v[1:2], v[87:88]
	s_waitcnt vmcnt(0)
	v_fma_f64 v[1:2], v[1:2], v[89:90], -v[92:93]
	v_fma_f64 v[3:4], v[3:4], v[89:90], v[87:88]
.LBB103_54:
	s_and_saveexec_b32 s8, s5
	s_cbranch_execz .LBB103_58
; %bb.55:
	v_subrev_nc_u32_e32 v87, 33, v0
	s_movk_i32 s49, 0x490
	s_mov_b32 s5, 0
	s_mov_b32 s50, s14
	.p2align	6
.LBB103_56:                             ; =>This Inner Loop Header: Depth=1
	v_mov_b32_e32 v90, s50
	v_add_nc_u32_e32 v87, -1, v87
	s_add_i32 s50, s50, 16
	s_clause 0x3
	buffer_load_dword v88, v90, s[0:3], 0 offen offset:8
	buffer_load_dword v89, v90, s[0:3], 0 offen offset:12
	buffer_load_dword v96, v90, s[0:3], 0 offen
	buffer_load_dword v97, v90, s[0:3], 0 offen offset:4
	v_mov_b32_e32 v90, s49
	v_cmp_eq_u32_e32 vcc_lo, 0, v87
	s_add_i32 s49, s49, 16
	ds_read_b128 v[92:95], v90
	s_or_b32 s5, vcc_lo, s5
	s_waitcnt vmcnt(2) lgkmcnt(0)
	v_mul_f64 v[98:99], v[94:95], v[88:89]
	v_mul_f64 v[88:89], v[92:93], v[88:89]
	s_waitcnt vmcnt(0)
	v_fma_f64 v[92:93], v[92:93], v[96:97], -v[98:99]
	v_fma_f64 v[88:89], v[94:95], v[96:97], v[88:89]
	v_add_f64 v[1:2], v[1:2], v[92:93]
	v_add_f64 v[3:4], v[3:4], v[88:89]
	s_andn2_b32 exec_lo, exec_lo, s5
	s_cbranch_execnz .LBB103_56
; %bb.57:
	s_or_b32 exec_lo, exec_lo, s5
.LBB103_58:
	s_or_b32 exec_lo, exec_lo, s8
	v_mov_b32_e32 v87, 0
	ds_read_b128 v[87:90], v87 offset:512
	s_waitcnt lgkmcnt(0)
	v_mul_f64 v[92:93], v[3:4], v[89:90]
	v_mul_f64 v[89:90], v[1:2], v[89:90]
	v_fma_f64 v[1:2], v[1:2], v[87:88], -v[92:93]
	v_fma_f64 v[3:4], v[3:4], v[87:88], v[89:90]
	buffer_store_dword v2, off, s[0:3], 0 offset:516
	buffer_store_dword v1, off, s[0:3], 0 offset:512
	;; [unrolled: 1-line block ×4, first 2 shown]
.LBB103_59:
	s_or_b32 exec_lo, exec_lo, s6
	v_mov_b32_e32 v4, s16
	v_cmp_lt_u32_e64 s5, 31, v0
	s_clause 0x3
	buffer_load_dword v1, v4, s[0:3], 0 offen
	buffer_load_dword v2, v4, s[0:3], 0 offen offset:4
	buffer_load_dword v3, v4, s[0:3], 0 offen offset:8
	;; [unrolled: 1-line block ×3, first 2 shown]
	s_waitcnt vmcnt(0)
	ds_write_b128 v86, v[1:4]
	s_waitcnt lgkmcnt(0)
	s_waitcnt_vscnt null, 0x0
	s_barrier
	buffer_gl0_inv
	s_and_saveexec_b32 s6, s5
	s_cbranch_execz .LBB103_67
; %bb.60:
	ds_read_b128 v[1:4], v86
	s_andn2_b32 vcc_lo, exec_lo, s48
	s_cbranch_vccnz .LBB103_62
; %bb.61:
	s_clause 0x3
	buffer_load_dword v87, v85, s[0:3], 0 offen offset:8
	buffer_load_dword v88, v85, s[0:3], 0 offen offset:12
	buffer_load_dword v89, v85, s[0:3], 0 offen
	buffer_load_dword v90, v85, s[0:3], 0 offen offset:4
	s_waitcnt vmcnt(2) lgkmcnt(0)
	v_mul_f64 v[92:93], v[3:4], v[87:88]
	v_mul_f64 v[87:88], v[1:2], v[87:88]
	s_waitcnt vmcnt(0)
	v_fma_f64 v[1:2], v[1:2], v[89:90], -v[92:93]
	v_fma_f64 v[3:4], v[3:4], v[89:90], v[87:88]
.LBB103_62:
	s_and_saveexec_b32 s8, s4
	s_cbranch_execz .LBB103_66
; %bb.63:
	v_subrev_nc_u32_e32 v87, 32, v0
	s_movk_i32 s49, 0x480
	s_mov_b32 s4, 0
	s_mov_b32 s50, s15
	.p2align	6
.LBB103_64:                             ; =>This Inner Loop Header: Depth=1
	v_mov_b32_e32 v90, s50
	v_add_nc_u32_e32 v87, -1, v87
	s_add_i32 s50, s50, 16
	s_clause 0x3
	buffer_load_dword v88, v90, s[0:3], 0 offen offset:8
	buffer_load_dword v89, v90, s[0:3], 0 offen offset:12
	buffer_load_dword v96, v90, s[0:3], 0 offen
	buffer_load_dword v97, v90, s[0:3], 0 offen offset:4
	v_mov_b32_e32 v90, s49
	v_cmp_eq_u32_e32 vcc_lo, 0, v87
	s_add_i32 s49, s49, 16
	ds_read_b128 v[92:95], v90
	s_or_b32 s4, vcc_lo, s4
	s_waitcnt vmcnt(2) lgkmcnt(0)
	v_mul_f64 v[98:99], v[94:95], v[88:89]
	v_mul_f64 v[88:89], v[92:93], v[88:89]
	s_waitcnt vmcnt(0)
	v_fma_f64 v[92:93], v[92:93], v[96:97], -v[98:99]
	v_fma_f64 v[88:89], v[94:95], v[96:97], v[88:89]
	v_add_f64 v[1:2], v[1:2], v[92:93]
	v_add_f64 v[3:4], v[3:4], v[88:89]
	s_andn2_b32 exec_lo, exec_lo, s4
	s_cbranch_execnz .LBB103_64
; %bb.65:
	s_or_b32 exec_lo, exec_lo, s4
.LBB103_66:
	s_or_b32 exec_lo, exec_lo, s8
	v_mov_b32_e32 v87, 0
	ds_read_b128 v[87:90], v87 offset:496
	s_waitcnt lgkmcnt(0)
	v_mul_f64 v[92:93], v[3:4], v[89:90]
	v_mul_f64 v[89:90], v[1:2], v[89:90]
	v_fma_f64 v[1:2], v[1:2], v[87:88], -v[92:93]
	v_fma_f64 v[3:4], v[3:4], v[87:88], v[89:90]
	buffer_store_dword v2, off, s[0:3], 0 offset:500
	buffer_store_dword v1, off, s[0:3], 0 offset:496
	;; [unrolled: 1-line block ×4, first 2 shown]
.LBB103_67:
	s_or_b32 exec_lo, exec_lo, s6
	v_mov_b32_e32 v4, s17
	v_cmp_lt_u32_e64 s4, 30, v0
	s_clause 0x3
	buffer_load_dword v1, v4, s[0:3], 0 offen
	buffer_load_dword v2, v4, s[0:3], 0 offen offset:4
	buffer_load_dword v3, v4, s[0:3], 0 offen offset:8
	;; [unrolled: 1-line block ×3, first 2 shown]
	s_waitcnt vmcnt(0)
	ds_write_b128 v86, v[1:4]
	s_waitcnt lgkmcnt(0)
	s_waitcnt_vscnt null, 0x0
	s_barrier
	buffer_gl0_inv
	s_and_saveexec_b32 s6, s4
	s_cbranch_execz .LBB103_75
; %bb.68:
	ds_read_b128 v[1:4], v86
	s_andn2_b32 vcc_lo, exec_lo, s48
	s_cbranch_vccnz .LBB103_70
; %bb.69:
	s_clause 0x3
	buffer_load_dword v87, v85, s[0:3], 0 offen offset:8
	buffer_load_dword v88, v85, s[0:3], 0 offen offset:12
	buffer_load_dword v89, v85, s[0:3], 0 offen
	buffer_load_dword v90, v85, s[0:3], 0 offen offset:4
	s_waitcnt vmcnt(2) lgkmcnt(0)
	v_mul_f64 v[92:93], v[3:4], v[87:88]
	v_mul_f64 v[87:88], v[1:2], v[87:88]
	s_waitcnt vmcnt(0)
	v_fma_f64 v[1:2], v[1:2], v[89:90], -v[92:93]
	v_fma_f64 v[3:4], v[3:4], v[89:90], v[87:88]
.LBB103_70:
	s_and_saveexec_b32 s8, s5
	s_cbranch_execz .LBB103_74
; %bb.71:
	v_subrev_nc_u32_e32 v87, 31, v0
	s_movk_i32 s49, 0x470
	s_mov_b32 s5, 0
	s_mov_b32 s50, s16
	.p2align	6
.LBB103_72:                             ; =>This Inner Loop Header: Depth=1
	v_mov_b32_e32 v90, s50
	v_add_nc_u32_e32 v87, -1, v87
	s_add_i32 s50, s50, 16
	s_clause 0x3
	buffer_load_dword v88, v90, s[0:3], 0 offen offset:8
	buffer_load_dword v89, v90, s[0:3], 0 offen offset:12
	buffer_load_dword v96, v90, s[0:3], 0 offen
	buffer_load_dword v97, v90, s[0:3], 0 offen offset:4
	v_mov_b32_e32 v90, s49
	v_cmp_eq_u32_e32 vcc_lo, 0, v87
	s_add_i32 s49, s49, 16
	ds_read_b128 v[92:95], v90
	s_or_b32 s5, vcc_lo, s5
	s_waitcnt vmcnt(2) lgkmcnt(0)
	v_mul_f64 v[98:99], v[94:95], v[88:89]
	v_mul_f64 v[88:89], v[92:93], v[88:89]
	s_waitcnt vmcnt(0)
	v_fma_f64 v[92:93], v[92:93], v[96:97], -v[98:99]
	v_fma_f64 v[88:89], v[94:95], v[96:97], v[88:89]
	v_add_f64 v[1:2], v[1:2], v[92:93]
	v_add_f64 v[3:4], v[3:4], v[88:89]
	s_andn2_b32 exec_lo, exec_lo, s5
	s_cbranch_execnz .LBB103_72
; %bb.73:
	s_or_b32 exec_lo, exec_lo, s5
.LBB103_74:
	s_or_b32 exec_lo, exec_lo, s8
	v_mov_b32_e32 v87, 0
	ds_read_b128 v[87:90], v87 offset:480
	s_waitcnt lgkmcnt(0)
	v_mul_f64 v[92:93], v[3:4], v[89:90]
	v_mul_f64 v[89:90], v[1:2], v[89:90]
	v_fma_f64 v[1:2], v[1:2], v[87:88], -v[92:93]
	v_fma_f64 v[3:4], v[3:4], v[87:88], v[89:90]
	buffer_store_dword v2, off, s[0:3], 0 offset:484
	buffer_store_dword v1, off, s[0:3], 0 offset:480
	;; [unrolled: 1-line block ×4, first 2 shown]
.LBB103_75:
	s_or_b32 exec_lo, exec_lo, s6
	v_mov_b32_e32 v4, s18
	v_cmp_lt_u32_e64 s5, 29, v0
	s_clause 0x3
	buffer_load_dword v1, v4, s[0:3], 0 offen
	buffer_load_dword v2, v4, s[0:3], 0 offen offset:4
	buffer_load_dword v3, v4, s[0:3], 0 offen offset:8
	;; [unrolled: 1-line block ×3, first 2 shown]
	s_waitcnt vmcnt(0)
	ds_write_b128 v86, v[1:4]
	s_waitcnt lgkmcnt(0)
	s_waitcnt_vscnt null, 0x0
	s_barrier
	buffer_gl0_inv
	s_and_saveexec_b32 s6, s5
	s_cbranch_execz .LBB103_83
; %bb.76:
	ds_read_b128 v[1:4], v86
	s_andn2_b32 vcc_lo, exec_lo, s48
	s_cbranch_vccnz .LBB103_78
; %bb.77:
	s_clause 0x3
	buffer_load_dword v87, v85, s[0:3], 0 offen offset:8
	buffer_load_dword v88, v85, s[0:3], 0 offen offset:12
	buffer_load_dword v89, v85, s[0:3], 0 offen
	buffer_load_dword v90, v85, s[0:3], 0 offen offset:4
	s_waitcnt vmcnt(2) lgkmcnt(0)
	v_mul_f64 v[92:93], v[3:4], v[87:88]
	v_mul_f64 v[87:88], v[1:2], v[87:88]
	s_waitcnt vmcnt(0)
	v_fma_f64 v[1:2], v[1:2], v[89:90], -v[92:93]
	v_fma_f64 v[3:4], v[3:4], v[89:90], v[87:88]
.LBB103_78:
	s_and_saveexec_b32 s8, s4
	s_cbranch_execz .LBB103_82
; %bb.79:
	v_subrev_nc_u32_e32 v87, 30, v0
	s_movk_i32 s49, 0x460
	s_mov_b32 s4, 0
	s_mov_b32 s50, s17
	.p2align	6
.LBB103_80:                             ; =>This Inner Loop Header: Depth=1
	v_mov_b32_e32 v90, s50
	v_add_nc_u32_e32 v87, -1, v87
	s_add_i32 s50, s50, 16
	s_clause 0x3
	buffer_load_dword v88, v90, s[0:3], 0 offen offset:8
	buffer_load_dword v89, v90, s[0:3], 0 offen offset:12
	buffer_load_dword v96, v90, s[0:3], 0 offen
	buffer_load_dword v97, v90, s[0:3], 0 offen offset:4
	v_mov_b32_e32 v90, s49
	v_cmp_eq_u32_e32 vcc_lo, 0, v87
	s_add_i32 s49, s49, 16
	ds_read_b128 v[92:95], v90
	s_or_b32 s4, vcc_lo, s4
	s_waitcnt vmcnt(2) lgkmcnt(0)
	v_mul_f64 v[98:99], v[94:95], v[88:89]
	v_mul_f64 v[88:89], v[92:93], v[88:89]
	s_waitcnt vmcnt(0)
	v_fma_f64 v[92:93], v[92:93], v[96:97], -v[98:99]
	v_fma_f64 v[88:89], v[94:95], v[96:97], v[88:89]
	v_add_f64 v[1:2], v[1:2], v[92:93]
	v_add_f64 v[3:4], v[3:4], v[88:89]
	s_andn2_b32 exec_lo, exec_lo, s4
	s_cbranch_execnz .LBB103_80
; %bb.81:
	s_or_b32 exec_lo, exec_lo, s4
.LBB103_82:
	s_or_b32 exec_lo, exec_lo, s8
	v_mov_b32_e32 v87, 0
	ds_read_b128 v[87:90], v87 offset:464
	s_waitcnt lgkmcnt(0)
	v_mul_f64 v[92:93], v[3:4], v[89:90]
	v_mul_f64 v[89:90], v[1:2], v[89:90]
	v_fma_f64 v[1:2], v[1:2], v[87:88], -v[92:93]
	v_fma_f64 v[3:4], v[3:4], v[87:88], v[89:90]
	buffer_store_dword v2, off, s[0:3], 0 offset:468
	buffer_store_dword v1, off, s[0:3], 0 offset:464
	;; [unrolled: 1-line block ×4, first 2 shown]
.LBB103_83:
	s_or_b32 exec_lo, exec_lo, s6
	v_mov_b32_e32 v4, s19
	v_cmp_lt_u32_e64 s4, 28, v0
	s_clause 0x3
	buffer_load_dword v1, v4, s[0:3], 0 offen
	buffer_load_dword v2, v4, s[0:3], 0 offen offset:4
	buffer_load_dword v3, v4, s[0:3], 0 offen offset:8
	;; [unrolled: 1-line block ×3, first 2 shown]
	s_waitcnt vmcnt(0)
	ds_write_b128 v86, v[1:4]
	s_waitcnt lgkmcnt(0)
	s_waitcnt_vscnt null, 0x0
	s_barrier
	buffer_gl0_inv
	s_and_saveexec_b32 s6, s4
	s_cbranch_execz .LBB103_91
; %bb.84:
	ds_read_b128 v[1:4], v86
	s_andn2_b32 vcc_lo, exec_lo, s48
	s_cbranch_vccnz .LBB103_86
; %bb.85:
	s_clause 0x3
	buffer_load_dword v87, v85, s[0:3], 0 offen offset:8
	buffer_load_dword v88, v85, s[0:3], 0 offen offset:12
	buffer_load_dword v89, v85, s[0:3], 0 offen
	buffer_load_dword v90, v85, s[0:3], 0 offen offset:4
	s_waitcnt vmcnt(2) lgkmcnt(0)
	v_mul_f64 v[92:93], v[3:4], v[87:88]
	v_mul_f64 v[87:88], v[1:2], v[87:88]
	s_waitcnt vmcnt(0)
	v_fma_f64 v[1:2], v[1:2], v[89:90], -v[92:93]
	v_fma_f64 v[3:4], v[3:4], v[89:90], v[87:88]
.LBB103_86:
	s_and_saveexec_b32 s8, s5
	s_cbranch_execz .LBB103_90
; %bb.87:
	v_subrev_nc_u32_e32 v87, 29, v0
	s_movk_i32 s49, 0x450
	s_mov_b32 s5, 0
	s_mov_b32 s50, s18
	.p2align	6
.LBB103_88:                             ; =>This Inner Loop Header: Depth=1
	v_mov_b32_e32 v90, s50
	v_add_nc_u32_e32 v87, -1, v87
	s_add_i32 s50, s50, 16
	s_clause 0x3
	buffer_load_dword v88, v90, s[0:3], 0 offen offset:8
	buffer_load_dword v89, v90, s[0:3], 0 offen offset:12
	buffer_load_dword v96, v90, s[0:3], 0 offen
	buffer_load_dword v97, v90, s[0:3], 0 offen offset:4
	v_mov_b32_e32 v90, s49
	v_cmp_eq_u32_e32 vcc_lo, 0, v87
	s_add_i32 s49, s49, 16
	ds_read_b128 v[92:95], v90
	s_or_b32 s5, vcc_lo, s5
	s_waitcnt vmcnt(2) lgkmcnt(0)
	v_mul_f64 v[98:99], v[94:95], v[88:89]
	v_mul_f64 v[88:89], v[92:93], v[88:89]
	s_waitcnt vmcnt(0)
	v_fma_f64 v[92:93], v[92:93], v[96:97], -v[98:99]
	v_fma_f64 v[88:89], v[94:95], v[96:97], v[88:89]
	v_add_f64 v[1:2], v[1:2], v[92:93]
	v_add_f64 v[3:4], v[3:4], v[88:89]
	s_andn2_b32 exec_lo, exec_lo, s5
	s_cbranch_execnz .LBB103_88
; %bb.89:
	s_or_b32 exec_lo, exec_lo, s5
.LBB103_90:
	s_or_b32 exec_lo, exec_lo, s8
	v_mov_b32_e32 v87, 0
	ds_read_b128 v[87:90], v87 offset:448
	s_waitcnt lgkmcnt(0)
	v_mul_f64 v[92:93], v[3:4], v[89:90]
	v_mul_f64 v[89:90], v[1:2], v[89:90]
	v_fma_f64 v[1:2], v[1:2], v[87:88], -v[92:93]
	v_fma_f64 v[3:4], v[3:4], v[87:88], v[89:90]
	buffer_store_dword v2, off, s[0:3], 0 offset:452
	buffer_store_dword v1, off, s[0:3], 0 offset:448
	;; [unrolled: 1-line block ×4, first 2 shown]
.LBB103_91:
	s_or_b32 exec_lo, exec_lo, s6
	v_mov_b32_e32 v4, s20
	v_cmp_lt_u32_e64 s5, 27, v0
	s_clause 0x3
	buffer_load_dword v1, v4, s[0:3], 0 offen
	buffer_load_dword v2, v4, s[0:3], 0 offen offset:4
	buffer_load_dword v3, v4, s[0:3], 0 offen offset:8
	;; [unrolled: 1-line block ×3, first 2 shown]
	s_waitcnt vmcnt(0)
	ds_write_b128 v86, v[1:4]
	s_waitcnt lgkmcnt(0)
	s_waitcnt_vscnt null, 0x0
	s_barrier
	buffer_gl0_inv
	s_and_saveexec_b32 s6, s5
	s_cbranch_execz .LBB103_99
; %bb.92:
	ds_read_b128 v[1:4], v86
	s_andn2_b32 vcc_lo, exec_lo, s48
	s_cbranch_vccnz .LBB103_94
; %bb.93:
	s_clause 0x3
	buffer_load_dword v87, v85, s[0:3], 0 offen offset:8
	buffer_load_dword v88, v85, s[0:3], 0 offen offset:12
	buffer_load_dword v89, v85, s[0:3], 0 offen
	buffer_load_dword v90, v85, s[0:3], 0 offen offset:4
	s_waitcnt vmcnt(2) lgkmcnt(0)
	v_mul_f64 v[92:93], v[3:4], v[87:88]
	v_mul_f64 v[87:88], v[1:2], v[87:88]
	s_waitcnt vmcnt(0)
	v_fma_f64 v[1:2], v[1:2], v[89:90], -v[92:93]
	v_fma_f64 v[3:4], v[3:4], v[89:90], v[87:88]
.LBB103_94:
	s_and_saveexec_b32 s8, s4
	s_cbranch_execz .LBB103_98
; %bb.95:
	v_subrev_nc_u32_e32 v87, 28, v0
	s_movk_i32 s49, 0x440
	s_mov_b32 s4, 0
	s_mov_b32 s50, s19
	.p2align	6
.LBB103_96:                             ; =>This Inner Loop Header: Depth=1
	v_mov_b32_e32 v90, s50
	v_add_nc_u32_e32 v87, -1, v87
	s_add_i32 s50, s50, 16
	s_clause 0x3
	buffer_load_dword v88, v90, s[0:3], 0 offen offset:8
	buffer_load_dword v89, v90, s[0:3], 0 offen offset:12
	buffer_load_dword v96, v90, s[0:3], 0 offen
	buffer_load_dword v97, v90, s[0:3], 0 offen offset:4
	v_mov_b32_e32 v90, s49
	v_cmp_eq_u32_e32 vcc_lo, 0, v87
	s_add_i32 s49, s49, 16
	ds_read_b128 v[92:95], v90
	s_or_b32 s4, vcc_lo, s4
	s_waitcnt vmcnt(2) lgkmcnt(0)
	v_mul_f64 v[98:99], v[94:95], v[88:89]
	v_mul_f64 v[88:89], v[92:93], v[88:89]
	s_waitcnt vmcnt(0)
	v_fma_f64 v[92:93], v[92:93], v[96:97], -v[98:99]
	v_fma_f64 v[88:89], v[94:95], v[96:97], v[88:89]
	v_add_f64 v[1:2], v[1:2], v[92:93]
	v_add_f64 v[3:4], v[3:4], v[88:89]
	s_andn2_b32 exec_lo, exec_lo, s4
	s_cbranch_execnz .LBB103_96
; %bb.97:
	s_or_b32 exec_lo, exec_lo, s4
.LBB103_98:
	s_or_b32 exec_lo, exec_lo, s8
	v_mov_b32_e32 v87, 0
	ds_read_b128 v[87:90], v87 offset:432
	s_waitcnt lgkmcnt(0)
	v_mul_f64 v[92:93], v[3:4], v[89:90]
	v_mul_f64 v[89:90], v[1:2], v[89:90]
	v_fma_f64 v[1:2], v[1:2], v[87:88], -v[92:93]
	v_fma_f64 v[3:4], v[3:4], v[87:88], v[89:90]
	buffer_store_dword v2, off, s[0:3], 0 offset:436
	buffer_store_dword v1, off, s[0:3], 0 offset:432
	;; [unrolled: 1-line block ×4, first 2 shown]
.LBB103_99:
	s_or_b32 exec_lo, exec_lo, s6
	v_mov_b32_e32 v4, s21
	v_cmp_lt_u32_e64 s4, 26, v0
	s_clause 0x3
	buffer_load_dword v1, v4, s[0:3], 0 offen
	buffer_load_dword v2, v4, s[0:3], 0 offen offset:4
	buffer_load_dword v3, v4, s[0:3], 0 offen offset:8
	;; [unrolled: 1-line block ×3, first 2 shown]
	s_waitcnt vmcnt(0)
	ds_write_b128 v86, v[1:4]
	s_waitcnt lgkmcnt(0)
	s_waitcnt_vscnt null, 0x0
	s_barrier
	buffer_gl0_inv
	s_and_saveexec_b32 s6, s4
	s_cbranch_execz .LBB103_107
; %bb.100:
	ds_read_b128 v[1:4], v86
	s_andn2_b32 vcc_lo, exec_lo, s48
	s_cbranch_vccnz .LBB103_102
; %bb.101:
	s_clause 0x3
	buffer_load_dword v87, v85, s[0:3], 0 offen offset:8
	buffer_load_dword v88, v85, s[0:3], 0 offen offset:12
	buffer_load_dword v89, v85, s[0:3], 0 offen
	buffer_load_dword v90, v85, s[0:3], 0 offen offset:4
	s_waitcnt vmcnt(2) lgkmcnt(0)
	v_mul_f64 v[92:93], v[3:4], v[87:88]
	v_mul_f64 v[87:88], v[1:2], v[87:88]
	s_waitcnt vmcnt(0)
	v_fma_f64 v[1:2], v[1:2], v[89:90], -v[92:93]
	v_fma_f64 v[3:4], v[3:4], v[89:90], v[87:88]
.LBB103_102:
	s_and_saveexec_b32 s8, s5
	s_cbranch_execz .LBB103_106
; %bb.103:
	v_subrev_nc_u32_e32 v87, 27, v0
	s_movk_i32 s49, 0x430
	s_mov_b32 s5, 0
	s_mov_b32 s50, s20
	.p2align	6
.LBB103_104:                            ; =>This Inner Loop Header: Depth=1
	v_mov_b32_e32 v90, s50
	v_add_nc_u32_e32 v87, -1, v87
	s_add_i32 s50, s50, 16
	s_clause 0x3
	buffer_load_dword v88, v90, s[0:3], 0 offen offset:8
	buffer_load_dword v89, v90, s[0:3], 0 offen offset:12
	buffer_load_dword v96, v90, s[0:3], 0 offen
	buffer_load_dword v97, v90, s[0:3], 0 offen offset:4
	v_mov_b32_e32 v90, s49
	v_cmp_eq_u32_e32 vcc_lo, 0, v87
	s_add_i32 s49, s49, 16
	ds_read_b128 v[92:95], v90
	s_or_b32 s5, vcc_lo, s5
	s_waitcnt vmcnt(2) lgkmcnt(0)
	v_mul_f64 v[98:99], v[94:95], v[88:89]
	v_mul_f64 v[88:89], v[92:93], v[88:89]
	s_waitcnt vmcnt(0)
	v_fma_f64 v[92:93], v[92:93], v[96:97], -v[98:99]
	v_fma_f64 v[88:89], v[94:95], v[96:97], v[88:89]
	v_add_f64 v[1:2], v[1:2], v[92:93]
	v_add_f64 v[3:4], v[3:4], v[88:89]
	s_andn2_b32 exec_lo, exec_lo, s5
	s_cbranch_execnz .LBB103_104
; %bb.105:
	s_or_b32 exec_lo, exec_lo, s5
.LBB103_106:
	s_or_b32 exec_lo, exec_lo, s8
	v_mov_b32_e32 v87, 0
	ds_read_b128 v[87:90], v87 offset:416
	s_waitcnt lgkmcnt(0)
	v_mul_f64 v[92:93], v[3:4], v[89:90]
	v_mul_f64 v[89:90], v[1:2], v[89:90]
	v_fma_f64 v[1:2], v[1:2], v[87:88], -v[92:93]
	v_fma_f64 v[3:4], v[3:4], v[87:88], v[89:90]
	buffer_store_dword v2, off, s[0:3], 0 offset:420
	buffer_store_dword v1, off, s[0:3], 0 offset:416
	;; [unrolled: 1-line block ×4, first 2 shown]
.LBB103_107:
	s_or_b32 exec_lo, exec_lo, s6
	v_mov_b32_e32 v4, s22
	v_cmp_lt_u32_e64 s5, 25, v0
	s_clause 0x3
	buffer_load_dword v1, v4, s[0:3], 0 offen
	buffer_load_dword v2, v4, s[0:3], 0 offen offset:4
	buffer_load_dword v3, v4, s[0:3], 0 offen offset:8
	buffer_load_dword v4, v4, s[0:3], 0 offen offset:12
	s_waitcnt vmcnt(0)
	ds_write_b128 v86, v[1:4]
	s_waitcnt lgkmcnt(0)
	s_waitcnt_vscnt null, 0x0
	s_barrier
	buffer_gl0_inv
	s_and_saveexec_b32 s6, s5
	s_cbranch_execz .LBB103_115
; %bb.108:
	ds_read_b128 v[1:4], v86
	s_andn2_b32 vcc_lo, exec_lo, s48
	s_cbranch_vccnz .LBB103_110
; %bb.109:
	s_clause 0x3
	buffer_load_dword v87, v85, s[0:3], 0 offen offset:8
	buffer_load_dword v88, v85, s[0:3], 0 offen offset:12
	buffer_load_dword v89, v85, s[0:3], 0 offen
	buffer_load_dword v90, v85, s[0:3], 0 offen offset:4
	s_waitcnt vmcnt(2) lgkmcnt(0)
	v_mul_f64 v[92:93], v[3:4], v[87:88]
	v_mul_f64 v[87:88], v[1:2], v[87:88]
	s_waitcnt vmcnt(0)
	v_fma_f64 v[1:2], v[1:2], v[89:90], -v[92:93]
	v_fma_f64 v[3:4], v[3:4], v[89:90], v[87:88]
.LBB103_110:
	s_and_saveexec_b32 s8, s4
	s_cbranch_execz .LBB103_114
; %bb.111:
	v_subrev_nc_u32_e32 v87, 26, v0
	s_movk_i32 s49, 0x420
	s_mov_b32 s4, 0
	s_mov_b32 s50, s21
	.p2align	6
.LBB103_112:                            ; =>This Inner Loop Header: Depth=1
	v_mov_b32_e32 v90, s50
	v_add_nc_u32_e32 v87, -1, v87
	s_add_i32 s50, s50, 16
	s_clause 0x3
	buffer_load_dword v88, v90, s[0:3], 0 offen offset:8
	buffer_load_dword v89, v90, s[0:3], 0 offen offset:12
	buffer_load_dword v96, v90, s[0:3], 0 offen
	buffer_load_dword v97, v90, s[0:3], 0 offen offset:4
	v_mov_b32_e32 v90, s49
	v_cmp_eq_u32_e32 vcc_lo, 0, v87
	s_add_i32 s49, s49, 16
	ds_read_b128 v[92:95], v90
	s_or_b32 s4, vcc_lo, s4
	s_waitcnt vmcnt(2) lgkmcnt(0)
	v_mul_f64 v[98:99], v[94:95], v[88:89]
	v_mul_f64 v[88:89], v[92:93], v[88:89]
	s_waitcnt vmcnt(0)
	v_fma_f64 v[92:93], v[92:93], v[96:97], -v[98:99]
	v_fma_f64 v[88:89], v[94:95], v[96:97], v[88:89]
	v_add_f64 v[1:2], v[1:2], v[92:93]
	v_add_f64 v[3:4], v[3:4], v[88:89]
	s_andn2_b32 exec_lo, exec_lo, s4
	s_cbranch_execnz .LBB103_112
; %bb.113:
	s_or_b32 exec_lo, exec_lo, s4
.LBB103_114:
	s_or_b32 exec_lo, exec_lo, s8
	v_mov_b32_e32 v87, 0
	ds_read_b128 v[87:90], v87 offset:400
	s_waitcnt lgkmcnt(0)
	v_mul_f64 v[92:93], v[3:4], v[89:90]
	v_mul_f64 v[89:90], v[1:2], v[89:90]
	v_fma_f64 v[1:2], v[1:2], v[87:88], -v[92:93]
	v_fma_f64 v[3:4], v[3:4], v[87:88], v[89:90]
	buffer_store_dword v2, off, s[0:3], 0 offset:404
	buffer_store_dword v1, off, s[0:3], 0 offset:400
	;; [unrolled: 1-line block ×4, first 2 shown]
.LBB103_115:
	s_or_b32 exec_lo, exec_lo, s6
	v_mov_b32_e32 v4, s23
	v_cmp_lt_u32_e64 s4, 24, v0
	s_clause 0x3
	buffer_load_dword v1, v4, s[0:3], 0 offen
	buffer_load_dword v2, v4, s[0:3], 0 offen offset:4
	buffer_load_dword v3, v4, s[0:3], 0 offen offset:8
	;; [unrolled: 1-line block ×3, first 2 shown]
	s_waitcnt vmcnt(0)
	ds_write_b128 v86, v[1:4]
	s_waitcnt lgkmcnt(0)
	s_waitcnt_vscnt null, 0x0
	s_barrier
	buffer_gl0_inv
	s_and_saveexec_b32 s6, s4
	s_cbranch_execz .LBB103_123
; %bb.116:
	ds_read_b128 v[1:4], v86
	s_andn2_b32 vcc_lo, exec_lo, s48
	s_cbranch_vccnz .LBB103_118
; %bb.117:
	s_clause 0x3
	buffer_load_dword v87, v85, s[0:3], 0 offen offset:8
	buffer_load_dword v88, v85, s[0:3], 0 offen offset:12
	buffer_load_dword v89, v85, s[0:3], 0 offen
	buffer_load_dword v90, v85, s[0:3], 0 offen offset:4
	s_waitcnt vmcnt(2) lgkmcnt(0)
	v_mul_f64 v[92:93], v[3:4], v[87:88]
	v_mul_f64 v[87:88], v[1:2], v[87:88]
	s_waitcnt vmcnt(0)
	v_fma_f64 v[1:2], v[1:2], v[89:90], -v[92:93]
	v_fma_f64 v[3:4], v[3:4], v[89:90], v[87:88]
.LBB103_118:
	s_and_saveexec_b32 s8, s5
	s_cbranch_execz .LBB103_122
; %bb.119:
	v_subrev_nc_u32_e32 v87, 25, v0
	s_movk_i32 s49, 0x410
	s_mov_b32 s5, 0
	s_mov_b32 s50, s22
	.p2align	6
.LBB103_120:                            ; =>This Inner Loop Header: Depth=1
	v_mov_b32_e32 v90, s50
	v_add_nc_u32_e32 v87, -1, v87
	s_add_i32 s50, s50, 16
	s_clause 0x3
	buffer_load_dword v88, v90, s[0:3], 0 offen offset:8
	buffer_load_dword v89, v90, s[0:3], 0 offen offset:12
	buffer_load_dword v96, v90, s[0:3], 0 offen
	buffer_load_dword v97, v90, s[0:3], 0 offen offset:4
	v_mov_b32_e32 v90, s49
	v_cmp_eq_u32_e32 vcc_lo, 0, v87
	s_add_i32 s49, s49, 16
	ds_read_b128 v[92:95], v90
	s_or_b32 s5, vcc_lo, s5
	s_waitcnt vmcnt(2) lgkmcnt(0)
	v_mul_f64 v[98:99], v[94:95], v[88:89]
	v_mul_f64 v[88:89], v[92:93], v[88:89]
	s_waitcnt vmcnt(0)
	v_fma_f64 v[92:93], v[92:93], v[96:97], -v[98:99]
	v_fma_f64 v[88:89], v[94:95], v[96:97], v[88:89]
	v_add_f64 v[1:2], v[1:2], v[92:93]
	v_add_f64 v[3:4], v[3:4], v[88:89]
	s_andn2_b32 exec_lo, exec_lo, s5
	s_cbranch_execnz .LBB103_120
; %bb.121:
	s_or_b32 exec_lo, exec_lo, s5
.LBB103_122:
	s_or_b32 exec_lo, exec_lo, s8
	v_mov_b32_e32 v87, 0
	ds_read_b128 v[87:90], v87 offset:384
	s_waitcnt lgkmcnt(0)
	v_mul_f64 v[92:93], v[3:4], v[89:90]
	v_mul_f64 v[89:90], v[1:2], v[89:90]
	v_fma_f64 v[1:2], v[1:2], v[87:88], -v[92:93]
	v_fma_f64 v[3:4], v[3:4], v[87:88], v[89:90]
	buffer_store_dword v2, off, s[0:3], 0 offset:388
	buffer_store_dword v1, off, s[0:3], 0 offset:384
	;; [unrolled: 1-line block ×4, first 2 shown]
.LBB103_123:
	s_or_b32 exec_lo, exec_lo, s6
	v_mov_b32_e32 v4, s24
	v_cmp_lt_u32_e64 s5, 23, v0
	s_clause 0x3
	buffer_load_dword v1, v4, s[0:3], 0 offen
	buffer_load_dword v2, v4, s[0:3], 0 offen offset:4
	buffer_load_dword v3, v4, s[0:3], 0 offen offset:8
	;; [unrolled: 1-line block ×3, first 2 shown]
	s_waitcnt vmcnt(0)
	ds_write_b128 v86, v[1:4]
	s_waitcnt lgkmcnt(0)
	s_waitcnt_vscnt null, 0x0
	s_barrier
	buffer_gl0_inv
	s_and_saveexec_b32 s6, s5
	s_cbranch_execz .LBB103_131
; %bb.124:
	ds_read_b128 v[1:4], v86
	s_andn2_b32 vcc_lo, exec_lo, s48
	s_cbranch_vccnz .LBB103_126
; %bb.125:
	s_clause 0x3
	buffer_load_dword v87, v85, s[0:3], 0 offen offset:8
	buffer_load_dword v88, v85, s[0:3], 0 offen offset:12
	buffer_load_dword v89, v85, s[0:3], 0 offen
	buffer_load_dword v90, v85, s[0:3], 0 offen offset:4
	s_waitcnt vmcnt(2) lgkmcnt(0)
	v_mul_f64 v[92:93], v[3:4], v[87:88]
	v_mul_f64 v[87:88], v[1:2], v[87:88]
	s_waitcnt vmcnt(0)
	v_fma_f64 v[1:2], v[1:2], v[89:90], -v[92:93]
	v_fma_f64 v[3:4], v[3:4], v[89:90], v[87:88]
.LBB103_126:
	s_and_saveexec_b32 s8, s4
	s_cbranch_execz .LBB103_130
; %bb.127:
	v_subrev_nc_u32_e32 v87, 24, v0
	s_movk_i32 s49, 0x400
	s_mov_b32 s4, 0
	s_mov_b32 s50, s23
	.p2align	6
.LBB103_128:                            ; =>This Inner Loop Header: Depth=1
	v_mov_b32_e32 v90, s50
	v_add_nc_u32_e32 v87, -1, v87
	s_add_i32 s50, s50, 16
	s_clause 0x3
	buffer_load_dword v88, v90, s[0:3], 0 offen offset:8
	buffer_load_dword v89, v90, s[0:3], 0 offen offset:12
	buffer_load_dword v96, v90, s[0:3], 0 offen
	buffer_load_dword v97, v90, s[0:3], 0 offen offset:4
	v_mov_b32_e32 v90, s49
	v_cmp_eq_u32_e32 vcc_lo, 0, v87
	s_add_i32 s49, s49, 16
	ds_read_b128 v[92:95], v90
	s_or_b32 s4, vcc_lo, s4
	s_waitcnt vmcnt(2) lgkmcnt(0)
	v_mul_f64 v[98:99], v[94:95], v[88:89]
	v_mul_f64 v[88:89], v[92:93], v[88:89]
	s_waitcnt vmcnt(0)
	v_fma_f64 v[92:93], v[92:93], v[96:97], -v[98:99]
	v_fma_f64 v[88:89], v[94:95], v[96:97], v[88:89]
	v_add_f64 v[1:2], v[1:2], v[92:93]
	v_add_f64 v[3:4], v[3:4], v[88:89]
	s_andn2_b32 exec_lo, exec_lo, s4
	s_cbranch_execnz .LBB103_128
; %bb.129:
	s_or_b32 exec_lo, exec_lo, s4
.LBB103_130:
	s_or_b32 exec_lo, exec_lo, s8
	v_mov_b32_e32 v87, 0
	ds_read_b128 v[87:90], v87 offset:368
	s_waitcnt lgkmcnt(0)
	v_mul_f64 v[92:93], v[3:4], v[89:90]
	v_mul_f64 v[89:90], v[1:2], v[89:90]
	v_fma_f64 v[1:2], v[1:2], v[87:88], -v[92:93]
	v_fma_f64 v[3:4], v[3:4], v[87:88], v[89:90]
	buffer_store_dword v2, off, s[0:3], 0 offset:372
	buffer_store_dword v1, off, s[0:3], 0 offset:368
	;; [unrolled: 1-line block ×4, first 2 shown]
.LBB103_131:
	s_or_b32 exec_lo, exec_lo, s6
	v_mov_b32_e32 v4, s25
	v_cmp_lt_u32_e64 s4, 22, v0
	s_clause 0x3
	buffer_load_dword v1, v4, s[0:3], 0 offen
	buffer_load_dword v2, v4, s[0:3], 0 offen offset:4
	buffer_load_dword v3, v4, s[0:3], 0 offen offset:8
	;; [unrolled: 1-line block ×3, first 2 shown]
	s_waitcnt vmcnt(0)
	ds_write_b128 v86, v[1:4]
	s_waitcnt lgkmcnt(0)
	s_waitcnt_vscnt null, 0x0
	s_barrier
	buffer_gl0_inv
	s_and_saveexec_b32 s6, s4
	s_cbranch_execz .LBB103_139
; %bb.132:
	ds_read_b128 v[1:4], v86
	s_andn2_b32 vcc_lo, exec_lo, s48
	s_cbranch_vccnz .LBB103_134
; %bb.133:
	s_clause 0x3
	buffer_load_dword v87, v85, s[0:3], 0 offen offset:8
	buffer_load_dword v88, v85, s[0:3], 0 offen offset:12
	buffer_load_dword v89, v85, s[0:3], 0 offen
	buffer_load_dword v90, v85, s[0:3], 0 offen offset:4
	s_waitcnt vmcnt(2) lgkmcnt(0)
	v_mul_f64 v[92:93], v[3:4], v[87:88]
	v_mul_f64 v[87:88], v[1:2], v[87:88]
	s_waitcnt vmcnt(0)
	v_fma_f64 v[1:2], v[1:2], v[89:90], -v[92:93]
	v_fma_f64 v[3:4], v[3:4], v[89:90], v[87:88]
.LBB103_134:
	s_and_saveexec_b32 s8, s5
	s_cbranch_execz .LBB103_138
; %bb.135:
	v_subrev_nc_u32_e32 v87, 23, v0
	s_movk_i32 s49, 0x3f0
	s_mov_b32 s5, 0
	s_mov_b32 s50, s24
	.p2align	6
.LBB103_136:                            ; =>This Inner Loop Header: Depth=1
	v_mov_b32_e32 v90, s50
	v_add_nc_u32_e32 v87, -1, v87
	s_add_i32 s50, s50, 16
	s_clause 0x3
	buffer_load_dword v88, v90, s[0:3], 0 offen offset:8
	buffer_load_dword v89, v90, s[0:3], 0 offen offset:12
	buffer_load_dword v96, v90, s[0:3], 0 offen
	buffer_load_dword v97, v90, s[0:3], 0 offen offset:4
	v_mov_b32_e32 v90, s49
	v_cmp_eq_u32_e32 vcc_lo, 0, v87
	s_add_i32 s49, s49, 16
	ds_read_b128 v[92:95], v90
	s_or_b32 s5, vcc_lo, s5
	s_waitcnt vmcnt(2) lgkmcnt(0)
	v_mul_f64 v[98:99], v[94:95], v[88:89]
	v_mul_f64 v[88:89], v[92:93], v[88:89]
	s_waitcnt vmcnt(0)
	v_fma_f64 v[92:93], v[92:93], v[96:97], -v[98:99]
	v_fma_f64 v[88:89], v[94:95], v[96:97], v[88:89]
	v_add_f64 v[1:2], v[1:2], v[92:93]
	v_add_f64 v[3:4], v[3:4], v[88:89]
	s_andn2_b32 exec_lo, exec_lo, s5
	s_cbranch_execnz .LBB103_136
; %bb.137:
	s_or_b32 exec_lo, exec_lo, s5
.LBB103_138:
	s_or_b32 exec_lo, exec_lo, s8
	v_mov_b32_e32 v87, 0
	ds_read_b128 v[87:90], v87 offset:352
	s_waitcnt lgkmcnt(0)
	v_mul_f64 v[92:93], v[3:4], v[89:90]
	v_mul_f64 v[89:90], v[1:2], v[89:90]
	v_fma_f64 v[1:2], v[1:2], v[87:88], -v[92:93]
	v_fma_f64 v[3:4], v[3:4], v[87:88], v[89:90]
	buffer_store_dword v2, off, s[0:3], 0 offset:356
	buffer_store_dword v1, off, s[0:3], 0 offset:352
	;; [unrolled: 1-line block ×4, first 2 shown]
.LBB103_139:
	s_or_b32 exec_lo, exec_lo, s6
	v_mov_b32_e32 v4, s26
	v_cmp_lt_u32_e64 s5, 21, v0
	s_clause 0x3
	buffer_load_dword v1, v4, s[0:3], 0 offen
	buffer_load_dword v2, v4, s[0:3], 0 offen offset:4
	buffer_load_dword v3, v4, s[0:3], 0 offen offset:8
	;; [unrolled: 1-line block ×3, first 2 shown]
	s_waitcnt vmcnt(0)
	ds_write_b128 v86, v[1:4]
	s_waitcnt lgkmcnt(0)
	s_waitcnt_vscnt null, 0x0
	s_barrier
	buffer_gl0_inv
	s_and_saveexec_b32 s6, s5
	s_cbranch_execz .LBB103_147
; %bb.140:
	ds_read_b128 v[1:4], v86
	s_andn2_b32 vcc_lo, exec_lo, s48
	s_cbranch_vccnz .LBB103_142
; %bb.141:
	s_clause 0x3
	buffer_load_dword v87, v85, s[0:3], 0 offen offset:8
	buffer_load_dword v88, v85, s[0:3], 0 offen offset:12
	buffer_load_dword v89, v85, s[0:3], 0 offen
	buffer_load_dword v90, v85, s[0:3], 0 offen offset:4
	s_waitcnt vmcnt(2) lgkmcnt(0)
	v_mul_f64 v[92:93], v[3:4], v[87:88]
	v_mul_f64 v[87:88], v[1:2], v[87:88]
	s_waitcnt vmcnt(0)
	v_fma_f64 v[1:2], v[1:2], v[89:90], -v[92:93]
	v_fma_f64 v[3:4], v[3:4], v[89:90], v[87:88]
.LBB103_142:
	s_and_saveexec_b32 s8, s4
	s_cbranch_execz .LBB103_146
; %bb.143:
	v_subrev_nc_u32_e32 v87, 22, v0
	s_movk_i32 s49, 0x3e0
	s_mov_b32 s4, 0
	s_mov_b32 s50, s25
	.p2align	6
.LBB103_144:                            ; =>This Inner Loop Header: Depth=1
	v_mov_b32_e32 v90, s50
	v_add_nc_u32_e32 v87, -1, v87
	s_add_i32 s50, s50, 16
	s_clause 0x3
	buffer_load_dword v88, v90, s[0:3], 0 offen offset:8
	buffer_load_dword v89, v90, s[0:3], 0 offen offset:12
	buffer_load_dword v96, v90, s[0:3], 0 offen
	buffer_load_dword v97, v90, s[0:3], 0 offen offset:4
	v_mov_b32_e32 v90, s49
	v_cmp_eq_u32_e32 vcc_lo, 0, v87
	s_add_i32 s49, s49, 16
	ds_read_b128 v[92:95], v90
	s_or_b32 s4, vcc_lo, s4
	s_waitcnt vmcnt(2) lgkmcnt(0)
	v_mul_f64 v[98:99], v[94:95], v[88:89]
	v_mul_f64 v[88:89], v[92:93], v[88:89]
	s_waitcnt vmcnt(0)
	v_fma_f64 v[92:93], v[92:93], v[96:97], -v[98:99]
	v_fma_f64 v[88:89], v[94:95], v[96:97], v[88:89]
	v_add_f64 v[1:2], v[1:2], v[92:93]
	v_add_f64 v[3:4], v[3:4], v[88:89]
	s_andn2_b32 exec_lo, exec_lo, s4
	s_cbranch_execnz .LBB103_144
; %bb.145:
	s_or_b32 exec_lo, exec_lo, s4
.LBB103_146:
	s_or_b32 exec_lo, exec_lo, s8
	v_mov_b32_e32 v87, 0
	ds_read_b128 v[87:90], v87 offset:336
	s_waitcnt lgkmcnt(0)
	v_mul_f64 v[92:93], v[3:4], v[89:90]
	v_mul_f64 v[89:90], v[1:2], v[89:90]
	v_fma_f64 v[1:2], v[1:2], v[87:88], -v[92:93]
	v_fma_f64 v[3:4], v[3:4], v[87:88], v[89:90]
	buffer_store_dword v2, off, s[0:3], 0 offset:340
	buffer_store_dword v1, off, s[0:3], 0 offset:336
	buffer_store_dword v4, off, s[0:3], 0 offset:348
	buffer_store_dword v3, off, s[0:3], 0 offset:344
.LBB103_147:
	s_or_b32 exec_lo, exec_lo, s6
	v_mov_b32_e32 v4, s27
	v_cmp_lt_u32_e64 s4, 20, v0
	s_clause 0x3
	buffer_load_dword v1, v4, s[0:3], 0 offen
	buffer_load_dword v2, v4, s[0:3], 0 offen offset:4
	buffer_load_dword v3, v4, s[0:3], 0 offen offset:8
	;; [unrolled: 1-line block ×3, first 2 shown]
	s_waitcnt vmcnt(0)
	ds_write_b128 v86, v[1:4]
	s_waitcnt lgkmcnt(0)
	s_waitcnt_vscnt null, 0x0
	s_barrier
	buffer_gl0_inv
	s_and_saveexec_b32 s6, s4
	s_cbranch_execz .LBB103_155
; %bb.148:
	ds_read_b128 v[1:4], v86
	s_andn2_b32 vcc_lo, exec_lo, s48
	s_cbranch_vccnz .LBB103_150
; %bb.149:
	s_clause 0x3
	buffer_load_dword v87, v85, s[0:3], 0 offen offset:8
	buffer_load_dword v88, v85, s[0:3], 0 offen offset:12
	buffer_load_dword v89, v85, s[0:3], 0 offen
	buffer_load_dword v90, v85, s[0:3], 0 offen offset:4
	s_waitcnt vmcnt(2) lgkmcnt(0)
	v_mul_f64 v[92:93], v[3:4], v[87:88]
	v_mul_f64 v[87:88], v[1:2], v[87:88]
	s_waitcnt vmcnt(0)
	v_fma_f64 v[1:2], v[1:2], v[89:90], -v[92:93]
	v_fma_f64 v[3:4], v[3:4], v[89:90], v[87:88]
.LBB103_150:
	s_and_saveexec_b32 s8, s5
	s_cbranch_execz .LBB103_154
; %bb.151:
	v_subrev_nc_u32_e32 v87, 21, v0
	s_movk_i32 s49, 0x3d0
	s_mov_b32 s5, 0
	s_mov_b32 s50, s26
	.p2align	6
.LBB103_152:                            ; =>This Inner Loop Header: Depth=1
	v_mov_b32_e32 v90, s50
	v_add_nc_u32_e32 v87, -1, v87
	s_add_i32 s50, s50, 16
	s_clause 0x3
	buffer_load_dword v88, v90, s[0:3], 0 offen offset:8
	buffer_load_dword v89, v90, s[0:3], 0 offen offset:12
	buffer_load_dword v96, v90, s[0:3], 0 offen
	buffer_load_dword v97, v90, s[0:3], 0 offen offset:4
	v_mov_b32_e32 v90, s49
	v_cmp_eq_u32_e32 vcc_lo, 0, v87
	s_add_i32 s49, s49, 16
	ds_read_b128 v[92:95], v90
	s_or_b32 s5, vcc_lo, s5
	s_waitcnt vmcnt(2) lgkmcnt(0)
	v_mul_f64 v[98:99], v[94:95], v[88:89]
	v_mul_f64 v[88:89], v[92:93], v[88:89]
	s_waitcnt vmcnt(0)
	v_fma_f64 v[92:93], v[92:93], v[96:97], -v[98:99]
	v_fma_f64 v[88:89], v[94:95], v[96:97], v[88:89]
	v_add_f64 v[1:2], v[1:2], v[92:93]
	v_add_f64 v[3:4], v[3:4], v[88:89]
	s_andn2_b32 exec_lo, exec_lo, s5
	s_cbranch_execnz .LBB103_152
; %bb.153:
	s_or_b32 exec_lo, exec_lo, s5
.LBB103_154:
	s_or_b32 exec_lo, exec_lo, s8
	v_mov_b32_e32 v87, 0
	ds_read_b128 v[87:90], v87 offset:320
	s_waitcnt lgkmcnt(0)
	v_mul_f64 v[92:93], v[3:4], v[89:90]
	v_mul_f64 v[89:90], v[1:2], v[89:90]
	v_fma_f64 v[1:2], v[1:2], v[87:88], -v[92:93]
	v_fma_f64 v[3:4], v[3:4], v[87:88], v[89:90]
	buffer_store_dword v2, off, s[0:3], 0 offset:324
	buffer_store_dword v1, off, s[0:3], 0 offset:320
	;; [unrolled: 1-line block ×4, first 2 shown]
.LBB103_155:
	s_or_b32 exec_lo, exec_lo, s6
	v_mov_b32_e32 v4, s28
	v_cmp_lt_u32_e64 s5, 19, v0
	s_clause 0x3
	buffer_load_dword v1, v4, s[0:3], 0 offen
	buffer_load_dword v2, v4, s[0:3], 0 offen offset:4
	buffer_load_dword v3, v4, s[0:3], 0 offen offset:8
	;; [unrolled: 1-line block ×3, first 2 shown]
	s_waitcnt vmcnt(0)
	ds_write_b128 v86, v[1:4]
	s_waitcnt lgkmcnt(0)
	s_waitcnt_vscnt null, 0x0
	s_barrier
	buffer_gl0_inv
	s_and_saveexec_b32 s6, s5
	s_cbranch_execz .LBB103_163
; %bb.156:
	ds_read_b128 v[1:4], v86
	s_andn2_b32 vcc_lo, exec_lo, s48
	s_cbranch_vccnz .LBB103_158
; %bb.157:
	s_clause 0x3
	buffer_load_dword v87, v85, s[0:3], 0 offen offset:8
	buffer_load_dword v88, v85, s[0:3], 0 offen offset:12
	buffer_load_dword v89, v85, s[0:3], 0 offen
	buffer_load_dword v90, v85, s[0:3], 0 offen offset:4
	s_waitcnt vmcnt(2) lgkmcnt(0)
	v_mul_f64 v[92:93], v[3:4], v[87:88]
	v_mul_f64 v[87:88], v[1:2], v[87:88]
	s_waitcnt vmcnt(0)
	v_fma_f64 v[1:2], v[1:2], v[89:90], -v[92:93]
	v_fma_f64 v[3:4], v[3:4], v[89:90], v[87:88]
.LBB103_158:
	s_and_saveexec_b32 s8, s4
	s_cbranch_execz .LBB103_162
; %bb.159:
	v_subrev_nc_u32_e32 v87, 20, v0
	s_movk_i32 s49, 0x3c0
	s_mov_b32 s4, 0
	s_mov_b32 s50, s27
	.p2align	6
.LBB103_160:                            ; =>This Inner Loop Header: Depth=1
	v_mov_b32_e32 v90, s50
	v_add_nc_u32_e32 v87, -1, v87
	s_add_i32 s50, s50, 16
	s_clause 0x3
	buffer_load_dword v88, v90, s[0:3], 0 offen offset:8
	buffer_load_dword v89, v90, s[0:3], 0 offen offset:12
	buffer_load_dword v96, v90, s[0:3], 0 offen
	buffer_load_dword v97, v90, s[0:3], 0 offen offset:4
	v_mov_b32_e32 v90, s49
	v_cmp_eq_u32_e32 vcc_lo, 0, v87
	s_add_i32 s49, s49, 16
	ds_read_b128 v[92:95], v90
	s_or_b32 s4, vcc_lo, s4
	s_waitcnt vmcnt(2) lgkmcnt(0)
	v_mul_f64 v[98:99], v[94:95], v[88:89]
	v_mul_f64 v[88:89], v[92:93], v[88:89]
	s_waitcnt vmcnt(0)
	v_fma_f64 v[92:93], v[92:93], v[96:97], -v[98:99]
	v_fma_f64 v[88:89], v[94:95], v[96:97], v[88:89]
	v_add_f64 v[1:2], v[1:2], v[92:93]
	v_add_f64 v[3:4], v[3:4], v[88:89]
	s_andn2_b32 exec_lo, exec_lo, s4
	s_cbranch_execnz .LBB103_160
; %bb.161:
	s_or_b32 exec_lo, exec_lo, s4
.LBB103_162:
	s_or_b32 exec_lo, exec_lo, s8
	v_mov_b32_e32 v87, 0
	ds_read_b128 v[87:90], v87 offset:304
	s_waitcnt lgkmcnt(0)
	v_mul_f64 v[92:93], v[3:4], v[89:90]
	v_mul_f64 v[89:90], v[1:2], v[89:90]
	v_fma_f64 v[1:2], v[1:2], v[87:88], -v[92:93]
	v_fma_f64 v[3:4], v[3:4], v[87:88], v[89:90]
	buffer_store_dword v2, off, s[0:3], 0 offset:308
	buffer_store_dword v1, off, s[0:3], 0 offset:304
	;; [unrolled: 1-line block ×4, first 2 shown]
.LBB103_163:
	s_or_b32 exec_lo, exec_lo, s6
	v_mov_b32_e32 v4, s29
	v_cmp_lt_u32_e64 s4, 18, v0
	s_clause 0x3
	buffer_load_dword v1, v4, s[0:3], 0 offen
	buffer_load_dword v2, v4, s[0:3], 0 offen offset:4
	buffer_load_dword v3, v4, s[0:3], 0 offen offset:8
	;; [unrolled: 1-line block ×3, first 2 shown]
	s_waitcnt vmcnt(0)
	ds_write_b128 v86, v[1:4]
	s_waitcnt lgkmcnt(0)
	s_waitcnt_vscnt null, 0x0
	s_barrier
	buffer_gl0_inv
	s_and_saveexec_b32 s6, s4
	s_cbranch_execz .LBB103_171
; %bb.164:
	ds_read_b128 v[1:4], v86
	s_andn2_b32 vcc_lo, exec_lo, s48
	s_cbranch_vccnz .LBB103_166
; %bb.165:
	s_clause 0x3
	buffer_load_dword v87, v85, s[0:3], 0 offen offset:8
	buffer_load_dword v88, v85, s[0:3], 0 offen offset:12
	buffer_load_dword v89, v85, s[0:3], 0 offen
	buffer_load_dword v90, v85, s[0:3], 0 offen offset:4
	s_waitcnt vmcnt(2) lgkmcnt(0)
	v_mul_f64 v[92:93], v[3:4], v[87:88]
	v_mul_f64 v[87:88], v[1:2], v[87:88]
	s_waitcnt vmcnt(0)
	v_fma_f64 v[1:2], v[1:2], v[89:90], -v[92:93]
	v_fma_f64 v[3:4], v[3:4], v[89:90], v[87:88]
.LBB103_166:
	s_and_saveexec_b32 s8, s5
	s_cbranch_execz .LBB103_170
; %bb.167:
	v_subrev_nc_u32_e32 v87, 19, v0
	s_movk_i32 s49, 0x3b0
	s_mov_b32 s5, 0
	s_mov_b32 s50, s28
	.p2align	6
.LBB103_168:                            ; =>This Inner Loop Header: Depth=1
	v_mov_b32_e32 v90, s50
	v_add_nc_u32_e32 v87, -1, v87
	s_add_i32 s50, s50, 16
	s_clause 0x3
	buffer_load_dword v88, v90, s[0:3], 0 offen offset:8
	buffer_load_dword v89, v90, s[0:3], 0 offen offset:12
	buffer_load_dword v96, v90, s[0:3], 0 offen
	buffer_load_dword v97, v90, s[0:3], 0 offen offset:4
	v_mov_b32_e32 v90, s49
	v_cmp_eq_u32_e32 vcc_lo, 0, v87
	s_add_i32 s49, s49, 16
	ds_read_b128 v[92:95], v90
	s_or_b32 s5, vcc_lo, s5
	s_waitcnt vmcnt(2) lgkmcnt(0)
	v_mul_f64 v[98:99], v[94:95], v[88:89]
	v_mul_f64 v[88:89], v[92:93], v[88:89]
	s_waitcnt vmcnt(0)
	v_fma_f64 v[92:93], v[92:93], v[96:97], -v[98:99]
	v_fma_f64 v[88:89], v[94:95], v[96:97], v[88:89]
	v_add_f64 v[1:2], v[1:2], v[92:93]
	v_add_f64 v[3:4], v[3:4], v[88:89]
	s_andn2_b32 exec_lo, exec_lo, s5
	s_cbranch_execnz .LBB103_168
; %bb.169:
	s_or_b32 exec_lo, exec_lo, s5
.LBB103_170:
	s_or_b32 exec_lo, exec_lo, s8
	v_mov_b32_e32 v87, 0
	ds_read_b128 v[87:90], v87 offset:288
	s_waitcnt lgkmcnt(0)
	v_mul_f64 v[92:93], v[3:4], v[89:90]
	v_mul_f64 v[89:90], v[1:2], v[89:90]
	v_fma_f64 v[1:2], v[1:2], v[87:88], -v[92:93]
	v_fma_f64 v[3:4], v[3:4], v[87:88], v[89:90]
	buffer_store_dword v2, off, s[0:3], 0 offset:292
	buffer_store_dword v1, off, s[0:3], 0 offset:288
	;; [unrolled: 1-line block ×4, first 2 shown]
.LBB103_171:
	s_or_b32 exec_lo, exec_lo, s6
	v_mov_b32_e32 v4, s30
	v_cmp_lt_u32_e64 s5, 17, v0
	s_clause 0x3
	buffer_load_dword v1, v4, s[0:3], 0 offen
	buffer_load_dword v2, v4, s[0:3], 0 offen offset:4
	buffer_load_dword v3, v4, s[0:3], 0 offen offset:8
	;; [unrolled: 1-line block ×3, first 2 shown]
	s_waitcnt vmcnt(0)
	ds_write_b128 v86, v[1:4]
	s_waitcnt lgkmcnt(0)
	s_waitcnt_vscnt null, 0x0
	s_barrier
	buffer_gl0_inv
	s_and_saveexec_b32 s6, s5
	s_cbranch_execz .LBB103_179
; %bb.172:
	ds_read_b128 v[1:4], v86
	s_andn2_b32 vcc_lo, exec_lo, s48
	s_cbranch_vccnz .LBB103_174
; %bb.173:
	s_clause 0x3
	buffer_load_dword v87, v85, s[0:3], 0 offen offset:8
	buffer_load_dword v88, v85, s[0:3], 0 offen offset:12
	buffer_load_dword v89, v85, s[0:3], 0 offen
	buffer_load_dword v90, v85, s[0:3], 0 offen offset:4
	s_waitcnt vmcnt(2) lgkmcnt(0)
	v_mul_f64 v[92:93], v[3:4], v[87:88]
	v_mul_f64 v[87:88], v[1:2], v[87:88]
	s_waitcnt vmcnt(0)
	v_fma_f64 v[1:2], v[1:2], v[89:90], -v[92:93]
	v_fma_f64 v[3:4], v[3:4], v[89:90], v[87:88]
.LBB103_174:
	s_and_saveexec_b32 s8, s4
	s_cbranch_execz .LBB103_178
; %bb.175:
	v_subrev_nc_u32_e32 v87, 18, v0
	s_movk_i32 s49, 0x3a0
	s_mov_b32 s4, 0
	s_mov_b32 s50, s29
	.p2align	6
.LBB103_176:                            ; =>This Inner Loop Header: Depth=1
	v_mov_b32_e32 v90, s50
	v_add_nc_u32_e32 v87, -1, v87
	s_add_i32 s50, s50, 16
	s_clause 0x3
	buffer_load_dword v88, v90, s[0:3], 0 offen offset:8
	buffer_load_dword v89, v90, s[0:3], 0 offen offset:12
	buffer_load_dword v96, v90, s[0:3], 0 offen
	buffer_load_dword v97, v90, s[0:3], 0 offen offset:4
	v_mov_b32_e32 v90, s49
	v_cmp_eq_u32_e32 vcc_lo, 0, v87
	s_add_i32 s49, s49, 16
	ds_read_b128 v[92:95], v90
	s_or_b32 s4, vcc_lo, s4
	s_waitcnt vmcnt(2) lgkmcnt(0)
	v_mul_f64 v[98:99], v[94:95], v[88:89]
	v_mul_f64 v[88:89], v[92:93], v[88:89]
	s_waitcnt vmcnt(0)
	v_fma_f64 v[92:93], v[92:93], v[96:97], -v[98:99]
	v_fma_f64 v[88:89], v[94:95], v[96:97], v[88:89]
	v_add_f64 v[1:2], v[1:2], v[92:93]
	v_add_f64 v[3:4], v[3:4], v[88:89]
	s_andn2_b32 exec_lo, exec_lo, s4
	s_cbranch_execnz .LBB103_176
; %bb.177:
	s_or_b32 exec_lo, exec_lo, s4
.LBB103_178:
	s_or_b32 exec_lo, exec_lo, s8
	v_mov_b32_e32 v87, 0
	ds_read_b128 v[87:90], v87 offset:272
	s_waitcnt lgkmcnt(0)
	v_mul_f64 v[92:93], v[3:4], v[89:90]
	v_mul_f64 v[89:90], v[1:2], v[89:90]
	v_fma_f64 v[1:2], v[1:2], v[87:88], -v[92:93]
	v_fma_f64 v[3:4], v[3:4], v[87:88], v[89:90]
	buffer_store_dword v2, off, s[0:3], 0 offset:276
	buffer_store_dword v1, off, s[0:3], 0 offset:272
	;; [unrolled: 1-line block ×4, first 2 shown]
.LBB103_179:
	s_or_b32 exec_lo, exec_lo, s6
	v_mov_b32_e32 v4, s31
	v_cmp_lt_u32_e64 s4, 16, v0
	s_clause 0x3
	buffer_load_dword v1, v4, s[0:3], 0 offen
	buffer_load_dword v2, v4, s[0:3], 0 offen offset:4
	buffer_load_dword v3, v4, s[0:3], 0 offen offset:8
	;; [unrolled: 1-line block ×3, first 2 shown]
	s_waitcnt vmcnt(0)
	ds_write_b128 v86, v[1:4]
	s_waitcnt lgkmcnt(0)
	s_waitcnt_vscnt null, 0x0
	s_barrier
	buffer_gl0_inv
	s_and_saveexec_b32 s6, s4
	s_cbranch_execz .LBB103_187
; %bb.180:
	ds_read_b128 v[1:4], v86
	s_andn2_b32 vcc_lo, exec_lo, s48
	s_cbranch_vccnz .LBB103_182
; %bb.181:
	s_clause 0x3
	buffer_load_dword v87, v85, s[0:3], 0 offen offset:8
	buffer_load_dword v88, v85, s[0:3], 0 offen offset:12
	buffer_load_dword v89, v85, s[0:3], 0 offen
	buffer_load_dword v90, v85, s[0:3], 0 offen offset:4
	s_waitcnt vmcnt(2) lgkmcnt(0)
	v_mul_f64 v[92:93], v[3:4], v[87:88]
	v_mul_f64 v[87:88], v[1:2], v[87:88]
	s_waitcnt vmcnt(0)
	v_fma_f64 v[1:2], v[1:2], v[89:90], -v[92:93]
	v_fma_f64 v[3:4], v[3:4], v[89:90], v[87:88]
.LBB103_182:
	s_and_saveexec_b32 s8, s5
	s_cbranch_execz .LBB103_186
; %bb.183:
	v_subrev_nc_u32_e32 v87, 17, v0
	s_movk_i32 s49, 0x390
	s_mov_b32 s5, 0
	s_mov_b32 s50, s30
	.p2align	6
.LBB103_184:                            ; =>This Inner Loop Header: Depth=1
	v_mov_b32_e32 v90, s50
	v_add_nc_u32_e32 v87, -1, v87
	s_add_i32 s50, s50, 16
	s_clause 0x3
	buffer_load_dword v88, v90, s[0:3], 0 offen offset:8
	buffer_load_dword v89, v90, s[0:3], 0 offen offset:12
	buffer_load_dword v96, v90, s[0:3], 0 offen
	buffer_load_dword v97, v90, s[0:3], 0 offen offset:4
	v_mov_b32_e32 v90, s49
	v_cmp_eq_u32_e32 vcc_lo, 0, v87
	s_add_i32 s49, s49, 16
	ds_read_b128 v[92:95], v90
	s_or_b32 s5, vcc_lo, s5
	s_waitcnt vmcnt(2) lgkmcnt(0)
	v_mul_f64 v[98:99], v[94:95], v[88:89]
	v_mul_f64 v[88:89], v[92:93], v[88:89]
	s_waitcnt vmcnt(0)
	v_fma_f64 v[92:93], v[92:93], v[96:97], -v[98:99]
	v_fma_f64 v[88:89], v[94:95], v[96:97], v[88:89]
	v_add_f64 v[1:2], v[1:2], v[92:93]
	v_add_f64 v[3:4], v[3:4], v[88:89]
	s_andn2_b32 exec_lo, exec_lo, s5
	s_cbranch_execnz .LBB103_184
; %bb.185:
	s_or_b32 exec_lo, exec_lo, s5
.LBB103_186:
	s_or_b32 exec_lo, exec_lo, s8
	v_mov_b32_e32 v87, 0
	ds_read_b128 v[87:90], v87 offset:256
	s_waitcnt lgkmcnt(0)
	v_mul_f64 v[92:93], v[3:4], v[89:90]
	v_mul_f64 v[89:90], v[1:2], v[89:90]
	v_fma_f64 v[1:2], v[1:2], v[87:88], -v[92:93]
	v_fma_f64 v[3:4], v[3:4], v[87:88], v[89:90]
	buffer_store_dword v2, off, s[0:3], 0 offset:260
	buffer_store_dword v1, off, s[0:3], 0 offset:256
	;; [unrolled: 1-line block ×4, first 2 shown]
.LBB103_187:
	s_or_b32 exec_lo, exec_lo, s6
	v_mov_b32_e32 v4, s33
	v_cmp_lt_u32_e64 s5, 15, v0
	s_clause 0x3
	buffer_load_dword v1, v4, s[0:3], 0 offen
	buffer_load_dword v2, v4, s[0:3], 0 offen offset:4
	buffer_load_dword v3, v4, s[0:3], 0 offen offset:8
	;; [unrolled: 1-line block ×3, first 2 shown]
	s_waitcnt vmcnt(0)
	ds_write_b128 v86, v[1:4]
	s_waitcnt lgkmcnt(0)
	s_waitcnt_vscnt null, 0x0
	s_barrier
	buffer_gl0_inv
	s_and_saveexec_b32 s6, s5
	s_cbranch_execz .LBB103_195
; %bb.188:
	ds_read_b128 v[1:4], v86
	s_andn2_b32 vcc_lo, exec_lo, s48
	s_cbranch_vccnz .LBB103_190
; %bb.189:
	s_clause 0x3
	buffer_load_dword v87, v85, s[0:3], 0 offen offset:8
	buffer_load_dword v88, v85, s[0:3], 0 offen offset:12
	buffer_load_dword v89, v85, s[0:3], 0 offen
	buffer_load_dword v90, v85, s[0:3], 0 offen offset:4
	s_waitcnt vmcnt(2) lgkmcnt(0)
	v_mul_f64 v[92:93], v[3:4], v[87:88]
	v_mul_f64 v[87:88], v[1:2], v[87:88]
	s_waitcnt vmcnt(0)
	v_fma_f64 v[1:2], v[1:2], v[89:90], -v[92:93]
	v_fma_f64 v[3:4], v[3:4], v[89:90], v[87:88]
.LBB103_190:
	s_and_saveexec_b32 s8, s4
	s_cbranch_execz .LBB103_194
; %bb.191:
	v_add_nc_u32_e32 v87, -16, v0
	s_movk_i32 s49, 0x380
	s_mov_b32 s4, 0
	s_mov_b32 s50, s31
	.p2align	6
.LBB103_192:                            ; =>This Inner Loop Header: Depth=1
	v_mov_b32_e32 v90, s50
	v_add_nc_u32_e32 v87, -1, v87
	s_add_i32 s50, s50, 16
	s_clause 0x3
	buffer_load_dword v88, v90, s[0:3], 0 offen offset:8
	buffer_load_dword v89, v90, s[0:3], 0 offen offset:12
	buffer_load_dword v96, v90, s[0:3], 0 offen
	buffer_load_dword v97, v90, s[0:3], 0 offen offset:4
	v_mov_b32_e32 v90, s49
	v_cmp_eq_u32_e32 vcc_lo, 0, v87
	s_add_i32 s49, s49, 16
	ds_read_b128 v[92:95], v90
	s_or_b32 s4, vcc_lo, s4
	s_waitcnt vmcnt(2) lgkmcnt(0)
	v_mul_f64 v[98:99], v[94:95], v[88:89]
	v_mul_f64 v[88:89], v[92:93], v[88:89]
	s_waitcnt vmcnt(0)
	v_fma_f64 v[92:93], v[92:93], v[96:97], -v[98:99]
	v_fma_f64 v[88:89], v[94:95], v[96:97], v[88:89]
	v_add_f64 v[1:2], v[1:2], v[92:93]
	v_add_f64 v[3:4], v[3:4], v[88:89]
	s_andn2_b32 exec_lo, exec_lo, s4
	s_cbranch_execnz .LBB103_192
; %bb.193:
	s_or_b32 exec_lo, exec_lo, s4
.LBB103_194:
	s_or_b32 exec_lo, exec_lo, s8
	v_mov_b32_e32 v87, 0
	ds_read_b128 v[87:90], v87 offset:240
	s_waitcnt lgkmcnt(0)
	v_mul_f64 v[92:93], v[3:4], v[89:90]
	v_mul_f64 v[89:90], v[1:2], v[89:90]
	v_fma_f64 v[1:2], v[1:2], v[87:88], -v[92:93]
	v_fma_f64 v[3:4], v[3:4], v[87:88], v[89:90]
	buffer_store_dword v2, off, s[0:3], 0 offset:244
	buffer_store_dword v1, off, s[0:3], 0 offset:240
	;; [unrolled: 1-line block ×4, first 2 shown]
.LBB103_195:
	s_or_b32 exec_lo, exec_lo, s6
	v_mov_b32_e32 v4, s34
	v_cmp_lt_u32_e64 s4, 14, v0
	s_clause 0x3
	buffer_load_dword v1, v4, s[0:3], 0 offen
	buffer_load_dword v2, v4, s[0:3], 0 offen offset:4
	buffer_load_dword v3, v4, s[0:3], 0 offen offset:8
	;; [unrolled: 1-line block ×3, first 2 shown]
	s_waitcnt vmcnt(0)
	ds_write_b128 v86, v[1:4]
	s_waitcnt lgkmcnt(0)
	s_waitcnt_vscnt null, 0x0
	s_barrier
	buffer_gl0_inv
	s_and_saveexec_b32 s6, s4
	s_cbranch_execz .LBB103_203
; %bb.196:
	ds_read_b128 v[1:4], v86
	s_andn2_b32 vcc_lo, exec_lo, s48
	s_cbranch_vccnz .LBB103_198
; %bb.197:
	s_clause 0x3
	buffer_load_dword v87, v85, s[0:3], 0 offen offset:8
	buffer_load_dword v88, v85, s[0:3], 0 offen offset:12
	buffer_load_dword v89, v85, s[0:3], 0 offen
	buffer_load_dword v90, v85, s[0:3], 0 offen offset:4
	s_waitcnt vmcnt(2) lgkmcnt(0)
	v_mul_f64 v[92:93], v[3:4], v[87:88]
	v_mul_f64 v[87:88], v[1:2], v[87:88]
	s_waitcnt vmcnt(0)
	v_fma_f64 v[1:2], v[1:2], v[89:90], -v[92:93]
	v_fma_f64 v[3:4], v[3:4], v[89:90], v[87:88]
.LBB103_198:
	s_and_saveexec_b32 s8, s5
	s_cbranch_execz .LBB103_202
; %bb.199:
	v_add_nc_u32_e32 v87, -15, v0
	s_movk_i32 s49, 0x370
	s_mov_b32 s5, 0
	s_mov_b32 s50, s33
	.p2align	6
.LBB103_200:                            ; =>This Inner Loop Header: Depth=1
	v_mov_b32_e32 v90, s50
	v_add_nc_u32_e32 v87, -1, v87
	s_add_i32 s50, s50, 16
	s_clause 0x3
	buffer_load_dword v88, v90, s[0:3], 0 offen offset:8
	buffer_load_dword v89, v90, s[0:3], 0 offen offset:12
	buffer_load_dword v96, v90, s[0:3], 0 offen
	buffer_load_dword v97, v90, s[0:3], 0 offen offset:4
	v_mov_b32_e32 v90, s49
	v_cmp_eq_u32_e32 vcc_lo, 0, v87
	s_add_i32 s49, s49, 16
	ds_read_b128 v[92:95], v90
	s_or_b32 s5, vcc_lo, s5
	s_waitcnt vmcnt(2) lgkmcnt(0)
	v_mul_f64 v[98:99], v[94:95], v[88:89]
	v_mul_f64 v[88:89], v[92:93], v[88:89]
	s_waitcnt vmcnt(0)
	v_fma_f64 v[92:93], v[92:93], v[96:97], -v[98:99]
	v_fma_f64 v[88:89], v[94:95], v[96:97], v[88:89]
	v_add_f64 v[1:2], v[1:2], v[92:93]
	v_add_f64 v[3:4], v[3:4], v[88:89]
	s_andn2_b32 exec_lo, exec_lo, s5
	s_cbranch_execnz .LBB103_200
; %bb.201:
	s_or_b32 exec_lo, exec_lo, s5
.LBB103_202:
	s_or_b32 exec_lo, exec_lo, s8
	v_mov_b32_e32 v87, 0
	ds_read_b128 v[87:90], v87 offset:224
	s_waitcnt lgkmcnt(0)
	v_mul_f64 v[92:93], v[3:4], v[89:90]
	v_mul_f64 v[89:90], v[1:2], v[89:90]
	v_fma_f64 v[1:2], v[1:2], v[87:88], -v[92:93]
	v_fma_f64 v[3:4], v[3:4], v[87:88], v[89:90]
	buffer_store_dword v2, off, s[0:3], 0 offset:228
	buffer_store_dword v1, off, s[0:3], 0 offset:224
	;; [unrolled: 1-line block ×4, first 2 shown]
.LBB103_203:
	s_or_b32 exec_lo, exec_lo, s6
	v_mov_b32_e32 v4, s35
	v_cmp_lt_u32_e64 s5, 13, v0
	s_clause 0x3
	buffer_load_dword v1, v4, s[0:3], 0 offen
	buffer_load_dword v2, v4, s[0:3], 0 offen offset:4
	buffer_load_dword v3, v4, s[0:3], 0 offen offset:8
	;; [unrolled: 1-line block ×3, first 2 shown]
	s_waitcnt vmcnt(0)
	ds_write_b128 v86, v[1:4]
	s_waitcnt lgkmcnt(0)
	s_waitcnt_vscnt null, 0x0
	s_barrier
	buffer_gl0_inv
	s_and_saveexec_b32 s6, s5
	s_cbranch_execz .LBB103_211
; %bb.204:
	ds_read_b128 v[1:4], v86
	s_andn2_b32 vcc_lo, exec_lo, s48
	s_cbranch_vccnz .LBB103_206
; %bb.205:
	s_clause 0x3
	buffer_load_dword v87, v85, s[0:3], 0 offen offset:8
	buffer_load_dword v88, v85, s[0:3], 0 offen offset:12
	buffer_load_dword v89, v85, s[0:3], 0 offen
	buffer_load_dword v90, v85, s[0:3], 0 offen offset:4
	s_waitcnt vmcnt(2) lgkmcnt(0)
	v_mul_f64 v[92:93], v[3:4], v[87:88]
	v_mul_f64 v[87:88], v[1:2], v[87:88]
	s_waitcnt vmcnt(0)
	v_fma_f64 v[1:2], v[1:2], v[89:90], -v[92:93]
	v_fma_f64 v[3:4], v[3:4], v[89:90], v[87:88]
.LBB103_206:
	s_and_saveexec_b32 s8, s4
	s_cbranch_execz .LBB103_210
; %bb.207:
	v_add_nc_u32_e32 v87, -14, v0
	s_movk_i32 s49, 0x360
	s_mov_b32 s4, 0
	s_mov_b32 s50, s34
	.p2align	6
.LBB103_208:                            ; =>This Inner Loop Header: Depth=1
	v_mov_b32_e32 v90, s50
	v_add_nc_u32_e32 v87, -1, v87
	s_add_i32 s50, s50, 16
	s_clause 0x3
	buffer_load_dword v88, v90, s[0:3], 0 offen offset:8
	buffer_load_dword v89, v90, s[0:3], 0 offen offset:12
	buffer_load_dword v96, v90, s[0:3], 0 offen
	buffer_load_dword v97, v90, s[0:3], 0 offen offset:4
	v_mov_b32_e32 v90, s49
	v_cmp_eq_u32_e32 vcc_lo, 0, v87
	s_add_i32 s49, s49, 16
	ds_read_b128 v[92:95], v90
	s_or_b32 s4, vcc_lo, s4
	s_waitcnt vmcnt(2) lgkmcnt(0)
	v_mul_f64 v[98:99], v[94:95], v[88:89]
	v_mul_f64 v[88:89], v[92:93], v[88:89]
	s_waitcnt vmcnt(0)
	v_fma_f64 v[92:93], v[92:93], v[96:97], -v[98:99]
	v_fma_f64 v[88:89], v[94:95], v[96:97], v[88:89]
	v_add_f64 v[1:2], v[1:2], v[92:93]
	v_add_f64 v[3:4], v[3:4], v[88:89]
	s_andn2_b32 exec_lo, exec_lo, s4
	s_cbranch_execnz .LBB103_208
; %bb.209:
	s_or_b32 exec_lo, exec_lo, s4
.LBB103_210:
	s_or_b32 exec_lo, exec_lo, s8
	v_mov_b32_e32 v87, 0
	ds_read_b128 v[87:90], v87 offset:208
	s_waitcnt lgkmcnt(0)
	v_mul_f64 v[92:93], v[3:4], v[89:90]
	v_mul_f64 v[89:90], v[1:2], v[89:90]
	v_fma_f64 v[1:2], v[1:2], v[87:88], -v[92:93]
	v_fma_f64 v[3:4], v[3:4], v[87:88], v[89:90]
	buffer_store_dword v2, off, s[0:3], 0 offset:212
	buffer_store_dword v1, off, s[0:3], 0 offset:208
	;; [unrolled: 1-line block ×4, first 2 shown]
.LBB103_211:
	s_or_b32 exec_lo, exec_lo, s6
	v_mov_b32_e32 v4, s36
	v_cmp_lt_u32_e64 s4, 12, v0
	s_clause 0x3
	buffer_load_dword v1, v4, s[0:3], 0 offen
	buffer_load_dword v2, v4, s[0:3], 0 offen offset:4
	buffer_load_dword v3, v4, s[0:3], 0 offen offset:8
	;; [unrolled: 1-line block ×3, first 2 shown]
	s_waitcnt vmcnt(0)
	ds_write_b128 v86, v[1:4]
	s_waitcnt lgkmcnt(0)
	s_waitcnt_vscnt null, 0x0
	s_barrier
	buffer_gl0_inv
	s_and_saveexec_b32 s6, s4
	s_cbranch_execz .LBB103_219
; %bb.212:
	ds_read_b128 v[1:4], v86
	s_andn2_b32 vcc_lo, exec_lo, s48
	s_cbranch_vccnz .LBB103_214
; %bb.213:
	s_clause 0x3
	buffer_load_dword v87, v85, s[0:3], 0 offen offset:8
	buffer_load_dword v88, v85, s[0:3], 0 offen offset:12
	buffer_load_dword v89, v85, s[0:3], 0 offen
	buffer_load_dword v90, v85, s[0:3], 0 offen offset:4
	s_waitcnt vmcnt(2) lgkmcnt(0)
	v_mul_f64 v[92:93], v[3:4], v[87:88]
	v_mul_f64 v[87:88], v[1:2], v[87:88]
	s_waitcnt vmcnt(0)
	v_fma_f64 v[1:2], v[1:2], v[89:90], -v[92:93]
	v_fma_f64 v[3:4], v[3:4], v[89:90], v[87:88]
.LBB103_214:
	s_and_saveexec_b32 s8, s5
	s_cbranch_execz .LBB103_218
; %bb.215:
	v_add_nc_u32_e32 v87, -13, v0
	s_movk_i32 s49, 0x350
	s_mov_b32 s5, 0
	s_mov_b32 s50, s35
	.p2align	6
.LBB103_216:                            ; =>This Inner Loop Header: Depth=1
	v_mov_b32_e32 v90, s50
	v_add_nc_u32_e32 v87, -1, v87
	s_add_i32 s50, s50, 16
	s_clause 0x3
	buffer_load_dword v88, v90, s[0:3], 0 offen offset:8
	buffer_load_dword v89, v90, s[0:3], 0 offen offset:12
	buffer_load_dword v96, v90, s[0:3], 0 offen
	buffer_load_dword v97, v90, s[0:3], 0 offen offset:4
	v_mov_b32_e32 v90, s49
	v_cmp_eq_u32_e32 vcc_lo, 0, v87
	s_add_i32 s49, s49, 16
	ds_read_b128 v[92:95], v90
	s_or_b32 s5, vcc_lo, s5
	s_waitcnt vmcnt(2) lgkmcnt(0)
	v_mul_f64 v[98:99], v[94:95], v[88:89]
	v_mul_f64 v[88:89], v[92:93], v[88:89]
	s_waitcnt vmcnt(0)
	v_fma_f64 v[92:93], v[92:93], v[96:97], -v[98:99]
	v_fma_f64 v[88:89], v[94:95], v[96:97], v[88:89]
	v_add_f64 v[1:2], v[1:2], v[92:93]
	v_add_f64 v[3:4], v[3:4], v[88:89]
	s_andn2_b32 exec_lo, exec_lo, s5
	s_cbranch_execnz .LBB103_216
; %bb.217:
	s_or_b32 exec_lo, exec_lo, s5
.LBB103_218:
	s_or_b32 exec_lo, exec_lo, s8
	v_mov_b32_e32 v87, 0
	ds_read_b128 v[87:90], v87 offset:192
	s_waitcnt lgkmcnt(0)
	v_mul_f64 v[92:93], v[3:4], v[89:90]
	v_mul_f64 v[89:90], v[1:2], v[89:90]
	v_fma_f64 v[1:2], v[1:2], v[87:88], -v[92:93]
	v_fma_f64 v[3:4], v[3:4], v[87:88], v[89:90]
	buffer_store_dword v2, off, s[0:3], 0 offset:196
	buffer_store_dword v1, off, s[0:3], 0 offset:192
	;; [unrolled: 1-line block ×4, first 2 shown]
.LBB103_219:
	s_or_b32 exec_lo, exec_lo, s6
	v_mov_b32_e32 v4, s37
	v_cmp_lt_u32_e64 s5, 11, v0
	s_clause 0x3
	buffer_load_dword v1, v4, s[0:3], 0 offen
	buffer_load_dword v2, v4, s[0:3], 0 offen offset:4
	buffer_load_dword v3, v4, s[0:3], 0 offen offset:8
	buffer_load_dword v4, v4, s[0:3], 0 offen offset:12
	s_waitcnt vmcnt(0)
	ds_write_b128 v86, v[1:4]
	s_waitcnt lgkmcnt(0)
	s_waitcnt_vscnt null, 0x0
	s_barrier
	buffer_gl0_inv
	s_and_saveexec_b32 s6, s5
	s_cbranch_execz .LBB103_227
; %bb.220:
	ds_read_b128 v[1:4], v86
	s_andn2_b32 vcc_lo, exec_lo, s48
	s_cbranch_vccnz .LBB103_222
; %bb.221:
	s_clause 0x3
	buffer_load_dword v87, v85, s[0:3], 0 offen offset:8
	buffer_load_dword v88, v85, s[0:3], 0 offen offset:12
	buffer_load_dword v89, v85, s[0:3], 0 offen
	buffer_load_dword v90, v85, s[0:3], 0 offen offset:4
	s_waitcnt vmcnt(2) lgkmcnt(0)
	v_mul_f64 v[92:93], v[3:4], v[87:88]
	v_mul_f64 v[87:88], v[1:2], v[87:88]
	s_waitcnt vmcnt(0)
	v_fma_f64 v[1:2], v[1:2], v[89:90], -v[92:93]
	v_fma_f64 v[3:4], v[3:4], v[89:90], v[87:88]
.LBB103_222:
	s_and_saveexec_b32 s8, s4
	s_cbranch_execz .LBB103_226
; %bb.223:
	v_add_nc_u32_e32 v87, -12, v0
	s_movk_i32 s49, 0x340
	s_mov_b32 s4, 0
	s_mov_b32 s50, s36
	.p2align	6
.LBB103_224:                            ; =>This Inner Loop Header: Depth=1
	v_mov_b32_e32 v90, s50
	v_add_nc_u32_e32 v87, -1, v87
	s_add_i32 s50, s50, 16
	s_clause 0x3
	buffer_load_dword v88, v90, s[0:3], 0 offen offset:8
	buffer_load_dword v89, v90, s[0:3], 0 offen offset:12
	buffer_load_dword v96, v90, s[0:3], 0 offen
	buffer_load_dword v97, v90, s[0:3], 0 offen offset:4
	v_mov_b32_e32 v90, s49
	v_cmp_eq_u32_e32 vcc_lo, 0, v87
	s_add_i32 s49, s49, 16
	ds_read_b128 v[92:95], v90
	s_or_b32 s4, vcc_lo, s4
	s_waitcnt vmcnt(2) lgkmcnt(0)
	v_mul_f64 v[98:99], v[94:95], v[88:89]
	v_mul_f64 v[88:89], v[92:93], v[88:89]
	s_waitcnt vmcnt(0)
	v_fma_f64 v[92:93], v[92:93], v[96:97], -v[98:99]
	v_fma_f64 v[88:89], v[94:95], v[96:97], v[88:89]
	v_add_f64 v[1:2], v[1:2], v[92:93]
	v_add_f64 v[3:4], v[3:4], v[88:89]
	s_andn2_b32 exec_lo, exec_lo, s4
	s_cbranch_execnz .LBB103_224
; %bb.225:
	s_or_b32 exec_lo, exec_lo, s4
.LBB103_226:
	s_or_b32 exec_lo, exec_lo, s8
	v_mov_b32_e32 v87, 0
	ds_read_b128 v[87:90], v87 offset:176
	s_waitcnt lgkmcnt(0)
	v_mul_f64 v[92:93], v[3:4], v[89:90]
	v_mul_f64 v[89:90], v[1:2], v[89:90]
	v_fma_f64 v[1:2], v[1:2], v[87:88], -v[92:93]
	v_fma_f64 v[3:4], v[3:4], v[87:88], v[89:90]
	buffer_store_dword v2, off, s[0:3], 0 offset:180
	buffer_store_dword v1, off, s[0:3], 0 offset:176
	buffer_store_dword v4, off, s[0:3], 0 offset:188
	buffer_store_dword v3, off, s[0:3], 0 offset:184
.LBB103_227:
	s_or_b32 exec_lo, exec_lo, s6
	v_mov_b32_e32 v4, s38
	v_cmp_lt_u32_e64 s4, 10, v0
	s_clause 0x3
	buffer_load_dword v1, v4, s[0:3], 0 offen
	buffer_load_dword v2, v4, s[0:3], 0 offen offset:4
	buffer_load_dword v3, v4, s[0:3], 0 offen offset:8
	;; [unrolled: 1-line block ×3, first 2 shown]
	s_waitcnt vmcnt(0)
	ds_write_b128 v86, v[1:4]
	s_waitcnt lgkmcnt(0)
	s_waitcnt_vscnt null, 0x0
	s_barrier
	buffer_gl0_inv
	s_and_saveexec_b32 s6, s4
	s_cbranch_execz .LBB103_235
; %bb.228:
	ds_read_b128 v[1:4], v86
	s_andn2_b32 vcc_lo, exec_lo, s48
	s_cbranch_vccnz .LBB103_230
; %bb.229:
	s_clause 0x3
	buffer_load_dword v87, v85, s[0:3], 0 offen offset:8
	buffer_load_dword v88, v85, s[0:3], 0 offen offset:12
	buffer_load_dword v89, v85, s[0:3], 0 offen
	buffer_load_dword v90, v85, s[0:3], 0 offen offset:4
	s_waitcnt vmcnt(2) lgkmcnt(0)
	v_mul_f64 v[92:93], v[3:4], v[87:88]
	v_mul_f64 v[87:88], v[1:2], v[87:88]
	s_waitcnt vmcnt(0)
	v_fma_f64 v[1:2], v[1:2], v[89:90], -v[92:93]
	v_fma_f64 v[3:4], v[3:4], v[89:90], v[87:88]
.LBB103_230:
	s_and_saveexec_b32 s8, s5
	s_cbranch_execz .LBB103_234
; %bb.231:
	v_add_nc_u32_e32 v87, -11, v0
	s_movk_i32 s49, 0x330
	s_mov_b32 s5, 0
	s_mov_b32 s50, s37
	.p2align	6
.LBB103_232:                            ; =>This Inner Loop Header: Depth=1
	v_mov_b32_e32 v90, s50
	v_add_nc_u32_e32 v87, -1, v87
	s_add_i32 s50, s50, 16
	s_clause 0x3
	buffer_load_dword v88, v90, s[0:3], 0 offen offset:8
	buffer_load_dword v89, v90, s[0:3], 0 offen offset:12
	buffer_load_dword v96, v90, s[0:3], 0 offen
	buffer_load_dword v97, v90, s[0:3], 0 offen offset:4
	v_mov_b32_e32 v90, s49
	v_cmp_eq_u32_e32 vcc_lo, 0, v87
	s_add_i32 s49, s49, 16
	ds_read_b128 v[92:95], v90
	s_or_b32 s5, vcc_lo, s5
	s_waitcnt vmcnt(2) lgkmcnt(0)
	v_mul_f64 v[98:99], v[94:95], v[88:89]
	v_mul_f64 v[88:89], v[92:93], v[88:89]
	s_waitcnt vmcnt(0)
	v_fma_f64 v[92:93], v[92:93], v[96:97], -v[98:99]
	v_fma_f64 v[88:89], v[94:95], v[96:97], v[88:89]
	v_add_f64 v[1:2], v[1:2], v[92:93]
	v_add_f64 v[3:4], v[3:4], v[88:89]
	s_andn2_b32 exec_lo, exec_lo, s5
	s_cbranch_execnz .LBB103_232
; %bb.233:
	s_or_b32 exec_lo, exec_lo, s5
.LBB103_234:
	s_or_b32 exec_lo, exec_lo, s8
	v_mov_b32_e32 v87, 0
	ds_read_b128 v[87:90], v87 offset:160
	s_waitcnt lgkmcnt(0)
	v_mul_f64 v[92:93], v[3:4], v[89:90]
	v_mul_f64 v[89:90], v[1:2], v[89:90]
	v_fma_f64 v[1:2], v[1:2], v[87:88], -v[92:93]
	v_fma_f64 v[3:4], v[3:4], v[87:88], v[89:90]
	buffer_store_dword v2, off, s[0:3], 0 offset:164
	buffer_store_dword v1, off, s[0:3], 0 offset:160
	;; [unrolled: 1-line block ×4, first 2 shown]
.LBB103_235:
	s_or_b32 exec_lo, exec_lo, s6
	v_mov_b32_e32 v4, s39
	v_cmp_lt_u32_e64 s5, 9, v0
	s_clause 0x3
	buffer_load_dword v1, v4, s[0:3], 0 offen
	buffer_load_dword v2, v4, s[0:3], 0 offen offset:4
	buffer_load_dword v3, v4, s[0:3], 0 offen offset:8
	;; [unrolled: 1-line block ×3, first 2 shown]
	s_waitcnt vmcnt(0)
	ds_write_b128 v86, v[1:4]
	s_waitcnt lgkmcnt(0)
	s_waitcnt_vscnt null, 0x0
	s_barrier
	buffer_gl0_inv
	s_and_saveexec_b32 s6, s5
	s_cbranch_execz .LBB103_243
; %bb.236:
	ds_read_b128 v[1:4], v86
	s_andn2_b32 vcc_lo, exec_lo, s48
	s_cbranch_vccnz .LBB103_238
; %bb.237:
	s_clause 0x3
	buffer_load_dword v87, v85, s[0:3], 0 offen offset:8
	buffer_load_dword v88, v85, s[0:3], 0 offen offset:12
	buffer_load_dword v89, v85, s[0:3], 0 offen
	buffer_load_dword v90, v85, s[0:3], 0 offen offset:4
	s_waitcnt vmcnt(2) lgkmcnt(0)
	v_mul_f64 v[92:93], v[3:4], v[87:88]
	v_mul_f64 v[87:88], v[1:2], v[87:88]
	s_waitcnt vmcnt(0)
	v_fma_f64 v[1:2], v[1:2], v[89:90], -v[92:93]
	v_fma_f64 v[3:4], v[3:4], v[89:90], v[87:88]
.LBB103_238:
	s_and_saveexec_b32 s8, s4
	s_cbranch_execz .LBB103_242
; %bb.239:
	v_add_nc_u32_e32 v87, -10, v0
	s_movk_i32 s49, 0x320
	s_mov_b32 s4, 0
	s_mov_b32 s50, s38
	.p2align	6
.LBB103_240:                            ; =>This Inner Loop Header: Depth=1
	v_mov_b32_e32 v90, s50
	v_add_nc_u32_e32 v87, -1, v87
	s_add_i32 s50, s50, 16
	s_clause 0x3
	buffer_load_dword v88, v90, s[0:3], 0 offen offset:8
	buffer_load_dword v89, v90, s[0:3], 0 offen offset:12
	buffer_load_dword v96, v90, s[0:3], 0 offen
	buffer_load_dword v97, v90, s[0:3], 0 offen offset:4
	v_mov_b32_e32 v90, s49
	v_cmp_eq_u32_e32 vcc_lo, 0, v87
	s_add_i32 s49, s49, 16
	ds_read_b128 v[92:95], v90
	s_or_b32 s4, vcc_lo, s4
	s_waitcnt vmcnt(2) lgkmcnt(0)
	v_mul_f64 v[98:99], v[94:95], v[88:89]
	v_mul_f64 v[88:89], v[92:93], v[88:89]
	s_waitcnt vmcnt(0)
	v_fma_f64 v[92:93], v[92:93], v[96:97], -v[98:99]
	v_fma_f64 v[88:89], v[94:95], v[96:97], v[88:89]
	v_add_f64 v[1:2], v[1:2], v[92:93]
	v_add_f64 v[3:4], v[3:4], v[88:89]
	s_andn2_b32 exec_lo, exec_lo, s4
	s_cbranch_execnz .LBB103_240
; %bb.241:
	s_or_b32 exec_lo, exec_lo, s4
.LBB103_242:
	s_or_b32 exec_lo, exec_lo, s8
	v_mov_b32_e32 v87, 0
	ds_read_b128 v[87:90], v87 offset:144
	s_waitcnt lgkmcnt(0)
	v_mul_f64 v[92:93], v[3:4], v[89:90]
	v_mul_f64 v[89:90], v[1:2], v[89:90]
	v_fma_f64 v[1:2], v[1:2], v[87:88], -v[92:93]
	v_fma_f64 v[3:4], v[3:4], v[87:88], v[89:90]
	buffer_store_dword v2, off, s[0:3], 0 offset:148
	buffer_store_dword v1, off, s[0:3], 0 offset:144
	;; [unrolled: 1-line block ×4, first 2 shown]
.LBB103_243:
	s_or_b32 exec_lo, exec_lo, s6
	v_mov_b32_e32 v4, s40
	v_cmp_lt_u32_e64 s4, 8, v0
	s_clause 0x3
	buffer_load_dword v1, v4, s[0:3], 0 offen
	buffer_load_dword v2, v4, s[0:3], 0 offen offset:4
	buffer_load_dword v3, v4, s[0:3], 0 offen offset:8
	;; [unrolled: 1-line block ×3, first 2 shown]
	s_waitcnt vmcnt(0)
	ds_write_b128 v86, v[1:4]
	s_waitcnt lgkmcnt(0)
	s_waitcnt_vscnt null, 0x0
	s_barrier
	buffer_gl0_inv
	s_and_saveexec_b32 s6, s4
	s_cbranch_execz .LBB103_251
; %bb.244:
	ds_read_b128 v[1:4], v86
	s_andn2_b32 vcc_lo, exec_lo, s48
	s_cbranch_vccnz .LBB103_246
; %bb.245:
	s_clause 0x3
	buffer_load_dword v87, v85, s[0:3], 0 offen offset:8
	buffer_load_dword v88, v85, s[0:3], 0 offen offset:12
	buffer_load_dword v89, v85, s[0:3], 0 offen
	buffer_load_dword v90, v85, s[0:3], 0 offen offset:4
	s_waitcnt vmcnt(2) lgkmcnt(0)
	v_mul_f64 v[92:93], v[3:4], v[87:88]
	v_mul_f64 v[87:88], v[1:2], v[87:88]
	s_waitcnt vmcnt(0)
	v_fma_f64 v[1:2], v[1:2], v[89:90], -v[92:93]
	v_fma_f64 v[3:4], v[3:4], v[89:90], v[87:88]
.LBB103_246:
	s_and_saveexec_b32 s8, s5
	s_cbranch_execz .LBB103_250
; %bb.247:
	v_add_nc_u32_e32 v87, -9, v0
	s_movk_i32 s49, 0x310
	s_mov_b32 s5, 0
	s_mov_b32 s50, s39
	.p2align	6
.LBB103_248:                            ; =>This Inner Loop Header: Depth=1
	v_mov_b32_e32 v90, s50
	v_add_nc_u32_e32 v87, -1, v87
	s_add_i32 s50, s50, 16
	s_clause 0x3
	buffer_load_dword v88, v90, s[0:3], 0 offen offset:8
	buffer_load_dword v89, v90, s[0:3], 0 offen offset:12
	buffer_load_dword v96, v90, s[0:3], 0 offen
	buffer_load_dword v97, v90, s[0:3], 0 offen offset:4
	v_mov_b32_e32 v90, s49
	v_cmp_eq_u32_e32 vcc_lo, 0, v87
	s_add_i32 s49, s49, 16
	ds_read_b128 v[92:95], v90
	s_or_b32 s5, vcc_lo, s5
	s_waitcnt vmcnt(2) lgkmcnt(0)
	v_mul_f64 v[98:99], v[94:95], v[88:89]
	v_mul_f64 v[88:89], v[92:93], v[88:89]
	s_waitcnt vmcnt(0)
	v_fma_f64 v[92:93], v[92:93], v[96:97], -v[98:99]
	v_fma_f64 v[88:89], v[94:95], v[96:97], v[88:89]
	v_add_f64 v[1:2], v[1:2], v[92:93]
	v_add_f64 v[3:4], v[3:4], v[88:89]
	s_andn2_b32 exec_lo, exec_lo, s5
	s_cbranch_execnz .LBB103_248
; %bb.249:
	s_or_b32 exec_lo, exec_lo, s5
.LBB103_250:
	s_or_b32 exec_lo, exec_lo, s8
	v_mov_b32_e32 v87, 0
	ds_read_b128 v[87:90], v87 offset:128
	s_waitcnt lgkmcnt(0)
	v_mul_f64 v[92:93], v[3:4], v[89:90]
	v_mul_f64 v[89:90], v[1:2], v[89:90]
	v_fma_f64 v[1:2], v[1:2], v[87:88], -v[92:93]
	v_fma_f64 v[3:4], v[3:4], v[87:88], v[89:90]
	buffer_store_dword v2, off, s[0:3], 0 offset:132
	buffer_store_dword v1, off, s[0:3], 0 offset:128
	;; [unrolled: 1-line block ×4, first 2 shown]
.LBB103_251:
	s_or_b32 exec_lo, exec_lo, s6
	v_mov_b32_e32 v4, s41
	v_cmp_lt_u32_e64 s5, 7, v0
	s_clause 0x3
	buffer_load_dword v1, v4, s[0:3], 0 offen
	buffer_load_dword v2, v4, s[0:3], 0 offen offset:4
	buffer_load_dword v3, v4, s[0:3], 0 offen offset:8
	;; [unrolled: 1-line block ×3, first 2 shown]
	s_waitcnt vmcnt(0)
	ds_write_b128 v86, v[1:4]
	s_waitcnt lgkmcnt(0)
	s_waitcnt_vscnt null, 0x0
	s_barrier
	buffer_gl0_inv
	s_and_saveexec_b32 s6, s5
	s_cbranch_execz .LBB103_259
; %bb.252:
	ds_read_b128 v[1:4], v86
	s_andn2_b32 vcc_lo, exec_lo, s48
	s_cbranch_vccnz .LBB103_254
; %bb.253:
	s_clause 0x3
	buffer_load_dword v87, v85, s[0:3], 0 offen offset:8
	buffer_load_dword v88, v85, s[0:3], 0 offen offset:12
	buffer_load_dword v89, v85, s[0:3], 0 offen
	buffer_load_dword v90, v85, s[0:3], 0 offen offset:4
	s_waitcnt vmcnt(2) lgkmcnt(0)
	v_mul_f64 v[92:93], v[3:4], v[87:88]
	v_mul_f64 v[87:88], v[1:2], v[87:88]
	s_waitcnt vmcnt(0)
	v_fma_f64 v[1:2], v[1:2], v[89:90], -v[92:93]
	v_fma_f64 v[3:4], v[3:4], v[89:90], v[87:88]
.LBB103_254:
	s_and_saveexec_b32 s8, s4
	s_cbranch_execz .LBB103_258
; %bb.255:
	v_add_nc_u32_e32 v87, -8, v0
	s_movk_i32 s49, 0x300
	s_mov_b32 s4, 0
	s_mov_b32 s50, s40
	.p2align	6
.LBB103_256:                            ; =>This Inner Loop Header: Depth=1
	v_mov_b32_e32 v90, s50
	v_add_nc_u32_e32 v87, -1, v87
	s_add_i32 s50, s50, 16
	s_clause 0x3
	buffer_load_dword v88, v90, s[0:3], 0 offen offset:8
	buffer_load_dword v89, v90, s[0:3], 0 offen offset:12
	buffer_load_dword v96, v90, s[0:3], 0 offen
	buffer_load_dword v97, v90, s[0:3], 0 offen offset:4
	v_mov_b32_e32 v90, s49
	v_cmp_eq_u32_e32 vcc_lo, 0, v87
	s_add_i32 s49, s49, 16
	ds_read_b128 v[92:95], v90
	s_or_b32 s4, vcc_lo, s4
	s_waitcnt vmcnt(2) lgkmcnt(0)
	v_mul_f64 v[98:99], v[94:95], v[88:89]
	v_mul_f64 v[88:89], v[92:93], v[88:89]
	s_waitcnt vmcnt(0)
	v_fma_f64 v[92:93], v[92:93], v[96:97], -v[98:99]
	v_fma_f64 v[88:89], v[94:95], v[96:97], v[88:89]
	v_add_f64 v[1:2], v[1:2], v[92:93]
	v_add_f64 v[3:4], v[3:4], v[88:89]
	s_andn2_b32 exec_lo, exec_lo, s4
	s_cbranch_execnz .LBB103_256
; %bb.257:
	s_or_b32 exec_lo, exec_lo, s4
.LBB103_258:
	s_or_b32 exec_lo, exec_lo, s8
	v_mov_b32_e32 v87, 0
	ds_read_b128 v[87:90], v87 offset:112
	s_waitcnt lgkmcnt(0)
	v_mul_f64 v[92:93], v[3:4], v[89:90]
	v_mul_f64 v[89:90], v[1:2], v[89:90]
	v_fma_f64 v[1:2], v[1:2], v[87:88], -v[92:93]
	v_fma_f64 v[3:4], v[3:4], v[87:88], v[89:90]
	buffer_store_dword v2, off, s[0:3], 0 offset:116
	buffer_store_dword v1, off, s[0:3], 0 offset:112
	buffer_store_dword v4, off, s[0:3], 0 offset:124
	buffer_store_dword v3, off, s[0:3], 0 offset:120
.LBB103_259:
	s_or_b32 exec_lo, exec_lo, s6
	v_mov_b32_e32 v4, s42
	v_cmp_lt_u32_e64 s4, 6, v0
	s_clause 0x3
	buffer_load_dword v1, v4, s[0:3], 0 offen
	buffer_load_dword v2, v4, s[0:3], 0 offen offset:4
	buffer_load_dword v3, v4, s[0:3], 0 offen offset:8
	;; [unrolled: 1-line block ×3, first 2 shown]
	s_waitcnt vmcnt(0)
	ds_write_b128 v86, v[1:4]
	s_waitcnt lgkmcnt(0)
	s_waitcnt_vscnt null, 0x0
	s_barrier
	buffer_gl0_inv
	s_and_saveexec_b32 s6, s4
	s_cbranch_execz .LBB103_267
; %bb.260:
	ds_read_b128 v[1:4], v86
	s_andn2_b32 vcc_lo, exec_lo, s48
	s_cbranch_vccnz .LBB103_262
; %bb.261:
	s_clause 0x3
	buffer_load_dword v87, v85, s[0:3], 0 offen offset:8
	buffer_load_dword v88, v85, s[0:3], 0 offen offset:12
	buffer_load_dword v89, v85, s[0:3], 0 offen
	buffer_load_dword v90, v85, s[0:3], 0 offen offset:4
	s_waitcnt vmcnt(2) lgkmcnt(0)
	v_mul_f64 v[92:93], v[3:4], v[87:88]
	v_mul_f64 v[87:88], v[1:2], v[87:88]
	s_waitcnt vmcnt(0)
	v_fma_f64 v[1:2], v[1:2], v[89:90], -v[92:93]
	v_fma_f64 v[3:4], v[3:4], v[89:90], v[87:88]
.LBB103_262:
	s_and_saveexec_b32 s8, s5
	s_cbranch_execz .LBB103_266
; %bb.263:
	v_add_nc_u32_e32 v87, -7, v0
	s_movk_i32 s49, 0x2f0
	s_mov_b32 s5, 0
	s_mov_b32 s50, s41
	.p2align	6
.LBB103_264:                            ; =>This Inner Loop Header: Depth=1
	v_mov_b32_e32 v90, s50
	v_add_nc_u32_e32 v87, -1, v87
	s_add_i32 s50, s50, 16
	s_clause 0x3
	buffer_load_dword v88, v90, s[0:3], 0 offen offset:8
	buffer_load_dword v89, v90, s[0:3], 0 offen offset:12
	buffer_load_dword v96, v90, s[0:3], 0 offen
	buffer_load_dword v97, v90, s[0:3], 0 offen offset:4
	v_mov_b32_e32 v90, s49
	v_cmp_eq_u32_e32 vcc_lo, 0, v87
	s_add_i32 s49, s49, 16
	ds_read_b128 v[92:95], v90
	s_or_b32 s5, vcc_lo, s5
	s_waitcnt vmcnt(2) lgkmcnt(0)
	v_mul_f64 v[98:99], v[94:95], v[88:89]
	v_mul_f64 v[88:89], v[92:93], v[88:89]
	s_waitcnt vmcnt(0)
	v_fma_f64 v[92:93], v[92:93], v[96:97], -v[98:99]
	v_fma_f64 v[88:89], v[94:95], v[96:97], v[88:89]
	v_add_f64 v[1:2], v[1:2], v[92:93]
	v_add_f64 v[3:4], v[3:4], v[88:89]
	s_andn2_b32 exec_lo, exec_lo, s5
	s_cbranch_execnz .LBB103_264
; %bb.265:
	s_or_b32 exec_lo, exec_lo, s5
.LBB103_266:
	s_or_b32 exec_lo, exec_lo, s8
	v_mov_b32_e32 v87, 0
	ds_read_b128 v[87:90], v87 offset:96
	s_waitcnt lgkmcnt(0)
	v_mul_f64 v[92:93], v[3:4], v[89:90]
	v_mul_f64 v[89:90], v[1:2], v[89:90]
	v_fma_f64 v[1:2], v[1:2], v[87:88], -v[92:93]
	v_fma_f64 v[3:4], v[3:4], v[87:88], v[89:90]
	buffer_store_dword v2, off, s[0:3], 0 offset:100
	buffer_store_dword v1, off, s[0:3], 0 offset:96
	;; [unrolled: 1-line block ×4, first 2 shown]
.LBB103_267:
	s_or_b32 exec_lo, exec_lo, s6
	v_mov_b32_e32 v4, s43
	v_cmp_lt_u32_e64 s5, 5, v0
	s_clause 0x3
	buffer_load_dword v1, v4, s[0:3], 0 offen
	buffer_load_dword v2, v4, s[0:3], 0 offen offset:4
	buffer_load_dword v3, v4, s[0:3], 0 offen offset:8
	;; [unrolled: 1-line block ×3, first 2 shown]
	s_waitcnt vmcnt(0)
	ds_write_b128 v86, v[1:4]
	s_waitcnt lgkmcnt(0)
	s_waitcnt_vscnt null, 0x0
	s_barrier
	buffer_gl0_inv
	s_and_saveexec_b32 s6, s5
	s_cbranch_execz .LBB103_275
; %bb.268:
	ds_read_b128 v[1:4], v86
	s_andn2_b32 vcc_lo, exec_lo, s48
	s_cbranch_vccnz .LBB103_270
; %bb.269:
	s_clause 0x3
	buffer_load_dword v87, v85, s[0:3], 0 offen offset:8
	buffer_load_dword v88, v85, s[0:3], 0 offen offset:12
	buffer_load_dword v89, v85, s[0:3], 0 offen
	buffer_load_dword v90, v85, s[0:3], 0 offen offset:4
	s_waitcnt vmcnt(2) lgkmcnt(0)
	v_mul_f64 v[92:93], v[3:4], v[87:88]
	v_mul_f64 v[87:88], v[1:2], v[87:88]
	s_waitcnt vmcnt(0)
	v_fma_f64 v[1:2], v[1:2], v[89:90], -v[92:93]
	v_fma_f64 v[3:4], v[3:4], v[89:90], v[87:88]
.LBB103_270:
	s_and_saveexec_b32 s8, s4
	s_cbranch_execz .LBB103_274
; %bb.271:
	v_add_nc_u32_e32 v87, -6, v0
	s_movk_i32 s49, 0x2e0
	s_mov_b32 s4, 0
	s_mov_b32 s50, s42
	.p2align	6
.LBB103_272:                            ; =>This Inner Loop Header: Depth=1
	v_mov_b32_e32 v90, s50
	v_add_nc_u32_e32 v87, -1, v87
	s_add_i32 s50, s50, 16
	s_clause 0x3
	buffer_load_dword v88, v90, s[0:3], 0 offen offset:8
	buffer_load_dword v89, v90, s[0:3], 0 offen offset:12
	buffer_load_dword v96, v90, s[0:3], 0 offen
	buffer_load_dword v97, v90, s[0:3], 0 offen offset:4
	v_mov_b32_e32 v90, s49
	v_cmp_eq_u32_e32 vcc_lo, 0, v87
	s_add_i32 s49, s49, 16
	ds_read_b128 v[92:95], v90
	s_or_b32 s4, vcc_lo, s4
	s_waitcnt vmcnt(2) lgkmcnt(0)
	v_mul_f64 v[98:99], v[94:95], v[88:89]
	v_mul_f64 v[88:89], v[92:93], v[88:89]
	s_waitcnt vmcnt(0)
	v_fma_f64 v[92:93], v[92:93], v[96:97], -v[98:99]
	v_fma_f64 v[88:89], v[94:95], v[96:97], v[88:89]
	v_add_f64 v[1:2], v[1:2], v[92:93]
	v_add_f64 v[3:4], v[3:4], v[88:89]
	s_andn2_b32 exec_lo, exec_lo, s4
	s_cbranch_execnz .LBB103_272
; %bb.273:
	s_or_b32 exec_lo, exec_lo, s4
.LBB103_274:
	s_or_b32 exec_lo, exec_lo, s8
	v_mov_b32_e32 v87, 0
	ds_read_b128 v[87:90], v87 offset:80
	s_waitcnt lgkmcnt(0)
	v_mul_f64 v[92:93], v[3:4], v[89:90]
	v_mul_f64 v[89:90], v[1:2], v[89:90]
	v_fma_f64 v[1:2], v[1:2], v[87:88], -v[92:93]
	v_fma_f64 v[3:4], v[3:4], v[87:88], v[89:90]
	buffer_store_dword v2, off, s[0:3], 0 offset:84
	buffer_store_dword v1, off, s[0:3], 0 offset:80
	;; [unrolled: 1-line block ×4, first 2 shown]
.LBB103_275:
	s_or_b32 exec_lo, exec_lo, s6
	v_mov_b32_e32 v4, s44
	v_cmp_lt_u32_e64 s4, 4, v0
	s_clause 0x3
	buffer_load_dword v1, v4, s[0:3], 0 offen
	buffer_load_dword v2, v4, s[0:3], 0 offen offset:4
	buffer_load_dword v3, v4, s[0:3], 0 offen offset:8
	;; [unrolled: 1-line block ×3, first 2 shown]
	s_waitcnt vmcnt(0)
	ds_write_b128 v86, v[1:4]
	s_waitcnt lgkmcnt(0)
	s_waitcnt_vscnt null, 0x0
	s_barrier
	buffer_gl0_inv
	s_and_saveexec_b32 s6, s4
	s_cbranch_execz .LBB103_283
; %bb.276:
	ds_read_b128 v[1:4], v86
	s_andn2_b32 vcc_lo, exec_lo, s48
	s_cbranch_vccnz .LBB103_278
; %bb.277:
	s_clause 0x3
	buffer_load_dword v87, v85, s[0:3], 0 offen offset:8
	buffer_load_dword v88, v85, s[0:3], 0 offen offset:12
	buffer_load_dword v89, v85, s[0:3], 0 offen
	buffer_load_dword v90, v85, s[0:3], 0 offen offset:4
	s_waitcnt vmcnt(2) lgkmcnt(0)
	v_mul_f64 v[92:93], v[3:4], v[87:88]
	v_mul_f64 v[87:88], v[1:2], v[87:88]
	s_waitcnt vmcnt(0)
	v_fma_f64 v[1:2], v[1:2], v[89:90], -v[92:93]
	v_fma_f64 v[3:4], v[3:4], v[89:90], v[87:88]
.LBB103_278:
	s_and_saveexec_b32 s8, s5
	s_cbranch_execz .LBB103_282
; %bb.279:
	v_add_nc_u32_e32 v87, -5, v0
	s_movk_i32 s49, 0x2d0
	s_mov_b32 s5, 0
	s_mov_b32 s50, s43
	.p2align	6
.LBB103_280:                            ; =>This Inner Loop Header: Depth=1
	v_mov_b32_e32 v90, s50
	v_add_nc_u32_e32 v87, -1, v87
	s_add_i32 s50, s50, 16
	s_clause 0x3
	buffer_load_dword v88, v90, s[0:3], 0 offen offset:8
	buffer_load_dword v89, v90, s[0:3], 0 offen offset:12
	buffer_load_dword v96, v90, s[0:3], 0 offen
	buffer_load_dword v97, v90, s[0:3], 0 offen offset:4
	v_mov_b32_e32 v90, s49
	v_cmp_eq_u32_e32 vcc_lo, 0, v87
	s_add_i32 s49, s49, 16
	ds_read_b128 v[92:95], v90
	s_or_b32 s5, vcc_lo, s5
	s_waitcnt vmcnt(2) lgkmcnt(0)
	v_mul_f64 v[98:99], v[94:95], v[88:89]
	v_mul_f64 v[88:89], v[92:93], v[88:89]
	s_waitcnt vmcnt(0)
	v_fma_f64 v[92:93], v[92:93], v[96:97], -v[98:99]
	v_fma_f64 v[88:89], v[94:95], v[96:97], v[88:89]
	v_add_f64 v[1:2], v[1:2], v[92:93]
	v_add_f64 v[3:4], v[3:4], v[88:89]
	s_andn2_b32 exec_lo, exec_lo, s5
	s_cbranch_execnz .LBB103_280
; %bb.281:
	s_or_b32 exec_lo, exec_lo, s5
.LBB103_282:
	s_or_b32 exec_lo, exec_lo, s8
	v_mov_b32_e32 v87, 0
	ds_read_b128 v[87:90], v87 offset:64
	s_waitcnt lgkmcnt(0)
	v_mul_f64 v[92:93], v[3:4], v[89:90]
	v_mul_f64 v[89:90], v[1:2], v[89:90]
	v_fma_f64 v[1:2], v[1:2], v[87:88], -v[92:93]
	v_fma_f64 v[3:4], v[3:4], v[87:88], v[89:90]
	buffer_store_dword v2, off, s[0:3], 0 offset:68
	buffer_store_dword v1, off, s[0:3], 0 offset:64
	;; [unrolled: 1-line block ×4, first 2 shown]
.LBB103_283:
	s_or_b32 exec_lo, exec_lo, s6
	v_mov_b32_e32 v4, s45
	v_cmp_lt_u32_e64 s5, 3, v0
	s_clause 0x3
	buffer_load_dword v1, v4, s[0:3], 0 offen
	buffer_load_dword v2, v4, s[0:3], 0 offen offset:4
	buffer_load_dword v3, v4, s[0:3], 0 offen offset:8
	;; [unrolled: 1-line block ×3, first 2 shown]
	s_waitcnt vmcnt(0)
	ds_write_b128 v86, v[1:4]
	s_waitcnt lgkmcnt(0)
	s_waitcnt_vscnt null, 0x0
	s_barrier
	buffer_gl0_inv
	s_and_saveexec_b32 s6, s5
	s_cbranch_execz .LBB103_291
; %bb.284:
	ds_read_b128 v[1:4], v86
	s_andn2_b32 vcc_lo, exec_lo, s48
	s_cbranch_vccnz .LBB103_286
; %bb.285:
	s_clause 0x3
	buffer_load_dword v87, v85, s[0:3], 0 offen offset:8
	buffer_load_dword v88, v85, s[0:3], 0 offen offset:12
	buffer_load_dword v89, v85, s[0:3], 0 offen
	buffer_load_dword v90, v85, s[0:3], 0 offen offset:4
	s_waitcnt vmcnt(2) lgkmcnt(0)
	v_mul_f64 v[92:93], v[3:4], v[87:88]
	v_mul_f64 v[87:88], v[1:2], v[87:88]
	s_waitcnt vmcnt(0)
	v_fma_f64 v[1:2], v[1:2], v[89:90], -v[92:93]
	v_fma_f64 v[3:4], v[3:4], v[89:90], v[87:88]
.LBB103_286:
	s_and_saveexec_b32 s8, s4
	s_cbranch_execz .LBB103_290
; %bb.287:
	v_add_nc_u32_e32 v87, -4, v0
	s_movk_i32 s49, 0x2c0
	s_mov_b32 s4, 0
	s_mov_b32 s50, s44
	.p2align	6
.LBB103_288:                            ; =>This Inner Loop Header: Depth=1
	v_mov_b32_e32 v90, s50
	v_add_nc_u32_e32 v87, -1, v87
	s_add_i32 s50, s50, 16
	s_clause 0x3
	buffer_load_dword v88, v90, s[0:3], 0 offen offset:8
	buffer_load_dword v89, v90, s[0:3], 0 offen offset:12
	buffer_load_dword v96, v90, s[0:3], 0 offen
	buffer_load_dword v97, v90, s[0:3], 0 offen offset:4
	v_mov_b32_e32 v90, s49
	v_cmp_eq_u32_e32 vcc_lo, 0, v87
	s_add_i32 s49, s49, 16
	ds_read_b128 v[92:95], v90
	s_or_b32 s4, vcc_lo, s4
	s_waitcnt vmcnt(2) lgkmcnt(0)
	v_mul_f64 v[98:99], v[94:95], v[88:89]
	v_mul_f64 v[88:89], v[92:93], v[88:89]
	s_waitcnt vmcnt(0)
	v_fma_f64 v[92:93], v[92:93], v[96:97], -v[98:99]
	v_fma_f64 v[88:89], v[94:95], v[96:97], v[88:89]
	v_add_f64 v[1:2], v[1:2], v[92:93]
	v_add_f64 v[3:4], v[3:4], v[88:89]
	s_andn2_b32 exec_lo, exec_lo, s4
	s_cbranch_execnz .LBB103_288
; %bb.289:
	s_or_b32 exec_lo, exec_lo, s4
.LBB103_290:
	s_or_b32 exec_lo, exec_lo, s8
	v_mov_b32_e32 v87, 0
	ds_read_b128 v[87:90], v87 offset:48
	s_waitcnt lgkmcnt(0)
	v_mul_f64 v[92:93], v[3:4], v[89:90]
	v_mul_f64 v[89:90], v[1:2], v[89:90]
	v_fma_f64 v[1:2], v[1:2], v[87:88], -v[92:93]
	v_fma_f64 v[3:4], v[3:4], v[87:88], v[89:90]
	buffer_store_dword v2, off, s[0:3], 0 offset:52
	buffer_store_dword v1, off, s[0:3], 0 offset:48
	;; [unrolled: 1-line block ×4, first 2 shown]
.LBB103_291:
	s_or_b32 exec_lo, exec_lo, s6
	v_mov_b32_e32 v4, s46
	v_cmp_lt_u32_e64 s6, 2, v0
	s_clause 0x3
	buffer_load_dword v1, v4, s[0:3], 0 offen
	buffer_load_dword v2, v4, s[0:3], 0 offen offset:4
	buffer_load_dword v3, v4, s[0:3], 0 offen offset:8
	;; [unrolled: 1-line block ×3, first 2 shown]
	s_waitcnt vmcnt(0)
	ds_write_b128 v86, v[1:4]
	s_waitcnt lgkmcnt(0)
	s_waitcnt_vscnt null, 0x0
	s_barrier
	buffer_gl0_inv
	s_and_saveexec_b32 s4, s6
	s_cbranch_execz .LBB103_299
; %bb.292:
	ds_read_b128 v[1:4], v86
	s_andn2_b32 vcc_lo, exec_lo, s48
	s_cbranch_vccnz .LBB103_294
; %bb.293:
	s_clause 0x3
	buffer_load_dword v87, v85, s[0:3], 0 offen offset:8
	buffer_load_dword v88, v85, s[0:3], 0 offen offset:12
	buffer_load_dword v89, v85, s[0:3], 0 offen
	buffer_load_dword v90, v85, s[0:3], 0 offen offset:4
	s_waitcnt vmcnt(2) lgkmcnt(0)
	v_mul_f64 v[92:93], v[3:4], v[87:88]
	v_mul_f64 v[87:88], v[1:2], v[87:88]
	s_waitcnt vmcnt(0)
	v_fma_f64 v[1:2], v[1:2], v[89:90], -v[92:93]
	v_fma_f64 v[3:4], v[3:4], v[89:90], v[87:88]
.LBB103_294:
	s_and_saveexec_b32 s8, s5
	s_cbranch_execz .LBB103_298
; %bb.295:
	v_add_nc_u32_e32 v87, -3, v0
	s_movk_i32 s49, 0x2b0
	s_mov_b32 s5, 0
	s_mov_b32 s50, s45
	.p2align	6
.LBB103_296:                            ; =>This Inner Loop Header: Depth=1
	v_mov_b32_e32 v90, s50
	v_add_nc_u32_e32 v87, -1, v87
	s_add_i32 s50, s50, 16
	s_clause 0x3
	buffer_load_dword v88, v90, s[0:3], 0 offen offset:8
	buffer_load_dword v89, v90, s[0:3], 0 offen offset:12
	buffer_load_dword v96, v90, s[0:3], 0 offen
	buffer_load_dword v97, v90, s[0:3], 0 offen offset:4
	v_mov_b32_e32 v90, s49
	v_cmp_eq_u32_e32 vcc_lo, 0, v87
	s_add_i32 s49, s49, 16
	ds_read_b128 v[92:95], v90
	s_or_b32 s5, vcc_lo, s5
	s_waitcnt vmcnt(2) lgkmcnt(0)
	v_mul_f64 v[98:99], v[94:95], v[88:89]
	v_mul_f64 v[88:89], v[92:93], v[88:89]
	s_waitcnt vmcnt(0)
	v_fma_f64 v[92:93], v[92:93], v[96:97], -v[98:99]
	v_fma_f64 v[88:89], v[94:95], v[96:97], v[88:89]
	v_add_f64 v[1:2], v[1:2], v[92:93]
	v_add_f64 v[3:4], v[3:4], v[88:89]
	s_andn2_b32 exec_lo, exec_lo, s5
	s_cbranch_execnz .LBB103_296
; %bb.297:
	s_or_b32 exec_lo, exec_lo, s5
.LBB103_298:
	s_or_b32 exec_lo, exec_lo, s8
	v_mov_b32_e32 v87, 0
	ds_read_b128 v[87:90], v87 offset:32
	s_waitcnt lgkmcnt(0)
	v_mul_f64 v[92:93], v[3:4], v[89:90]
	v_mul_f64 v[89:90], v[1:2], v[89:90]
	v_fma_f64 v[1:2], v[1:2], v[87:88], -v[92:93]
	v_fma_f64 v[3:4], v[3:4], v[87:88], v[89:90]
	buffer_store_dword v2, off, s[0:3], 0 offset:36
	buffer_store_dword v1, off, s[0:3], 0 offset:32
	;; [unrolled: 1-line block ×4, first 2 shown]
.LBB103_299:
	s_or_b32 exec_lo, exec_lo, s4
	v_mov_b32_e32 v4, s47
	v_cmp_lt_u32_e64 s4, 1, v0
	s_clause 0x3
	buffer_load_dword v1, v4, s[0:3], 0 offen
	buffer_load_dword v2, v4, s[0:3], 0 offen offset:4
	buffer_load_dword v3, v4, s[0:3], 0 offen offset:8
	;; [unrolled: 1-line block ×3, first 2 shown]
	s_waitcnt vmcnt(0)
	ds_write_b128 v86, v[1:4]
	s_waitcnt lgkmcnt(0)
	s_waitcnt_vscnt null, 0x0
	s_barrier
	buffer_gl0_inv
	s_and_saveexec_b32 s5, s4
	s_cbranch_execz .LBB103_307
; %bb.300:
	ds_read_b128 v[1:4], v86
	s_andn2_b32 vcc_lo, exec_lo, s48
	s_cbranch_vccnz .LBB103_302
; %bb.301:
	s_clause 0x3
	buffer_load_dword v87, v85, s[0:3], 0 offen offset:8
	buffer_load_dword v88, v85, s[0:3], 0 offen offset:12
	buffer_load_dword v89, v85, s[0:3], 0 offen
	buffer_load_dword v90, v85, s[0:3], 0 offen offset:4
	s_waitcnt vmcnt(2) lgkmcnt(0)
	v_mul_f64 v[92:93], v[3:4], v[87:88]
	v_mul_f64 v[87:88], v[1:2], v[87:88]
	s_waitcnt vmcnt(0)
	v_fma_f64 v[1:2], v[1:2], v[89:90], -v[92:93]
	v_fma_f64 v[3:4], v[3:4], v[89:90], v[87:88]
.LBB103_302:
	s_and_saveexec_b32 s8, s6
	s_cbranch_execz .LBB103_306
; %bb.303:
	v_add_nc_u32_e32 v87, -2, v0
	s_movk_i32 s49, 0x2a0
	s_mov_b32 s6, 0
	s_mov_b32 s50, s46
	.p2align	6
.LBB103_304:                            ; =>This Inner Loop Header: Depth=1
	v_mov_b32_e32 v90, s50
	v_add_nc_u32_e32 v87, -1, v87
	s_add_i32 s50, s50, 16
	s_clause 0x3
	buffer_load_dword v88, v90, s[0:3], 0 offen offset:8
	buffer_load_dword v89, v90, s[0:3], 0 offen offset:12
	buffer_load_dword v96, v90, s[0:3], 0 offen
	buffer_load_dword v97, v90, s[0:3], 0 offen offset:4
	v_mov_b32_e32 v90, s49
	v_cmp_eq_u32_e32 vcc_lo, 0, v87
	s_add_i32 s49, s49, 16
	ds_read_b128 v[92:95], v90
	s_or_b32 s6, vcc_lo, s6
	s_waitcnt vmcnt(2) lgkmcnt(0)
	v_mul_f64 v[98:99], v[94:95], v[88:89]
	v_mul_f64 v[88:89], v[92:93], v[88:89]
	s_waitcnt vmcnt(0)
	v_fma_f64 v[92:93], v[92:93], v[96:97], -v[98:99]
	v_fma_f64 v[88:89], v[94:95], v[96:97], v[88:89]
	v_add_f64 v[1:2], v[1:2], v[92:93]
	v_add_f64 v[3:4], v[3:4], v[88:89]
	s_andn2_b32 exec_lo, exec_lo, s6
	s_cbranch_execnz .LBB103_304
; %bb.305:
	s_or_b32 exec_lo, exec_lo, s6
.LBB103_306:
	s_or_b32 exec_lo, exec_lo, s8
	v_mov_b32_e32 v87, 0
	ds_read_b128 v[87:90], v87 offset:16
	s_waitcnt lgkmcnt(0)
	v_mul_f64 v[92:93], v[3:4], v[89:90]
	v_mul_f64 v[89:90], v[1:2], v[89:90]
	v_fma_f64 v[1:2], v[1:2], v[87:88], -v[92:93]
	v_fma_f64 v[3:4], v[3:4], v[87:88], v[89:90]
	buffer_store_dword v2, off, s[0:3], 0 offset:20
	buffer_store_dword v1, off, s[0:3], 0 offset:16
	;; [unrolled: 1-line block ×4, first 2 shown]
.LBB103_307:
	s_or_b32 exec_lo, exec_lo, s5
	s_clause 0x3
	buffer_load_dword v1, off, s[0:3], 0
	buffer_load_dword v2, off, s[0:3], 0 offset:4
	buffer_load_dword v3, off, s[0:3], 0 offset:8
	;; [unrolled: 1-line block ×3, first 2 shown]
	s_mov_b32 s6, 0
	s_mov_b32 s5, 0
	s_mov_b32 s8, exec_lo
                                        ; implicit-def: $sgpr49
	s_waitcnt vmcnt(0)
	ds_write_b128 v86, v[1:4]
	s_waitcnt lgkmcnt(0)
	s_waitcnt_vscnt null, 0x0
	s_barrier
	buffer_gl0_inv
                                        ; implicit-def: $vgpr1_vgpr2
	v_cmpx_ne_u32_e32 0, v0
	s_cbranch_execz .LBB103_315
; %bb.308:
	ds_read_b128 v[1:4], v86
	s_andn2_b32 vcc_lo, exec_lo, s48
	s_cbranch_vccnz .LBB103_310
; %bb.309:
	s_clause 0x3
	buffer_load_dword v87, v85, s[0:3], 0 offen offset:8
	buffer_load_dword v88, v85, s[0:3], 0 offen offset:12
	buffer_load_dword v89, v85, s[0:3], 0 offen
	buffer_load_dword v90, v85, s[0:3], 0 offen offset:4
	s_waitcnt vmcnt(2) lgkmcnt(0)
	v_mul_f64 v[92:93], v[3:4], v[87:88]
	v_mul_f64 v[87:88], v[1:2], v[87:88]
	s_waitcnt vmcnt(0)
	v_fma_f64 v[1:2], v[1:2], v[89:90], -v[92:93]
	v_fma_f64 v[3:4], v[3:4], v[89:90], v[87:88]
.LBB103_310:
	s_and_saveexec_b32 s5, s4
	s_cbranch_execz .LBB103_314
; %bb.311:
	v_add_nc_u32_e32 v87, -1, v0
	s_movk_i32 s49, 0x290
	s_mov_b32 s4, 0
	s_mov_b32 s50, s47
	.p2align	6
.LBB103_312:                            ; =>This Inner Loop Header: Depth=1
	v_mov_b32_e32 v90, s50
	v_add_nc_u32_e32 v87, -1, v87
	s_add_i32 s50, s50, 16
	s_clause 0x3
	buffer_load_dword v88, v90, s[0:3], 0 offen offset:8
	buffer_load_dword v89, v90, s[0:3], 0 offen offset:12
	buffer_load_dword v96, v90, s[0:3], 0 offen
	buffer_load_dword v97, v90, s[0:3], 0 offen offset:4
	v_mov_b32_e32 v90, s49
	v_cmp_eq_u32_e32 vcc_lo, 0, v87
	s_add_i32 s49, s49, 16
	ds_read_b128 v[92:95], v90
	s_or_b32 s4, vcc_lo, s4
	s_waitcnt vmcnt(2) lgkmcnt(0)
	v_mul_f64 v[98:99], v[94:95], v[88:89]
	v_mul_f64 v[88:89], v[92:93], v[88:89]
	s_waitcnt vmcnt(0)
	v_fma_f64 v[92:93], v[92:93], v[96:97], -v[98:99]
	v_fma_f64 v[88:89], v[94:95], v[96:97], v[88:89]
	v_add_f64 v[1:2], v[1:2], v[92:93]
	v_add_f64 v[3:4], v[3:4], v[88:89]
	s_andn2_b32 exec_lo, exec_lo, s4
	s_cbranch_execnz .LBB103_312
; %bb.313:
	s_or_b32 exec_lo, exec_lo, s4
.LBB103_314:
	s_or_b32 exec_lo, exec_lo, s5
	v_mov_b32_e32 v87, 0
	s_mov_b32 s5, exec_lo
	s_or_b32 s49, 0, 8
	ds_read_b128 v[87:90], v87
	s_waitcnt lgkmcnt(0)
	v_mul_f64 v[92:93], v[3:4], v[89:90]
	v_mul_f64 v[89:90], v[1:2], v[89:90]
	v_fma_f64 v[92:93], v[1:2], v[87:88], -v[92:93]
	v_fma_f64 v[1:2], v[3:4], v[87:88], v[89:90]
	buffer_store_dword v93, off, s[0:3], 0 offset:4
	buffer_store_dword v92, off, s[0:3], 0
.LBB103_315:
	s_or_b32 exec_lo, exec_lo, s8
	s_and_b32 vcc_lo, exec_lo, s6
	s_cbranch_vccnz .LBB103_317
	s_branch .LBB103_624
.LBB103_316:
	s_mov_b32 s5, 0
                                        ; implicit-def: $vgpr1_vgpr2
                                        ; implicit-def: $sgpr49
	s_cbranch_execz .LBB103_624
.LBB103_317:
	v_mov_b32_e32 v4, s47
	v_cmp_eq_u32_e64 s4, 0, v0
	v_cndmask_b32_e64 v87, 0, 1, s48
	s_clause 0x3
	buffer_load_dword v1, v4, s[0:3], 0 offen
	buffer_load_dword v2, v4, s[0:3], 0 offen offset:4
	buffer_load_dword v3, v4, s[0:3], 0 offen offset:8
	;; [unrolled: 1-line block ×3, first 2 shown]
	s_waitcnt vmcnt(0)
	ds_write_b128 v86, v[1:4]
	s_waitcnt lgkmcnt(0)
	s_waitcnt_vscnt null, 0x0
	s_barrier
	buffer_gl0_inv
	s_and_saveexec_b32 s6, s4
	s_cbranch_execz .LBB103_321
; %bb.318:
	ds_read_b128 v[1:4], v86
	s_andn2_b32 vcc_lo, exec_lo, s48
	s_cbranch_vccnz .LBB103_320
; %bb.319:
	s_clause 0x3
	buffer_load_dword v88, v85, s[0:3], 0 offen offset:8
	buffer_load_dword v89, v85, s[0:3], 0 offen offset:12
	buffer_load_dword v92, v85, s[0:3], 0 offen
	buffer_load_dword v93, v85, s[0:3], 0 offen offset:4
	s_waitcnt vmcnt(2) lgkmcnt(0)
	v_mul_f64 v[94:95], v[3:4], v[88:89]
	v_mul_f64 v[88:89], v[1:2], v[88:89]
	s_waitcnt vmcnt(0)
	v_fma_f64 v[1:2], v[1:2], v[92:93], -v[94:95]
	v_fma_f64 v[3:4], v[3:4], v[92:93], v[88:89]
.LBB103_320:
	v_mov_b32_e32 v88, 0
	ds_read_b128 v[92:95], v88 offset:16
	s_waitcnt lgkmcnt(0)
	v_mul_f64 v[88:89], v[3:4], v[94:95]
	v_mul_f64 v[94:95], v[1:2], v[94:95]
	v_fma_f64 v[1:2], v[1:2], v[92:93], -v[88:89]
	v_fma_f64 v[3:4], v[3:4], v[92:93], v[94:95]
	buffer_store_dword v2, off, s[0:3], 0 offset:20
	buffer_store_dword v1, off, s[0:3], 0 offset:16
	;; [unrolled: 1-line block ×4, first 2 shown]
.LBB103_321:
	s_or_b32 exec_lo, exec_lo, s6
	v_mov_b32_e32 v4, s46
	s_mov_b32 s6, exec_lo
	s_clause 0x3
	buffer_load_dword v1, v4, s[0:3], 0 offen
	buffer_load_dword v2, v4, s[0:3], 0 offen offset:4
	buffer_load_dword v3, v4, s[0:3], 0 offen offset:8
	;; [unrolled: 1-line block ×3, first 2 shown]
	s_waitcnt vmcnt(0)
	ds_write_b128 v86, v[1:4]
	s_waitcnt lgkmcnt(0)
	s_waitcnt_vscnt null, 0x0
	s_barrier
	buffer_gl0_inv
	v_cmpx_gt_u32_e32 2, v0
	s_cbranch_execz .LBB103_327
; %bb.322:
	ds_read_b128 v[1:4], v86
	v_cmp_ne_u32_e32 vcc_lo, 1, v87
	s_cbranch_vccnz .LBB103_324
; %bb.323:
	s_clause 0x3
	buffer_load_dword v88, v85, s[0:3], 0 offen offset:8
	buffer_load_dword v89, v85, s[0:3], 0 offen offset:12
	buffer_load_dword v92, v85, s[0:3], 0 offen
	buffer_load_dword v93, v85, s[0:3], 0 offen offset:4
	s_waitcnt vmcnt(2) lgkmcnt(0)
	v_mul_f64 v[94:95], v[3:4], v[88:89]
	v_mul_f64 v[88:89], v[1:2], v[88:89]
	s_waitcnt vmcnt(0)
	v_fma_f64 v[1:2], v[1:2], v[92:93], -v[94:95]
	v_fma_f64 v[3:4], v[3:4], v[92:93], v[88:89]
.LBB103_324:
	s_and_saveexec_b32 s8, s4
	s_cbranch_execz .LBB103_326
; %bb.325:
	s_clause 0x3
	buffer_load_dword v88, off, s[0:3], 0 offset:24
	buffer_load_dword v89, off, s[0:3], 0 offset:28
	;; [unrolled: 1-line block ×4, first 2 shown]
	v_mov_b32_e32 v90, 0
	ds_read_b128 v[92:95], v90 offset:656
	s_waitcnt vmcnt(2) lgkmcnt(0)
	v_mul_f64 v[98:99], v[94:95], v[88:89]
	v_mul_f64 v[88:89], v[92:93], v[88:89]
	s_waitcnt vmcnt(0)
	v_fma_f64 v[92:93], v[92:93], v[96:97], -v[98:99]
	v_fma_f64 v[88:89], v[94:95], v[96:97], v[88:89]
	v_add_f64 v[1:2], v[1:2], v[92:93]
	v_add_f64 v[3:4], v[3:4], v[88:89]
.LBB103_326:
	s_or_b32 exec_lo, exec_lo, s8
	v_mov_b32_e32 v88, 0
	ds_read_b128 v[92:95], v88 offset:32
	s_waitcnt lgkmcnt(0)
	v_mul_f64 v[88:89], v[3:4], v[94:95]
	v_mul_f64 v[94:95], v[1:2], v[94:95]
	v_fma_f64 v[1:2], v[1:2], v[92:93], -v[88:89]
	v_fma_f64 v[3:4], v[3:4], v[92:93], v[94:95]
	buffer_store_dword v2, off, s[0:3], 0 offset:36
	buffer_store_dword v1, off, s[0:3], 0 offset:32
	buffer_store_dword v4, off, s[0:3], 0 offset:44
	buffer_store_dword v3, off, s[0:3], 0 offset:40
.LBB103_327:
	s_or_b32 exec_lo, exec_lo, s6
	v_mov_b32_e32 v4, s45
	s_mov_b32 s6, exec_lo
	s_clause 0x3
	buffer_load_dword v1, v4, s[0:3], 0 offen
	buffer_load_dword v2, v4, s[0:3], 0 offen offset:4
	buffer_load_dword v3, v4, s[0:3], 0 offen offset:8
	;; [unrolled: 1-line block ×3, first 2 shown]
	s_waitcnt vmcnt(0)
	ds_write_b128 v86, v[1:4]
	s_waitcnt lgkmcnt(0)
	s_waitcnt_vscnt null, 0x0
	s_barrier
	buffer_gl0_inv
	v_cmpx_gt_u32_e32 3, v0
	s_cbranch_execz .LBB103_335
; %bb.328:
	ds_read_b128 v[1:4], v86
	v_cmp_ne_u32_e32 vcc_lo, 1, v87
	s_cbranch_vccnz .LBB103_330
; %bb.329:
	s_clause 0x3
	buffer_load_dword v88, v85, s[0:3], 0 offen offset:8
	buffer_load_dword v89, v85, s[0:3], 0 offen offset:12
	buffer_load_dword v92, v85, s[0:3], 0 offen
	buffer_load_dword v93, v85, s[0:3], 0 offen offset:4
	s_waitcnt vmcnt(2) lgkmcnt(0)
	v_mul_f64 v[94:95], v[3:4], v[88:89]
	v_mul_f64 v[88:89], v[1:2], v[88:89]
	s_waitcnt vmcnt(0)
	v_fma_f64 v[1:2], v[1:2], v[92:93], -v[94:95]
	v_fma_f64 v[3:4], v[3:4], v[92:93], v[88:89]
.LBB103_330:
	s_mov_b32 s8, exec_lo
	v_cmpx_ne_u32_e32 2, v0
	s_cbranch_execz .LBB103_334
; %bb.331:
	s_clause 0x3
	buffer_load_dword v88, v85, s[0:3], 0 offen offset:24
	buffer_load_dword v89, v85, s[0:3], 0 offen offset:28
	;; [unrolled: 1-line block ×4, first 2 shown]
	ds_read_b128 v[92:95], v86 offset:16
	s_waitcnt vmcnt(2) lgkmcnt(0)
	v_mul_f64 v[98:99], v[94:95], v[88:89]
	v_mul_f64 v[88:89], v[92:93], v[88:89]
	s_waitcnt vmcnt(0)
	v_fma_f64 v[92:93], v[92:93], v[96:97], -v[98:99]
	v_fma_f64 v[88:89], v[94:95], v[96:97], v[88:89]
	v_add_f64 v[1:2], v[1:2], v[92:93]
	v_add_f64 v[3:4], v[3:4], v[88:89]
	s_and_saveexec_b32 s48, s4
	s_cbranch_execz .LBB103_333
; %bb.332:
	s_clause 0x3
	buffer_load_dword v88, off, s[0:3], 0 offset:40
	buffer_load_dword v89, off, s[0:3], 0 offset:44
	;; [unrolled: 1-line block ×4, first 2 shown]
	v_mov_b32_e32 v90, 0
	ds_read_b128 v[92:95], v90 offset:672
	s_waitcnt vmcnt(2) lgkmcnt(0)
	v_mul_f64 v[98:99], v[92:93], v[88:89]
	v_mul_f64 v[88:89], v[94:95], v[88:89]
	s_waitcnt vmcnt(0)
	v_fma_f64 v[94:95], v[94:95], v[96:97], v[98:99]
	v_fma_f64 v[88:89], v[92:93], v[96:97], -v[88:89]
	v_add_f64 v[3:4], v[3:4], v[94:95]
	v_add_f64 v[1:2], v[1:2], v[88:89]
.LBB103_333:
	s_or_b32 exec_lo, exec_lo, s48
.LBB103_334:
	s_or_b32 exec_lo, exec_lo, s8
	v_mov_b32_e32 v88, 0
	ds_read_b128 v[92:95], v88 offset:48
	s_waitcnt lgkmcnt(0)
	v_mul_f64 v[88:89], v[3:4], v[94:95]
	v_mul_f64 v[94:95], v[1:2], v[94:95]
	v_fma_f64 v[1:2], v[1:2], v[92:93], -v[88:89]
	v_fma_f64 v[3:4], v[3:4], v[92:93], v[94:95]
	buffer_store_dword v2, off, s[0:3], 0 offset:52
	buffer_store_dword v1, off, s[0:3], 0 offset:48
	;; [unrolled: 1-line block ×4, first 2 shown]
.LBB103_335:
	s_or_b32 exec_lo, exec_lo, s6
	v_mov_b32_e32 v4, s44
	s_mov_b32 s4, exec_lo
	s_clause 0x3
	buffer_load_dword v1, v4, s[0:3], 0 offen
	buffer_load_dword v2, v4, s[0:3], 0 offen offset:4
	buffer_load_dword v3, v4, s[0:3], 0 offen offset:8
	;; [unrolled: 1-line block ×3, first 2 shown]
	s_waitcnt vmcnt(0)
	ds_write_b128 v86, v[1:4]
	s_waitcnt lgkmcnt(0)
	s_waitcnt_vscnt null, 0x0
	s_barrier
	buffer_gl0_inv
	v_cmpx_gt_u32_e32 4, v0
	s_cbranch_execz .LBB103_343
; %bb.336:
	ds_read_b128 v[1:4], v86
	v_cmp_ne_u32_e32 vcc_lo, 1, v87
	s_cbranch_vccnz .LBB103_338
; %bb.337:
	s_clause 0x3
	buffer_load_dword v88, v85, s[0:3], 0 offen offset:8
	buffer_load_dword v89, v85, s[0:3], 0 offen offset:12
	buffer_load_dword v92, v85, s[0:3], 0 offen
	buffer_load_dword v93, v85, s[0:3], 0 offen offset:4
	s_waitcnt vmcnt(2) lgkmcnt(0)
	v_mul_f64 v[94:95], v[3:4], v[88:89]
	v_mul_f64 v[88:89], v[1:2], v[88:89]
	s_waitcnt vmcnt(0)
	v_fma_f64 v[1:2], v[1:2], v[92:93], -v[94:95]
	v_fma_f64 v[3:4], v[3:4], v[92:93], v[88:89]
.LBB103_338:
	s_mov_b32 s6, exec_lo
	v_cmpx_ne_u32_e32 3, v0
	s_cbranch_execz .LBB103_342
; %bb.339:
	v_add_nc_u32_e32 v88, 0x290, v91
	v_add3_u32 v89, 0, v91, 16
	v_mov_b32_e32 v90, v0
	s_mov_b32 s8, 0
	.p2align	6
.LBB103_340:                            ; =>This Inner Loop Header: Depth=1
	s_clause 0x3
	buffer_load_dword v96, v89, s[0:3], 0 offen offset:8
	buffer_load_dword v97, v89, s[0:3], 0 offen offset:12
	buffer_load_dword v98, v89, s[0:3], 0 offen
	buffer_load_dword v99, v89, s[0:3], 0 offen offset:4
	ds_read_b128 v[92:95], v88
	v_add_nc_u32_e32 v90, 1, v90
	v_add_nc_u32_e32 v88, 16, v88
	;; [unrolled: 1-line block ×3, first 2 shown]
	v_cmp_lt_u32_e32 vcc_lo, 2, v90
	s_or_b32 s8, vcc_lo, s8
	s_waitcnt vmcnt(2) lgkmcnt(0)
	v_mul_f64 v[100:101], v[94:95], v[96:97]
	v_mul_f64 v[96:97], v[92:93], v[96:97]
	s_waitcnt vmcnt(0)
	v_fma_f64 v[92:93], v[92:93], v[98:99], -v[100:101]
	v_fma_f64 v[94:95], v[94:95], v[98:99], v[96:97]
	v_add_f64 v[1:2], v[1:2], v[92:93]
	v_add_f64 v[3:4], v[3:4], v[94:95]
	s_andn2_b32 exec_lo, exec_lo, s8
	s_cbranch_execnz .LBB103_340
; %bb.341:
	s_or_b32 exec_lo, exec_lo, s8
.LBB103_342:
	s_or_b32 exec_lo, exec_lo, s6
	v_mov_b32_e32 v88, 0
	ds_read_b128 v[92:95], v88 offset:64
	s_waitcnt lgkmcnt(0)
	v_mul_f64 v[88:89], v[3:4], v[94:95]
	v_mul_f64 v[94:95], v[1:2], v[94:95]
	v_fma_f64 v[1:2], v[1:2], v[92:93], -v[88:89]
	v_fma_f64 v[3:4], v[3:4], v[92:93], v[94:95]
	buffer_store_dword v2, off, s[0:3], 0 offset:68
	buffer_store_dword v1, off, s[0:3], 0 offset:64
	;; [unrolled: 1-line block ×4, first 2 shown]
.LBB103_343:
	s_or_b32 exec_lo, exec_lo, s4
	v_mov_b32_e32 v4, s43
	s_mov_b32 s4, exec_lo
	s_clause 0x3
	buffer_load_dword v1, v4, s[0:3], 0 offen
	buffer_load_dword v2, v4, s[0:3], 0 offen offset:4
	buffer_load_dword v3, v4, s[0:3], 0 offen offset:8
	;; [unrolled: 1-line block ×3, first 2 shown]
	s_waitcnt vmcnt(0)
	ds_write_b128 v86, v[1:4]
	s_waitcnt lgkmcnt(0)
	s_waitcnt_vscnt null, 0x0
	s_barrier
	buffer_gl0_inv
	v_cmpx_gt_u32_e32 5, v0
	s_cbranch_execz .LBB103_351
; %bb.344:
	ds_read_b128 v[1:4], v86
	v_cmp_ne_u32_e32 vcc_lo, 1, v87
	s_cbranch_vccnz .LBB103_346
; %bb.345:
	s_clause 0x3
	buffer_load_dword v88, v85, s[0:3], 0 offen offset:8
	buffer_load_dword v89, v85, s[0:3], 0 offen offset:12
	buffer_load_dword v92, v85, s[0:3], 0 offen
	buffer_load_dword v93, v85, s[0:3], 0 offen offset:4
	s_waitcnt vmcnt(2) lgkmcnt(0)
	v_mul_f64 v[94:95], v[3:4], v[88:89]
	v_mul_f64 v[88:89], v[1:2], v[88:89]
	s_waitcnt vmcnt(0)
	v_fma_f64 v[1:2], v[1:2], v[92:93], -v[94:95]
	v_fma_f64 v[3:4], v[3:4], v[92:93], v[88:89]
.LBB103_346:
	s_mov_b32 s6, exec_lo
	v_cmpx_ne_u32_e32 4, v0
	s_cbranch_execz .LBB103_350
; %bb.347:
	v_add_nc_u32_e32 v88, 0x290, v91
	v_add3_u32 v89, 0, v91, 16
	v_mov_b32_e32 v90, v0
	s_mov_b32 s8, 0
	.p2align	6
.LBB103_348:                            ; =>This Inner Loop Header: Depth=1
	s_clause 0x3
	buffer_load_dword v96, v89, s[0:3], 0 offen offset:8
	buffer_load_dword v97, v89, s[0:3], 0 offen offset:12
	buffer_load_dword v98, v89, s[0:3], 0 offen
	buffer_load_dword v99, v89, s[0:3], 0 offen offset:4
	ds_read_b128 v[92:95], v88
	v_add_nc_u32_e32 v90, 1, v90
	v_add_nc_u32_e32 v88, 16, v88
	;; [unrolled: 1-line block ×3, first 2 shown]
	v_cmp_lt_u32_e32 vcc_lo, 3, v90
	s_or_b32 s8, vcc_lo, s8
	s_waitcnt vmcnt(2) lgkmcnt(0)
	v_mul_f64 v[100:101], v[94:95], v[96:97]
	v_mul_f64 v[96:97], v[92:93], v[96:97]
	s_waitcnt vmcnt(0)
	v_fma_f64 v[92:93], v[92:93], v[98:99], -v[100:101]
	v_fma_f64 v[94:95], v[94:95], v[98:99], v[96:97]
	v_add_f64 v[1:2], v[1:2], v[92:93]
	v_add_f64 v[3:4], v[3:4], v[94:95]
	s_andn2_b32 exec_lo, exec_lo, s8
	s_cbranch_execnz .LBB103_348
; %bb.349:
	s_or_b32 exec_lo, exec_lo, s8
.LBB103_350:
	s_or_b32 exec_lo, exec_lo, s6
	v_mov_b32_e32 v88, 0
	ds_read_b128 v[92:95], v88 offset:80
	s_waitcnt lgkmcnt(0)
	v_mul_f64 v[88:89], v[3:4], v[94:95]
	v_mul_f64 v[94:95], v[1:2], v[94:95]
	v_fma_f64 v[1:2], v[1:2], v[92:93], -v[88:89]
	v_fma_f64 v[3:4], v[3:4], v[92:93], v[94:95]
	buffer_store_dword v2, off, s[0:3], 0 offset:84
	buffer_store_dword v1, off, s[0:3], 0 offset:80
	;; [unrolled: 1-line block ×4, first 2 shown]
.LBB103_351:
	s_or_b32 exec_lo, exec_lo, s4
	v_mov_b32_e32 v4, s42
	s_mov_b32 s4, exec_lo
	s_clause 0x3
	buffer_load_dword v1, v4, s[0:3], 0 offen
	buffer_load_dword v2, v4, s[0:3], 0 offen offset:4
	buffer_load_dword v3, v4, s[0:3], 0 offen offset:8
	;; [unrolled: 1-line block ×3, first 2 shown]
	s_waitcnt vmcnt(0)
	ds_write_b128 v86, v[1:4]
	s_waitcnt lgkmcnt(0)
	s_waitcnt_vscnt null, 0x0
	s_barrier
	buffer_gl0_inv
	v_cmpx_gt_u32_e32 6, v0
	s_cbranch_execz .LBB103_359
; %bb.352:
	ds_read_b128 v[1:4], v86
	v_cmp_ne_u32_e32 vcc_lo, 1, v87
	s_cbranch_vccnz .LBB103_354
; %bb.353:
	s_clause 0x3
	buffer_load_dword v88, v85, s[0:3], 0 offen offset:8
	buffer_load_dword v89, v85, s[0:3], 0 offen offset:12
	buffer_load_dword v92, v85, s[0:3], 0 offen
	buffer_load_dword v93, v85, s[0:3], 0 offen offset:4
	s_waitcnt vmcnt(2) lgkmcnt(0)
	v_mul_f64 v[94:95], v[3:4], v[88:89]
	v_mul_f64 v[88:89], v[1:2], v[88:89]
	s_waitcnt vmcnt(0)
	v_fma_f64 v[1:2], v[1:2], v[92:93], -v[94:95]
	v_fma_f64 v[3:4], v[3:4], v[92:93], v[88:89]
.LBB103_354:
	s_mov_b32 s6, exec_lo
	v_cmpx_ne_u32_e32 5, v0
	s_cbranch_execz .LBB103_358
; %bb.355:
	v_add_nc_u32_e32 v88, 0x290, v91
	v_add3_u32 v89, 0, v91, 16
	v_mov_b32_e32 v90, v0
	s_mov_b32 s8, 0
	.p2align	6
.LBB103_356:                            ; =>This Inner Loop Header: Depth=1
	s_clause 0x3
	buffer_load_dword v96, v89, s[0:3], 0 offen offset:8
	buffer_load_dword v97, v89, s[0:3], 0 offen offset:12
	buffer_load_dword v98, v89, s[0:3], 0 offen
	buffer_load_dword v99, v89, s[0:3], 0 offen offset:4
	ds_read_b128 v[92:95], v88
	v_add_nc_u32_e32 v90, 1, v90
	v_add_nc_u32_e32 v88, 16, v88
	;; [unrolled: 1-line block ×3, first 2 shown]
	v_cmp_lt_u32_e32 vcc_lo, 4, v90
	s_or_b32 s8, vcc_lo, s8
	s_waitcnt vmcnt(2) lgkmcnt(0)
	v_mul_f64 v[100:101], v[94:95], v[96:97]
	v_mul_f64 v[96:97], v[92:93], v[96:97]
	s_waitcnt vmcnt(0)
	v_fma_f64 v[92:93], v[92:93], v[98:99], -v[100:101]
	v_fma_f64 v[94:95], v[94:95], v[98:99], v[96:97]
	v_add_f64 v[1:2], v[1:2], v[92:93]
	v_add_f64 v[3:4], v[3:4], v[94:95]
	s_andn2_b32 exec_lo, exec_lo, s8
	s_cbranch_execnz .LBB103_356
; %bb.357:
	s_or_b32 exec_lo, exec_lo, s8
.LBB103_358:
	s_or_b32 exec_lo, exec_lo, s6
	v_mov_b32_e32 v88, 0
	ds_read_b128 v[92:95], v88 offset:96
	s_waitcnt lgkmcnt(0)
	v_mul_f64 v[88:89], v[3:4], v[94:95]
	v_mul_f64 v[94:95], v[1:2], v[94:95]
	v_fma_f64 v[1:2], v[1:2], v[92:93], -v[88:89]
	v_fma_f64 v[3:4], v[3:4], v[92:93], v[94:95]
	buffer_store_dword v2, off, s[0:3], 0 offset:100
	buffer_store_dword v1, off, s[0:3], 0 offset:96
	;; [unrolled: 1-line block ×4, first 2 shown]
.LBB103_359:
	s_or_b32 exec_lo, exec_lo, s4
	v_mov_b32_e32 v4, s41
	s_mov_b32 s4, exec_lo
	s_clause 0x3
	buffer_load_dword v1, v4, s[0:3], 0 offen
	buffer_load_dword v2, v4, s[0:3], 0 offen offset:4
	buffer_load_dword v3, v4, s[0:3], 0 offen offset:8
	;; [unrolled: 1-line block ×3, first 2 shown]
	s_waitcnt vmcnt(0)
	ds_write_b128 v86, v[1:4]
	s_waitcnt lgkmcnt(0)
	s_waitcnt_vscnt null, 0x0
	s_barrier
	buffer_gl0_inv
	v_cmpx_gt_u32_e32 7, v0
	s_cbranch_execz .LBB103_367
; %bb.360:
	ds_read_b128 v[1:4], v86
	v_cmp_ne_u32_e32 vcc_lo, 1, v87
	s_cbranch_vccnz .LBB103_362
; %bb.361:
	s_clause 0x3
	buffer_load_dword v88, v85, s[0:3], 0 offen offset:8
	buffer_load_dword v89, v85, s[0:3], 0 offen offset:12
	buffer_load_dword v92, v85, s[0:3], 0 offen
	buffer_load_dword v93, v85, s[0:3], 0 offen offset:4
	s_waitcnt vmcnt(2) lgkmcnt(0)
	v_mul_f64 v[94:95], v[3:4], v[88:89]
	v_mul_f64 v[88:89], v[1:2], v[88:89]
	s_waitcnt vmcnt(0)
	v_fma_f64 v[1:2], v[1:2], v[92:93], -v[94:95]
	v_fma_f64 v[3:4], v[3:4], v[92:93], v[88:89]
.LBB103_362:
	s_mov_b32 s6, exec_lo
	v_cmpx_ne_u32_e32 6, v0
	s_cbranch_execz .LBB103_366
; %bb.363:
	v_add_nc_u32_e32 v88, 0x290, v91
	v_add3_u32 v89, 0, v91, 16
	v_mov_b32_e32 v90, v0
	s_mov_b32 s8, 0
	.p2align	6
.LBB103_364:                            ; =>This Inner Loop Header: Depth=1
	s_clause 0x3
	buffer_load_dword v96, v89, s[0:3], 0 offen offset:8
	buffer_load_dword v97, v89, s[0:3], 0 offen offset:12
	buffer_load_dword v98, v89, s[0:3], 0 offen
	buffer_load_dword v99, v89, s[0:3], 0 offen offset:4
	ds_read_b128 v[92:95], v88
	v_add_nc_u32_e32 v90, 1, v90
	v_add_nc_u32_e32 v88, 16, v88
	;; [unrolled: 1-line block ×3, first 2 shown]
	v_cmp_lt_u32_e32 vcc_lo, 5, v90
	s_or_b32 s8, vcc_lo, s8
	s_waitcnt vmcnt(2) lgkmcnt(0)
	v_mul_f64 v[100:101], v[94:95], v[96:97]
	v_mul_f64 v[96:97], v[92:93], v[96:97]
	s_waitcnt vmcnt(0)
	v_fma_f64 v[92:93], v[92:93], v[98:99], -v[100:101]
	v_fma_f64 v[94:95], v[94:95], v[98:99], v[96:97]
	v_add_f64 v[1:2], v[1:2], v[92:93]
	v_add_f64 v[3:4], v[3:4], v[94:95]
	s_andn2_b32 exec_lo, exec_lo, s8
	s_cbranch_execnz .LBB103_364
; %bb.365:
	s_or_b32 exec_lo, exec_lo, s8
.LBB103_366:
	s_or_b32 exec_lo, exec_lo, s6
	v_mov_b32_e32 v88, 0
	ds_read_b128 v[92:95], v88 offset:112
	s_waitcnt lgkmcnt(0)
	v_mul_f64 v[88:89], v[3:4], v[94:95]
	v_mul_f64 v[94:95], v[1:2], v[94:95]
	v_fma_f64 v[1:2], v[1:2], v[92:93], -v[88:89]
	v_fma_f64 v[3:4], v[3:4], v[92:93], v[94:95]
	buffer_store_dword v2, off, s[0:3], 0 offset:116
	buffer_store_dword v1, off, s[0:3], 0 offset:112
	;; [unrolled: 1-line block ×4, first 2 shown]
.LBB103_367:
	s_or_b32 exec_lo, exec_lo, s4
	v_mov_b32_e32 v4, s40
	s_mov_b32 s4, exec_lo
	s_clause 0x3
	buffer_load_dword v1, v4, s[0:3], 0 offen
	buffer_load_dword v2, v4, s[0:3], 0 offen offset:4
	buffer_load_dword v3, v4, s[0:3], 0 offen offset:8
	;; [unrolled: 1-line block ×3, first 2 shown]
	s_waitcnt vmcnt(0)
	ds_write_b128 v86, v[1:4]
	s_waitcnt lgkmcnt(0)
	s_waitcnt_vscnt null, 0x0
	s_barrier
	buffer_gl0_inv
	v_cmpx_gt_u32_e32 8, v0
	s_cbranch_execz .LBB103_375
; %bb.368:
	ds_read_b128 v[1:4], v86
	v_cmp_ne_u32_e32 vcc_lo, 1, v87
	s_cbranch_vccnz .LBB103_370
; %bb.369:
	s_clause 0x3
	buffer_load_dword v88, v85, s[0:3], 0 offen offset:8
	buffer_load_dword v89, v85, s[0:3], 0 offen offset:12
	buffer_load_dword v92, v85, s[0:3], 0 offen
	buffer_load_dword v93, v85, s[0:3], 0 offen offset:4
	s_waitcnt vmcnt(2) lgkmcnt(0)
	v_mul_f64 v[94:95], v[3:4], v[88:89]
	v_mul_f64 v[88:89], v[1:2], v[88:89]
	s_waitcnt vmcnt(0)
	v_fma_f64 v[1:2], v[1:2], v[92:93], -v[94:95]
	v_fma_f64 v[3:4], v[3:4], v[92:93], v[88:89]
.LBB103_370:
	s_mov_b32 s6, exec_lo
	v_cmpx_ne_u32_e32 7, v0
	s_cbranch_execz .LBB103_374
; %bb.371:
	v_add_nc_u32_e32 v88, 0x290, v91
	v_add3_u32 v89, 0, v91, 16
	v_mov_b32_e32 v90, v0
	s_mov_b32 s8, 0
	.p2align	6
.LBB103_372:                            ; =>This Inner Loop Header: Depth=1
	s_clause 0x3
	buffer_load_dword v96, v89, s[0:3], 0 offen offset:8
	buffer_load_dword v97, v89, s[0:3], 0 offen offset:12
	buffer_load_dword v98, v89, s[0:3], 0 offen
	buffer_load_dword v99, v89, s[0:3], 0 offen offset:4
	ds_read_b128 v[92:95], v88
	v_add_nc_u32_e32 v90, 1, v90
	v_add_nc_u32_e32 v88, 16, v88
	;; [unrolled: 1-line block ×3, first 2 shown]
	v_cmp_lt_u32_e32 vcc_lo, 6, v90
	s_or_b32 s8, vcc_lo, s8
	s_waitcnt vmcnt(2) lgkmcnt(0)
	v_mul_f64 v[100:101], v[94:95], v[96:97]
	v_mul_f64 v[96:97], v[92:93], v[96:97]
	s_waitcnt vmcnt(0)
	v_fma_f64 v[92:93], v[92:93], v[98:99], -v[100:101]
	v_fma_f64 v[94:95], v[94:95], v[98:99], v[96:97]
	v_add_f64 v[1:2], v[1:2], v[92:93]
	v_add_f64 v[3:4], v[3:4], v[94:95]
	s_andn2_b32 exec_lo, exec_lo, s8
	s_cbranch_execnz .LBB103_372
; %bb.373:
	s_or_b32 exec_lo, exec_lo, s8
.LBB103_374:
	s_or_b32 exec_lo, exec_lo, s6
	v_mov_b32_e32 v88, 0
	ds_read_b128 v[92:95], v88 offset:128
	s_waitcnt lgkmcnt(0)
	v_mul_f64 v[88:89], v[3:4], v[94:95]
	v_mul_f64 v[94:95], v[1:2], v[94:95]
	v_fma_f64 v[1:2], v[1:2], v[92:93], -v[88:89]
	v_fma_f64 v[3:4], v[3:4], v[92:93], v[94:95]
	buffer_store_dword v2, off, s[0:3], 0 offset:132
	buffer_store_dword v1, off, s[0:3], 0 offset:128
	;; [unrolled: 1-line block ×4, first 2 shown]
.LBB103_375:
	s_or_b32 exec_lo, exec_lo, s4
	v_mov_b32_e32 v4, s39
	s_mov_b32 s4, exec_lo
	s_clause 0x3
	buffer_load_dword v1, v4, s[0:3], 0 offen
	buffer_load_dword v2, v4, s[0:3], 0 offen offset:4
	buffer_load_dword v3, v4, s[0:3], 0 offen offset:8
	buffer_load_dword v4, v4, s[0:3], 0 offen offset:12
	s_waitcnt vmcnt(0)
	ds_write_b128 v86, v[1:4]
	s_waitcnt lgkmcnt(0)
	s_waitcnt_vscnt null, 0x0
	s_barrier
	buffer_gl0_inv
	v_cmpx_gt_u32_e32 9, v0
	s_cbranch_execz .LBB103_383
; %bb.376:
	ds_read_b128 v[1:4], v86
	v_cmp_ne_u32_e32 vcc_lo, 1, v87
	s_cbranch_vccnz .LBB103_378
; %bb.377:
	s_clause 0x3
	buffer_load_dword v88, v85, s[0:3], 0 offen offset:8
	buffer_load_dword v89, v85, s[0:3], 0 offen offset:12
	buffer_load_dword v92, v85, s[0:3], 0 offen
	buffer_load_dword v93, v85, s[0:3], 0 offen offset:4
	s_waitcnt vmcnt(2) lgkmcnt(0)
	v_mul_f64 v[94:95], v[3:4], v[88:89]
	v_mul_f64 v[88:89], v[1:2], v[88:89]
	s_waitcnt vmcnt(0)
	v_fma_f64 v[1:2], v[1:2], v[92:93], -v[94:95]
	v_fma_f64 v[3:4], v[3:4], v[92:93], v[88:89]
.LBB103_378:
	s_mov_b32 s6, exec_lo
	v_cmpx_ne_u32_e32 8, v0
	s_cbranch_execz .LBB103_382
; %bb.379:
	v_add_nc_u32_e32 v88, 0x290, v91
	v_add3_u32 v89, 0, v91, 16
	v_mov_b32_e32 v90, v0
	s_mov_b32 s8, 0
	.p2align	6
.LBB103_380:                            ; =>This Inner Loop Header: Depth=1
	s_clause 0x3
	buffer_load_dword v96, v89, s[0:3], 0 offen offset:8
	buffer_load_dword v97, v89, s[0:3], 0 offen offset:12
	buffer_load_dword v98, v89, s[0:3], 0 offen
	buffer_load_dword v99, v89, s[0:3], 0 offen offset:4
	ds_read_b128 v[92:95], v88
	v_add_nc_u32_e32 v90, 1, v90
	v_add_nc_u32_e32 v88, 16, v88
	;; [unrolled: 1-line block ×3, first 2 shown]
	v_cmp_lt_u32_e32 vcc_lo, 7, v90
	s_or_b32 s8, vcc_lo, s8
	s_waitcnt vmcnt(2) lgkmcnt(0)
	v_mul_f64 v[100:101], v[94:95], v[96:97]
	v_mul_f64 v[96:97], v[92:93], v[96:97]
	s_waitcnt vmcnt(0)
	v_fma_f64 v[92:93], v[92:93], v[98:99], -v[100:101]
	v_fma_f64 v[94:95], v[94:95], v[98:99], v[96:97]
	v_add_f64 v[1:2], v[1:2], v[92:93]
	v_add_f64 v[3:4], v[3:4], v[94:95]
	s_andn2_b32 exec_lo, exec_lo, s8
	s_cbranch_execnz .LBB103_380
; %bb.381:
	s_or_b32 exec_lo, exec_lo, s8
.LBB103_382:
	s_or_b32 exec_lo, exec_lo, s6
	v_mov_b32_e32 v88, 0
	ds_read_b128 v[92:95], v88 offset:144
	s_waitcnt lgkmcnt(0)
	v_mul_f64 v[88:89], v[3:4], v[94:95]
	v_mul_f64 v[94:95], v[1:2], v[94:95]
	v_fma_f64 v[1:2], v[1:2], v[92:93], -v[88:89]
	v_fma_f64 v[3:4], v[3:4], v[92:93], v[94:95]
	buffer_store_dword v2, off, s[0:3], 0 offset:148
	buffer_store_dword v1, off, s[0:3], 0 offset:144
	buffer_store_dword v4, off, s[0:3], 0 offset:156
	buffer_store_dword v3, off, s[0:3], 0 offset:152
.LBB103_383:
	s_or_b32 exec_lo, exec_lo, s4
	v_mov_b32_e32 v4, s38
	s_mov_b32 s4, exec_lo
	s_clause 0x3
	buffer_load_dword v1, v4, s[0:3], 0 offen
	buffer_load_dword v2, v4, s[0:3], 0 offen offset:4
	buffer_load_dword v3, v4, s[0:3], 0 offen offset:8
	;; [unrolled: 1-line block ×3, first 2 shown]
	s_waitcnt vmcnt(0)
	ds_write_b128 v86, v[1:4]
	s_waitcnt lgkmcnt(0)
	s_waitcnt_vscnt null, 0x0
	s_barrier
	buffer_gl0_inv
	v_cmpx_gt_u32_e32 10, v0
	s_cbranch_execz .LBB103_391
; %bb.384:
	ds_read_b128 v[1:4], v86
	v_cmp_ne_u32_e32 vcc_lo, 1, v87
	s_cbranch_vccnz .LBB103_386
; %bb.385:
	s_clause 0x3
	buffer_load_dword v88, v85, s[0:3], 0 offen offset:8
	buffer_load_dword v89, v85, s[0:3], 0 offen offset:12
	buffer_load_dword v92, v85, s[0:3], 0 offen
	buffer_load_dword v93, v85, s[0:3], 0 offen offset:4
	s_waitcnt vmcnt(2) lgkmcnt(0)
	v_mul_f64 v[94:95], v[3:4], v[88:89]
	v_mul_f64 v[88:89], v[1:2], v[88:89]
	s_waitcnt vmcnt(0)
	v_fma_f64 v[1:2], v[1:2], v[92:93], -v[94:95]
	v_fma_f64 v[3:4], v[3:4], v[92:93], v[88:89]
.LBB103_386:
	s_mov_b32 s6, exec_lo
	v_cmpx_ne_u32_e32 9, v0
	s_cbranch_execz .LBB103_390
; %bb.387:
	v_add_nc_u32_e32 v88, 0x290, v91
	v_add3_u32 v89, 0, v91, 16
	v_mov_b32_e32 v90, v0
	s_mov_b32 s8, 0
	.p2align	6
.LBB103_388:                            ; =>This Inner Loop Header: Depth=1
	s_clause 0x3
	buffer_load_dword v96, v89, s[0:3], 0 offen offset:8
	buffer_load_dword v97, v89, s[0:3], 0 offen offset:12
	buffer_load_dword v98, v89, s[0:3], 0 offen
	buffer_load_dword v99, v89, s[0:3], 0 offen offset:4
	ds_read_b128 v[92:95], v88
	v_add_nc_u32_e32 v90, 1, v90
	v_add_nc_u32_e32 v88, 16, v88
	;; [unrolled: 1-line block ×3, first 2 shown]
	v_cmp_lt_u32_e32 vcc_lo, 8, v90
	s_or_b32 s8, vcc_lo, s8
	s_waitcnt vmcnt(2) lgkmcnt(0)
	v_mul_f64 v[100:101], v[94:95], v[96:97]
	v_mul_f64 v[96:97], v[92:93], v[96:97]
	s_waitcnt vmcnt(0)
	v_fma_f64 v[92:93], v[92:93], v[98:99], -v[100:101]
	v_fma_f64 v[94:95], v[94:95], v[98:99], v[96:97]
	v_add_f64 v[1:2], v[1:2], v[92:93]
	v_add_f64 v[3:4], v[3:4], v[94:95]
	s_andn2_b32 exec_lo, exec_lo, s8
	s_cbranch_execnz .LBB103_388
; %bb.389:
	s_or_b32 exec_lo, exec_lo, s8
.LBB103_390:
	s_or_b32 exec_lo, exec_lo, s6
	v_mov_b32_e32 v88, 0
	ds_read_b128 v[92:95], v88 offset:160
	s_waitcnt lgkmcnt(0)
	v_mul_f64 v[88:89], v[3:4], v[94:95]
	v_mul_f64 v[94:95], v[1:2], v[94:95]
	v_fma_f64 v[1:2], v[1:2], v[92:93], -v[88:89]
	v_fma_f64 v[3:4], v[3:4], v[92:93], v[94:95]
	buffer_store_dword v2, off, s[0:3], 0 offset:164
	buffer_store_dword v1, off, s[0:3], 0 offset:160
	;; [unrolled: 1-line block ×4, first 2 shown]
.LBB103_391:
	s_or_b32 exec_lo, exec_lo, s4
	v_mov_b32_e32 v4, s37
	s_mov_b32 s4, exec_lo
	s_clause 0x3
	buffer_load_dword v1, v4, s[0:3], 0 offen
	buffer_load_dword v2, v4, s[0:3], 0 offen offset:4
	buffer_load_dword v3, v4, s[0:3], 0 offen offset:8
	;; [unrolled: 1-line block ×3, first 2 shown]
	s_waitcnt vmcnt(0)
	ds_write_b128 v86, v[1:4]
	s_waitcnt lgkmcnt(0)
	s_waitcnt_vscnt null, 0x0
	s_barrier
	buffer_gl0_inv
	v_cmpx_gt_u32_e32 11, v0
	s_cbranch_execz .LBB103_399
; %bb.392:
	ds_read_b128 v[1:4], v86
	v_cmp_ne_u32_e32 vcc_lo, 1, v87
	s_cbranch_vccnz .LBB103_394
; %bb.393:
	s_clause 0x3
	buffer_load_dword v88, v85, s[0:3], 0 offen offset:8
	buffer_load_dword v89, v85, s[0:3], 0 offen offset:12
	buffer_load_dword v92, v85, s[0:3], 0 offen
	buffer_load_dword v93, v85, s[0:3], 0 offen offset:4
	s_waitcnt vmcnt(2) lgkmcnt(0)
	v_mul_f64 v[94:95], v[3:4], v[88:89]
	v_mul_f64 v[88:89], v[1:2], v[88:89]
	s_waitcnt vmcnt(0)
	v_fma_f64 v[1:2], v[1:2], v[92:93], -v[94:95]
	v_fma_f64 v[3:4], v[3:4], v[92:93], v[88:89]
.LBB103_394:
	s_mov_b32 s6, exec_lo
	v_cmpx_ne_u32_e32 10, v0
	s_cbranch_execz .LBB103_398
; %bb.395:
	v_add_nc_u32_e32 v88, 0x290, v91
	v_add3_u32 v89, 0, v91, 16
	v_mov_b32_e32 v90, v0
	s_mov_b32 s8, 0
	.p2align	6
.LBB103_396:                            ; =>This Inner Loop Header: Depth=1
	s_clause 0x3
	buffer_load_dword v96, v89, s[0:3], 0 offen offset:8
	buffer_load_dword v97, v89, s[0:3], 0 offen offset:12
	buffer_load_dword v98, v89, s[0:3], 0 offen
	buffer_load_dword v99, v89, s[0:3], 0 offen offset:4
	ds_read_b128 v[92:95], v88
	v_add_nc_u32_e32 v90, 1, v90
	v_add_nc_u32_e32 v88, 16, v88
	;; [unrolled: 1-line block ×3, first 2 shown]
	v_cmp_lt_u32_e32 vcc_lo, 9, v90
	s_or_b32 s8, vcc_lo, s8
	s_waitcnt vmcnt(2) lgkmcnt(0)
	v_mul_f64 v[100:101], v[94:95], v[96:97]
	v_mul_f64 v[96:97], v[92:93], v[96:97]
	s_waitcnt vmcnt(0)
	v_fma_f64 v[92:93], v[92:93], v[98:99], -v[100:101]
	v_fma_f64 v[94:95], v[94:95], v[98:99], v[96:97]
	v_add_f64 v[1:2], v[1:2], v[92:93]
	v_add_f64 v[3:4], v[3:4], v[94:95]
	s_andn2_b32 exec_lo, exec_lo, s8
	s_cbranch_execnz .LBB103_396
; %bb.397:
	s_or_b32 exec_lo, exec_lo, s8
.LBB103_398:
	s_or_b32 exec_lo, exec_lo, s6
	v_mov_b32_e32 v88, 0
	ds_read_b128 v[92:95], v88 offset:176
	s_waitcnt lgkmcnt(0)
	v_mul_f64 v[88:89], v[3:4], v[94:95]
	v_mul_f64 v[94:95], v[1:2], v[94:95]
	v_fma_f64 v[1:2], v[1:2], v[92:93], -v[88:89]
	v_fma_f64 v[3:4], v[3:4], v[92:93], v[94:95]
	buffer_store_dword v2, off, s[0:3], 0 offset:180
	buffer_store_dword v1, off, s[0:3], 0 offset:176
	;; [unrolled: 1-line block ×4, first 2 shown]
.LBB103_399:
	s_or_b32 exec_lo, exec_lo, s4
	v_mov_b32_e32 v4, s36
	s_mov_b32 s4, exec_lo
	s_clause 0x3
	buffer_load_dword v1, v4, s[0:3], 0 offen
	buffer_load_dword v2, v4, s[0:3], 0 offen offset:4
	buffer_load_dword v3, v4, s[0:3], 0 offen offset:8
	;; [unrolled: 1-line block ×3, first 2 shown]
	s_waitcnt vmcnt(0)
	ds_write_b128 v86, v[1:4]
	s_waitcnt lgkmcnt(0)
	s_waitcnt_vscnt null, 0x0
	s_barrier
	buffer_gl0_inv
	v_cmpx_gt_u32_e32 12, v0
	s_cbranch_execz .LBB103_407
; %bb.400:
	ds_read_b128 v[1:4], v86
	v_cmp_ne_u32_e32 vcc_lo, 1, v87
	s_cbranch_vccnz .LBB103_402
; %bb.401:
	s_clause 0x3
	buffer_load_dword v88, v85, s[0:3], 0 offen offset:8
	buffer_load_dword v89, v85, s[0:3], 0 offen offset:12
	buffer_load_dword v92, v85, s[0:3], 0 offen
	buffer_load_dword v93, v85, s[0:3], 0 offen offset:4
	s_waitcnt vmcnt(2) lgkmcnt(0)
	v_mul_f64 v[94:95], v[3:4], v[88:89]
	v_mul_f64 v[88:89], v[1:2], v[88:89]
	s_waitcnt vmcnt(0)
	v_fma_f64 v[1:2], v[1:2], v[92:93], -v[94:95]
	v_fma_f64 v[3:4], v[3:4], v[92:93], v[88:89]
.LBB103_402:
	s_mov_b32 s6, exec_lo
	v_cmpx_ne_u32_e32 11, v0
	s_cbranch_execz .LBB103_406
; %bb.403:
	v_add_nc_u32_e32 v88, 0x290, v91
	v_add3_u32 v89, 0, v91, 16
	v_mov_b32_e32 v90, v0
	s_mov_b32 s8, 0
	.p2align	6
.LBB103_404:                            ; =>This Inner Loop Header: Depth=1
	s_clause 0x3
	buffer_load_dword v96, v89, s[0:3], 0 offen offset:8
	buffer_load_dword v97, v89, s[0:3], 0 offen offset:12
	buffer_load_dword v98, v89, s[0:3], 0 offen
	buffer_load_dword v99, v89, s[0:3], 0 offen offset:4
	ds_read_b128 v[92:95], v88
	v_add_nc_u32_e32 v90, 1, v90
	v_add_nc_u32_e32 v88, 16, v88
	;; [unrolled: 1-line block ×3, first 2 shown]
	v_cmp_lt_u32_e32 vcc_lo, 10, v90
	s_or_b32 s8, vcc_lo, s8
	s_waitcnt vmcnt(2) lgkmcnt(0)
	v_mul_f64 v[100:101], v[94:95], v[96:97]
	v_mul_f64 v[96:97], v[92:93], v[96:97]
	s_waitcnt vmcnt(0)
	v_fma_f64 v[92:93], v[92:93], v[98:99], -v[100:101]
	v_fma_f64 v[94:95], v[94:95], v[98:99], v[96:97]
	v_add_f64 v[1:2], v[1:2], v[92:93]
	v_add_f64 v[3:4], v[3:4], v[94:95]
	s_andn2_b32 exec_lo, exec_lo, s8
	s_cbranch_execnz .LBB103_404
; %bb.405:
	s_or_b32 exec_lo, exec_lo, s8
.LBB103_406:
	s_or_b32 exec_lo, exec_lo, s6
	v_mov_b32_e32 v88, 0
	ds_read_b128 v[92:95], v88 offset:192
	s_waitcnt lgkmcnt(0)
	v_mul_f64 v[88:89], v[3:4], v[94:95]
	v_mul_f64 v[94:95], v[1:2], v[94:95]
	v_fma_f64 v[1:2], v[1:2], v[92:93], -v[88:89]
	v_fma_f64 v[3:4], v[3:4], v[92:93], v[94:95]
	buffer_store_dword v2, off, s[0:3], 0 offset:196
	buffer_store_dword v1, off, s[0:3], 0 offset:192
	;; [unrolled: 1-line block ×4, first 2 shown]
.LBB103_407:
	s_or_b32 exec_lo, exec_lo, s4
	v_mov_b32_e32 v4, s35
	s_mov_b32 s4, exec_lo
	s_clause 0x3
	buffer_load_dword v1, v4, s[0:3], 0 offen
	buffer_load_dword v2, v4, s[0:3], 0 offen offset:4
	buffer_load_dword v3, v4, s[0:3], 0 offen offset:8
	;; [unrolled: 1-line block ×3, first 2 shown]
	s_waitcnt vmcnt(0)
	ds_write_b128 v86, v[1:4]
	s_waitcnt lgkmcnt(0)
	s_waitcnt_vscnt null, 0x0
	s_barrier
	buffer_gl0_inv
	v_cmpx_gt_u32_e32 13, v0
	s_cbranch_execz .LBB103_415
; %bb.408:
	ds_read_b128 v[1:4], v86
	v_cmp_ne_u32_e32 vcc_lo, 1, v87
	s_cbranch_vccnz .LBB103_410
; %bb.409:
	s_clause 0x3
	buffer_load_dword v88, v85, s[0:3], 0 offen offset:8
	buffer_load_dword v89, v85, s[0:3], 0 offen offset:12
	buffer_load_dword v92, v85, s[0:3], 0 offen
	buffer_load_dword v93, v85, s[0:3], 0 offen offset:4
	s_waitcnt vmcnt(2) lgkmcnt(0)
	v_mul_f64 v[94:95], v[3:4], v[88:89]
	v_mul_f64 v[88:89], v[1:2], v[88:89]
	s_waitcnt vmcnt(0)
	v_fma_f64 v[1:2], v[1:2], v[92:93], -v[94:95]
	v_fma_f64 v[3:4], v[3:4], v[92:93], v[88:89]
.LBB103_410:
	s_mov_b32 s6, exec_lo
	v_cmpx_ne_u32_e32 12, v0
	s_cbranch_execz .LBB103_414
; %bb.411:
	v_add_nc_u32_e32 v88, 0x290, v91
	v_add3_u32 v89, 0, v91, 16
	v_mov_b32_e32 v90, v0
	s_mov_b32 s8, 0
	.p2align	6
.LBB103_412:                            ; =>This Inner Loop Header: Depth=1
	s_clause 0x3
	buffer_load_dword v96, v89, s[0:3], 0 offen offset:8
	buffer_load_dword v97, v89, s[0:3], 0 offen offset:12
	buffer_load_dword v98, v89, s[0:3], 0 offen
	buffer_load_dword v99, v89, s[0:3], 0 offen offset:4
	ds_read_b128 v[92:95], v88
	v_add_nc_u32_e32 v90, 1, v90
	v_add_nc_u32_e32 v88, 16, v88
	;; [unrolled: 1-line block ×3, first 2 shown]
	v_cmp_lt_u32_e32 vcc_lo, 11, v90
	s_or_b32 s8, vcc_lo, s8
	s_waitcnt vmcnt(2) lgkmcnt(0)
	v_mul_f64 v[100:101], v[94:95], v[96:97]
	v_mul_f64 v[96:97], v[92:93], v[96:97]
	s_waitcnt vmcnt(0)
	v_fma_f64 v[92:93], v[92:93], v[98:99], -v[100:101]
	v_fma_f64 v[94:95], v[94:95], v[98:99], v[96:97]
	v_add_f64 v[1:2], v[1:2], v[92:93]
	v_add_f64 v[3:4], v[3:4], v[94:95]
	s_andn2_b32 exec_lo, exec_lo, s8
	s_cbranch_execnz .LBB103_412
; %bb.413:
	s_or_b32 exec_lo, exec_lo, s8
.LBB103_414:
	s_or_b32 exec_lo, exec_lo, s6
	v_mov_b32_e32 v88, 0
	ds_read_b128 v[92:95], v88 offset:208
	s_waitcnt lgkmcnt(0)
	v_mul_f64 v[88:89], v[3:4], v[94:95]
	v_mul_f64 v[94:95], v[1:2], v[94:95]
	v_fma_f64 v[1:2], v[1:2], v[92:93], -v[88:89]
	v_fma_f64 v[3:4], v[3:4], v[92:93], v[94:95]
	buffer_store_dword v2, off, s[0:3], 0 offset:212
	buffer_store_dword v1, off, s[0:3], 0 offset:208
	;; [unrolled: 1-line block ×4, first 2 shown]
.LBB103_415:
	s_or_b32 exec_lo, exec_lo, s4
	v_mov_b32_e32 v4, s34
	s_mov_b32 s4, exec_lo
	s_clause 0x3
	buffer_load_dword v1, v4, s[0:3], 0 offen
	buffer_load_dword v2, v4, s[0:3], 0 offen offset:4
	buffer_load_dword v3, v4, s[0:3], 0 offen offset:8
	;; [unrolled: 1-line block ×3, first 2 shown]
	s_waitcnt vmcnt(0)
	ds_write_b128 v86, v[1:4]
	s_waitcnt lgkmcnt(0)
	s_waitcnt_vscnt null, 0x0
	s_barrier
	buffer_gl0_inv
	v_cmpx_gt_u32_e32 14, v0
	s_cbranch_execz .LBB103_423
; %bb.416:
	ds_read_b128 v[1:4], v86
	v_cmp_ne_u32_e32 vcc_lo, 1, v87
	s_cbranch_vccnz .LBB103_418
; %bb.417:
	s_clause 0x3
	buffer_load_dword v88, v85, s[0:3], 0 offen offset:8
	buffer_load_dword v89, v85, s[0:3], 0 offen offset:12
	buffer_load_dword v92, v85, s[0:3], 0 offen
	buffer_load_dword v93, v85, s[0:3], 0 offen offset:4
	s_waitcnt vmcnt(2) lgkmcnt(0)
	v_mul_f64 v[94:95], v[3:4], v[88:89]
	v_mul_f64 v[88:89], v[1:2], v[88:89]
	s_waitcnt vmcnt(0)
	v_fma_f64 v[1:2], v[1:2], v[92:93], -v[94:95]
	v_fma_f64 v[3:4], v[3:4], v[92:93], v[88:89]
.LBB103_418:
	s_mov_b32 s6, exec_lo
	v_cmpx_ne_u32_e32 13, v0
	s_cbranch_execz .LBB103_422
; %bb.419:
	v_add_nc_u32_e32 v88, 0x290, v91
	v_add3_u32 v89, 0, v91, 16
	v_mov_b32_e32 v90, v0
	s_mov_b32 s8, 0
	.p2align	6
.LBB103_420:                            ; =>This Inner Loop Header: Depth=1
	s_clause 0x3
	buffer_load_dword v96, v89, s[0:3], 0 offen offset:8
	buffer_load_dword v97, v89, s[0:3], 0 offen offset:12
	buffer_load_dword v98, v89, s[0:3], 0 offen
	buffer_load_dword v99, v89, s[0:3], 0 offen offset:4
	ds_read_b128 v[92:95], v88
	v_add_nc_u32_e32 v90, 1, v90
	v_add_nc_u32_e32 v88, 16, v88
	;; [unrolled: 1-line block ×3, first 2 shown]
	v_cmp_lt_u32_e32 vcc_lo, 12, v90
	s_or_b32 s8, vcc_lo, s8
	s_waitcnt vmcnt(2) lgkmcnt(0)
	v_mul_f64 v[100:101], v[94:95], v[96:97]
	v_mul_f64 v[96:97], v[92:93], v[96:97]
	s_waitcnt vmcnt(0)
	v_fma_f64 v[92:93], v[92:93], v[98:99], -v[100:101]
	v_fma_f64 v[94:95], v[94:95], v[98:99], v[96:97]
	v_add_f64 v[1:2], v[1:2], v[92:93]
	v_add_f64 v[3:4], v[3:4], v[94:95]
	s_andn2_b32 exec_lo, exec_lo, s8
	s_cbranch_execnz .LBB103_420
; %bb.421:
	s_or_b32 exec_lo, exec_lo, s8
.LBB103_422:
	s_or_b32 exec_lo, exec_lo, s6
	v_mov_b32_e32 v88, 0
	ds_read_b128 v[92:95], v88 offset:224
	s_waitcnt lgkmcnt(0)
	v_mul_f64 v[88:89], v[3:4], v[94:95]
	v_mul_f64 v[94:95], v[1:2], v[94:95]
	v_fma_f64 v[1:2], v[1:2], v[92:93], -v[88:89]
	v_fma_f64 v[3:4], v[3:4], v[92:93], v[94:95]
	buffer_store_dword v2, off, s[0:3], 0 offset:228
	buffer_store_dword v1, off, s[0:3], 0 offset:224
	;; [unrolled: 1-line block ×4, first 2 shown]
.LBB103_423:
	s_or_b32 exec_lo, exec_lo, s4
	v_mov_b32_e32 v4, s33
	s_mov_b32 s4, exec_lo
	s_clause 0x3
	buffer_load_dword v1, v4, s[0:3], 0 offen
	buffer_load_dword v2, v4, s[0:3], 0 offen offset:4
	buffer_load_dword v3, v4, s[0:3], 0 offen offset:8
	;; [unrolled: 1-line block ×3, first 2 shown]
	s_waitcnt vmcnt(0)
	ds_write_b128 v86, v[1:4]
	s_waitcnt lgkmcnt(0)
	s_waitcnt_vscnt null, 0x0
	s_barrier
	buffer_gl0_inv
	v_cmpx_gt_u32_e32 15, v0
	s_cbranch_execz .LBB103_431
; %bb.424:
	ds_read_b128 v[1:4], v86
	v_cmp_ne_u32_e32 vcc_lo, 1, v87
	s_cbranch_vccnz .LBB103_426
; %bb.425:
	s_clause 0x3
	buffer_load_dword v88, v85, s[0:3], 0 offen offset:8
	buffer_load_dword v89, v85, s[0:3], 0 offen offset:12
	buffer_load_dword v92, v85, s[0:3], 0 offen
	buffer_load_dword v93, v85, s[0:3], 0 offen offset:4
	s_waitcnt vmcnt(2) lgkmcnt(0)
	v_mul_f64 v[94:95], v[3:4], v[88:89]
	v_mul_f64 v[88:89], v[1:2], v[88:89]
	s_waitcnt vmcnt(0)
	v_fma_f64 v[1:2], v[1:2], v[92:93], -v[94:95]
	v_fma_f64 v[3:4], v[3:4], v[92:93], v[88:89]
.LBB103_426:
	s_mov_b32 s6, exec_lo
	v_cmpx_ne_u32_e32 14, v0
	s_cbranch_execz .LBB103_430
; %bb.427:
	v_add_nc_u32_e32 v88, 0x290, v91
	v_add3_u32 v89, 0, v91, 16
	v_mov_b32_e32 v90, v0
	s_mov_b32 s8, 0
	.p2align	6
.LBB103_428:                            ; =>This Inner Loop Header: Depth=1
	s_clause 0x3
	buffer_load_dword v96, v89, s[0:3], 0 offen offset:8
	buffer_load_dword v97, v89, s[0:3], 0 offen offset:12
	buffer_load_dword v98, v89, s[0:3], 0 offen
	buffer_load_dword v99, v89, s[0:3], 0 offen offset:4
	ds_read_b128 v[92:95], v88
	v_add_nc_u32_e32 v90, 1, v90
	v_add_nc_u32_e32 v88, 16, v88
	;; [unrolled: 1-line block ×3, first 2 shown]
	v_cmp_lt_u32_e32 vcc_lo, 13, v90
	s_or_b32 s8, vcc_lo, s8
	s_waitcnt vmcnt(2) lgkmcnt(0)
	v_mul_f64 v[100:101], v[94:95], v[96:97]
	v_mul_f64 v[96:97], v[92:93], v[96:97]
	s_waitcnt vmcnt(0)
	v_fma_f64 v[92:93], v[92:93], v[98:99], -v[100:101]
	v_fma_f64 v[94:95], v[94:95], v[98:99], v[96:97]
	v_add_f64 v[1:2], v[1:2], v[92:93]
	v_add_f64 v[3:4], v[3:4], v[94:95]
	s_andn2_b32 exec_lo, exec_lo, s8
	s_cbranch_execnz .LBB103_428
; %bb.429:
	s_or_b32 exec_lo, exec_lo, s8
.LBB103_430:
	s_or_b32 exec_lo, exec_lo, s6
	v_mov_b32_e32 v88, 0
	ds_read_b128 v[92:95], v88 offset:240
	s_waitcnt lgkmcnt(0)
	v_mul_f64 v[88:89], v[3:4], v[94:95]
	v_mul_f64 v[94:95], v[1:2], v[94:95]
	v_fma_f64 v[1:2], v[1:2], v[92:93], -v[88:89]
	v_fma_f64 v[3:4], v[3:4], v[92:93], v[94:95]
	buffer_store_dword v2, off, s[0:3], 0 offset:244
	buffer_store_dword v1, off, s[0:3], 0 offset:240
	;; [unrolled: 1-line block ×4, first 2 shown]
.LBB103_431:
	s_or_b32 exec_lo, exec_lo, s4
	v_mov_b32_e32 v4, s31
	s_mov_b32 s4, exec_lo
	s_clause 0x3
	buffer_load_dword v1, v4, s[0:3], 0 offen
	buffer_load_dword v2, v4, s[0:3], 0 offen offset:4
	buffer_load_dword v3, v4, s[0:3], 0 offen offset:8
	;; [unrolled: 1-line block ×3, first 2 shown]
	s_waitcnt vmcnt(0)
	ds_write_b128 v86, v[1:4]
	s_waitcnt lgkmcnt(0)
	s_waitcnt_vscnt null, 0x0
	s_barrier
	buffer_gl0_inv
	v_cmpx_gt_u32_e32 16, v0
	s_cbranch_execz .LBB103_439
; %bb.432:
	ds_read_b128 v[1:4], v86
	v_cmp_ne_u32_e32 vcc_lo, 1, v87
	s_cbranch_vccnz .LBB103_434
; %bb.433:
	s_clause 0x3
	buffer_load_dword v88, v85, s[0:3], 0 offen offset:8
	buffer_load_dword v89, v85, s[0:3], 0 offen offset:12
	buffer_load_dword v92, v85, s[0:3], 0 offen
	buffer_load_dword v93, v85, s[0:3], 0 offen offset:4
	s_waitcnt vmcnt(2) lgkmcnt(0)
	v_mul_f64 v[94:95], v[3:4], v[88:89]
	v_mul_f64 v[88:89], v[1:2], v[88:89]
	s_waitcnt vmcnt(0)
	v_fma_f64 v[1:2], v[1:2], v[92:93], -v[94:95]
	v_fma_f64 v[3:4], v[3:4], v[92:93], v[88:89]
.LBB103_434:
	s_mov_b32 s6, exec_lo
	v_cmpx_ne_u32_e32 15, v0
	s_cbranch_execz .LBB103_438
; %bb.435:
	v_add_nc_u32_e32 v88, 0x290, v91
	v_add3_u32 v89, 0, v91, 16
	v_mov_b32_e32 v90, v0
	s_mov_b32 s8, 0
	.p2align	6
.LBB103_436:                            ; =>This Inner Loop Header: Depth=1
	s_clause 0x3
	buffer_load_dword v96, v89, s[0:3], 0 offen offset:8
	buffer_load_dword v97, v89, s[0:3], 0 offen offset:12
	buffer_load_dword v98, v89, s[0:3], 0 offen
	buffer_load_dword v99, v89, s[0:3], 0 offen offset:4
	ds_read_b128 v[92:95], v88
	v_add_nc_u32_e32 v90, 1, v90
	v_add_nc_u32_e32 v88, 16, v88
	;; [unrolled: 1-line block ×3, first 2 shown]
	v_cmp_lt_u32_e32 vcc_lo, 14, v90
	s_or_b32 s8, vcc_lo, s8
	s_waitcnt vmcnt(2) lgkmcnt(0)
	v_mul_f64 v[100:101], v[94:95], v[96:97]
	v_mul_f64 v[96:97], v[92:93], v[96:97]
	s_waitcnt vmcnt(0)
	v_fma_f64 v[92:93], v[92:93], v[98:99], -v[100:101]
	v_fma_f64 v[94:95], v[94:95], v[98:99], v[96:97]
	v_add_f64 v[1:2], v[1:2], v[92:93]
	v_add_f64 v[3:4], v[3:4], v[94:95]
	s_andn2_b32 exec_lo, exec_lo, s8
	s_cbranch_execnz .LBB103_436
; %bb.437:
	s_or_b32 exec_lo, exec_lo, s8
.LBB103_438:
	s_or_b32 exec_lo, exec_lo, s6
	v_mov_b32_e32 v88, 0
	ds_read_b128 v[92:95], v88 offset:256
	s_waitcnt lgkmcnt(0)
	v_mul_f64 v[88:89], v[3:4], v[94:95]
	v_mul_f64 v[94:95], v[1:2], v[94:95]
	v_fma_f64 v[1:2], v[1:2], v[92:93], -v[88:89]
	v_fma_f64 v[3:4], v[3:4], v[92:93], v[94:95]
	buffer_store_dword v2, off, s[0:3], 0 offset:260
	buffer_store_dword v1, off, s[0:3], 0 offset:256
	;; [unrolled: 1-line block ×4, first 2 shown]
.LBB103_439:
	s_or_b32 exec_lo, exec_lo, s4
	v_mov_b32_e32 v4, s30
	s_mov_b32 s4, exec_lo
	s_clause 0x3
	buffer_load_dword v1, v4, s[0:3], 0 offen
	buffer_load_dword v2, v4, s[0:3], 0 offen offset:4
	buffer_load_dword v3, v4, s[0:3], 0 offen offset:8
	;; [unrolled: 1-line block ×3, first 2 shown]
	s_waitcnt vmcnt(0)
	ds_write_b128 v86, v[1:4]
	s_waitcnt lgkmcnt(0)
	s_waitcnt_vscnt null, 0x0
	s_barrier
	buffer_gl0_inv
	v_cmpx_gt_u32_e32 17, v0
	s_cbranch_execz .LBB103_447
; %bb.440:
	ds_read_b128 v[1:4], v86
	v_cmp_ne_u32_e32 vcc_lo, 1, v87
	s_cbranch_vccnz .LBB103_442
; %bb.441:
	s_clause 0x3
	buffer_load_dword v88, v85, s[0:3], 0 offen offset:8
	buffer_load_dword v89, v85, s[0:3], 0 offen offset:12
	buffer_load_dword v92, v85, s[0:3], 0 offen
	buffer_load_dword v93, v85, s[0:3], 0 offen offset:4
	s_waitcnt vmcnt(2) lgkmcnt(0)
	v_mul_f64 v[94:95], v[3:4], v[88:89]
	v_mul_f64 v[88:89], v[1:2], v[88:89]
	s_waitcnt vmcnt(0)
	v_fma_f64 v[1:2], v[1:2], v[92:93], -v[94:95]
	v_fma_f64 v[3:4], v[3:4], v[92:93], v[88:89]
.LBB103_442:
	s_mov_b32 s6, exec_lo
	v_cmpx_ne_u32_e32 16, v0
	s_cbranch_execz .LBB103_446
; %bb.443:
	v_add_nc_u32_e32 v88, 0x290, v91
	v_add3_u32 v89, 0, v91, 16
	v_mov_b32_e32 v90, v0
	s_mov_b32 s8, 0
	.p2align	6
.LBB103_444:                            ; =>This Inner Loop Header: Depth=1
	s_clause 0x3
	buffer_load_dword v96, v89, s[0:3], 0 offen offset:8
	buffer_load_dword v97, v89, s[0:3], 0 offen offset:12
	buffer_load_dword v98, v89, s[0:3], 0 offen
	buffer_load_dword v99, v89, s[0:3], 0 offen offset:4
	ds_read_b128 v[92:95], v88
	v_add_nc_u32_e32 v90, 1, v90
	v_add_nc_u32_e32 v88, 16, v88
	v_add_nc_u32_e32 v89, 16, v89
	v_cmp_lt_u32_e32 vcc_lo, 15, v90
	s_or_b32 s8, vcc_lo, s8
	s_waitcnt vmcnt(2) lgkmcnt(0)
	v_mul_f64 v[100:101], v[94:95], v[96:97]
	v_mul_f64 v[96:97], v[92:93], v[96:97]
	s_waitcnt vmcnt(0)
	v_fma_f64 v[92:93], v[92:93], v[98:99], -v[100:101]
	v_fma_f64 v[94:95], v[94:95], v[98:99], v[96:97]
	v_add_f64 v[1:2], v[1:2], v[92:93]
	v_add_f64 v[3:4], v[3:4], v[94:95]
	s_andn2_b32 exec_lo, exec_lo, s8
	s_cbranch_execnz .LBB103_444
; %bb.445:
	s_or_b32 exec_lo, exec_lo, s8
.LBB103_446:
	s_or_b32 exec_lo, exec_lo, s6
	v_mov_b32_e32 v88, 0
	ds_read_b128 v[92:95], v88 offset:272
	s_waitcnt lgkmcnt(0)
	v_mul_f64 v[88:89], v[3:4], v[94:95]
	v_mul_f64 v[94:95], v[1:2], v[94:95]
	v_fma_f64 v[1:2], v[1:2], v[92:93], -v[88:89]
	v_fma_f64 v[3:4], v[3:4], v[92:93], v[94:95]
	buffer_store_dword v2, off, s[0:3], 0 offset:276
	buffer_store_dword v1, off, s[0:3], 0 offset:272
	;; [unrolled: 1-line block ×4, first 2 shown]
.LBB103_447:
	s_or_b32 exec_lo, exec_lo, s4
	v_mov_b32_e32 v4, s29
	s_mov_b32 s4, exec_lo
	s_clause 0x3
	buffer_load_dword v1, v4, s[0:3], 0 offen
	buffer_load_dword v2, v4, s[0:3], 0 offen offset:4
	buffer_load_dword v3, v4, s[0:3], 0 offen offset:8
	;; [unrolled: 1-line block ×3, first 2 shown]
	s_waitcnt vmcnt(0)
	ds_write_b128 v86, v[1:4]
	s_waitcnt lgkmcnt(0)
	s_waitcnt_vscnt null, 0x0
	s_barrier
	buffer_gl0_inv
	v_cmpx_gt_u32_e32 18, v0
	s_cbranch_execz .LBB103_455
; %bb.448:
	ds_read_b128 v[1:4], v86
	v_cmp_ne_u32_e32 vcc_lo, 1, v87
	s_cbranch_vccnz .LBB103_450
; %bb.449:
	s_clause 0x3
	buffer_load_dword v88, v85, s[0:3], 0 offen offset:8
	buffer_load_dword v89, v85, s[0:3], 0 offen offset:12
	buffer_load_dword v92, v85, s[0:3], 0 offen
	buffer_load_dword v93, v85, s[0:3], 0 offen offset:4
	s_waitcnt vmcnt(2) lgkmcnt(0)
	v_mul_f64 v[94:95], v[3:4], v[88:89]
	v_mul_f64 v[88:89], v[1:2], v[88:89]
	s_waitcnt vmcnt(0)
	v_fma_f64 v[1:2], v[1:2], v[92:93], -v[94:95]
	v_fma_f64 v[3:4], v[3:4], v[92:93], v[88:89]
.LBB103_450:
	s_mov_b32 s6, exec_lo
	v_cmpx_ne_u32_e32 17, v0
	s_cbranch_execz .LBB103_454
; %bb.451:
	v_add_nc_u32_e32 v88, 0x290, v91
	v_add3_u32 v89, 0, v91, 16
	v_mov_b32_e32 v90, v0
	s_mov_b32 s8, 0
	.p2align	6
.LBB103_452:                            ; =>This Inner Loop Header: Depth=1
	s_clause 0x3
	buffer_load_dword v96, v89, s[0:3], 0 offen offset:8
	buffer_load_dword v97, v89, s[0:3], 0 offen offset:12
	buffer_load_dword v98, v89, s[0:3], 0 offen
	buffer_load_dword v99, v89, s[0:3], 0 offen offset:4
	ds_read_b128 v[92:95], v88
	v_add_nc_u32_e32 v90, 1, v90
	v_add_nc_u32_e32 v88, 16, v88
	;; [unrolled: 1-line block ×3, first 2 shown]
	v_cmp_lt_u32_e32 vcc_lo, 16, v90
	s_or_b32 s8, vcc_lo, s8
	s_waitcnt vmcnt(2) lgkmcnt(0)
	v_mul_f64 v[100:101], v[94:95], v[96:97]
	v_mul_f64 v[96:97], v[92:93], v[96:97]
	s_waitcnt vmcnt(0)
	v_fma_f64 v[92:93], v[92:93], v[98:99], -v[100:101]
	v_fma_f64 v[94:95], v[94:95], v[98:99], v[96:97]
	v_add_f64 v[1:2], v[1:2], v[92:93]
	v_add_f64 v[3:4], v[3:4], v[94:95]
	s_andn2_b32 exec_lo, exec_lo, s8
	s_cbranch_execnz .LBB103_452
; %bb.453:
	s_or_b32 exec_lo, exec_lo, s8
.LBB103_454:
	s_or_b32 exec_lo, exec_lo, s6
	v_mov_b32_e32 v88, 0
	ds_read_b128 v[92:95], v88 offset:288
	s_waitcnt lgkmcnt(0)
	v_mul_f64 v[88:89], v[3:4], v[94:95]
	v_mul_f64 v[94:95], v[1:2], v[94:95]
	v_fma_f64 v[1:2], v[1:2], v[92:93], -v[88:89]
	v_fma_f64 v[3:4], v[3:4], v[92:93], v[94:95]
	buffer_store_dword v2, off, s[0:3], 0 offset:292
	buffer_store_dword v1, off, s[0:3], 0 offset:288
	buffer_store_dword v4, off, s[0:3], 0 offset:300
	buffer_store_dword v3, off, s[0:3], 0 offset:296
.LBB103_455:
	s_or_b32 exec_lo, exec_lo, s4
	v_mov_b32_e32 v4, s28
	s_mov_b32 s4, exec_lo
	s_clause 0x3
	buffer_load_dword v1, v4, s[0:3], 0 offen
	buffer_load_dword v2, v4, s[0:3], 0 offen offset:4
	buffer_load_dword v3, v4, s[0:3], 0 offen offset:8
	buffer_load_dword v4, v4, s[0:3], 0 offen offset:12
	s_waitcnt vmcnt(0)
	ds_write_b128 v86, v[1:4]
	s_waitcnt lgkmcnt(0)
	s_waitcnt_vscnt null, 0x0
	s_barrier
	buffer_gl0_inv
	v_cmpx_gt_u32_e32 19, v0
	s_cbranch_execz .LBB103_463
; %bb.456:
	ds_read_b128 v[1:4], v86
	v_cmp_ne_u32_e32 vcc_lo, 1, v87
	s_cbranch_vccnz .LBB103_458
; %bb.457:
	s_clause 0x3
	buffer_load_dword v88, v85, s[0:3], 0 offen offset:8
	buffer_load_dword v89, v85, s[0:3], 0 offen offset:12
	buffer_load_dword v92, v85, s[0:3], 0 offen
	buffer_load_dword v93, v85, s[0:3], 0 offen offset:4
	s_waitcnt vmcnt(2) lgkmcnt(0)
	v_mul_f64 v[94:95], v[3:4], v[88:89]
	v_mul_f64 v[88:89], v[1:2], v[88:89]
	s_waitcnt vmcnt(0)
	v_fma_f64 v[1:2], v[1:2], v[92:93], -v[94:95]
	v_fma_f64 v[3:4], v[3:4], v[92:93], v[88:89]
.LBB103_458:
	s_mov_b32 s6, exec_lo
	v_cmpx_ne_u32_e32 18, v0
	s_cbranch_execz .LBB103_462
; %bb.459:
	v_add_nc_u32_e32 v88, 0x290, v91
	v_add3_u32 v89, 0, v91, 16
	v_mov_b32_e32 v90, v0
	s_mov_b32 s8, 0
	.p2align	6
.LBB103_460:                            ; =>This Inner Loop Header: Depth=1
	s_clause 0x3
	buffer_load_dword v96, v89, s[0:3], 0 offen offset:8
	buffer_load_dword v97, v89, s[0:3], 0 offen offset:12
	buffer_load_dword v98, v89, s[0:3], 0 offen
	buffer_load_dword v99, v89, s[0:3], 0 offen offset:4
	ds_read_b128 v[92:95], v88
	v_add_nc_u32_e32 v90, 1, v90
	v_add_nc_u32_e32 v88, 16, v88
	;; [unrolled: 1-line block ×3, first 2 shown]
	v_cmp_lt_u32_e32 vcc_lo, 17, v90
	s_or_b32 s8, vcc_lo, s8
	s_waitcnt vmcnt(2) lgkmcnt(0)
	v_mul_f64 v[100:101], v[94:95], v[96:97]
	v_mul_f64 v[96:97], v[92:93], v[96:97]
	s_waitcnt vmcnt(0)
	v_fma_f64 v[92:93], v[92:93], v[98:99], -v[100:101]
	v_fma_f64 v[94:95], v[94:95], v[98:99], v[96:97]
	v_add_f64 v[1:2], v[1:2], v[92:93]
	v_add_f64 v[3:4], v[3:4], v[94:95]
	s_andn2_b32 exec_lo, exec_lo, s8
	s_cbranch_execnz .LBB103_460
; %bb.461:
	s_or_b32 exec_lo, exec_lo, s8
.LBB103_462:
	s_or_b32 exec_lo, exec_lo, s6
	v_mov_b32_e32 v88, 0
	ds_read_b128 v[92:95], v88 offset:304
	s_waitcnt lgkmcnt(0)
	v_mul_f64 v[88:89], v[3:4], v[94:95]
	v_mul_f64 v[94:95], v[1:2], v[94:95]
	v_fma_f64 v[1:2], v[1:2], v[92:93], -v[88:89]
	v_fma_f64 v[3:4], v[3:4], v[92:93], v[94:95]
	buffer_store_dword v2, off, s[0:3], 0 offset:308
	buffer_store_dword v1, off, s[0:3], 0 offset:304
	;; [unrolled: 1-line block ×4, first 2 shown]
.LBB103_463:
	s_or_b32 exec_lo, exec_lo, s4
	v_mov_b32_e32 v4, s27
	s_mov_b32 s4, exec_lo
	s_clause 0x3
	buffer_load_dword v1, v4, s[0:3], 0 offen
	buffer_load_dword v2, v4, s[0:3], 0 offen offset:4
	buffer_load_dword v3, v4, s[0:3], 0 offen offset:8
	;; [unrolled: 1-line block ×3, first 2 shown]
	s_waitcnt vmcnt(0)
	ds_write_b128 v86, v[1:4]
	s_waitcnt lgkmcnt(0)
	s_waitcnt_vscnt null, 0x0
	s_barrier
	buffer_gl0_inv
	v_cmpx_gt_u32_e32 20, v0
	s_cbranch_execz .LBB103_471
; %bb.464:
	ds_read_b128 v[1:4], v86
	v_cmp_ne_u32_e32 vcc_lo, 1, v87
	s_cbranch_vccnz .LBB103_466
; %bb.465:
	s_clause 0x3
	buffer_load_dword v88, v85, s[0:3], 0 offen offset:8
	buffer_load_dword v89, v85, s[0:3], 0 offen offset:12
	buffer_load_dword v92, v85, s[0:3], 0 offen
	buffer_load_dword v93, v85, s[0:3], 0 offen offset:4
	s_waitcnt vmcnt(2) lgkmcnt(0)
	v_mul_f64 v[94:95], v[3:4], v[88:89]
	v_mul_f64 v[88:89], v[1:2], v[88:89]
	s_waitcnt vmcnt(0)
	v_fma_f64 v[1:2], v[1:2], v[92:93], -v[94:95]
	v_fma_f64 v[3:4], v[3:4], v[92:93], v[88:89]
.LBB103_466:
	s_mov_b32 s6, exec_lo
	v_cmpx_ne_u32_e32 19, v0
	s_cbranch_execz .LBB103_470
; %bb.467:
	v_add_nc_u32_e32 v88, 0x290, v91
	v_add3_u32 v89, 0, v91, 16
	v_mov_b32_e32 v90, v0
	s_mov_b32 s8, 0
	.p2align	6
.LBB103_468:                            ; =>This Inner Loop Header: Depth=1
	s_clause 0x3
	buffer_load_dword v96, v89, s[0:3], 0 offen offset:8
	buffer_load_dword v97, v89, s[0:3], 0 offen offset:12
	buffer_load_dword v98, v89, s[0:3], 0 offen
	buffer_load_dword v99, v89, s[0:3], 0 offen offset:4
	ds_read_b128 v[92:95], v88
	v_add_nc_u32_e32 v90, 1, v90
	v_add_nc_u32_e32 v88, 16, v88
	;; [unrolled: 1-line block ×3, first 2 shown]
	v_cmp_lt_u32_e32 vcc_lo, 18, v90
	s_or_b32 s8, vcc_lo, s8
	s_waitcnt vmcnt(2) lgkmcnt(0)
	v_mul_f64 v[100:101], v[94:95], v[96:97]
	v_mul_f64 v[96:97], v[92:93], v[96:97]
	s_waitcnt vmcnt(0)
	v_fma_f64 v[92:93], v[92:93], v[98:99], -v[100:101]
	v_fma_f64 v[94:95], v[94:95], v[98:99], v[96:97]
	v_add_f64 v[1:2], v[1:2], v[92:93]
	v_add_f64 v[3:4], v[3:4], v[94:95]
	s_andn2_b32 exec_lo, exec_lo, s8
	s_cbranch_execnz .LBB103_468
; %bb.469:
	s_or_b32 exec_lo, exec_lo, s8
.LBB103_470:
	s_or_b32 exec_lo, exec_lo, s6
	v_mov_b32_e32 v88, 0
	ds_read_b128 v[92:95], v88 offset:320
	s_waitcnt lgkmcnt(0)
	v_mul_f64 v[88:89], v[3:4], v[94:95]
	v_mul_f64 v[94:95], v[1:2], v[94:95]
	v_fma_f64 v[1:2], v[1:2], v[92:93], -v[88:89]
	v_fma_f64 v[3:4], v[3:4], v[92:93], v[94:95]
	buffer_store_dword v2, off, s[0:3], 0 offset:324
	buffer_store_dword v1, off, s[0:3], 0 offset:320
	;; [unrolled: 1-line block ×4, first 2 shown]
.LBB103_471:
	s_or_b32 exec_lo, exec_lo, s4
	v_mov_b32_e32 v4, s26
	s_mov_b32 s4, exec_lo
	s_clause 0x3
	buffer_load_dword v1, v4, s[0:3], 0 offen
	buffer_load_dword v2, v4, s[0:3], 0 offen offset:4
	buffer_load_dword v3, v4, s[0:3], 0 offen offset:8
	buffer_load_dword v4, v4, s[0:3], 0 offen offset:12
	s_waitcnt vmcnt(0)
	ds_write_b128 v86, v[1:4]
	s_waitcnt lgkmcnt(0)
	s_waitcnt_vscnt null, 0x0
	s_barrier
	buffer_gl0_inv
	v_cmpx_gt_u32_e32 21, v0
	s_cbranch_execz .LBB103_479
; %bb.472:
	ds_read_b128 v[1:4], v86
	v_cmp_ne_u32_e32 vcc_lo, 1, v87
	s_cbranch_vccnz .LBB103_474
; %bb.473:
	s_clause 0x3
	buffer_load_dword v88, v85, s[0:3], 0 offen offset:8
	buffer_load_dword v89, v85, s[0:3], 0 offen offset:12
	buffer_load_dword v92, v85, s[0:3], 0 offen
	buffer_load_dword v93, v85, s[0:3], 0 offen offset:4
	s_waitcnt vmcnt(2) lgkmcnt(0)
	v_mul_f64 v[94:95], v[3:4], v[88:89]
	v_mul_f64 v[88:89], v[1:2], v[88:89]
	s_waitcnt vmcnt(0)
	v_fma_f64 v[1:2], v[1:2], v[92:93], -v[94:95]
	v_fma_f64 v[3:4], v[3:4], v[92:93], v[88:89]
.LBB103_474:
	s_mov_b32 s6, exec_lo
	v_cmpx_ne_u32_e32 20, v0
	s_cbranch_execz .LBB103_478
; %bb.475:
	v_add_nc_u32_e32 v88, 0x290, v91
	v_add3_u32 v89, 0, v91, 16
	v_mov_b32_e32 v90, v0
	s_mov_b32 s8, 0
	.p2align	6
.LBB103_476:                            ; =>This Inner Loop Header: Depth=1
	s_clause 0x3
	buffer_load_dword v96, v89, s[0:3], 0 offen offset:8
	buffer_load_dword v97, v89, s[0:3], 0 offen offset:12
	buffer_load_dword v98, v89, s[0:3], 0 offen
	buffer_load_dword v99, v89, s[0:3], 0 offen offset:4
	ds_read_b128 v[92:95], v88
	v_add_nc_u32_e32 v90, 1, v90
	v_add_nc_u32_e32 v88, 16, v88
	;; [unrolled: 1-line block ×3, first 2 shown]
	v_cmp_lt_u32_e32 vcc_lo, 19, v90
	s_or_b32 s8, vcc_lo, s8
	s_waitcnt vmcnt(2) lgkmcnt(0)
	v_mul_f64 v[100:101], v[94:95], v[96:97]
	v_mul_f64 v[96:97], v[92:93], v[96:97]
	s_waitcnt vmcnt(0)
	v_fma_f64 v[92:93], v[92:93], v[98:99], -v[100:101]
	v_fma_f64 v[94:95], v[94:95], v[98:99], v[96:97]
	v_add_f64 v[1:2], v[1:2], v[92:93]
	v_add_f64 v[3:4], v[3:4], v[94:95]
	s_andn2_b32 exec_lo, exec_lo, s8
	s_cbranch_execnz .LBB103_476
; %bb.477:
	s_or_b32 exec_lo, exec_lo, s8
.LBB103_478:
	s_or_b32 exec_lo, exec_lo, s6
	v_mov_b32_e32 v88, 0
	ds_read_b128 v[92:95], v88 offset:336
	s_waitcnt lgkmcnt(0)
	v_mul_f64 v[88:89], v[3:4], v[94:95]
	v_mul_f64 v[94:95], v[1:2], v[94:95]
	v_fma_f64 v[1:2], v[1:2], v[92:93], -v[88:89]
	v_fma_f64 v[3:4], v[3:4], v[92:93], v[94:95]
	buffer_store_dword v2, off, s[0:3], 0 offset:340
	buffer_store_dword v1, off, s[0:3], 0 offset:336
	buffer_store_dword v4, off, s[0:3], 0 offset:348
	buffer_store_dword v3, off, s[0:3], 0 offset:344
.LBB103_479:
	s_or_b32 exec_lo, exec_lo, s4
	v_mov_b32_e32 v4, s25
	s_mov_b32 s4, exec_lo
	s_clause 0x3
	buffer_load_dword v1, v4, s[0:3], 0 offen
	buffer_load_dword v2, v4, s[0:3], 0 offen offset:4
	buffer_load_dword v3, v4, s[0:3], 0 offen offset:8
	;; [unrolled: 1-line block ×3, first 2 shown]
	s_waitcnt vmcnt(0)
	ds_write_b128 v86, v[1:4]
	s_waitcnt lgkmcnt(0)
	s_waitcnt_vscnt null, 0x0
	s_barrier
	buffer_gl0_inv
	v_cmpx_gt_u32_e32 22, v0
	s_cbranch_execz .LBB103_487
; %bb.480:
	ds_read_b128 v[1:4], v86
	v_cmp_ne_u32_e32 vcc_lo, 1, v87
	s_cbranch_vccnz .LBB103_482
; %bb.481:
	s_clause 0x3
	buffer_load_dword v88, v85, s[0:3], 0 offen offset:8
	buffer_load_dword v89, v85, s[0:3], 0 offen offset:12
	buffer_load_dword v92, v85, s[0:3], 0 offen
	buffer_load_dword v93, v85, s[0:3], 0 offen offset:4
	s_waitcnt vmcnt(2) lgkmcnt(0)
	v_mul_f64 v[94:95], v[3:4], v[88:89]
	v_mul_f64 v[88:89], v[1:2], v[88:89]
	s_waitcnt vmcnt(0)
	v_fma_f64 v[1:2], v[1:2], v[92:93], -v[94:95]
	v_fma_f64 v[3:4], v[3:4], v[92:93], v[88:89]
.LBB103_482:
	s_mov_b32 s6, exec_lo
	v_cmpx_ne_u32_e32 21, v0
	s_cbranch_execz .LBB103_486
; %bb.483:
	v_add_nc_u32_e32 v88, 0x290, v91
	v_add3_u32 v89, 0, v91, 16
	v_mov_b32_e32 v90, v0
	s_mov_b32 s8, 0
	.p2align	6
.LBB103_484:                            ; =>This Inner Loop Header: Depth=1
	s_clause 0x3
	buffer_load_dword v96, v89, s[0:3], 0 offen offset:8
	buffer_load_dword v97, v89, s[0:3], 0 offen offset:12
	buffer_load_dword v98, v89, s[0:3], 0 offen
	buffer_load_dword v99, v89, s[0:3], 0 offen offset:4
	ds_read_b128 v[92:95], v88
	v_add_nc_u32_e32 v90, 1, v90
	v_add_nc_u32_e32 v88, 16, v88
	;; [unrolled: 1-line block ×3, first 2 shown]
	v_cmp_lt_u32_e32 vcc_lo, 20, v90
	s_or_b32 s8, vcc_lo, s8
	s_waitcnt vmcnt(2) lgkmcnt(0)
	v_mul_f64 v[100:101], v[94:95], v[96:97]
	v_mul_f64 v[96:97], v[92:93], v[96:97]
	s_waitcnt vmcnt(0)
	v_fma_f64 v[92:93], v[92:93], v[98:99], -v[100:101]
	v_fma_f64 v[94:95], v[94:95], v[98:99], v[96:97]
	v_add_f64 v[1:2], v[1:2], v[92:93]
	v_add_f64 v[3:4], v[3:4], v[94:95]
	s_andn2_b32 exec_lo, exec_lo, s8
	s_cbranch_execnz .LBB103_484
; %bb.485:
	s_or_b32 exec_lo, exec_lo, s8
.LBB103_486:
	s_or_b32 exec_lo, exec_lo, s6
	v_mov_b32_e32 v88, 0
	ds_read_b128 v[92:95], v88 offset:352
	s_waitcnt lgkmcnt(0)
	v_mul_f64 v[88:89], v[3:4], v[94:95]
	v_mul_f64 v[94:95], v[1:2], v[94:95]
	v_fma_f64 v[1:2], v[1:2], v[92:93], -v[88:89]
	v_fma_f64 v[3:4], v[3:4], v[92:93], v[94:95]
	buffer_store_dword v2, off, s[0:3], 0 offset:356
	buffer_store_dword v1, off, s[0:3], 0 offset:352
	;; [unrolled: 1-line block ×4, first 2 shown]
.LBB103_487:
	s_or_b32 exec_lo, exec_lo, s4
	v_mov_b32_e32 v4, s24
	s_mov_b32 s4, exec_lo
	s_clause 0x3
	buffer_load_dword v1, v4, s[0:3], 0 offen
	buffer_load_dword v2, v4, s[0:3], 0 offen offset:4
	buffer_load_dword v3, v4, s[0:3], 0 offen offset:8
	buffer_load_dword v4, v4, s[0:3], 0 offen offset:12
	s_waitcnt vmcnt(0)
	ds_write_b128 v86, v[1:4]
	s_waitcnt lgkmcnt(0)
	s_waitcnt_vscnt null, 0x0
	s_barrier
	buffer_gl0_inv
	v_cmpx_gt_u32_e32 23, v0
	s_cbranch_execz .LBB103_495
; %bb.488:
	ds_read_b128 v[1:4], v86
	v_cmp_ne_u32_e32 vcc_lo, 1, v87
	s_cbranch_vccnz .LBB103_490
; %bb.489:
	s_clause 0x3
	buffer_load_dword v88, v85, s[0:3], 0 offen offset:8
	buffer_load_dword v89, v85, s[0:3], 0 offen offset:12
	buffer_load_dword v92, v85, s[0:3], 0 offen
	buffer_load_dword v93, v85, s[0:3], 0 offen offset:4
	s_waitcnt vmcnt(2) lgkmcnt(0)
	v_mul_f64 v[94:95], v[3:4], v[88:89]
	v_mul_f64 v[88:89], v[1:2], v[88:89]
	s_waitcnt vmcnt(0)
	v_fma_f64 v[1:2], v[1:2], v[92:93], -v[94:95]
	v_fma_f64 v[3:4], v[3:4], v[92:93], v[88:89]
.LBB103_490:
	s_mov_b32 s6, exec_lo
	v_cmpx_ne_u32_e32 22, v0
	s_cbranch_execz .LBB103_494
; %bb.491:
	v_add_nc_u32_e32 v88, 0x290, v91
	v_add3_u32 v89, 0, v91, 16
	v_mov_b32_e32 v90, v0
	s_mov_b32 s8, 0
	.p2align	6
.LBB103_492:                            ; =>This Inner Loop Header: Depth=1
	s_clause 0x3
	buffer_load_dword v96, v89, s[0:3], 0 offen offset:8
	buffer_load_dword v97, v89, s[0:3], 0 offen offset:12
	buffer_load_dword v98, v89, s[0:3], 0 offen
	buffer_load_dword v99, v89, s[0:3], 0 offen offset:4
	ds_read_b128 v[92:95], v88
	v_add_nc_u32_e32 v90, 1, v90
	v_add_nc_u32_e32 v88, 16, v88
	;; [unrolled: 1-line block ×3, first 2 shown]
	v_cmp_lt_u32_e32 vcc_lo, 21, v90
	s_or_b32 s8, vcc_lo, s8
	s_waitcnt vmcnt(2) lgkmcnt(0)
	v_mul_f64 v[100:101], v[94:95], v[96:97]
	v_mul_f64 v[96:97], v[92:93], v[96:97]
	s_waitcnt vmcnt(0)
	v_fma_f64 v[92:93], v[92:93], v[98:99], -v[100:101]
	v_fma_f64 v[94:95], v[94:95], v[98:99], v[96:97]
	v_add_f64 v[1:2], v[1:2], v[92:93]
	v_add_f64 v[3:4], v[3:4], v[94:95]
	s_andn2_b32 exec_lo, exec_lo, s8
	s_cbranch_execnz .LBB103_492
; %bb.493:
	s_or_b32 exec_lo, exec_lo, s8
.LBB103_494:
	s_or_b32 exec_lo, exec_lo, s6
	v_mov_b32_e32 v88, 0
	ds_read_b128 v[92:95], v88 offset:368
	s_waitcnt lgkmcnt(0)
	v_mul_f64 v[88:89], v[3:4], v[94:95]
	v_mul_f64 v[94:95], v[1:2], v[94:95]
	v_fma_f64 v[1:2], v[1:2], v[92:93], -v[88:89]
	v_fma_f64 v[3:4], v[3:4], v[92:93], v[94:95]
	buffer_store_dword v2, off, s[0:3], 0 offset:372
	buffer_store_dword v1, off, s[0:3], 0 offset:368
	;; [unrolled: 1-line block ×4, first 2 shown]
.LBB103_495:
	s_or_b32 exec_lo, exec_lo, s4
	v_mov_b32_e32 v4, s23
	s_mov_b32 s4, exec_lo
	s_clause 0x3
	buffer_load_dword v1, v4, s[0:3], 0 offen
	buffer_load_dword v2, v4, s[0:3], 0 offen offset:4
	buffer_load_dword v3, v4, s[0:3], 0 offen offset:8
	;; [unrolled: 1-line block ×3, first 2 shown]
	s_waitcnt vmcnt(0)
	ds_write_b128 v86, v[1:4]
	s_waitcnt lgkmcnt(0)
	s_waitcnt_vscnt null, 0x0
	s_barrier
	buffer_gl0_inv
	v_cmpx_gt_u32_e32 24, v0
	s_cbranch_execz .LBB103_503
; %bb.496:
	ds_read_b128 v[1:4], v86
	v_cmp_ne_u32_e32 vcc_lo, 1, v87
	s_cbranch_vccnz .LBB103_498
; %bb.497:
	s_clause 0x3
	buffer_load_dword v88, v85, s[0:3], 0 offen offset:8
	buffer_load_dword v89, v85, s[0:3], 0 offen offset:12
	buffer_load_dword v92, v85, s[0:3], 0 offen
	buffer_load_dword v93, v85, s[0:3], 0 offen offset:4
	s_waitcnt vmcnt(2) lgkmcnt(0)
	v_mul_f64 v[94:95], v[3:4], v[88:89]
	v_mul_f64 v[88:89], v[1:2], v[88:89]
	s_waitcnt vmcnt(0)
	v_fma_f64 v[1:2], v[1:2], v[92:93], -v[94:95]
	v_fma_f64 v[3:4], v[3:4], v[92:93], v[88:89]
.LBB103_498:
	s_mov_b32 s6, exec_lo
	v_cmpx_ne_u32_e32 23, v0
	s_cbranch_execz .LBB103_502
; %bb.499:
	v_add_nc_u32_e32 v88, 0x290, v91
	v_add3_u32 v89, 0, v91, 16
	v_mov_b32_e32 v90, v0
	s_mov_b32 s8, 0
	.p2align	6
.LBB103_500:                            ; =>This Inner Loop Header: Depth=1
	s_clause 0x3
	buffer_load_dword v96, v89, s[0:3], 0 offen offset:8
	buffer_load_dword v97, v89, s[0:3], 0 offen offset:12
	buffer_load_dword v98, v89, s[0:3], 0 offen
	buffer_load_dword v99, v89, s[0:3], 0 offen offset:4
	ds_read_b128 v[92:95], v88
	v_add_nc_u32_e32 v90, 1, v90
	v_add_nc_u32_e32 v88, 16, v88
	;; [unrolled: 1-line block ×3, first 2 shown]
	v_cmp_lt_u32_e32 vcc_lo, 22, v90
	s_or_b32 s8, vcc_lo, s8
	s_waitcnt vmcnt(2) lgkmcnt(0)
	v_mul_f64 v[100:101], v[94:95], v[96:97]
	v_mul_f64 v[96:97], v[92:93], v[96:97]
	s_waitcnt vmcnt(0)
	v_fma_f64 v[92:93], v[92:93], v[98:99], -v[100:101]
	v_fma_f64 v[94:95], v[94:95], v[98:99], v[96:97]
	v_add_f64 v[1:2], v[1:2], v[92:93]
	v_add_f64 v[3:4], v[3:4], v[94:95]
	s_andn2_b32 exec_lo, exec_lo, s8
	s_cbranch_execnz .LBB103_500
; %bb.501:
	s_or_b32 exec_lo, exec_lo, s8
.LBB103_502:
	s_or_b32 exec_lo, exec_lo, s6
	v_mov_b32_e32 v88, 0
	ds_read_b128 v[92:95], v88 offset:384
	s_waitcnt lgkmcnt(0)
	v_mul_f64 v[88:89], v[3:4], v[94:95]
	v_mul_f64 v[94:95], v[1:2], v[94:95]
	v_fma_f64 v[1:2], v[1:2], v[92:93], -v[88:89]
	v_fma_f64 v[3:4], v[3:4], v[92:93], v[94:95]
	buffer_store_dword v2, off, s[0:3], 0 offset:388
	buffer_store_dword v1, off, s[0:3], 0 offset:384
	;; [unrolled: 1-line block ×4, first 2 shown]
.LBB103_503:
	s_or_b32 exec_lo, exec_lo, s4
	v_mov_b32_e32 v4, s22
	s_mov_b32 s4, exec_lo
	s_clause 0x3
	buffer_load_dword v1, v4, s[0:3], 0 offen
	buffer_load_dword v2, v4, s[0:3], 0 offen offset:4
	buffer_load_dword v3, v4, s[0:3], 0 offen offset:8
	;; [unrolled: 1-line block ×3, first 2 shown]
	s_waitcnt vmcnt(0)
	ds_write_b128 v86, v[1:4]
	s_waitcnt lgkmcnt(0)
	s_waitcnt_vscnt null, 0x0
	s_barrier
	buffer_gl0_inv
	v_cmpx_gt_u32_e32 25, v0
	s_cbranch_execz .LBB103_511
; %bb.504:
	ds_read_b128 v[1:4], v86
	v_cmp_ne_u32_e32 vcc_lo, 1, v87
	s_cbranch_vccnz .LBB103_506
; %bb.505:
	s_clause 0x3
	buffer_load_dword v88, v85, s[0:3], 0 offen offset:8
	buffer_load_dword v89, v85, s[0:3], 0 offen offset:12
	buffer_load_dword v92, v85, s[0:3], 0 offen
	buffer_load_dword v93, v85, s[0:3], 0 offen offset:4
	s_waitcnt vmcnt(2) lgkmcnt(0)
	v_mul_f64 v[94:95], v[3:4], v[88:89]
	v_mul_f64 v[88:89], v[1:2], v[88:89]
	s_waitcnt vmcnt(0)
	v_fma_f64 v[1:2], v[1:2], v[92:93], -v[94:95]
	v_fma_f64 v[3:4], v[3:4], v[92:93], v[88:89]
.LBB103_506:
	s_mov_b32 s6, exec_lo
	v_cmpx_ne_u32_e32 24, v0
	s_cbranch_execz .LBB103_510
; %bb.507:
	v_add_nc_u32_e32 v88, 0x290, v91
	v_add3_u32 v89, 0, v91, 16
	v_mov_b32_e32 v90, v0
	s_mov_b32 s8, 0
	.p2align	6
.LBB103_508:                            ; =>This Inner Loop Header: Depth=1
	s_clause 0x3
	buffer_load_dword v96, v89, s[0:3], 0 offen offset:8
	buffer_load_dword v97, v89, s[0:3], 0 offen offset:12
	buffer_load_dword v98, v89, s[0:3], 0 offen
	buffer_load_dword v99, v89, s[0:3], 0 offen offset:4
	ds_read_b128 v[92:95], v88
	v_add_nc_u32_e32 v90, 1, v90
	v_add_nc_u32_e32 v88, 16, v88
	;; [unrolled: 1-line block ×3, first 2 shown]
	v_cmp_lt_u32_e32 vcc_lo, 23, v90
	s_or_b32 s8, vcc_lo, s8
	s_waitcnt vmcnt(2) lgkmcnt(0)
	v_mul_f64 v[100:101], v[94:95], v[96:97]
	v_mul_f64 v[96:97], v[92:93], v[96:97]
	s_waitcnt vmcnt(0)
	v_fma_f64 v[92:93], v[92:93], v[98:99], -v[100:101]
	v_fma_f64 v[94:95], v[94:95], v[98:99], v[96:97]
	v_add_f64 v[1:2], v[1:2], v[92:93]
	v_add_f64 v[3:4], v[3:4], v[94:95]
	s_andn2_b32 exec_lo, exec_lo, s8
	s_cbranch_execnz .LBB103_508
; %bb.509:
	s_or_b32 exec_lo, exec_lo, s8
.LBB103_510:
	s_or_b32 exec_lo, exec_lo, s6
	v_mov_b32_e32 v88, 0
	ds_read_b128 v[92:95], v88 offset:400
	s_waitcnt lgkmcnt(0)
	v_mul_f64 v[88:89], v[3:4], v[94:95]
	v_mul_f64 v[94:95], v[1:2], v[94:95]
	v_fma_f64 v[1:2], v[1:2], v[92:93], -v[88:89]
	v_fma_f64 v[3:4], v[3:4], v[92:93], v[94:95]
	buffer_store_dword v2, off, s[0:3], 0 offset:404
	buffer_store_dword v1, off, s[0:3], 0 offset:400
	;; [unrolled: 1-line block ×4, first 2 shown]
.LBB103_511:
	s_or_b32 exec_lo, exec_lo, s4
	v_mov_b32_e32 v4, s21
	s_mov_b32 s4, exec_lo
	s_clause 0x3
	buffer_load_dword v1, v4, s[0:3], 0 offen
	buffer_load_dword v2, v4, s[0:3], 0 offen offset:4
	buffer_load_dword v3, v4, s[0:3], 0 offen offset:8
	buffer_load_dword v4, v4, s[0:3], 0 offen offset:12
	s_waitcnt vmcnt(0)
	ds_write_b128 v86, v[1:4]
	s_waitcnt lgkmcnt(0)
	s_waitcnt_vscnt null, 0x0
	s_barrier
	buffer_gl0_inv
	v_cmpx_gt_u32_e32 26, v0
	s_cbranch_execz .LBB103_519
; %bb.512:
	ds_read_b128 v[1:4], v86
	v_cmp_ne_u32_e32 vcc_lo, 1, v87
	s_cbranch_vccnz .LBB103_514
; %bb.513:
	s_clause 0x3
	buffer_load_dword v88, v85, s[0:3], 0 offen offset:8
	buffer_load_dword v89, v85, s[0:3], 0 offen offset:12
	buffer_load_dword v92, v85, s[0:3], 0 offen
	buffer_load_dword v93, v85, s[0:3], 0 offen offset:4
	s_waitcnt vmcnt(2) lgkmcnt(0)
	v_mul_f64 v[94:95], v[3:4], v[88:89]
	v_mul_f64 v[88:89], v[1:2], v[88:89]
	s_waitcnt vmcnt(0)
	v_fma_f64 v[1:2], v[1:2], v[92:93], -v[94:95]
	v_fma_f64 v[3:4], v[3:4], v[92:93], v[88:89]
.LBB103_514:
	s_mov_b32 s6, exec_lo
	v_cmpx_ne_u32_e32 25, v0
	s_cbranch_execz .LBB103_518
; %bb.515:
	v_add_nc_u32_e32 v88, 0x290, v91
	v_add3_u32 v89, 0, v91, 16
	v_mov_b32_e32 v90, v0
	s_mov_b32 s8, 0
	.p2align	6
.LBB103_516:                            ; =>This Inner Loop Header: Depth=1
	s_clause 0x3
	buffer_load_dword v96, v89, s[0:3], 0 offen offset:8
	buffer_load_dword v97, v89, s[0:3], 0 offen offset:12
	buffer_load_dword v98, v89, s[0:3], 0 offen
	buffer_load_dword v99, v89, s[0:3], 0 offen offset:4
	ds_read_b128 v[92:95], v88
	v_add_nc_u32_e32 v90, 1, v90
	v_add_nc_u32_e32 v88, 16, v88
	;; [unrolled: 1-line block ×3, first 2 shown]
	v_cmp_lt_u32_e32 vcc_lo, 24, v90
	s_or_b32 s8, vcc_lo, s8
	s_waitcnt vmcnt(2) lgkmcnt(0)
	v_mul_f64 v[100:101], v[94:95], v[96:97]
	v_mul_f64 v[96:97], v[92:93], v[96:97]
	s_waitcnt vmcnt(0)
	v_fma_f64 v[92:93], v[92:93], v[98:99], -v[100:101]
	v_fma_f64 v[94:95], v[94:95], v[98:99], v[96:97]
	v_add_f64 v[1:2], v[1:2], v[92:93]
	v_add_f64 v[3:4], v[3:4], v[94:95]
	s_andn2_b32 exec_lo, exec_lo, s8
	s_cbranch_execnz .LBB103_516
; %bb.517:
	s_or_b32 exec_lo, exec_lo, s8
.LBB103_518:
	s_or_b32 exec_lo, exec_lo, s6
	v_mov_b32_e32 v88, 0
	ds_read_b128 v[92:95], v88 offset:416
	s_waitcnt lgkmcnt(0)
	v_mul_f64 v[88:89], v[3:4], v[94:95]
	v_mul_f64 v[94:95], v[1:2], v[94:95]
	v_fma_f64 v[1:2], v[1:2], v[92:93], -v[88:89]
	v_fma_f64 v[3:4], v[3:4], v[92:93], v[94:95]
	buffer_store_dword v2, off, s[0:3], 0 offset:420
	buffer_store_dword v1, off, s[0:3], 0 offset:416
	;; [unrolled: 1-line block ×4, first 2 shown]
.LBB103_519:
	s_or_b32 exec_lo, exec_lo, s4
	v_mov_b32_e32 v4, s20
	s_mov_b32 s4, exec_lo
	s_clause 0x3
	buffer_load_dword v1, v4, s[0:3], 0 offen
	buffer_load_dword v2, v4, s[0:3], 0 offen offset:4
	buffer_load_dword v3, v4, s[0:3], 0 offen offset:8
	;; [unrolled: 1-line block ×3, first 2 shown]
	s_waitcnt vmcnt(0)
	ds_write_b128 v86, v[1:4]
	s_waitcnt lgkmcnt(0)
	s_waitcnt_vscnt null, 0x0
	s_barrier
	buffer_gl0_inv
	v_cmpx_gt_u32_e32 27, v0
	s_cbranch_execz .LBB103_527
; %bb.520:
	ds_read_b128 v[1:4], v86
	v_cmp_ne_u32_e32 vcc_lo, 1, v87
	s_cbranch_vccnz .LBB103_522
; %bb.521:
	s_clause 0x3
	buffer_load_dword v88, v85, s[0:3], 0 offen offset:8
	buffer_load_dword v89, v85, s[0:3], 0 offen offset:12
	buffer_load_dword v92, v85, s[0:3], 0 offen
	buffer_load_dword v93, v85, s[0:3], 0 offen offset:4
	s_waitcnt vmcnt(2) lgkmcnt(0)
	v_mul_f64 v[94:95], v[3:4], v[88:89]
	v_mul_f64 v[88:89], v[1:2], v[88:89]
	s_waitcnt vmcnt(0)
	v_fma_f64 v[1:2], v[1:2], v[92:93], -v[94:95]
	v_fma_f64 v[3:4], v[3:4], v[92:93], v[88:89]
.LBB103_522:
	s_mov_b32 s6, exec_lo
	v_cmpx_ne_u32_e32 26, v0
	s_cbranch_execz .LBB103_526
; %bb.523:
	v_add_nc_u32_e32 v88, 0x290, v91
	v_add3_u32 v89, 0, v91, 16
	v_mov_b32_e32 v90, v0
	s_mov_b32 s8, 0
	.p2align	6
.LBB103_524:                            ; =>This Inner Loop Header: Depth=1
	s_clause 0x3
	buffer_load_dword v96, v89, s[0:3], 0 offen offset:8
	buffer_load_dword v97, v89, s[0:3], 0 offen offset:12
	buffer_load_dword v98, v89, s[0:3], 0 offen
	buffer_load_dword v99, v89, s[0:3], 0 offen offset:4
	ds_read_b128 v[92:95], v88
	v_add_nc_u32_e32 v90, 1, v90
	v_add_nc_u32_e32 v88, 16, v88
	;; [unrolled: 1-line block ×3, first 2 shown]
	v_cmp_lt_u32_e32 vcc_lo, 25, v90
	s_or_b32 s8, vcc_lo, s8
	s_waitcnt vmcnt(2) lgkmcnt(0)
	v_mul_f64 v[100:101], v[94:95], v[96:97]
	v_mul_f64 v[96:97], v[92:93], v[96:97]
	s_waitcnt vmcnt(0)
	v_fma_f64 v[92:93], v[92:93], v[98:99], -v[100:101]
	v_fma_f64 v[94:95], v[94:95], v[98:99], v[96:97]
	v_add_f64 v[1:2], v[1:2], v[92:93]
	v_add_f64 v[3:4], v[3:4], v[94:95]
	s_andn2_b32 exec_lo, exec_lo, s8
	s_cbranch_execnz .LBB103_524
; %bb.525:
	s_or_b32 exec_lo, exec_lo, s8
.LBB103_526:
	s_or_b32 exec_lo, exec_lo, s6
	v_mov_b32_e32 v88, 0
	ds_read_b128 v[92:95], v88 offset:432
	s_waitcnt lgkmcnt(0)
	v_mul_f64 v[88:89], v[3:4], v[94:95]
	v_mul_f64 v[94:95], v[1:2], v[94:95]
	v_fma_f64 v[1:2], v[1:2], v[92:93], -v[88:89]
	v_fma_f64 v[3:4], v[3:4], v[92:93], v[94:95]
	buffer_store_dword v2, off, s[0:3], 0 offset:436
	buffer_store_dword v1, off, s[0:3], 0 offset:432
	;; [unrolled: 1-line block ×4, first 2 shown]
.LBB103_527:
	s_or_b32 exec_lo, exec_lo, s4
	v_mov_b32_e32 v4, s19
	s_mov_b32 s4, exec_lo
	s_clause 0x3
	buffer_load_dword v1, v4, s[0:3], 0 offen
	buffer_load_dword v2, v4, s[0:3], 0 offen offset:4
	buffer_load_dword v3, v4, s[0:3], 0 offen offset:8
	;; [unrolled: 1-line block ×3, first 2 shown]
	s_waitcnt vmcnt(0)
	ds_write_b128 v86, v[1:4]
	s_waitcnt lgkmcnt(0)
	s_waitcnt_vscnt null, 0x0
	s_barrier
	buffer_gl0_inv
	v_cmpx_gt_u32_e32 28, v0
	s_cbranch_execz .LBB103_535
; %bb.528:
	ds_read_b128 v[1:4], v86
	v_cmp_ne_u32_e32 vcc_lo, 1, v87
	s_cbranch_vccnz .LBB103_530
; %bb.529:
	s_clause 0x3
	buffer_load_dword v88, v85, s[0:3], 0 offen offset:8
	buffer_load_dword v89, v85, s[0:3], 0 offen offset:12
	buffer_load_dword v92, v85, s[0:3], 0 offen
	buffer_load_dword v93, v85, s[0:3], 0 offen offset:4
	s_waitcnt vmcnt(2) lgkmcnt(0)
	v_mul_f64 v[94:95], v[3:4], v[88:89]
	v_mul_f64 v[88:89], v[1:2], v[88:89]
	s_waitcnt vmcnt(0)
	v_fma_f64 v[1:2], v[1:2], v[92:93], -v[94:95]
	v_fma_f64 v[3:4], v[3:4], v[92:93], v[88:89]
.LBB103_530:
	s_mov_b32 s6, exec_lo
	v_cmpx_ne_u32_e32 27, v0
	s_cbranch_execz .LBB103_534
; %bb.531:
	v_add_nc_u32_e32 v88, 0x290, v91
	v_add3_u32 v89, 0, v91, 16
	v_mov_b32_e32 v90, v0
	s_mov_b32 s8, 0
	.p2align	6
.LBB103_532:                            ; =>This Inner Loop Header: Depth=1
	s_clause 0x3
	buffer_load_dword v96, v89, s[0:3], 0 offen offset:8
	buffer_load_dword v97, v89, s[0:3], 0 offen offset:12
	buffer_load_dword v98, v89, s[0:3], 0 offen
	buffer_load_dword v99, v89, s[0:3], 0 offen offset:4
	ds_read_b128 v[92:95], v88
	v_add_nc_u32_e32 v90, 1, v90
	v_add_nc_u32_e32 v88, 16, v88
	;; [unrolled: 1-line block ×3, first 2 shown]
	v_cmp_lt_u32_e32 vcc_lo, 26, v90
	s_or_b32 s8, vcc_lo, s8
	s_waitcnt vmcnt(2) lgkmcnt(0)
	v_mul_f64 v[100:101], v[94:95], v[96:97]
	v_mul_f64 v[96:97], v[92:93], v[96:97]
	s_waitcnt vmcnt(0)
	v_fma_f64 v[92:93], v[92:93], v[98:99], -v[100:101]
	v_fma_f64 v[94:95], v[94:95], v[98:99], v[96:97]
	v_add_f64 v[1:2], v[1:2], v[92:93]
	v_add_f64 v[3:4], v[3:4], v[94:95]
	s_andn2_b32 exec_lo, exec_lo, s8
	s_cbranch_execnz .LBB103_532
; %bb.533:
	s_or_b32 exec_lo, exec_lo, s8
.LBB103_534:
	s_or_b32 exec_lo, exec_lo, s6
	v_mov_b32_e32 v88, 0
	ds_read_b128 v[92:95], v88 offset:448
	s_waitcnt lgkmcnt(0)
	v_mul_f64 v[88:89], v[3:4], v[94:95]
	v_mul_f64 v[94:95], v[1:2], v[94:95]
	v_fma_f64 v[1:2], v[1:2], v[92:93], -v[88:89]
	v_fma_f64 v[3:4], v[3:4], v[92:93], v[94:95]
	buffer_store_dword v2, off, s[0:3], 0 offset:452
	buffer_store_dword v1, off, s[0:3], 0 offset:448
	;; [unrolled: 1-line block ×4, first 2 shown]
.LBB103_535:
	s_or_b32 exec_lo, exec_lo, s4
	v_mov_b32_e32 v4, s18
	s_mov_b32 s4, exec_lo
	s_clause 0x3
	buffer_load_dword v1, v4, s[0:3], 0 offen
	buffer_load_dword v2, v4, s[0:3], 0 offen offset:4
	buffer_load_dword v3, v4, s[0:3], 0 offen offset:8
	;; [unrolled: 1-line block ×3, first 2 shown]
	s_waitcnt vmcnt(0)
	ds_write_b128 v86, v[1:4]
	s_waitcnt lgkmcnt(0)
	s_waitcnt_vscnt null, 0x0
	s_barrier
	buffer_gl0_inv
	v_cmpx_gt_u32_e32 29, v0
	s_cbranch_execz .LBB103_543
; %bb.536:
	ds_read_b128 v[1:4], v86
	v_cmp_ne_u32_e32 vcc_lo, 1, v87
	s_cbranch_vccnz .LBB103_538
; %bb.537:
	s_clause 0x3
	buffer_load_dword v88, v85, s[0:3], 0 offen offset:8
	buffer_load_dword v89, v85, s[0:3], 0 offen offset:12
	buffer_load_dword v92, v85, s[0:3], 0 offen
	buffer_load_dword v93, v85, s[0:3], 0 offen offset:4
	s_waitcnt vmcnt(2) lgkmcnt(0)
	v_mul_f64 v[94:95], v[3:4], v[88:89]
	v_mul_f64 v[88:89], v[1:2], v[88:89]
	s_waitcnt vmcnt(0)
	v_fma_f64 v[1:2], v[1:2], v[92:93], -v[94:95]
	v_fma_f64 v[3:4], v[3:4], v[92:93], v[88:89]
.LBB103_538:
	s_mov_b32 s6, exec_lo
	v_cmpx_ne_u32_e32 28, v0
	s_cbranch_execz .LBB103_542
; %bb.539:
	v_add_nc_u32_e32 v88, 0x290, v91
	v_add3_u32 v89, 0, v91, 16
	v_mov_b32_e32 v90, v0
	s_mov_b32 s8, 0
	.p2align	6
.LBB103_540:                            ; =>This Inner Loop Header: Depth=1
	s_clause 0x3
	buffer_load_dword v96, v89, s[0:3], 0 offen offset:8
	buffer_load_dword v97, v89, s[0:3], 0 offen offset:12
	buffer_load_dword v98, v89, s[0:3], 0 offen
	buffer_load_dword v99, v89, s[0:3], 0 offen offset:4
	ds_read_b128 v[92:95], v88
	v_add_nc_u32_e32 v90, 1, v90
	v_add_nc_u32_e32 v88, 16, v88
	;; [unrolled: 1-line block ×3, first 2 shown]
	v_cmp_lt_u32_e32 vcc_lo, 27, v90
	s_or_b32 s8, vcc_lo, s8
	s_waitcnt vmcnt(2) lgkmcnt(0)
	v_mul_f64 v[100:101], v[94:95], v[96:97]
	v_mul_f64 v[96:97], v[92:93], v[96:97]
	s_waitcnt vmcnt(0)
	v_fma_f64 v[92:93], v[92:93], v[98:99], -v[100:101]
	v_fma_f64 v[94:95], v[94:95], v[98:99], v[96:97]
	v_add_f64 v[1:2], v[1:2], v[92:93]
	v_add_f64 v[3:4], v[3:4], v[94:95]
	s_andn2_b32 exec_lo, exec_lo, s8
	s_cbranch_execnz .LBB103_540
; %bb.541:
	s_or_b32 exec_lo, exec_lo, s8
.LBB103_542:
	s_or_b32 exec_lo, exec_lo, s6
	v_mov_b32_e32 v88, 0
	ds_read_b128 v[92:95], v88 offset:464
	s_waitcnt lgkmcnt(0)
	v_mul_f64 v[88:89], v[3:4], v[94:95]
	v_mul_f64 v[94:95], v[1:2], v[94:95]
	v_fma_f64 v[1:2], v[1:2], v[92:93], -v[88:89]
	v_fma_f64 v[3:4], v[3:4], v[92:93], v[94:95]
	buffer_store_dword v2, off, s[0:3], 0 offset:468
	buffer_store_dword v1, off, s[0:3], 0 offset:464
	;; [unrolled: 1-line block ×4, first 2 shown]
.LBB103_543:
	s_or_b32 exec_lo, exec_lo, s4
	v_mov_b32_e32 v4, s17
	s_mov_b32 s4, exec_lo
	s_clause 0x3
	buffer_load_dword v1, v4, s[0:3], 0 offen
	buffer_load_dword v2, v4, s[0:3], 0 offen offset:4
	buffer_load_dword v3, v4, s[0:3], 0 offen offset:8
	;; [unrolled: 1-line block ×3, first 2 shown]
	s_waitcnt vmcnt(0)
	ds_write_b128 v86, v[1:4]
	s_waitcnt lgkmcnt(0)
	s_waitcnt_vscnt null, 0x0
	s_barrier
	buffer_gl0_inv
	v_cmpx_gt_u32_e32 30, v0
	s_cbranch_execz .LBB103_551
; %bb.544:
	ds_read_b128 v[1:4], v86
	v_cmp_ne_u32_e32 vcc_lo, 1, v87
	s_cbranch_vccnz .LBB103_546
; %bb.545:
	s_clause 0x3
	buffer_load_dword v88, v85, s[0:3], 0 offen offset:8
	buffer_load_dword v89, v85, s[0:3], 0 offen offset:12
	buffer_load_dword v92, v85, s[0:3], 0 offen
	buffer_load_dword v93, v85, s[0:3], 0 offen offset:4
	s_waitcnt vmcnt(2) lgkmcnt(0)
	v_mul_f64 v[94:95], v[3:4], v[88:89]
	v_mul_f64 v[88:89], v[1:2], v[88:89]
	s_waitcnt vmcnt(0)
	v_fma_f64 v[1:2], v[1:2], v[92:93], -v[94:95]
	v_fma_f64 v[3:4], v[3:4], v[92:93], v[88:89]
.LBB103_546:
	s_mov_b32 s6, exec_lo
	v_cmpx_ne_u32_e32 29, v0
	s_cbranch_execz .LBB103_550
; %bb.547:
	v_add_nc_u32_e32 v88, 0x290, v91
	v_add3_u32 v89, 0, v91, 16
	v_mov_b32_e32 v90, v0
	s_mov_b32 s8, 0
	.p2align	6
.LBB103_548:                            ; =>This Inner Loop Header: Depth=1
	s_clause 0x3
	buffer_load_dword v96, v89, s[0:3], 0 offen offset:8
	buffer_load_dword v97, v89, s[0:3], 0 offen offset:12
	buffer_load_dword v98, v89, s[0:3], 0 offen
	buffer_load_dword v99, v89, s[0:3], 0 offen offset:4
	ds_read_b128 v[92:95], v88
	v_add_nc_u32_e32 v90, 1, v90
	v_add_nc_u32_e32 v88, 16, v88
	;; [unrolled: 1-line block ×3, first 2 shown]
	v_cmp_lt_u32_e32 vcc_lo, 28, v90
	s_or_b32 s8, vcc_lo, s8
	s_waitcnt vmcnt(2) lgkmcnt(0)
	v_mul_f64 v[100:101], v[94:95], v[96:97]
	v_mul_f64 v[96:97], v[92:93], v[96:97]
	s_waitcnt vmcnt(0)
	v_fma_f64 v[92:93], v[92:93], v[98:99], -v[100:101]
	v_fma_f64 v[94:95], v[94:95], v[98:99], v[96:97]
	v_add_f64 v[1:2], v[1:2], v[92:93]
	v_add_f64 v[3:4], v[3:4], v[94:95]
	s_andn2_b32 exec_lo, exec_lo, s8
	s_cbranch_execnz .LBB103_548
; %bb.549:
	s_or_b32 exec_lo, exec_lo, s8
.LBB103_550:
	s_or_b32 exec_lo, exec_lo, s6
	v_mov_b32_e32 v88, 0
	ds_read_b128 v[92:95], v88 offset:480
	s_waitcnt lgkmcnt(0)
	v_mul_f64 v[88:89], v[3:4], v[94:95]
	v_mul_f64 v[94:95], v[1:2], v[94:95]
	v_fma_f64 v[1:2], v[1:2], v[92:93], -v[88:89]
	v_fma_f64 v[3:4], v[3:4], v[92:93], v[94:95]
	buffer_store_dword v2, off, s[0:3], 0 offset:484
	buffer_store_dword v1, off, s[0:3], 0 offset:480
	;; [unrolled: 1-line block ×4, first 2 shown]
.LBB103_551:
	s_or_b32 exec_lo, exec_lo, s4
	v_mov_b32_e32 v4, s16
	s_mov_b32 s4, exec_lo
	s_clause 0x3
	buffer_load_dword v1, v4, s[0:3], 0 offen
	buffer_load_dword v2, v4, s[0:3], 0 offen offset:4
	buffer_load_dword v3, v4, s[0:3], 0 offen offset:8
	buffer_load_dword v4, v4, s[0:3], 0 offen offset:12
	s_waitcnt vmcnt(0)
	ds_write_b128 v86, v[1:4]
	s_waitcnt lgkmcnt(0)
	s_waitcnt_vscnt null, 0x0
	s_barrier
	buffer_gl0_inv
	v_cmpx_gt_u32_e32 31, v0
	s_cbranch_execz .LBB103_559
; %bb.552:
	ds_read_b128 v[1:4], v86
	v_cmp_ne_u32_e32 vcc_lo, 1, v87
	s_cbranch_vccnz .LBB103_554
; %bb.553:
	s_clause 0x3
	buffer_load_dword v88, v85, s[0:3], 0 offen offset:8
	buffer_load_dword v89, v85, s[0:3], 0 offen offset:12
	buffer_load_dword v92, v85, s[0:3], 0 offen
	buffer_load_dword v93, v85, s[0:3], 0 offen offset:4
	s_waitcnt vmcnt(2) lgkmcnt(0)
	v_mul_f64 v[94:95], v[3:4], v[88:89]
	v_mul_f64 v[88:89], v[1:2], v[88:89]
	s_waitcnt vmcnt(0)
	v_fma_f64 v[1:2], v[1:2], v[92:93], -v[94:95]
	v_fma_f64 v[3:4], v[3:4], v[92:93], v[88:89]
.LBB103_554:
	s_mov_b32 s6, exec_lo
	v_cmpx_ne_u32_e32 30, v0
	s_cbranch_execz .LBB103_558
; %bb.555:
	v_add_nc_u32_e32 v88, 0x290, v91
	v_add3_u32 v89, 0, v91, 16
	v_mov_b32_e32 v90, v0
	s_mov_b32 s8, 0
	.p2align	6
.LBB103_556:                            ; =>This Inner Loop Header: Depth=1
	s_clause 0x3
	buffer_load_dword v96, v89, s[0:3], 0 offen offset:8
	buffer_load_dword v97, v89, s[0:3], 0 offen offset:12
	buffer_load_dword v98, v89, s[0:3], 0 offen
	buffer_load_dword v99, v89, s[0:3], 0 offen offset:4
	ds_read_b128 v[92:95], v88
	v_add_nc_u32_e32 v90, 1, v90
	v_add_nc_u32_e32 v88, 16, v88
	;; [unrolled: 1-line block ×3, first 2 shown]
	v_cmp_lt_u32_e32 vcc_lo, 29, v90
	s_or_b32 s8, vcc_lo, s8
	s_waitcnt vmcnt(2) lgkmcnt(0)
	v_mul_f64 v[100:101], v[94:95], v[96:97]
	v_mul_f64 v[96:97], v[92:93], v[96:97]
	s_waitcnt vmcnt(0)
	v_fma_f64 v[92:93], v[92:93], v[98:99], -v[100:101]
	v_fma_f64 v[94:95], v[94:95], v[98:99], v[96:97]
	v_add_f64 v[1:2], v[1:2], v[92:93]
	v_add_f64 v[3:4], v[3:4], v[94:95]
	s_andn2_b32 exec_lo, exec_lo, s8
	s_cbranch_execnz .LBB103_556
; %bb.557:
	s_or_b32 exec_lo, exec_lo, s8
.LBB103_558:
	s_or_b32 exec_lo, exec_lo, s6
	v_mov_b32_e32 v88, 0
	ds_read_b128 v[92:95], v88 offset:496
	s_waitcnt lgkmcnt(0)
	v_mul_f64 v[88:89], v[3:4], v[94:95]
	v_mul_f64 v[94:95], v[1:2], v[94:95]
	v_fma_f64 v[1:2], v[1:2], v[92:93], -v[88:89]
	v_fma_f64 v[3:4], v[3:4], v[92:93], v[94:95]
	buffer_store_dword v2, off, s[0:3], 0 offset:500
	buffer_store_dword v1, off, s[0:3], 0 offset:496
	;; [unrolled: 1-line block ×4, first 2 shown]
.LBB103_559:
	s_or_b32 exec_lo, exec_lo, s4
	v_mov_b32_e32 v4, s15
	s_mov_b32 s4, exec_lo
	s_clause 0x3
	buffer_load_dword v1, v4, s[0:3], 0 offen
	buffer_load_dword v2, v4, s[0:3], 0 offen offset:4
	buffer_load_dword v3, v4, s[0:3], 0 offen offset:8
	;; [unrolled: 1-line block ×3, first 2 shown]
	s_waitcnt vmcnt(0)
	ds_write_b128 v86, v[1:4]
	s_waitcnt lgkmcnt(0)
	s_waitcnt_vscnt null, 0x0
	s_barrier
	buffer_gl0_inv
	v_cmpx_gt_u32_e32 32, v0
	s_cbranch_execz .LBB103_567
; %bb.560:
	ds_read_b128 v[1:4], v86
	v_cmp_ne_u32_e32 vcc_lo, 1, v87
	s_cbranch_vccnz .LBB103_562
; %bb.561:
	s_clause 0x3
	buffer_load_dword v88, v85, s[0:3], 0 offen offset:8
	buffer_load_dword v89, v85, s[0:3], 0 offen offset:12
	buffer_load_dword v92, v85, s[0:3], 0 offen
	buffer_load_dword v93, v85, s[0:3], 0 offen offset:4
	s_waitcnt vmcnt(2) lgkmcnt(0)
	v_mul_f64 v[94:95], v[3:4], v[88:89]
	v_mul_f64 v[88:89], v[1:2], v[88:89]
	s_waitcnt vmcnt(0)
	v_fma_f64 v[1:2], v[1:2], v[92:93], -v[94:95]
	v_fma_f64 v[3:4], v[3:4], v[92:93], v[88:89]
.LBB103_562:
	s_mov_b32 s6, exec_lo
	v_cmpx_ne_u32_e32 31, v0
	s_cbranch_execz .LBB103_566
; %bb.563:
	v_add_nc_u32_e32 v88, 0x290, v91
	v_add3_u32 v89, 0, v91, 16
	v_mov_b32_e32 v90, v0
	s_mov_b32 s8, 0
	.p2align	6
.LBB103_564:                            ; =>This Inner Loop Header: Depth=1
	s_clause 0x3
	buffer_load_dword v96, v89, s[0:3], 0 offen offset:8
	buffer_load_dword v97, v89, s[0:3], 0 offen offset:12
	buffer_load_dword v98, v89, s[0:3], 0 offen
	buffer_load_dword v99, v89, s[0:3], 0 offen offset:4
	ds_read_b128 v[92:95], v88
	v_add_nc_u32_e32 v90, 1, v90
	v_add_nc_u32_e32 v88, 16, v88
	;; [unrolled: 1-line block ×3, first 2 shown]
	v_cmp_lt_u32_e32 vcc_lo, 30, v90
	s_or_b32 s8, vcc_lo, s8
	s_waitcnt vmcnt(2) lgkmcnt(0)
	v_mul_f64 v[100:101], v[94:95], v[96:97]
	v_mul_f64 v[96:97], v[92:93], v[96:97]
	s_waitcnt vmcnt(0)
	v_fma_f64 v[92:93], v[92:93], v[98:99], -v[100:101]
	v_fma_f64 v[94:95], v[94:95], v[98:99], v[96:97]
	v_add_f64 v[1:2], v[1:2], v[92:93]
	v_add_f64 v[3:4], v[3:4], v[94:95]
	s_andn2_b32 exec_lo, exec_lo, s8
	s_cbranch_execnz .LBB103_564
; %bb.565:
	s_or_b32 exec_lo, exec_lo, s8
.LBB103_566:
	s_or_b32 exec_lo, exec_lo, s6
	v_mov_b32_e32 v88, 0
	ds_read_b128 v[92:95], v88 offset:512
	s_waitcnt lgkmcnt(0)
	v_mul_f64 v[88:89], v[3:4], v[94:95]
	v_mul_f64 v[94:95], v[1:2], v[94:95]
	v_fma_f64 v[1:2], v[1:2], v[92:93], -v[88:89]
	v_fma_f64 v[3:4], v[3:4], v[92:93], v[94:95]
	buffer_store_dword v2, off, s[0:3], 0 offset:516
	buffer_store_dword v1, off, s[0:3], 0 offset:512
	;; [unrolled: 1-line block ×4, first 2 shown]
.LBB103_567:
	s_or_b32 exec_lo, exec_lo, s4
	v_mov_b32_e32 v4, s14
	s_mov_b32 s4, exec_lo
	s_clause 0x3
	buffer_load_dword v1, v4, s[0:3], 0 offen
	buffer_load_dword v2, v4, s[0:3], 0 offen offset:4
	buffer_load_dword v3, v4, s[0:3], 0 offen offset:8
	;; [unrolled: 1-line block ×3, first 2 shown]
	s_waitcnt vmcnt(0)
	ds_write_b128 v86, v[1:4]
	s_waitcnt lgkmcnt(0)
	s_waitcnt_vscnt null, 0x0
	s_barrier
	buffer_gl0_inv
	v_cmpx_gt_u32_e32 33, v0
	s_cbranch_execz .LBB103_575
; %bb.568:
	ds_read_b128 v[1:4], v86
	v_cmp_ne_u32_e32 vcc_lo, 1, v87
	s_cbranch_vccnz .LBB103_570
; %bb.569:
	s_clause 0x3
	buffer_load_dword v88, v85, s[0:3], 0 offen offset:8
	buffer_load_dword v89, v85, s[0:3], 0 offen offset:12
	buffer_load_dword v92, v85, s[0:3], 0 offen
	buffer_load_dword v93, v85, s[0:3], 0 offen offset:4
	s_waitcnt vmcnt(2) lgkmcnt(0)
	v_mul_f64 v[94:95], v[3:4], v[88:89]
	v_mul_f64 v[88:89], v[1:2], v[88:89]
	s_waitcnt vmcnt(0)
	v_fma_f64 v[1:2], v[1:2], v[92:93], -v[94:95]
	v_fma_f64 v[3:4], v[3:4], v[92:93], v[88:89]
.LBB103_570:
	s_mov_b32 s6, exec_lo
	v_cmpx_ne_u32_e32 32, v0
	s_cbranch_execz .LBB103_574
; %bb.571:
	v_add_nc_u32_e32 v88, 0x290, v91
	v_add3_u32 v89, 0, v91, 16
	v_mov_b32_e32 v90, v0
	s_mov_b32 s8, 0
	.p2align	6
.LBB103_572:                            ; =>This Inner Loop Header: Depth=1
	s_clause 0x3
	buffer_load_dword v96, v89, s[0:3], 0 offen offset:8
	buffer_load_dword v97, v89, s[0:3], 0 offen offset:12
	buffer_load_dword v98, v89, s[0:3], 0 offen
	buffer_load_dword v99, v89, s[0:3], 0 offen offset:4
	ds_read_b128 v[92:95], v88
	v_add_nc_u32_e32 v90, 1, v90
	v_add_nc_u32_e32 v88, 16, v88
	;; [unrolled: 1-line block ×3, first 2 shown]
	v_cmp_lt_u32_e32 vcc_lo, 31, v90
	s_or_b32 s8, vcc_lo, s8
	s_waitcnt vmcnt(2) lgkmcnt(0)
	v_mul_f64 v[100:101], v[94:95], v[96:97]
	v_mul_f64 v[96:97], v[92:93], v[96:97]
	s_waitcnt vmcnt(0)
	v_fma_f64 v[92:93], v[92:93], v[98:99], -v[100:101]
	v_fma_f64 v[94:95], v[94:95], v[98:99], v[96:97]
	v_add_f64 v[1:2], v[1:2], v[92:93]
	v_add_f64 v[3:4], v[3:4], v[94:95]
	s_andn2_b32 exec_lo, exec_lo, s8
	s_cbranch_execnz .LBB103_572
; %bb.573:
	s_or_b32 exec_lo, exec_lo, s8
.LBB103_574:
	s_or_b32 exec_lo, exec_lo, s6
	v_mov_b32_e32 v88, 0
	ds_read_b128 v[92:95], v88 offset:528
	s_waitcnt lgkmcnt(0)
	v_mul_f64 v[88:89], v[3:4], v[94:95]
	v_mul_f64 v[94:95], v[1:2], v[94:95]
	v_fma_f64 v[1:2], v[1:2], v[92:93], -v[88:89]
	v_fma_f64 v[3:4], v[3:4], v[92:93], v[94:95]
	buffer_store_dword v2, off, s[0:3], 0 offset:532
	buffer_store_dword v1, off, s[0:3], 0 offset:528
	;; [unrolled: 1-line block ×4, first 2 shown]
.LBB103_575:
	s_or_b32 exec_lo, exec_lo, s4
	v_mov_b32_e32 v4, s13
	s_mov_b32 s4, exec_lo
	s_clause 0x3
	buffer_load_dword v1, v4, s[0:3], 0 offen
	buffer_load_dword v2, v4, s[0:3], 0 offen offset:4
	buffer_load_dword v3, v4, s[0:3], 0 offen offset:8
	;; [unrolled: 1-line block ×3, first 2 shown]
	s_waitcnt vmcnt(0)
	ds_write_b128 v86, v[1:4]
	s_waitcnt lgkmcnt(0)
	s_waitcnt_vscnt null, 0x0
	s_barrier
	buffer_gl0_inv
	v_cmpx_gt_u32_e32 34, v0
	s_cbranch_execz .LBB103_583
; %bb.576:
	ds_read_b128 v[1:4], v86
	v_cmp_ne_u32_e32 vcc_lo, 1, v87
	s_cbranch_vccnz .LBB103_578
; %bb.577:
	s_clause 0x3
	buffer_load_dword v88, v85, s[0:3], 0 offen offset:8
	buffer_load_dword v89, v85, s[0:3], 0 offen offset:12
	buffer_load_dword v92, v85, s[0:3], 0 offen
	buffer_load_dword v93, v85, s[0:3], 0 offen offset:4
	s_waitcnt vmcnt(2) lgkmcnt(0)
	v_mul_f64 v[94:95], v[3:4], v[88:89]
	v_mul_f64 v[88:89], v[1:2], v[88:89]
	s_waitcnt vmcnt(0)
	v_fma_f64 v[1:2], v[1:2], v[92:93], -v[94:95]
	v_fma_f64 v[3:4], v[3:4], v[92:93], v[88:89]
.LBB103_578:
	s_mov_b32 s6, exec_lo
	v_cmpx_ne_u32_e32 33, v0
	s_cbranch_execz .LBB103_582
; %bb.579:
	v_add_nc_u32_e32 v88, 0x290, v91
	v_add3_u32 v89, 0, v91, 16
	v_mov_b32_e32 v90, v0
	s_mov_b32 s8, 0
	.p2align	6
.LBB103_580:                            ; =>This Inner Loop Header: Depth=1
	s_clause 0x3
	buffer_load_dword v96, v89, s[0:3], 0 offen offset:8
	buffer_load_dword v97, v89, s[0:3], 0 offen offset:12
	buffer_load_dword v98, v89, s[0:3], 0 offen
	buffer_load_dword v99, v89, s[0:3], 0 offen offset:4
	ds_read_b128 v[92:95], v88
	v_add_nc_u32_e32 v90, 1, v90
	v_add_nc_u32_e32 v88, 16, v88
	;; [unrolled: 1-line block ×3, first 2 shown]
	v_cmp_lt_u32_e32 vcc_lo, 32, v90
	s_or_b32 s8, vcc_lo, s8
	s_waitcnt vmcnt(2) lgkmcnt(0)
	v_mul_f64 v[100:101], v[94:95], v[96:97]
	v_mul_f64 v[96:97], v[92:93], v[96:97]
	s_waitcnt vmcnt(0)
	v_fma_f64 v[92:93], v[92:93], v[98:99], -v[100:101]
	v_fma_f64 v[94:95], v[94:95], v[98:99], v[96:97]
	v_add_f64 v[1:2], v[1:2], v[92:93]
	v_add_f64 v[3:4], v[3:4], v[94:95]
	s_andn2_b32 exec_lo, exec_lo, s8
	s_cbranch_execnz .LBB103_580
; %bb.581:
	s_or_b32 exec_lo, exec_lo, s8
.LBB103_582:
	s_or_b32 exec_lo, exec_lo, s6
	v_mov_b32_e32 v88, 0
	ds_read_b128 v[92:95], v88 offset:544
	s_waitcnt lgkmcnt(0)
	v_mul_f64 v[88:89], v[3:4], v[94:95]
	v_mul_f64 v[94:95], v[1:2], v[94:95]
	v_fma_f64 v[1:2], v[1:2], v[92:93], -v[88:89]
	v_fma_f64 v[3:4], v[3:4], v[92:93], v[94:95]
	buffer_store_dword v2, off, s[0:3], 0 offset:548
	buffer_store_dword v1, off, s[0:3], 0 offset:544
	;; [unrolled: 1-line block ×4, first 2 shown]
.LBB103_583:
	s_or_b32 exec_lo, exec_lo, s4
	v_mov_b32_e32 v4, s12
	s_mov_b32 s4, exec_lo
	s_clause 0x3
	buffer_load_dword v1, v4, s[0:3], 0 offen
	buffer_load_dword v2, v4, s[0:3], 0 offen offset:4
	buffer_load_dword v3, v4, s[0:3], 0 offen offset:8
	;; [unrolled: 1-line block ×3, first 2 shown]
	s_waitcnt vmcnt(0)
	ds_write_b128 v86, v[1:4]
	s_waitcnt lgkmcnt(0)
	s_waitcnt_vscnt null, 0x0
	s_barrier
	buffer_gl0_inv
	v_cmpx_gt_u32_e32 35, v0
	s_cbranch_execz .LBB103_591
; %bb.584:
	ds_read_b128 v[1:4], v86
	v_cmp_ne_u32_e32 vcc_lo, 1, v87
	s_cbranch_vccnz .LBB103_586
; %bb.585:
	s_clause 0x3
	buffer_load_dword v88, v85, s[0:3], 0 offen offset:8
	buffer_load_dword v89, v85, s[0:3], 0 offen offset:12
	buffer_load_dword v92, v85, s[0:3], 0 offen
	buffer_load_dword v93, v85, s[0:3], 0 offen offset:4
	s_waitcnt vmcnt(2) lgkmcnt(0)
	v_mul_f64 v[94:95], v[3:4], v[88:89]
	v_mul_f64 v[88:89], v[1:2], v[88:89]
	s_waitcnt vmcnt(0)
	v_fma_f64 v[1:2], v[1:2], v[92:93], -v[94:95]
	v_fma_f64 v[3:4], v[3:4], v[92:93], v[88:89]
.LBB103_586:
	s_mov_b32 s6, exec_lo
	v_cmpx_ne_u32_e32 34, v0
	s_cbranch_execz .LBB103_590
; %bb.587:
	v_add_nc_u32_e32 v88, 0x290, v91
	v_add3_u32 v89, 0, v91, 16
	v_mov_b32_e32 v90, v0
	s_mov_b32 s8, 0
	.p2align	6
.LBB103_588:                            ; =>This Inner Loop Header: Depth=1
	s_clause 0x3
	buffer_load_dword v96, v89, s[0:3], 0 offen offset:8
	buffer_load_dword v97, v89, s[0:3], 0 offen offset:12
	buffer_load_dword v98, v89, s[0:3], 0 offen
	buffer_load_dword v99, v89, s[0:3], 0 offen offset:4
	ds_read_b128 v[92:95], v88
	v_add_nc_u32_e32 v90, 1, v90
	v_add_nc_u32_e32 v88, 16, v88
	;; [unrolled: 1-line block ×3, first 2 shown]
	v_cmp_lt_u32_e32 vcc_lo, 33, v90
	s_or_b32 s8, vcc_lo, s8
	s_waitcnt vmcnt(2) lgkmcnt(0)
	v_mul_f64 v[100:101], v[94:95], v[96:97]
	v_mul_f64 v[96:97], v[92:93], v[96:97]
	s_waitcnt vmcnt(0)
	v_fma_f64 v[92:93], v[92:93], v[98:99], -v[100:101]
	v_fma_f64 v[94:95], v[94:95], v[98:99], v[96:97]
	v_add_f64 v[1:2], v[1:2], v[92:93]
	v_add_f64 v[3:4], v[3:4], v[94:95]
	s_andn2_b32 exec_lo, exec_lo, s8
	s_cbranch_execnz .LBB103_588
; %bb.589:
	s_or_b32 exec_lo, exec_lo, s8
.LBB103_590:
	s_or_b32 exec_lo, exec_lo, s6
	v_mov_b32_e32 v88, 0
	ds_read_b128 v[92:95], v88 offset:560
	s_waitcnt lgkmcnt(0)
	v_mul_f64 v[88:89], v[3:4], v[94:95]
	v_mul_f64 v[94:95], v[1:2], v[94:95]
	v_fma_f64 v[1:2], v[1:2], v[92:93], -v[88:89]
	v_fma_f64 v[3:4], v[3:4], v[92:93], v[94:95]
	buffer_store_dword v2, off, s[0:3], 0 offset:564
	buffer_store_dword v1, off, s[0:3], 0 offset:560
	;; [unrolled: 1-line block ×4, first 2 shown]
.LBB103_591:
	s_or_b32 exec_lo, exec_lo, s4
	v_mov_b32_e32 v4, s11
	s_mov_b32 s4, exec_lo
	s_clause 0x3
	buffer_load_dword v1, v4, s[0:3], 0 offen
	buffer_load_dword v2, v4, s[0:3], 0 offen offset:4
	buffer_load_dword v3, v4, s[0:3], 0 offen offset:8
	;; [unrolled: 1-line block ×3, first 2 shown]
	s_waitcnt vmcnt(0)
	ds_write_b128 v86, v[1:4]
	s_waitcnt lgkmcnt(0)
	s_waitcnt_vscnt null, 0x0
	s_barrier
	buffer_gl0_inv
	v_cmpx_gt_u32_e32 36, v0
	s_cbranch_execz .LBB103_599
; %bb.592:
	ds_read_b128 v[1:4], v86
	v_cmp_ne_u32_e32 vcc_lo, 1, v87
	s_cbranch_vccnz .LBB103_594
; %bb.593:
	s_clause 0x3
	buffer_load_dword v88, v85, s[0:3], 0 offen offset:8
	buffer_load_dword v89, v85, s[0:3], 0 offen offset:12
	buffer_load_dword v92, v85, s[0:3], 0 offen
	buffer_load_dword v93, v85, s[0:3], 0 offen offset:4
	s_waitcnt vmcnt(2) lgkmcnt(0)
	v_mul_f64 v[94:95], v[3:4], v[88:89]
	v_mul_f64 v[88:89], v[1:2], v[88:89]
	s_waitcnt vmcnt(0)
	v_fma_f64 v[1:2], v[1:2], v[92:93], -v[94:95]
	v_fma_f64 v[3:4], v[3:4], v[92:93], v[88:89]
.LBB103_594:
	s_mov_b32 s6, exec_lo
	v_cmpx_ne_u32_e32 35, v0
	s_cbranch_execz .LBB103_598
; %bb.595:
	v_add_nc_u32_e32 v88, 0x290, v91
	v_add3_u32 v89, 0, v91, 16
	v_mov_b32_e32 v90, v0
	s_mov_b32 s8, 0
	.p2align	6
.LBB103_596:                            ; =>This Inner Loop Header: Depth=1
	s_clause 0x3
	buffer_load_dword v96, v89, s[0:3], 0 offen offset:8
	buffer_load_dword v97, v89, s[0:3], 0 offen offset:12
	buffer_load_dword v98, v89, s[0:3], 0 offen
	buffer_load_dword v99, v89, s[0:3], 0 offen offset:4
	ds_read_b128 v[92:95], v88
	v_add_nc_u32_e32 v90, 1, v90
	v_add_nc_u32_e32 v88, 16, v88
	;; [unrolled: 1-line block ×3, first 2 shown]
	v_cmp_lt_u32_e32 vcc_lo, 34, v90
	s_or_b32 s8, vcc_lo, s8
	s_waitcnt vmcnt(2) lgkmcnt(0)
	v_mul_f64 v[100:101], v[94:95], v[96:97]
	v_mul_f64 v[96:97], v[92:93], v[96:97]
	s_waitcnt vmcnt(0)
	v_fma_f64 v[92:93], v[92:93], v[98:99], -v[100:101]
	v_fma_f64 v[94:95], v[94:95], v[98:99], v[96:97]
	v_add_f64 v[1:2], v[1:2], v[92:93]
	v_add_f64 v[3:4], v[3:4], v[94:95]
	s_andn2_b32 exec_lo, exec_lo, s8
	s_cbranch_execnz .LBB103_596
; %bb.597:
	s_or_b32 exec_lo, exec_lo, s8
.LBB103_598:
	s_or_b32 exec_lo, exec_lo, s6
	v_mov_b32_e32 v88, 0
	ds_read_b128 v[92:95], v88 offset:576
	s_waitcnt lgkmcnt(0)
	v_mul_f64 v[88:89], v[3:4], v[94:95]
	v_mul_f64 v[94:95], v[1:2], v[94:95]
	v_fma_f64 v[1:2], v[1:2], v[92:93], -v[88:89]
	v_fma_f64 v[3:4], v[3:4], v[92:93], v[94:95]
	buffer_store_dword v2, off, s[0:3], 0 offset:580
	buffer_store_dword v1, off, s[0:3], 0 offset:576
	;; [unrolled: 1-line block ×4, first 2 shown]
.LBB103_599:
	s_or_b32 exec_lo, exec_lo, s4
	v_mov_b32_e32 v4, s10
	s_mov_b32 s4, exec_lo
	s_clause 0x3
	buffer_load_dword v1, v4, s[0:3], 0 offen
	buffer_load_dword v2, v4, s[0:3], 0 offen offset:4
	buffer_load_dword v3, v4, s[0:3], 0 offen offset:8
	;; [unrolled: 1-line block ×3, first 2 shown]
	s_waitcnt vmcnt(0)
	ds_write_b128 v86, v[1:4]
	s_waitcnt lgkmcnt(0)
	s_waitcnt_vscnt null, 0x0
	s_barrier
	buffer_gl0_inv
	v_cmpx_gt_u32_e32 37, v0
	s_cbranch_execz .LBB103_607
; %bb.600:
	ds_read_b128 v[1:4], v86
	v_cmp_ne_u32_e32 vcc_lo, 1, v87
	s_cbranch_vccnz .LBB103_602
; %bb.601:
	s_clause 0x3
	buffer_load_dword v88, v85, s[0:3], 0 offen offset:8
	buffer_load_dword v89, v85, s[0:3], 0 offen offset:12
	buffer_load_dword v92, v85, s[0:3], 0 offen
	buffer_load_dword v93, v85, s[0:3], 0 offen offset:4
	s_waitcnt vmcnt(2) lgkmcnt(0)
	v_mul_f64 v[94:95], v[3:4], v[88:89]
	v_mul_f64 v[88:89], v[1:2], v[88:89]
	s_waitcnt vmcnt(0)
	v_fma_f64 v[1:2], v[1:2], v[92:93], -v[94:95]
	v_fma_f64 v[3:4], v[3:4], v[92:93], v[88:89]
.LBB103_602:
	s_mov_b32 s6, exec_lo
	v_cmpx_ne_u32_e32 36, v0
	s_cbranch_execz .LBB103_606
; %bb.603:
	v_add_nc_u32_e32 v88, 0x290, v91
	v_add3_u32 v89, 0, v91, 16
	v_mov_b32_e32 v90, v0
	s_mov_b32 s8, 0
	.p2align	6
.LBB103_604:                            ; =>This Inner Loop Header: Depth=1
	s_clause 0x3
	buffer_load_dword v96, v89, s[0:3], 0 offen offset:8
	buffer_load_dword v97, v89, s[0:3], 0 offen offset:12
	buffer_load_dword v98, v89, s[0:3], 0 offen
	buffer_load_dword v99, v89, s[0:3], 0 offen offset:4
	ds_read_b128 v[92:95], v88
	v_add_nc_u32_e32 v90, 1, v90
	v_add_nc_u32_e32 v88, 16, v88
	;; [unrolled: 1-line block ×3, first 2 shown]
	v_cmp_lt_u32_e32 vcc_lo, 35, v90
	s_or_b32 s8, vcc_lo, s8
	s_waitcnt vmcnt(2) lgkmcnt(0)
	v_mul_f64 v[100:101], v[94:95], v[96:97]
	v_mul_f64 v[96:97], v[92:93], v[96:97]
	s_waitcnt vmcnt(0)
	v_fma_f64 v[92:93], v[92:93], v[98:99], -v[100:101]
	v_fma_f64 v[94:95], v[94:95], v[98:99], v[96:97]
	v_add_f64 v[1:2], v[1:2], v[92:93]
	v_add_f64 v[3:4], v[3:4], v[94:95]
	s_andn2_b32 exec_lo, exec_lo, s8
	s_cbranch_execnz .LBB103_604
; %bb.605:
	s_or_b32 exec_lo, exec_lo, s8
.LBB103_606:
	s_or_b32 exec_lo, exec_lo, s6
	v_mov_b32_e32 v88, 0
	ds_read_b128 v[92:95], v88 offset:592
	s_waitcnt lgkmcnt(0)
	v_mul_f64 v[88:89], v[3:4], v[94:95]
	v_mul_f64 v[94:95], v[1:2], v[94:95]
	v_fma_f64 v[1:2], v[1:2], v[92:93], -v[88:89]
	v_fma_f64 v[3:4], v[3:4], v[92:93], v[94:95]
	buffer_store_dword v2, off, s[0:3], 0 offset:596
	buffer_store_dword v1, off, s[0:3], 0 offset:592
	;; [unrolled: 1-line block ×4, first 2 shown]
.LBB103_607:
	s_or_b32 exec_lo, exec_lo, s4
	v_mov_b32_e32 v4, s9
	v_cmp_gt_u32_e64 s4, 38, v0
	s_clause 0x3
	buffer_load_dword v1, v4, s[0:3], 0 offen
	buffer_load_dword v2, v4, s[0:3], 0 offen offset:4
	buffer_load_dword v3, v4, s[0:3], 0 offen offset:8
	;; [unrolled: 1-line block ×3, first 2 shown]
	s_waitcnt vmcnt(0)
	ds_write_b128 v86, v[1:4]
	s_waitcnt lgkmcnt(0)
	s_waitcnt_vscnt null, 0x0
	s_barrier
	buffer_gl0_inv
	s_and_saveexec_b32 s6, s4
	s_cbranch_execz .LBB103_615
; %bb.608:
	ds_read_b128 v[1:4], v86
	v_cmp_ne_u32_e32 vcc_lo, 1, v87
	s_cbranch_vccnz .LBB103_610
; %bb.609:
	s_clause 0x3
	buffer_load_dword v88, v85, s[0:3], 0 offen offset:8
	buffer_load_dword v89, v85, s[0:3], 0 offen offset:12
	buffer_load_dword v92, v85, s[0:3], 0 offen
	buffer_load_dword v93, v85, s[0:3], 0 offen offset:4
	s_waitcnt vmcnt(2) lgkmcnt(0)
	v_mul_f64 v[94:95], v[3:4], v[88:89]
	v_mul_f64 v[88:89], v[1:2], v[88:89]
	s_waitcnt vmcnt(0)
	v_fma_f64 v[1:2], v[1:2], v[92:93], -v[94:95]
	v_fma_f64 v[3:4], v[3:4], v[92:93], v[88:89]
.LBB103_610:
	s_mov_b32 s8, exec_lo
	v_cmpx_ne_u32_e32 37, v0
	s_cbranch_execz .LBB103_614
; %bb.611:
	v_add_nc_u32_e32 v88, 0x290, v91
	v_add3_u32 v89, 0, v91, 16
	v_mov_b32_e32 v90, v0
	s_mov_b32 s48, 0
	.p2align	6
.LBB103_612:                            ; =>This Inner Loop Header: Depth=1
	s_clause 0x3
	buffer_load_dword v96, v89, s[0:3], 0 offen offset:8
	buffer_load_dword v97, v89, s[0:3], 0 offen offset:12
	buffer_load_dword v98, v89, s[0:3], 0 offen
	buffer_load_dword v99, v89, s[0:3], 0 offen offset:4
	ds_read_b128 v[92:95], v88
	v_add_nc_u32_e32 v90, 1, v90
	v_add_nc_u32_e32 v88, 16, v88
	v_add_nc_u32_e32 v89, 16, v89
	v_cmp_lt_u32_e32 vcc_lo, 36, v90
	s_or_b32 s48, vcc_lo, s48
	s_waitcnt vmcnt(2) lgkmcnt(0)
	v_mul_f64 v[100:101], v[94:95], v[96:97]
	v_mul_f64 v[96:97], v[92:93], v[96:97]
	s_waitcnt vmcnt(0)
	v_fma_f64 v[92:93], v[92:93], v[98:99], -v[100:101]
	v_fma_f64 v[94:95], v[94:95], v[98:99], v[96:97]
	v_add_f64 v[1:2], v[1:2], v[92:93]
	v_add_f64 v[3:4], v[3:4], v[94:95]
	s_andn2_b32 exec_lo, exec_lo, s48
	s_cbranch_execnz .LBB103_612
; %bb.613:
	s_or_b32 exec_lo, exec_lo, s48
.LBB103_614:
	s_or_b32 exec_lo, exec_lo, s8
	v_mov_b32_e32 v88, 0
	ds_read_b128 v[92:95], v88 offset:608
	s_waitcnt lgkmcnt(0)
	v_mul_f64 v[88:89], v[3:4], v[94:95]
	v_mul_f64 v[94:95], v[1:2], v[94:95]
	v_fma_f64 v[1:2], v[1:2], v[92:93], -v[88:89]
	v_fma_f64 v[3:4], v[3:4], v[92:93], v[94:95]
	buffer_store_dword v2, off, s[0:3], 0 offset:612
	buffer_store_dword v1, off, s[0:3], 0 offset:608
	;; [unrolled: 1-line block ×4, first 2 shown]
.LBB103_615:
	s_or_b32 exec_lo, exec_lo, s6
	v_mov_b32_e32 v4, s7
	s_mov_b32 s6, exec_lo
                                        ; implicit-def: $sgpr49
	s_clause 0x3
	buffer_load_dword v1, v4, s[0:3], 0 offen
	buffer_load_dword v2, v4, s[0:3], 0 offen offset:4
	buffer_load_dword v3, v4, s[0:3], 0 offen offset:8
	;; [unrolled: 1-line block ×3, first 2 shown]
	s_waitcnt vmcnt(0)
	ds_write_b128 v86, v[1:4]
	s_waitcnt lgkmcnt(0)
	s_waitcnt_vscnt null, 0x0
	s_barrier
	buffer_gl0_inv
                                        ; implicit-def: $vgpr1_vgpr2
	v_cmpx_ne_u32_e32 39, v0
	s_cbranch_execz .LBB103_623
; %bb.616:
	ds_read_b128 v[1:4], v86
	v_cmp_ne_u32_e32 vcc_lo, 1, v87
	s_cbranch_vccnz .LBB103_618
; %bb.617:
	s_clause 0x3
	buffer_load_dword v86, v85, s[0:3], 0 offen offset:8
	buffer_load_dword v87, v85, s[0:3], 0 offen offset:12
	buffer_load_dword v88, v85, s[0:3], 0 offen
	buffer_load_dword v89, v85, s[0:3], 0 offen offset:4
	s_waitcnt vmcnt(2) lgkmcnt(0)
	v_mul_f64 v[92:93], v[3:4], v[86:87]
	v_mul_f64 v[85:86], v[1:2], v[86:87]
	s_waitcnt vmcnt(0)
	v_fma_f64 v[1:2], v[1:2], v[88:89], -v[92:93]
	v_fma_f64 v[3:4], v[3:4], v[88:89], v[85:86]
.LBB103_618:
	s_and_saveexec_b32 s8, s4
	s_cbranch_execz .LBB103_622
; %bb.619:
	v_add_nc_u32_e32 v85, 0x290, v91
	v_add3_u32 v86, 0, v91, 16
	s_mov_b32 s4, 0
	.p2align	6
.LBB103_620:                            ; =>This Inner Loop Header: Depth=1
	s_clause 0x3
	buffer_load_dword v91, v86, s[0:3], 0 offen offset:8
	buffer_load_dword v92, v86, s[0:3], 0 offen offset:12
	buffer_load_dword v93, v86, s[0:3], 0 offen
	buffer_load_dword v94, v86, s[0:3], 0 offen offset:4
	ds_read_b128 v[87:90], v85
	v_add_nc_u32_e32 v0, 1, v0
	v_add_nc_u32_e32 v85, 16, v85
	;; [unrolled: 1-line block ×3, first 2 shown]
	v_cmp_lt_u32_e32 vcc_lo, 37, v0
	s_or_b32 s4, vcc_lo, s4
	s_waitcnt vmcnt(2) lgkmcnt(0)
	v_mul_f64 v[95:96], v[89:90], v[91:92]
	v_mul_f64 v[91:92], v[87:88], v[91:92]
	s_waitcnt vmcnt(0)
	v_fma_f64 v[87:88], v[87:88], v[93:94], -v[95:96]
	v_fma_f64 v[89:90], v[89:90], v[93:94], v[91:92]
	v_add_f64 v[1:2], v[1:2], v[87:88]
	v_add_f64 v[3:4], v[3:4], v[89:90]
	s_andn2_b32 exec_lo, exec_lo, s4
	s_cbranch_execnz .LBB103_620
; %bb.621:
	s_or_b32 exec_lo, exec_lo, s4
.LBB103_622:
	s_or_b32 exec_lo, exec_lo, s8
	v_mov_b32_e32 v0, 0
	s_movk_i32 s49, 0x278
	s_or_b32 s5, s5, exec_lo
	ds_read_b128 v[85:88], v0 offset:624
	s_waitcnt lgkmcnt(0)
	v_mul_f64 v[89:90], v[3:4], v[87:88]
	v_mul_f64 v[87:88], v[1:2], v[87:88]
	v_fma_f64 v[89:90], v[1:2], v[85:86], -v[89:90]
	v_fma_f64 v[1:2], v[3:4], v[85:86], v[87:88]
	buffer_store_dword v90, off, s[0:3], 0 offset:628
	buffer_store_dword v89, off, s[0:3], 0 offset:624
.LBB103_623:
	s_or_b32 exec_lo, exec_lo, s6
.LBB103_624:
	s_and_saveexec_b32 s4, s5
	s_cbranch_execz .LBB103_626
; %bb.625:
	v_mov_b32_e32 v0, s49
	buffer_store_dword v2, v0, s[0:3], 0 offen offset:4
	buffer_store_dword v1, v0, s[0:3], 0 offen
.LBB103_626:
	s_or_b32 exec_lo, exec_lo, s4
	s_clause 0x3
	buffer_load_dword v0, off, s[0:3], 0
	buffer_load_dword v1, off, s[0:3], 0 offset:4
	buffer_load_dword v2, off, s[0:3], 0 offset:8
	;; [unrolled: 1-line block ×3, first 2 shown]
	v_mov_b32_e32 v4, s47
	s_waitcnt vmcnt(0)
	flat_store_dwordx4 v[5:6], v[0:3]
	s_clause 0x3
	buffer_load_dword v0, v4, s[0:3], 0 offen
	buffer_load_dword v1, v4, s[0:3], 0 offen offset:4
	buffer_load_dword v2, v4, s[0:3], 0 offen offset:8
	buffer_load_dword v3, v4, s[0:3], 0 offen offset:12
	v_mov_b32_e32 v4, s46
	s_waitcnt vmcnt(0)
	flat_store_dwordx4 v[59:60], v[0:3]
	s_clause 0x3
	buffer_load_dword v0, v4, s[0:3], 0 offen
	buffer_load_dword v1, v4, s[0:3], 0 offen offset:4
	buffer_load_dword v2, v4, s[0:3], 0 offen offset:8
	buffer_load_dword v3, v4, s[0:3], 0 offen offset:12
	;; [unrolled: 8-line block ×39, first 2 shown]
	s_waitcnt vmcnt(0)
	flat_store_dwordx4 v[83:84], v[0:3]
.LBB103_627:
	s_endpgm
	.section	.rodata,"a",@progbits
	.p2align	6, 0x0
	.amdhsa_kernel _ZN9rocsolver6v33100L18trti2_kernel_smallILi40E19rocblas_complex_numIdEPKPS3_EEv13rocblas_fill_17rocblas_diagonal_T1_iil
		.amdhsa_group_segment_fixed_size 1280
		.amdhsa_private_segment_fixed_size 656
		.amdhsa_kernarg_size 32
		.amdhsa_user_sgpr_count 6
		.amdhsa_user_sgpr_private_segment_buffer 1
		.amdhsa_user_sgpr_dispatch_ptr 0
		.amdhsa_user_sgpr_queue_ptr 0
		.amdhsa_user_sgpr_kernarg_segment_ptr 1
		.amdhsa_user_sgpr_dispatch_id 0
		.amdhsa_user_sgpr_flat_scratch_init 0
		.amdhsa_user_sgpr_private_segment_size 0
		.amdhsa_wavefront_size32 1
		.amdhsa_uses_dynamic_stack 0
		.amdhsa_system_sgpr_private_segment_wavefront_offset 1
		.amdhsa_system_sgpr_workgroup_id_x 1
		.amdhsa_system_sgpr_workgroup_id_y 0
		.amdhsa_system_sgpr_workgroup_id_z 0
		.amdhsa_system_sgpr_workgroup_info 0
		.amdhsa_system_vgpr_workitem_id 0
		.amdhsa_next_free_vgpr 102
		.amdhsa_next_free_sgpr 65
		.amdhsa_reserve_vcc 1
		.amdhsa_reserve_flat_scratch 0
		.amdhsa_float_round_mode_32 0
		.amdhsa_float_round_mode_16_64 0
		.amdhsa_float_denorm_mode_32 3
		.amdhsa_float_denorm_mode_16_64 3
		.amdhsa_dx10_clamp 1
		.amdhsa_ieee_mode 1
		.amdhsa_fp16_overflow 0
		.amdhsa_workgroup_processor_mode 1
		.amdhsa_memory_ordered 1
		.amdhsa_forward_progress 1
		.amdhsa_shared_vgpr_count 0
		.amdhsa_exception_fp_ieee_invalid_op 0
		.amdhsa_exception_fp_denorm_src 0
		.amdhsa_exception_fp_ieee_div_zero 0
		.amdhsa_exception_fp_ieee_overflow 0
		.amdhsa_exception_fp_ieee_underflow 0
		.amdhsa_exception_fp_ieee_inexact 0
		.amdhsa_exception_int_div_zero 0
	.end_amdhsa_kernel
	.section	.text._ZN9rocsolver6v33100L18trti2_kernel_smallILi40E19rocblas_complex_numIdEPKPS3_EEv13rocblas_fill_17rocblas_diagonal_T1_iil,"axG",@progbits,_ZN9rocsolver6v33100L18trti2_kernel_smallILi40E19rocblas_complex_numIdEPKPS3_EEv13rocblas_fill_17rocblas_diagonal_T1_iil,comdat
.Lfunc_end103:
	.size	_ZN9rocsolver6v33100L18trti2_kernel_smallILi40E19rocblas_complex_numIdEPKPS3_EEv13rocblas_fill_17rocblas_diagonal_T1_iil, .Lfunc_end103-_ZN9rocsolver6v33100L18trti2_kernel_smallILi40E19rocblas_complex_numIdEPKPS3_EEv13rocblas_fill_17rocblas_diagonal_T1_iil
                                        ; -- End function
	.set _ZN9rocsolver6v33100L18trti2_kernel_smallILi40E19rocblas_complex_numIdEPKPS3_EEv13rocblas_fill_17rocblas_diagonal_T1_iil.num_vgpr, 102
	.set _ZN9rocsolver6v33100L18trti2_kernel_smallILi40E19rocblas_complex_numIdEPKPS3_EEv13rocblas_fill_17rocblas_diagonal_T1_iil.num_agpr, 0
	.set _ZN9rocsolver6v33100L18trti2_kernel_smallILi40E19rocblas_complex_numIdEPKPS3_EEv13rocblas_fill_17rocblas_diagonal_T1_iil.numbered_sgpr, 65
	.set _ZN9rocsolver6v33100L18trti2_kernel_smallILi40E19rocblas_complex_numIdEPKPS3_EEv13rocblas_fill_17rocblas_diagonal_T1_iil.num_named_barrier, 0
	.set _ZN9rocsolver6v33100L18trti2_kernel_smallILi40E19rocblas_complex_numIdEPKPS3_EEv13rocblas_fill_17rocblas_diagonal_T1_iil.private_seg_size, 656
	.set _ZN9rocsolver6v33100L18trti2_kernel_smallILi40E19rocblas_complex_numIdEPKPS3_EEv13rocblas_fill_17rocblas_diagonal_T1_iil.uses_vcc, 1
	.set _ZN9rocsolver6v33100L18trti2_kernel_smallILi40E19rocblas_complex_numIdEPKPS3_EEv13rocblas_fill_17rocblas_diagonal_T1_iil.uses_flat_scratch, 0
	.set _ZN9rocsolver6v33100L18trti2_kernel_smallILi40E19rocblas_complex_numIdEPKPS3_EEv13rocblas_fill_17rocblas_diagonal_T1_iil.has_dyn_sized_stack, 0
	.set _ZN9rocsolver6v33100L18trti2_kernel_smallILi40E19rocblas_complex_numIdEPKPS3_EEv13rocblas_fill_17rocblas_diagonal_T1_iil.has_recursion, 0
	.set _ZN9rocsolver6v33100L18trti2_kernel_smallILi40E19rocblas_complex_numIdEPKPS3_EEv13rocblas_fill_17rocblas_diagonal_T1_iil.has_indirect_call, 0
	.section	.AMDGPU.csdata,"",@progbits
; Kernel info:
; codeLenInByte = 40596
; TotalNumSgprs: 67
; NumVgprs: 102
; ScratchSize: 656
; MemoryBound: 0
; FloatMode: 240
; IeeeMode: 1
; LDSByteSize: 1280 bytes/workgroup (compile time only)
; SGPRBlocks: 0
; VGPRBlocks: 12
; NumSGPRsForWavesPerEU: 67
; NumVGPRsForWavesPerEU: 102
; Occupancy: 9
; WaveLimiterHint : 1
; COMPUTE_PGM_RSRC2:SCRATCH_EN: 1
; COMPUTE_PGM_RSRC2:USER_SGPR: 6
; COMPUTE_PGM_RSRC2:TRAP_HANDLER: 0
; COMPUTE_PGM_RSRC2:TGID_X_EN: 1
; COMPUTE_PGM_RSRC2:TGID_Y_EN: 0
; COMPUTE_PGM_RSRC2:TGID_Z_EN: 0
; COMPUTE_PGM_RSRC2:TIDIG_COMP_CNT: 0
	.section	.text._ZN9rocsolver6v33100L18trti2_kernel_smallILi41E19rocblas_complex_numIdEPKPS3_EEv13rocblas_fill_17rocblas_diagonal_T1_iil,"axG",@progbits,_ZN9rocsolver6v33100L18trti2_kernel_smallILi41E19rocblas_complex_numIdEPKPS3_EEv13rocblas_fill_17rocblas_diagonal_T1_iil,comdat
	.globl	_ZN9rocsolver6v33100L18trti2_kernel_smallILi41E19rocblas_complex_numIdEPKPS3_EEv13rocblas_fill_17rocblas_diagonal_T1_iil ; -- Begin function _ZN9rocsolver6v33100L18trti2_kernel_smallILi41E19rocblas_complex_numIdEPKPS3_EEv13rocblas_fill_17rocblas_diagonal_T1_iil
	.p2align	8
	.type	_ZN9rocsolver6v33100L18trti2_kernel_smallILi41E19rocblas_complex_numIdEPKPS3_EEv13rocblas_fill_17rocblas_diagonal_T1_iil,@function
_ZN9rocsolver6v33100L18trti2_kernel_smallILi41E19rocblas_complex_numIdEPKPS3_EEv13rocblas_fill_17rocblas_diagonal_T1_iil: ; @_ZN9rocsolver6v33100L18trti2_kernel_smallILi41E19rocblas_complex_numIdEPKPS3_EEv13rocblas_fill_17rocblas_diagonal_T1_iil
; %bb.0:
	s_add_u32 s0, s0, s7
	s_addc_u32 s1, s1, 0
	s_mov_b32 s7, exec_lo
	v_cmpx_gt_u32_e32 41, v0
	s_cbranch_execz .LBB104_643
; %bb.1:
	s_clause 0x1
	s_load_dwordx2 s[12:13], s[4:5], 0x10
	s_load_dwordx4 s[8:11], s[4:5], 0x0
	s_ashr_i32 s7, s6, 31
	v_lshlrev_b32_e32 v93, 4, v0
	s_lshl_b64 s[4:5], s[6:7], 3
	s_movk_i32 s14, 0xd0
	s_movk_i32 s15, 0xe0
	;; [unrolled: 1-line block ×15, first 2 shown]
	s_waitcnt lgkmcnt(0)
	s_ashr_i32 s7, s12, 31
	s_add_u32 s4, s10, s4
	s_addc_u32 s5, s11, s5
	s_mov_b32 s6, s12
	s_load_dwordx2 s[4:5], s[4:5], 0x0
	s_lshl_b64 s[6:7], s[6:7], 4
	v_add3_u32 v7, s13, s13, v0
	s_movk_i32 s10, 0x90
	s_movk_i32 s11, 0xa0
	;; [unrolled: 1-line block ×4, first 2 shown]
	v_ashrrev_i32_e32 v8, 31, v7
	s_movk_i32 s54, 0x1d0
	s_movk_i32 s55, 0x1e0
	;; [unrolled: 1-line block ×4, first 2 shown]
	v_lshlrev_b64 v[8:9], 4, v[7:8]
	v_add_nc_u32_e32 v7, s13, v7
	s_movk_i32 s58, 0x210
	s_movk_i32 s59, 0x220
	;; [unrolled: 1-line block ×6, first 2 shown]
	s_waitcnt lgkmcnt(0)
	s_add_u32 s6, s4, s6
	s_addc_u32 s7, s5, s7
	v_add_co_u32 v5, s4, s6, v93
	v_add_co_ci_u32_e64 v6, null, s7, 0, s4
	s_mov_b32 s4, s13
	s_ashr_i32 s5, s13, 31
	s_movk_i32 s64, 0x270
	flat_load_dwordx4 v[1:4], v[5:6]
	s_lshl_b64 s[4:5], s[4:5], 4
	s_cmpk_lg_i32 s9, 0x84
	v_add_co_u32 v59, vcc_lo, v5, s4
	v_add_co_ci_u32_e64 v60, null, s5, v6, vcc_lo
	v_add_co_u32 v57, vcc_lo, s6, v8
	v_add_co_ci_u32_e64 v58, null, s7, v9, vcc_lo
	v_ashrrev_i32_e32 v8, 31, v7
	s_movk_i32 s4, 0x50
	s_movk_i32 s5, 0x60
	;; [unrolled: 1-line block ×3, first 2 shown]
	s_cselect_b32 s48, -1, 0
	v_lshlrev_b64 v[8:9], 4, v[7:8]
	v_add_nc_u32_e32 v7, s13, v7
	s_cmpk_eq_i32 s9, 0x84
	s_waitcnt vmcnt(0) lgkmcnt(0)
	buffer_store_dword v4, off, s[0:3], 0 offset:12
	buffer_store_dword v3, off, s[0:3], 0 offset:8
	;; [unrolled: 1-line block ×3, first 2 shown]
	buffer_store_dword v1, off, s[0:3], 0
	flat_load_dwordx4 v[1:4], v[59:60]
	v_add_co_u32 v55, vcc_lo, s6, v8
	v_add_co_ci_u32_e64 v56, null, s7, v9, vcc_lo
	v_ashrrev_i32_e32 v8, 31, v7
	s_waitcnt vmcnt(0) lgkmcnt(0)
	buffer_store_dword v4, off, s[0:3], 0 offset:28
	buffer_store_dword v3, off, s[0:3], 0 offset:24
	;; [unrolled: 1-line block ×4, first 2 shown]
	flat_load_dwordx4 v[1:4], v[57:58]
	v_lshlrev_b64 v[8:9], 4, v[7:8]
	v_add_nc_u32_e32 v7, s13, v7
	s_waitcnt vmcnt(0) lgkmcnt(0)
	buffer_store_dword v4, off, s[0:3], 0 offset:44
	buffer_store_dword v3, off, s[0:3], 0 offset:40
	;; [unrolled: 1-line block ×4, first 2 shown]
	flat_load_dwordx4 v[1:4], v[55:56]
	v_add_co_u32 v53, vcc_lo, s6, v8
	v_add_co_ci_u32_e64 v54, null, s7, v9, vcc_lo
	v_ashrrev_i32_e32 v8, 31, v7
	s_waitcnt vmcnt(0) lgkmcnt(0)
	buffer_store_dword v4, off, s[0:3], 0 offset:60
	buffer_store_dword v3, off, s[0:3], 0 offset:56
	;; [unrolled: 1-line block ×4, first 2 shown]
	flat_load_dwordx4 v[1:4], v[53:54]
	v_lshlrev_b64 v[8:9], 4, v[7:8]
	v_add_nc_u32_e32 v7, s13, v7
	s_waitcnt vmcnt(0) lgkmcnt(0)
	buffer_store_dword v4, off, s[0:3], 0 offset:76
	buffer_store_dword v3, off, s[0:3], 0 offset:72
	;; [unrolled: 1-line block ×4, first 2 shown]
	v_add_co_u32 v49, vcc_lo, s6, v8
	v_add_co_ci_u32_e64 v50, null, s7, v9, vcc_lo
	v_ashrrev_i32_e32 v8, 31, v7
	flat_load_dwordx4 v[1:4], v[49:50]
	s_waitcnt vmcnt(0) lgkmcnt(0)
	buffer_store_dword v4, off, s[0:3], 0 offset:92
	buffer_store_dword v3, off, s[0:3], 0 offset:88
	buffer_store_dword v2, off, s[0:3], 0 offset:84
	buffer_store_dword v1, off, s[0:3], 0 offset:80
	v_lshlrev_b64 v[8:9], 4, v[7:8]
	v_add_nc_u32_e32 v7, s13, v7
	v_add_co_u32 v47, vcc_lo, s6, v8
	v_add_co_ci_u32_e64 v48, null, s7, v9, vcc_lo
	v_ashrrev_i32_e32 v8, 31, v7
	flat_load_dwordx4 v[1:4], v[47:48]
	s_waitcnt vmcnt(0) lgkmcnt(0)
	buffer_store_dword v4, off, s[0:3], 0 offset:108
	buffer_store_dword v3, off, s[0:3], 0 offset:104
	buffer_store_dword v2, off, s[0:3], 0 offset:100
	buffer_store_dword v1, off, s[0:3], 0 offset:96
	v_lshlrev_b64 v[8:9], 4, v[7:8]
	v_add_nc_u32_e32 v7, s13, v7
	;; [unrolled: 11-line block ×18, first 2 shown]
	v_add_co_u32 v11, vcc_lo, s6, v8
	v_add_co_ci_u32_e64 v12, null, s7, v9, vcc_lo
	v_ashrrev_i32_e32 v8, 31, v7
	v_add_nc_u32_e32 v33, s13, v7
	flat_load_dwordx4 v[1:4], v[11:12]
	s_waitcnt vmcnt(0) lgkmcnt(0)
	buffer_store_dword v4, off, s[0:3], 0 offset:380
	buffer_store_dword v3, off, s[0:3], 0 offset:376
	;; [unrolled: 1-line block ×4, first 2 shown]
	v_lshlrev_b64 v[9:10], 4, v[7:8]
	v_ashrrev_i32_e32 v34, 31, v33
	v_add_nc_u32_e32 v51, s13, v33
	v_add_co_u32 v9, vcc_lo, s6, v9
	v_add_co_ci_u32_e64 v10, null, s7, v10, vcc_lo
	v_lshlrev_b64 v[7:8], 4, v[33:34]
	v_ashrrev_i32_e32 v52, 31, v51
	v_add_nc_u32_e32 v61, s13, v51
	flat_load_dwordx4 v[1:4], v[9:10]
	s_waitcnt vmcnt(0) lgkmcnt(0)
	buffer_store_dword v4, off, s[0:3], 0 offset:396
	buffer_store_dword v3, off, s[0:3], 0 offset:392
	buffer_store_dword v2, off, s[0:3], 0 offset:388
	buffer_store_dword v1, off, s[0:3], 0 offset:384
	v_add_co_u32 v7, vcc_lo, s6, v7
	v_add_co_ci_u32_e64 v8, null, s7, v8, vcc_lo
	v_lshlrev_b64 v[33:34], 4, v[51:52]
	v_ashrrev_i32_e32 v62, 31, v61
	v_add_nc_u32_e32 v63, s13, v61
	flat_load_dwordx4 v[1:4], v[7:8]
	s_waitcnt vmcnt(0) lgkmcnt(0)
	buffer_store_dword v4, off, s[0:3], 0 offset:412
	buffer_store_dword v3, off, s[0:3], 0 offset:408
	buffer_store_dword v2, off, s[0:3], 0 offset:404
	buffer_store_dword v1, off, s[0:3], 0 offset:400
	v_add_co_u32 v33, vcc_lo, s6, v33
	v_add_co_ci_u32_e64 v34, null, s7, v34, vcc_lo
	v_lshlrev_b64 v[51:52], 4, v[61:62]
	v_ashrrev_i32_e32 v64, 31, v63
	v_add_nc_u32_e32 v65, s13, v63
	flat_load_dwordx4 v[1:4], v[33:34]
	s_waitcnt vmcnt(0) lgkmcnt(0)
	buffer_store_dword v4, off, s[0:3], 0 offset:428
	buffer_store_dword v3, off, s[0:3], 0 offset:424
	buffer_store_dword v2, off, s[0:3], 0 offset:420
	buffer_store_dword v1, off, s[0:3], 0 offset:416
	v_add_co_u32 v51, vcc_lo, s6, v51
	v_add_co_ci_u32_e64 v52, null, s7, v52, vcc_lo
	v_lshlrev_b64 v[61:62], 4, v[63:64]
	v_ashrrev_i32_e32 v66, 31, v65
	v_add_nc_u32_e32 v67, s13, v65
	flat_load_dwordx4 v[1:4], v[51:52]
	s_waitcnt vmcnt(0) lgkmcnt(0)
	buffer_store_dword v4, off, s[0:3], 0 offset:444
	buffer_store_dword v3, off, s[0:3], 0 offset:440
	buffer_store_dword v2, off, s[0:3], 0 offset:436
	buffer_store_dword v1, off, s[0:3], 0 offset:432
	v_add_co_u32 v61, vcc_lo, s6, v61
	v_add_co_ci_u32_e64 v62, null, s7, v62, vcc_lo
	v_lshlrev_b64 v[63:64], 4, v[65:66]
	v_ashrrev_i32_e32 v68, 31, v67
	v_add_nc_u32_e32 v69, s13, v67
	flat_load_dwordx4 v[1:4], v[61:62]
	s_waitcnt vmcnt(0) lgkmcnt(0)
	buffer_store_dword v4, off, s[0:3], 0 offset:460
	buffer_store_dword v3, off, s[0:3], 0 offset:456
	buffer_store_dword v2, off, s[0:3], 0 offset:452
	buffer_store_dword v1, off, s[0:3], 0 offset:448
	v_add_co_u32 v63, vcc_lo, s6, v63
	v_add_co_ci_u32_e64 v64, null, s7, v64, vcc_lo
	v_lshlrev_b64 v[65:66], 4, v[67:68]
	v_ashrrev_i32_e32 v70, 31, v69
	v_add_nc_u32_e32 v71, s13, v69
	flat_load_dwordx4 v[1:4], v[63:64]
	s_waitcnt vmcnt(0) lgkmcnt(0)
	buffer_store_dword v4, off, s[0:3], 0 offset:476
	buffer_store_dword v3, off, s[0:3], 0 offset:472
	buffer_store_dword v2, off, s[0:3], 0 offset:468
	buffer_store_dword v1, off, s[0:3], 0 offset:464
	v_add_co_u32 v65, vcc_lo, s6, v65
	v_add_co_ci_u32_e64 v66, null, s7, v66, vcc_lo
	v_lshlrev_b64 v[67:68], 4, v[69:70]
	v_ashrrev_i32_e32 v72, 31, v71
	v_add_nc_u32_e32 v73, s13, v71
	flat_load_dwordx4 v[1:4], v[65:66]
	s_waitcnt vmcnt(0) lgkmcnt(0)
	buffer_store_dword v4, off, s[0:3], 0 offset:492
	buffer_store_dword v3, off, s[0:3], 0 offset:488
	buffer_store_dword v2, off, s[0:3], 0 offset:484
	buffer_store_dword v1, off, s[0:3], 0 offset:480
	v_add_co_u32 v67, vcc_lo, s6, v67
	v_add_co_ci_u32_e64 v68, null, s7, v68, vcc_lo
	v_lshlrev_b64 v[69:70], 4, v[71:72]
	v_ashrrev_i32_e32 v74, 31, v73
	v_add_nc_u32_e32 v75, s13, v73
	flat_load_dwordx4 v[1:4], v[67:68]
	s_waitcnt vmcnt(0) lgkmcnt(0)
	buffer_store_dword v4, off, s[0:3], 0 offset:508
	buffer_store_dword v3, off, s[0:3], 0 offset:504
	buffer_store_dword v2, off, s[0:3], 0 offset:500
	buffer_store_dword v1, off, s[0:3], 0 offset:496
	v_add_co_u32 v69, vcc_lo, s6, v69
	v_add_co_ci_u32_e64 v70, null, s7, v70, vcc_lo
	v_lshlrev_b64 v[71:72], 4, v[73:74]
	v_ashrrev_i32_e32 v76, 31, v75
	v_add_nc_u32_e32 v77, s13, v75
	flat_load_dwordx4 v[1:4], v[69:70]
	s_waitcnt vmcnt(0) lgkmcnt(0)
	buffer_store_dword v4, off, s[0:3], 0 offset:524
	buffer_store_dword v3, off, s[0:3], 0 offset:520
	buffer_store_dword v2, off, s[0:3], 0 offset:516
	buffer_store_dword v1, off, s[0:3], 0 offset:512
	v_add_co_u32 v71, vcc_lo, s6, v71
	v_add_co_ci_u32_e64 v72, null, s7, v72, vcc_lo
	v_lshlrev_b64 v[73:74], 4, v[75:76]
	v_ashrrev_i32_e32 v78, 31, v77
	v_add_nc_u32_e32 v79, s13, v77
	flat_load_dwordx4 v[1:4], v[71:72]
	s_waitcnt vmcnt(0) lgkmcnt(0)
	buffer_store_dword v4, off, s[0:3], 0 offset:540
	buffer_store_dword v3, off, s[0:3], 0 offset:536
	buffer_store_dword v2, off, s[0:3], 0 offset:532
	buffer_store_dword v1, off, s[0:3], 0 offset:528
	v_add_co_u32 v73, vcc_lo, s6, v73
	v_add_co_ci_u32_e64 v74, null, s7, v74, vcc_lo
	v_lshlrev_b64 v[75:76], 4, v[77:78]
	v_ashrrev_i32_e32 v80, 31, v79
	v_add_nc_u32_e32 v81, s13, v79
	flat_load_dwordx4 v[1:4], v[73:74]
	s_waitcnt vmcnt(0) lgkmcnt(0)
	buffer_store_dword v4, off, s[0:3], 0 offset:556
	buffer_store_dword v3, off, s[0:3], 0 offset:552
	buffer_store_dword v2, off, s[0:3], 0 offset:548
	buffer_store_dword v1, off, s[0:3], 0 offset:544
	v_add_co_u32 v75, vcc_lo, s6, v75
	v_add_co_ci_u32_e64 v76, null, s7, v76, vcc_lo
	v_lshlrev_b64 v[77:78], 4, v[79:80]
	v_ashrrev_i32_e32 v82, 31, v81
	v_add_nc_u32_e32 v83, s13, v81
	flat_load_dwordx4 v[1:4], v[75:76]
	s_waitcnt vmcnt(0) lgkmcnt(0)
	buffer_store_dword v4, off, s[0:3], 0 offset:572
	buffer_store_dword v3, off, s[0:3], 0 offset:568
	buffer_store_dword v2, off, s[0:3], 0 offset:564
	buffer_store_dword v1, off, s[0:3], 0 offset:560
	v_add_co_u32 v77, vcc_lo, s6, v77
	v_add_co_ci_u32_e64 v78, null, s7, v78, vcc_lo
	v_lshlrev_b64 v[79:80], 4, v[81:82]
	v_ashrrev_i32_e32 v84, 31, v83
	v_add_nc_u32_e32 v85, s13, v83
	flat_load_dwordx4 v[1:4], v[77:78]
	s_waitcnt vmcnt(0) lgkmcnt(0)
	buffer_store_dword v4, off, s[0:3], 0 offset:588
	buffer_store_dword v3, off, s[0:3], 0 offset:584
	buffer_store_dword v2, off, s[0:3], 0 offset:580
	buffer_store_dword v1, off, s[0:3], 0 offset:576
	v_add_co_u32 v79, vcc_lo, s6, v79
	v_add_co_ci_u32_e64 v80, null, s7, v80, vcc_lo
	v_lshlrev_b64 v[81:82], 4, v[83:84]
	v_ashrrev_i32_e32 v86, 31, v85
	flat_load_dwordx4 v[1:4], v[79:80]
	s_waitcnt vmcnt(0) lgkmcnt(0)
	buffer_store_dword v4, off, s[0:3], 0 offset:604
	buffer_store_dword v3, off, s[0:3], 0 offset:600
	;; [unrolled: 1-line block ×4, first 2 shown]
	v_add_co_u32 v81, vcc_lo, s6, v81
	v_add_co_ci_u32_e64 v82, null, s7, v82, vcc_lo
	v_lshlrev_b64 v[83:84], 4, v[85:86]
	v_add_nc_u32_e32 v85, s13, v85
	s_movk_i32 s13, 0xc0
	flat_load_dwordx4 v[1:4], v[81:82]
	s_waitcnt vmcnt(0) lgkmcnt(0)
	buffer_store_dword v4, off, s[0:3], 0 offset:620
	buffer_store_dword v3, off, s[0:3], 0 offset:616
	;; [unrolled: 1-line block ×4, first 2 shown]
	v_add_co_u32 v83, vcc_lo, s6, v83
	v_add_co_ci_u32_e64 v84, null, s7, v84, vcc_lo
	v_ashrrev_i32_e32 v86, 31, v85
	flat_load_dwordx4 v[1:4], v[83:84]
	s_waitcnt vmcnt(0) lgkmcnt(0)
	buffer_store_dword v4, off, s[0:3], 0 offset:636
	buffer_store_dword v3, off, s[0:3], 0 offset:632
	buffer_store_dword v2, off, s[0:3], 0 offset:628
	buffer_store_dword v1, off, s[0:3], 0 offset:624
	v_lshlrev_b64 v[85:86], 4, v[85:86]
	v_add_co_u32 v85, vcc_lo, s6, v85
	v_add_co_ci_u32_e64 v86, null, s7, v86, vcc_lo
	s_movk_i32 s6, 0x70
	s_movk_i32 s7, 0x80
	flat_load_dwordx4 v[1:4], v[85:86]
	s_waitcnt vmcnt(0) lgkmcnt(0)
	buffer_store_dword v4, off, s[0:3], 0 offset:652
	buffer_store_dword v3, off, s[0:3], 0 offset:648
	;; [unrolled: 1-line block ×4, first 2 shown]
	s_cbranch_scc1 .LBB104_7
; %bb.2:
	v_lshl_add_u32 v94, v0, 4, 0
                                        ; implicit-def: $vgpr89_vgpr90
                                        ; implicit-def: $vgpr3_vgpr4
	s_clause 0x3
	buffer_load_dword v87, v94, s[0:3], 0 offen
	buffer_load_dword v88, v94, s[0:3], 0 offen offset:4
	buffer_load_dword v91, v94, s[0:3], 0 offen offset:8
	;; [unrolled: 1-line block ×3, first 2 shown]
	s_waitcnt vmcnt(0)
	v_cmp_ngt_f64_e64 s9, |v[87:88]|, |v[91:92]|
	s_and_saveexec_b32 s25, s9
	s_xor_b32 s9, exec_lo, s25
	s_cbranch_execz .LBB104_4
; %bb.3:
	v_div_scale_f64 v[1:2], null, v[91:92], v[91:92], v[87:88]
	v_div_scale_f64 v[95:96], vcc_lo, v[87:88], v[91:92], v[87:88]
	v_rcp_f64_e32 v[3:4], v[1:2]
	v_fma_f64 v[89:90], -v[1:2], v[3:4], 1.0
	v_fma_f64 v[3:4], v[3:4], v[89:90], v[3:4]
	v_fma_f64 v[89:90], -v[1:2], v[3:4], 1.0
	v_fma_f64 v[3:4], v[3:4], v[89:90], v[3:4]
	v_mul_f64 v[89:90], v[95:96], v[3:4]
	v_fma_f64 v[1:2], -v[1:2], v[89:90], v[95:96]
	v_div_fmas_f64 v[1:2], v[1:2], v[3:4], v[89:90]
	v_div_fixup_f64 v[1:2], v[1:2], v[91:92], v[87:88]
	v_fma_f64 v[3:4], v[87:88], v[1:2], v[91:92]
	v_div_scale_f64 v[87:88], null, v[3:4], v[3:4], 1.0
	v_div_scale_f64 v[95:96], vcc_lo, 1.0, v[3:4], 1.0
	v_rcp_f64_e32 v[89:90], v[87:88]
	v_fma_f64 v[91:92], -v[87:88], v[89:90], 1.0
	v_fma_f64 v[89:90], v[89:90], v[91:92], v[89:90]
	v_fma_f64 v[91:92], -v[87:88], v[89:90], 1.0
	v_fma_f64 v[89:90], v[89:90], v[91:92], v[89:90]
	v_mul_f64 v[91:92], v[95:96], v[89:90]
	v_fma_f64 v[87:88], -v[87:88], v[91:92], v[95:96]
	v_div_fmas_f64 v[87:88], v[87:88], v[89:90], v[91:92]
                                        ; implicit-def: $vgpr91_vgpr92
	v_div_fixup_f64 v[3:4], v[87:88], v[3:4], 1.0
                                        ; implicit-def: $vgpr87_vgpr88
	v_mul_f64 v[89:90], v[1:2], v[3:4]
	v_xor_b32_e32 v4, 0x80000000, v4
	v_xor_b32_e32 v2, 0x80000000, v90
	v_mov_b32_e32 v1, v89
.LBB104_4:
	s_andn2_saveexec_b32 s9, s9
	s_cbranch_execz .LBB104_6
; %bb.5:
	v_div_scale_f64 v[1:2], null, v[87:88], v[87:88], v[91:92]
	v_div_scale_f64 v[95:96], vcc_lo, v[91:92], v[87:88], v[91:92]
	v_rcp_f64_e32 v[3:4], v[1:2]
	v_fma_f64 v[89:90], -v[1:2], v[3:4], 1.0
	v_fma_f64 v[3:4], v[3:4], v[89:90], v[3:4]
	v_fma_f64 v[89:90], -v[1:2], v[3:4], 1.0
	v_fma_f64 v[3:4], v[3:4], v[89:90], v[3:4]
	v_mul_f64 v[89:90], v[95:96], v[3:4]
	v_fma_f64 v[1:2], -v[1:2], v[89:90], v[95:96]
	v_div_fmas_f64 v[1:2], v[1:2], v[3:4], v[89:90]
	v_div_fixup_f64 v[1:2], v[1:2], v[87:88], v[91:92]
	v_fma_f64 v[3:4], v[91:92], v[1:2], v[87:88]
	v_div_scale_f64 v[87:88], null, v[3:4], v[3:4], 1.0
	v_rcp_f64_e32 v[89:90], v[87:88]
	v_fma_f64 v[91:92], -v[87:88], v[89:90], 1.0
	v_fma_f64 v[89:90], v[89:90], v[91:92], v[89:90]
	v_fma_f64 v[91:92], -v[87:88], v[89:90], 1.0
	v_fma_f64 v[89:90], v[89:90], v[91:92], v[89:90]
	v_div_scale_f64 v[91:92], vcc_lo, 1.0, v[3:4], 1.0
	v_mul_f64 v[95:96], v[91:92], v[89:90]
	v_fma_f64 v[87:88], -v[87:88], v[95:96], v[91:92]
	v_div_fmas_f64 v[87:88], v[87:88], v[89:90], v[95:96]
	v_div_fixup_f64 v[89:90], v[87:88], v[3:4], 1.0
	v_mul_f64 v[3:4], v[1:2], -v[89:90]
	v_xor_b32_e32 v2, 0x80000000, v90
	v_mov_b32_e32 v1, v89
.LBB104_6:
	s_or_b32 exec_lo, exec_lo, s9
	buffer_store_dword v4, v94, s[0:3], 0 offen offset:12
	v_xor_b32_e32 v4, 0x80000000, v4
	buffer_store_dword v90, v94, s[0:3], 0 offen offset:4
	buffer_store_dword v89, v94, s[0:3], 0 offen
	buffer_store_dword v3, v94, s[0:3], 0 offen offset:8
	s_branch .LBB104_8
.LBB104_7:
	v_mov_b32_e32 v1, 0
	v_mov_b32_e32 v3, 0
	;; [unrolled: 1-line block ×4, first 2 shown]
.LBB104_8:
	v_add_nc_u32_e32 v88, 0x290, v93
	v_mov_b32_e32 v87, v93
	s_mov_b32 s47, 16
	s_mov_b32 s46, 32
	;; [unrolled: 1-line block ×39, first 2 shown]
	s_cmpk_eq_i32 s8, 0x79
	ds_write_b128 v93, v[1:4]
	s_cbranch_scc1 .LBB104_324
; %bb.9:
	v_mov_b32_e32 v4, s7
	v_cmp_eq_u32_e64 s4, 40, v0
	s_clause 0x3
	buffer_load_dword v1, v4, s[0:3], 0 offen
	buffer_load_dword v2, v4, s[0:3], 0 offen offset:4
	buffer_load_dword v3, v4, s[0:3], 0 offen offset:8
	;; [unrolled: 1-line block ×3, first 2 shown]
	s_waitcnt vmcnt(0)
	ds_write_b128 v88, v[1:4]
	s_waitcnt lgkmcnt(0)
	s_waitcnt_vscnt null, 0x0
	s_barrier
	buffer_gl0_inv
	s_and_saveexec_b32 s5, s4
	s_cbranch_execz .LBB104_13
; %bb.10:
	ds_read_b128 v[1:4], v88
	s_andn2_b32 vcc_lo, exec_lo, s48
	s_cbranch_vccnz .LBB104_12
; %bb.11:
	s_clause 0x3
	buffer_load_dword v89, v87, s[0:3], 0 offen offset:8
	buffer_load_dword v90, v87, s[0:3], 0 offen offset:12
	buffer_load_dword v91, v87, s[0:3], 0 offen
	buffer_load_dword v92, v87, s[0:3], 0 offen offset:4
	s_waitcnt vmcnt(2) lgkmcnt(0)
	v_mul_f64 v[94:95], v[3:4], v[89:90]
	v_mul_f64 v[89:90], v[1:2], v[89:90]
	s_waitcnt vmcnt(0)
	v_fma_f64 v[1:2], v[1:2], v[91:92], -v[94:95]
	v_fma_f64 v[3:4], v[3:4], v[91:92], v[89:90]
.LBB104_12:
	v_mov_b32_e32 v89, 0
	ds_read_b128 v[89:92], v89 offset:624
	s_waitcnt lgkmcnt(0)
	v_mul_f64 v[94:95], v[3:4], v[91:92]
	v_mul_f64 v[91:92], v[1:2], v[91:92]
	v_fma_f64 v[1:2], v[1:2], v[89:90], -v[94:95]
	v_fma_f64 v[3:4], v[3:4], v[89:90], v[91:92]
	buffer_store_dword v2, off, s[0:3], 0 offset:628
	buffer_store_dword v1, off, s[0:3], 0 offset:624
	;; [unrolled: 1-line block ×4, first 2 shown]
.LBB104_13:
	s_or_b32 exec_lo, exec_lo, s5
	v_mov_b32_e32 v4, s9
	v_cmp_lt_u32_e64 s5, 38, v0
	s_clause 0x3
	buffer_load_dword v1, v4, s[0:3], 0 offen
	buffer_load_dword v2, v4, s[0:3], 0 offen offset:4
	buffer_load_dword v3, v4, s[0:3], 0 offen offset:8
	;; [unrolled: 1-line block ×3, first 2 shown]
	s_waitcnt vmcnt(0)
	ds_write_b128 v88, v[1:4]
	s_waitcnt lgkmcnt(0)
	s_waitcnt_vscnt null, 0x0
	s_barrier
	buffer_gl0_inv
	s_and_saveexec_b32 s8, s5
	s_cbranch_execz .LBB104_19
; %bb.14:
	ds_read_b128 v[1:4], v88
	s_andn2_b32 vcc_lo, exec_lo, s48
	s_cbranch_vccnz .LBB104_16
; %bb.15:
	s_clause 0x3
	buffer_load_dword v89, v87, s[0:3], 0 offen offset:8
	buffer_load_dword v90, v87, s[0:3], 0 offen offset:12
	buffer_load_dword v91, v87, s[0:3], 0 offen
	buffer_load_dword v92, v87, s[0:3], 0 offen offset:4
	s_waitcnt vmcnt(2) lgkmcnt(0)
	v_mul_f64 v[94:95], v[3:4], v[89:90]
	v_mul_f64 v[89:90], v[1:2], v[89:90]
	s_waitcnt vmcnt(0)
	v_fma_f64 v[1:2], v[1:2], v[91:92], -v[94:95]
	v_fma_f64 v[3:4], v[3:4], v[91:92], v[89:90]
.LBB104_16:
	s_and_saveexec_b32 s49, s4
	s_cbranch_execz .LBB104_18
; %bb.17:
	s_clause 0x3
	buffer_load_dword v94, off, s[0:3], 0 offset:632
	buffer_load_dword v95, off, s[0:3], 0 offset:636
	;; [unrolled: 1-line block ×4, first 2 shown]
	v_mov_b32_e32 v89, 0
	ds_read_b128 v[89:92], v89 offset:1280
	s_waitcnt vmcnt(2) lgkmcnt(0)
	v_mul_f64 v[98:99], v[89:90], v[94:95]
	v_mul_f64 v[94:95], v[91:92], v[94:95]
	s_waitcnt vmcnt(0)
	v_fma_f64 v[91:92], v[91:92], v[96:97], v[98:99]
	v_fma_f64 v[89:90], v[89:90], v[96:97], -v[94:95]
	v_add_f64 v[3:4], v[3:4], v[91:92]
	v_add_f64 v[1:2], v[1:2], v[89:90]
.LBB104_18:
	s_or_b32 exec_lo, exec_lo, s49
	v_mov_b32_e32 v89, 0
	ds_read_b128 v[89:92], v89 offset:608
	s_waitcnt lgkmcnt(0)
	v_mul_f64 v[94:95], v[3:4], v[91:92]
	v_mul_f64 v[91:92], v[1:2], v[91:92]
	v_fma_f64 v[1:2], v[1:2], v[89:90], -v[94:95]
	v_fma_f64 v[3:4], v[3:4], v[89:90], v[91:92]
	buffer_store_dword v2, off, s[0:3], 0 offset:612
	buffer_store_dword v1, off, s[0:3], 0 offset:608
	;; [unrolled: 1-line block ×4, first 2 shown]
.LBB104_19:
	s_or_b32 exec_lo, exec_lo, s8
	v_mov_b32_e32 v4, s10
	v_cmp_lt_u32_e64 s4, 37, v0
	s_clause 0x3
	buffer_load_dword v1, v4, s[0:3], 0 offen
	buffer_load_dword v2, v4, s[0:3], 0 offen offset:4
	buffer_load_dword v3, v4, s[0:3], 0 offen offset:8
	;; [unrolled: 1-line block ×3, first 2 shown]
	s_waitcnt vmcnt(0)
	ds_write_b128 v88, v[1:4]
	s_waitcnt lgkmcnt(0)
	s_waitcnt_vscnt null, 0x0
	s_barrier
	buffer_gl0_inv
	s_and_saveexec_b32 s8, s4
	s_cbranch_execz .LBB104_27
; %bb.20:
	ds_read_b128 v[1:4], v88
	s_andn2_b32 vcc_lo, exec_lo, s48
	s_cbranch_vccnz .LBB104_22
; %bb.21:
	s_clause 0x3
	buffer_load_dword v89, v87, s[0:3], 0 offen offset:8
	buffer_load_dword v90, v87, s[0:3], 0 offen offset:12
	buffer_load_dword v91, v87, s[0:3], 0 offen
	buffer_load_dword v92, v87, s[0:3], 0 offen offset:4
	s_waitcnt vmcnt(2) lgkmcnt(0)
	v_mul_f64 v[94:95], v[3:4], v[89:90]
	v_mul_f64 v[89:90], v[1:2], v[89:90]
	s_waitcnt vmcnt(0)
	v_fma_f64 v[1:2], v[1:2], v[91:92], -v[94:95]
	v_fma_f64 v[3:4], v[3:4], v[91:92], v[89:90]
.LBB104_22:
	s_and_saveexec_b32 s49, s5
	s_cbranch_execz .LBB104_26
; %bb.23:
	v_subrev_nc_u32_e32 v89, 38, v0
	s_movk_i32 s50, 0x4f0
	s_mov_b32 s5, 0
	s_mov_b32 s51, s9
	.p2align	6
.LBB104_24:                             ; =>This Inner Loop Header: Depth=1
	v_mov_b32_e32 v92, s51
	v_add_nc_u32_e32 v89, -1, v89
	s_add_i32 s51, s51, 16
	s_clause 0x3
	buffer_load_dword v90, v92, s[0:3], 0 offen offset:8
	buffer_load_dword v91, v92, s[0:3], 0 offen offset:12
	buffer_load_dword v98, v92, s[0:3], 0 offen
	buffer_load_dword v99, v92, s[0:3], 0 offen offset:4
	v_mov_b32_e32 v92, s50
	v_cmp_eq_u32_e32 vcc_lo, 0, v89
	s_add_i32 s50, s50, 16
	ds_read_b128 v[94:97], v92
	s_or_b32 s5, vcc_lo, s5
	s_waitcnt vmcnt(2) lgkmcnt(0)
	v_mul_f64 v[100:101], v[96:97], v[90:91]
	v_mul_f64 v[90:91], v[94:95], v[90:91]
	s_waitcnt vmcnt(0)
	v_fma_f64 v[94:95], v[94:95], v[98:99], -v[100:101]
	v_fma_f64 v[90:91], v[96:97], v[98:99], v[90:91]
	v_add_f64 v[1:2], v[1:2], v[94:95]
	v_add_f64 v[3:4], v[3:4], v[90:91]
	s_andn2_b32 exec_lo, exec_lo, s5
	s_cbranch_execnz .LBB104_24
; %bb.25:
	s_or_b32 exec_lo, exec_lo, s5
.LBB104_26:
	s_or_b32 exec_lo, exec_lo, s49
	v_mov_b32_e32 v89, 0
	ds_read_b128 v[89:92], v89 offset:592
	s_waitcnt lgkmcnt(0)
	v_mul_f64 v[94:95], v[3:4], v[91:92]
	v_mul_f64 v[91:92], v[1:2], v[91:92]
	v_fma_f64 v[1:2], v[1:2], v[89:90], -v[94:95]
	v_fma_f64 v[3:4], v[3:4], v[89:90], v[91:92]
	buffer_store_dword v2, off, s[0:3], 0 offset:596
	buffer_store_dword v1, off, s[0:3], 0 offset:592
	;; [unrolled: 1-line block ×4, first 2 shown]
.LBB104_27:
	s_or_b32 exec_lo, exec_lo, s8
	v_mov_b32_e32 v4, s11
	v_cmp_lt_u32_e64 s5, 36, v0
	s_clause 0x3
	buffer_load_dword v1, v4, s[0:3], 0 offen
	buffer_load_dword v2, v4, s[0:3], 0 offen offset:4
	buffer_load_dword v3, v4, s[0:3], 0 offen offset:8
	;; [unrolled: 1-line block ×3, first 2 shown]
	s_waitcnt vmcnt(0)
	ds_write_b128 v88, v[1:4]
	s_waitcnt lgkmcnt(0)
	s_waitcnt_vscnt null, 0x0
	s_barrier
	buffer_gl0_inv
	s_and_saveexec_b32 s8, s5
	s_cbranch_execz .LBB104_35
; %bb.28:
	ds_read_b128 v[1:4], v88
	s_andn2_b32 vcc_lo, exec_lo, s48
	s_cbranch_vccnz .LBB104_30
; %bb.29:
	s_clause 0x3
	buffer_load_dword v89, v87, s[0:3], 0 offen offset:8
	buffer_load_dword v90, v87, s[0:3], 0 offen offset:12
	buffer_load_dword v91, v87, s[0:3], 0 offen
	buffer_load_dword v92, v87, s[0:3], 0 offen offset:4
	s_waitcnt vmcnt(2) lgkmcnt(0)
	v_mul_f64 v[94:95], v[3:4], v[89:90]
	v_mul_f64 v[89:90], v[1:2], v[89:90]
	s_waitcnt vmcnt(0)
	v_fma_f64 v[1:2], v[1:2], v[91:92], -v[94:95]
	v_fma_f64 v[3:4], v[3:4], v[91:92], v[89:90]
.LBB104_30:
	s_and_saveexec_b32 s49, s4
	s_cbranch_execz .LBB104_34
; %bb.31:
	v_subrev_nc_u32_e32 v89, 37, v0
	s_movk_i32 s50, 0x4e0
	s_mov_b32 s4, 0
	s_mov_b32 s51, s10
	.p2align	6
.LBB104_32:                             ; =>This Inner Loop Header: Depth=1
	v_mov_b32_e32 v92, s51
	v_add_nc_u32_e32 v89, -1, v89
	s_add_i32 s51, s51, 16
	s_clause 0x3
	buffer_load_dword v90, v92, s[0:3], 0 offen offset:8
	buffer_load_dword v91, v92, s[0:3], 0 offen offset:12
	buffer_load_dword v98, v92, s[0:3], 0 offen
	buffer_load_dword v99, v92, s[0:3], 0 offen offset:4
	v_mov_b32_e32 v92, s50
	v_cmp_eq_u32_e32 vcc_lo, 0, v89
	s_add_i32 s50, s50, 16
	ds_read_b128 v[94:97], v92
	s_or_b32 s4, vcc_lo, s4
	s_waitcnt vmcnt(2) lgkmcnt(0)
	v_mul_f64 v[100:101], v[96:97], v[90:91]
	v_mul_f64 v[90:91], v[94:95], v[90:91]
	s_waitcnt vmcnt(0)
	v_fma_f64 v[94:95], v[94:95], v[98:99], -v[100:101]
	v_fma_f64 v[90:91], v[96:97], v[98:99], v[90:91]
	v_add_f64 v[1:2], v[1:2], v[94:95]
	v_add_f64 v[3:4], v[3:4], v[90:91]
	s_andn2_b32 exec_lo, exec_lo, s4
	s_cbranch_execnz .LBB104_32
; %bb.33:
	s_or_b32 exec_lo, exec_lo, s4
.LBB104_34:
	s_or_b32 exec_lo, exec_lo, s49
	v_mov_b32_e32 v89, 0
	ds_read_b128 v[89:92], v89 offset:576
	s_waitcnt lgkmcnt(0)
	v_mul_f64 v[94:95], v[3:4], v[91:92]
	v_mul_f64 v[91:92], v[1:2], v[91:92]
	v_fma_f64 v[1:2], v[1:2], v[89:90], -v[94:95]
	v_fma_f64 v[3:4], v[3:4], v[89:90], v[91:92]
	buffer_store_dword v2, off, s[0:3], 0 offset:580
	buffer_store_dword v1, off, s[0:3], 0 offset:576
	;; [unrolled: 1-line block ×4, first 2 shown]
.LBB104_35:
	s_or_b32 exec_lo, exec_lo, s8
	v_mov_b32_e32 v4, s12
	v_cmp_lt_u32_e64 s4, 35, v0
	s_clause 0x3
	buffer_load_dword v1, v4, s[0:3], 0 offen
	buffer_load_dword v2, v4, s[0:3], 0 offen offset:4
	buffer_load_dword v3, v4, s[0:3], 0 offen offset:8
	buffer_load_dword v4, v4, s[0:3], 0 offen offset:12
	s_waitcnt vmcnt(0)
	ds_write_b128 v88, v[1:4]
	s_waitcnt lgkmcnt(0)
	s_waitcnt_vscnt null, 0x0
	s_barrier
	buffer_gl0_inv
	s_and_saveexec_b32 s8, s4
	s_cbranch_execz .LBB104_43
; %bb.36:
	ds_read_b128 v[1:4], v88
	s_andn2_b32 vcc_lo, exec_lo, s48
	s_cbranch_vccnz .LBB104_38
; %bb.37:
	s_clause 0x3
	buffer_load_dword v89, v87, s[0:3], 0 offen offset:8
	buffer_load_dword v90, v87, s[0:3], 0 offen offset:12
	buffer_load_dword v91, v87, s[0:3], 0 offen
	buffer_load_dword v92, v87, s[0:3], 0 offen offset:4
	s_waitcnt vmcnt(2) lgkmcnt(0)
	v_mul_f64 v[94:95], v[3:4], v[89:90]
	v_mul_f64 v[89:90], v[1:2], v[89:90]
	s_waitcnt vmcnt(0)
	v_fma_f64 v[1:2], v[1:2], v[91:92], -v[94:95]
	v_fma_f64 v[3:4], v[3:4], v[91:92], v[89:90]
.LBB104_38:
	s_and_saveexec_b32 s49, s5
	s_cbranch_execz .LBB104_42
; %bb.39:
	v_subrev_nc_u32_e32 v89, 36, v0
	s_movk_i32 s50, 0x4d0
	s_mov_b32 s5, 0
	s_mov_b32 s51, s11
	.p2align	6
.LBB104_40:                             ; =>This Inner Loop Header: Depth=1
	v_mov_b32_e32 v92, s51
	v_add_nc_u32_e32 v89, -1, v89
	s_add_i32 s51, s51, 16
	s_clause 0x3
	buffer_load_dword v90, v92, s[0:3], 0 offen offset:8
	buffer_load_dword v91, v92, s[0:3], 0 offen offset:12
	buffer_load_dword v98, v92, s[0:3], 0 offen
	buffer_load_dword v99, v92, s[0:3], 0 offen offset:4
	v_mov_b32_e32 v92, s50
	v_cmp_eq_u32_e32 vcc_lo, 0, v89
	s_add_i32 s50, s50, 16
	ds_read_b128 v[94:97], v92
	s_or_b32 s5, vcc_lo, s5
	s_waitcnt vmcnt(2) lgkmcnt(0)
	v_mul_f64 v[100:101], v[96:97], v[90:91]
	v_mul_f64 v[90:91], v[94:95], v[90:91]
	s_waitcnt vmcnt(0)
	v_fma_f64 v[94:95], v[94:95], v[98:99], -v[100:101]
	v_fma_f64 v[90:91], v[96:97], v[98:99], v[90:91]
	v_add_f64 v[1:2], v[1:2], v[94:95]
	v_add_f64 v[3:4], v[3:4], v[90:91]
	s_andn2_b32 exec_lo, exec_lo, s5
	s_cbranch_execnz .LBB104_40
; %bb.41:
	s_or_b32 exec_lo, exec_lo, s5
.LBB104_42:
	s_or_b32 exec_lo, exec_lo, s49
	v_mov_b32_e32 v89, 0
	ds_read_b128 v[89:92], v89 offset:560
	s_waitcnt lgkmcnt(0)
	v_mul_f64 v[94:95], v[3:4], v[91:92]
	v_mul_f64 v[91:92], v[1:2], v[91:92]
	v_fma_f64 v[1:2], v[1:2], v[89:90], -v[94:95]
	v_fma_f64 v[3:4], v[3:4], v[89:90], v[91:92]
	buffer_store_dword v2, off, s[0:3], 0 offset:564
	buffer_store_dword v1, off, s[0:3], 0 offset:560
	;; [unrolled: 1-line block ×4, first 2 shown]
.LBB104_43:
	s_or_b32 exec_lo, exec_lo, s8
	v_mov_b32_e32 v4, s13
	v_cmp_lt_u32_e64 s5, 34, v0
	s_clause 0x3
	buffer_load_dword v1, v4, s[0:3], 0 offen
	buffer_load_dword v2, v4, s[0:3], 0 offen offset:4
	buffer_load_dword v3, v4, s[0:3], 0 offen offset:8
	;; [unrolled: 1-line block ×3, first 2 shown]
	s_waitcnt vmcnt(0)
	ds_write_b128 v88, v[1:4]
	s_waitcnt lgkmcnt(0)
	s_waitcnt_vscnt null, 0x0
	s_barrier
	buffer_gl0_inv
	s_and_saveexec_b32 s8, s5
	s_cbranch_execz .LBB104_51
; %bb.44:
	ds_read_b128 v[1:4], v88
	s_andn2_b32 vcc_lo, exec_lo, s48
	s_cbranch_vccnz .LBB104_46
; %bb.45:
	s_clause 0x3
	buffer_load_dword v89, v87, s[0:3], 0 offen offset:8
	buffer_load_dword v90, v87, s[0:3], 0 offen offset:12
	buffer_load_dword v91, v87, s[0:3], 0 offen
	buffer_load_dword v92, v87, s[0:3], 0 offen offset:4
	s_waitcnt vmcnt(2) lgkmcnt(0)
	v_mul_f64 v[94:95], v[3:4], v[89:90]
	v_mul_f64 v[89:90], v[1:2], v[89:90]
	s_waitcnt vmcnt(0)
	v_fma_f64 v[1:2], v[1:2], v[91:92], -v[94:95]
	v_fma_f64 v[3:4], v[3:4], v[91:92], v[89:90]
.LBB104_46:
	s_and_saveexec_b32 s49, s4
	s_cbranch_execz .LBB104_50
; %bb.47:
	v_subrev_nc_u32_e32 v89, 35, v0
	s_movk_i32 s50, 0x4c0
	s_mov_b32 s4, 0
	s_mov_b32 s51, s12
	.p2align	6
.LBB104_48:                             ; =>This Inner Loop Header: Depth=1
	v_mov_b32_e32 v92, s51
	v_add_nc_u32_e32 v89, -1, v89
	s_add_i32 s51, s51, 16
	s_clause 0x3
	buffer_load_dword v90, v92, s[0:3], 0 offen offset:8
	buffer_load_dword v91, v92, s[0:3], 0 offen offset:12
	buffer_load_dword v98, v92, s[0:3], 0 offen
	buffer_load_dword v99, v92, s[0:3], 0 offen offset:4
	v_mov_b32_e32 v92, s50
	v_cmp_eq_u32_e32 vcc_lo, 0, v89
	s_add_i32 s50, s50, 16
	ds_read_b128 v[94:97], v92
	s_or_b32 s4, vcc_lo, s4
	s_waitcnt vmcnt(2) lgkmcnt(0)
	v_mul_f64 v[100:101], v[96:97], v[90:91]
	v_mul_f64 v[90:91], v[94:95], v[90:91]
	s_waitcnt vmcnt(0)
	v_fma_f64 v[94:95], v[94:95], v[98:99], -v[100:101]
	v_fma_f64 v[90:91], v[96:97], v[98:99], v[90:91]
	v_add_f64 v[1:2], v[1:2], v[94:95]
	v_add_f64 v[3:4], v[3:4], v[90:91]
	s_andn2_b32 exec_lo, exec_lo, s4
	s_cbranch_execnz .LBB104_48
; %bb.49:
	s_or_b32 exec_lo, exec_lo, s4
.LBB104_50:
	s_or_b32 exec_lo, exec_lo, s49
	v_mov_b32_e32 v89, 0
	ds_read_b128 v[89:92], v89 offset:544
	s_waitcnt lgkmcnt(0)
	v_mul_f64 v[94:95], v[3:4], v[91:92]
	v_mul_f64 v[91:92], v[1:2], v[91:92]
	v_fma_f64 v[1:2], v[1:2], v[89:90], -v[94:95]
	v_fma_f64 v[3:4], v[3:4], v[89:90], v[91:92]
	buffer_store_dword v2, off, s[0:3], 0 offset:548
	buffer_store_dword v1, off, s[0:3], 0 offset:544
	;; [unrolled: 1-line block ×4, first 2 shown]
.LBB104_51:
	s_or_b32 exec_lo, exec_lo, s8
	v_mov_b32_e32 v4, s14
	v_cmp_lt_u32_e64 s4, 33, v0
	s_clause 0x3
	buffer_load_dword v1, v4, s[0:3], 0 offen
	buffer_load_dword v2, v4, s[0:3], 0 offen offset:4
	buffer_load_dword v3, v4, s[0:3], 0 offen offset:8
	;; [unrolled: 1-line block ×3, first 2 shown]
	s_waitcnt vmcnt(0)
	ds_write_b128 v88, v[1:4]
	s_waitcnt lgkmcnt(0)
	s_waitcnt_vscnt null, 0x0
	s_barrier
	buffer_gl0_inv
	s_and_saveexec_b32 s8, s4
	s_cbranch_execz .LBB104_59
; %bb.52:
	ds_read_b128 v[1:4], v88
	s_andn2_b32 vcc_lo, exec_lo, s48
	s_cbranch_vccnz .LBB104_54
; %bb.53:
	s_clause 0x3
	buffer_load_dword v89, v87, s[0:3], 0 offen offset:8
	buffer_load_dword v90, v87, s[0:3], 0 offen offset:12
	buffer_load_dword v91, v87, s[0:3], 0 offen
	buffer_load_dword v92, v87, s[0:3], 0 offen offset:4
	s_waitcnt vmcnt(2) lgkmcnt(0)
	v_mul_f64 v[94:95], v[3:4], v[89:90]
	v_mul_f64 v[89:90], v[1:2], v[89:90]
	s_waitcnt vmcnt(0)
	v_fma_f64 v[1:2], v[1:2], v[91:92], -v[94:95]
	v_fma_f64 v[3:4], v[3:4], v[91:92], v[89:90]
.LBB104_54:
	s_and_saveexec_b32 s49, s5
	s_cbranch_execz .LBB104_58
; %bb.55:
	v_subrev_nc_u32_e32 v89, 34, v0
	s_movk_i32 s50, 0x4b0
	s_mov_b32 s5, 0
	s_mov_b32 s51, s13
	.p2align	6
.LBB104_56:                             ; =>This Inner Loop Header: Depth=1
	v_mov_b32_e32 v92, s51
	v_add_nc_u32_e32 v89, -1, v89
	s_add_i32 s51, s51, 16
	s_clause 0x3
	buffer_load_dword v90, v92, s[0:3], 0 offen offset:8
	buffer_load_dword v91, v92, s[0:3], 0 offen offset:12
	buffer_load_dword v98, v92, s[0:3], 0 offen
	buffer_load_dword v99, v92, s[0:3], 0 offen offset:4
	v_mov_b32_e32 v92, s50
	v_cmp_eq_u32_e32 vcc_lo, 0, v89
	s_add_i32 s50, s50, 16
	ds_read_b128 v[94:97], v92
	s_or_b32 s5, vcc_lo, s5
	s_waitcnt vmcnt(2) lgkmcnt(0)
	v_mul_f64 v[100:101], v[96:97], v[90:91]
	v_mul_f64 v[90:91], v[94:95], v[90:91]
	s_waitcnt vmcnt(0)
	v_fma_f64 v[94:95], v[94:95], v[98:99], -v[100:101]
	v_fma_f64 v[90:91], v[96:97], v[98:99], v[90:91]
	v_add_f64 v[1:2], v[1:2], v[94:95]
	v_add_f64 v[3:4], v[3:4], v[90:91]
	s_andn2_b32 exec_lo, exec_lo, s5
	s_cbranch_execnz .LBB104_56
; %bb.57:
	s_or_b32 exec_lo, exec_lo, s5
.LBB104_58:
	s_or_b32 exec_lo, exec_lo, s49
	v_mov_b32_e32 v89, 0
	ds_read_b128 v[89:92], v89 offset:528
	s_waitcnt lgkmcnt(0)
	v_mul_f64 v[94:95], v[3:4], v[91:92]
	v_mul_f64 v[91:92], v[1:2], v[91:92]
	v_fma_f64 v[1:2], v[1:2], v[89:90], -v[94:95]
	v_fma_f64 v[3:4], v[3:4], v[89:90], v[91:92]
	buffer_store_dword v2, off, s[0:3], 0 offset:532
	buffer_store_dword v1, off, s[0:3], 0 offset:528
	;; [unrolled: 1-line block ×4, first 2 shown]
.LBB104_59:
	s_or_b32 exec_lo, exec_lo, s8
	v_mov_b32_e32 v4, s15
	v_cmp_lt_u32_e64 s5, 32, v0
	s_clause 0x3
	buffer_load_dword v1, v4, s[0:3], 0 offen
	buffer_load_dword v2, v4, s[0:3], 0 offen offset:4
	buffer_load_dword v3, v4, s[0:3], 0 offen offset:8
	;; [unrolled: 1-line block ×3, first 2 shown]
	s_waitcnt vmcnt(0)
	ds_write_b128 v88, v[1:4]
	s_waitcnt lgkmcnt(0)
	s_waitcnt_vscnt null, 0x0
	s_barrier
	buffer_gl0_inv
	s_and_saveexec_b32 s8, s5
	s_cbranch_execz .LBB104_67
; %bb.60:
	ds_read_b128 v[1:4], v88
	s_andn2_b32 vcc_lo, exec_lo, s48
	s_cbranch_vccnz .LBB104_62
; %bb.61:
	s_clause 0x3
	buffer_load_dword v89, v87, s[0:3], 0 offen offset:8
	buffer_load_dword v90, v87, s[0:3], 0 offen offset:12
	buffer_load_dword v91, v87, s[0:3], 0 offen
	buffer_load_dword v92, v87, s[0:3], 0 offen offset:4
	s_waitcnt vmcnt(2) lgkmcnt(0)
	v_mul_f64 v[94:95], v[3:4], v[89:90]
	v_mul_f64 v[89:90], v[1:2], v[89:90]
	s_waitcnt vmcnt(0)
	v_fma_f64 v[1:2], v[1:2], v[91:92], -v[94:95]
	v_fma_f64 v[3:4], v[3:4], v[91:92], v[89:90]
.LBB104_62:
	s_and_saveexec_b32 s49, s4
	s_cbranch_execz .LBB104_66
; %bb.63:
	v_subrev_nc_u32_e32 v89, 33, v0
	s_movk_i32 s50, 0x4a0
	s_mov_b32 s4, 0
	s_mov_b32 s51, s14
	.p2align	6
.LBB104_64:                             ; =>This Inner Loop Header: Depth=1
	v_mov_b32_e32 v92, s51
	v_add_nc_u32_e32 v89, -1, v89
	s_add_i32 s51, s51, 16
	s_clause 0x3
	buffer_load_dword v90, v92, s[0:3], 0 offen offset:8
	buffer_load_dword v91, v92, s[0:3], 0 offen offset:12
	buffer_load_dword v98, v92, s[0:3], 0 offen
	buffer_load_dword v99, v92, s[0:3], 0 offen offset:4
	v_mov_b32_e32 v92, s50
	v_cmp_eq_u32_e32 vcc_lo, 0, v89
	s_add_i32 s50, s50, 16
	ds_read_b128 v[94:97], v92
	s_or_b32 s4, vcc_lo, s4
	s_waitcnt vmcnt(2) lgkmcnt(0)
	v_mul_f64 v[100:101], v[96:97], v[90:91]
	v_mul_f64 v[90:91], v[94:95], v[90:91]
	s_waitcnt vmcnt(0)
	v_fma_f64 v[94:95], v[94:95], v[98:99], -v[100:101]
	v_fma_f64 v[90:91], v[96:97], v[98:99], v[90:91]
	v_add_f64 v[1:2], v[1:2], v[94:95]
	v_add_f64 v[3:4], v[3:4], v[90:91]
	s_andn2_b32 exec_lo, exec_lo, s4
	s_cbranch_execnz .LBB104_64
; %bb.65:
	s_or_b32 exec_lo, exec_lo, s4
.LBB104_66:
	s_or_b32 exec_lo, exec_lo, s49
	v_mov_b32_e32 v89, 0
	ds_read_b128 v[89:92], v89 offset:512
	s_waitcnt lgkmcnt(0)
	v_mul_f64 v[94:95], v[3:4], v[91:92]
	v_mul_f64 v[91:92], v[1:2], v[91:92]
	v_fma_f64 v[1:2], v[1:2], v[89:90], -v[94:95]
	v_fma_f64 v[3:4], v[3:4], v[89:90], v[91:92]
	buffer_store_dword v2, off, s[0:3], 0 offset:516
	buffer_store_dword v1, off, s[0:3], 0 offset:512
	;; [unrolled: 1-line block ×4, first 2 shown]
.LBB104_67:
	s_or_b32 exec_lo, exec_lo, s8
	v_mov_b32_e32 v4, s16
	v_cmp_lt_u32_e64 s4, 31, v0
	s_clause 0x3
	buffer_load_dword v1, v4, s[0:3], 0 offen
	buffer_load_dword v2, v4, s[0:3], 0 offen offset:4
	buffer_load_dword v3, v4, s[0:3], 0 offen offset:8
	buffer_load_dword v4, v4, s[0:3], 0 offen offset:12
	s_waitcnt vmcnt(0)
	ds_write_b128 v88, v[1:4]
	s_waitcnt lgkmcnt(0)
	s_waitcnt_vscnt null, 0x0
	s_barrier
	buffer_gl0_inv
	s_and_saveexec_b32 s8, s4
	s_cbranch_execz .LBB104_75
; %bb.68:
	ds_read_b128 v[1:4], v88
	s_andn2_b32 vcc_lo, exec_lo, s48
	s_cbranch_vccnz .LBB104_70
; %bb.69:
	s_clause 0x3
	buffer_load_dword v89, v87, s[0:3], 0 offen offset:8
	buffer_load_dword v90, v87, s[0:3], 0 offen offset:12
	buffer_load_dword v91, v87, s[0:3], 0 offen
	buffer_load_dword v92, v87, s[0:3], 0 offen offset:4
	s_waitcnt vmcnt(2) lgkmcnt(0)
	v_mul_f64 v[94:95], v[3:4], v[89:90]
	v_mul_f64 v[89:90], v[1:2], v[89:90]
	s_waitcnt vmcnt(0)
	v_fma_f64 v[1:2], v[1:2], v[91:92], -v[94:95]
	v_fma_f64 v[3:4], v[3:4], v[91:92], v[89:90]
.LBB104_70:
	s_and_saveexec_b32 s49, s5
	s_cbranch_execz .LBB104_74
; %bb.71:
	v_subrev_nc_u32_e32 v89, 32, v0
	s_movk_i32 s50, 0x490
	s_mov_b32 s5, 0
	s_mov_b32 s51, s15
	.p2align	6
.LBB104_72:                             ; =>This Inner Loop Header: Depth=1
	v_mov_b32_e32 v92, s51
	v_add_nc_u32_e32 v89, -1, v89
	s_add_i32 s51, s51, 16
	s_clause 0x3
	buffer_load_dword v90, v92, s[0:3], 0 offen offset:8
	buffer_load_dword v91, v92, s[0:3], 0 offen offset:12
	buffer_load_dword v98, v92, s[0:3], 0 offen
	buffer_load_dword v99, v92, s[0:3], 0 offen offset:4
	v_mov_b32_e32 v92, s50
	v_cmp_eq_u32_e32 vcc_lo, 0, v89
	s_add_i32 s50, s50, 16
	ds_read_b128 v[94:97], v92
	s_or_b32 s5, vcc_lo, s5
	s_waitcnt vmcnt(2) lgkmcnt(0)
	v_mul_f64 v[100:101], v[96:97], v[90:91]
	v_mul_f64 v[90:91], v[94:95], v[90:91]
	s_waitcnt vmcnt(0)
	v_fma_f64 v[94:95], v[94:95], v[98:99], -v[100:101]
	v_fma_f64 v[90:91], v[96:97], v[98:99], v[90:91]
	v_add_f64 v[1:2], v[1:2], v[94:95]
	v_add_f64 v[3:4], v[3:4], v[90:91]
	s_andn2_b32 exec_lo, exec_lo, s5
	s_cbranch_execnz .LBB104_72
; %bb.73:
	s_or_b32 exec_lo, exec_lo, s5
.LBB104_74:
	s_or_b32 exec_lo, exec_lo, s49
	v_mov_b32_e32 v89, 0
	ds_read_b128 v[89:92], v89 offset:496
	s_waitcnt lgkmcnt(0)
	v_mul_f64 v[94:95], v[3:4], v[91:92]
	v_mul_f64 v[91:92], v[1:2], v[91:92]
	v_fma_f64 v[1:2], v[1:2], v[89:90], -v[94:95]
	v_fma_f64 v[3:4], v[3:4], v[89:90], v[91:92]
	buffer_store_dword v2, off, s[0:3], 0 offset:500
	buffer_store_dword v1, off, s[0:3], 0 offset:496
	;; [unrolled: 1-line block ×4, first 2 shown]
.LBB104_75:
	s_or_b32 exec_lo, exec_lo, s8
	v_mov_b32_e32 v4, s17
	v_cmp_lt_u32_e64 s5, 30, v0
	s_clause 0x3
	buffer_load_dword v1, v4, s[0:3], 0 offen
	buffer_load_dword v2, v4, s[0:3], 0 offen offset:4
	buffer_load_dword v3, v4, s[0:3], 0 offen offset:8
	;; [unrolled: 1-line block ×3, first 2 shown]
	s_waitcnt vmcnt(0)
	ds_write_b128 v88, v[1:4]
	s_waitcnt lgkmcnt(0)
	s_waitcnt_vscnt null, 0x0
	s_barrier
	buffer_gl0_inv
	s_and_saveexec_b32 s8, s5
	s_cbranch_execz .LBB104_83
; %bb.76:
	ds_read_b128 v[1:4], v88
	s_andn2_b32 vcc_lo, exec_lo, s48
	s_cbranch_vccnz .LBB104_78
; %bb.77:
	s_clause 0x3
	buffer_load_dword v89, v87, s[0:3], 0 offen offset:8
	buffer_load_dword v90, v87, s[0:3], 0 offen offset:12
	buffer_load_dword v91, v87, s[0:3], 0 offen
	buffer_load_dword v92, v87, s[0:3], 0 offen offset:4
	s_waitcnt vmcnt(2) lgkmcnt(0)
	v_mul_f64 v[94:95], v[3:4], v[89:90]
	v_mul_f64 v[89:90], v[1:2], v[89:90]
	s_waitcnt vmcnt(0)
	v_fma_f64 v[1:2], v[1:2], v[91:92], -v[94:95]
	v_fma_f64 v[3:4], v[3:4], v[91:92], v[89:90]
.LBB104_78:
	s_and_saveexec_b32 s49, s4
	s_cbranch_execz .LBB104_82
; %bb.79:
	v_subrev_nc_u32_e32 v89, 31, v0
	s_movk_i32 s50, 0x480
	s_mov_b32 s4, 0
	s_mov_b32 s51, s16
	.p2align	6
.LBB104_80:                             ; =>This Inner Loop Header: Depth=1
	v_mov_b32_e32 v92, s51
	v_add_nc_u32_e32 v89, -1, v89
	s_add_i32 s51, s51, 16
	s_clause 0x3
	buffer_load_dword v90, v92, s[0:3], 0 offen offset:8
	buffer_load_dword v91, v92, s[0:3], 0 offen offset:12
	buffer_load_dword v98, v92, s[0:3], 0 offen
	buffer_load_dword v99, v92, s[0:3], 0 offen offset:4
	v_mov_b32_e32 v92, s50
	v_cmp_eq_u32_e32 vcc_lo, 0, v89
	s_add_i32 s50, s50, 16
	ds_read_b128 v[94:97], v92
	s_or_b32 s4, vcc_lo, s4
	s_waitcnt vmcnt(2) lgkmcnt(0)
	v_mul_f64 v[100:101], v[96:97], v[90:91]
	v_mul_f64 v[90:91], v[94:95], v[90:91]
	s_waitcnt vmcnt(0)
	v_fma_f64 v[94:95], v[94:95], v[98:99], -v[100:101]
	v_fma_f64 v[90:91], v[96:97], v[98:99], v[90:91]
	v_add_f64 v[1:2], v[1:2], v[94:95]
	v_add_f64 v[3:4], v[3:4], v[90:91]
	s_andn2_b32 exec_lo, exec_lo, s4
	s_cbranch_execnz .LBB104_80
; %bb.81:
	s_or_b32 exec_lo, exec_lo, s4
.LBB104_82:
	s_or_b32 exec_lo, exec_lo, s49
	v_mov_b32_e32 v89, 0
	ds_read_b128 v[89:92], v89 offset:480
	s_waitcnt lgkmcnt(0)
	v_mul_f64 v[94:95], v[3:4], v[91:92]
	v_mul_f64 v[91:92], v[1:2], v[91:92]
	v_fma_f64 v[1:2], v[1:2], v[89:90], -v[94:95]
	v_fma_f64 v[3:4], v[3:4], v[89:90], v[91:92]
	buffer_store_dword v2, off, s[0:3], 0 offset:484
	buffer_store_dword v1, off, s[0:3], 0 offset:480
	;; [unrolled: 1-line block ×4, first 2 shown]
.LBB104_83:
	s_or_b32 exec_lo, exec_lo, s8
	v_mov_b32_e32 v4, s18
	v_cmp_lt_u32_e64 s4, 29, v0
	s_clause 0x3
	buffer_load_dword v1, v4, s[0:3], 0 offen
	buffer_load_dword v2, v4, s[0:3], 0 offen offset:4
	buffer_load_dword v3, v4, s[0:3], 0 offen offset:8
	;; [unrolled: 1-line block ×3, first 2 shown]
	s_waitcnt vmcnt(0)
	ds_write_b128 v88, v[1:4]
	s_waitcnt lgkmcnt(0)
	s_waitcnt_vscnt null, 0x0
	s_barrier
	buffer_gl0_inv
	s_and_saveexec_b32 s8, s4
	s_cbranch_execz .LBB104_91
; %bb.84:
	ds_read_b128 v[1:4], v88
	s_andn2_b32 vcc_lo, exec_lo, s48
	s_cbranch_vccnz .LBB104_86
; %bb.85:
	s_clause 0x3
	buffer_load_dword v89, v87, s[0:3], 0 offen offset:8
	buffer_load_dword v90, v87, s[0:3], 0 offen offset:12
	buffer_load_dword v91, v87, s[0:3], 0 offen
	buffer_load_dword v92, v87, s[0:3], 0 offen offset:4
	s_waitcnt vmcnt(2) lgkmcnt(0)
	v_mul_f64 v[94:95], v[3:4], v[89:90]
	v_mul_f64 v[89:90], v[1:2], v[89:90]
	s_waitcnt vmcnt(0)
	v_fma_f64 v[1:2], v[1:2], v[91:92], -v[94:95]
	v_fma_f64 v[3:4], v[3:4], v[91:92], v[89:90]
.LBB104_86:
	s_and_saveexec_b32 s49, s5
	s_cbranch_execz .LBB104_90
; %bb.87:
	v_subrev_nc_u32_e32 v89, 30, v0
	s_movk_i32 s50, 0x470
	s_mov_b32 s5, 0
	s_mov_b32 s51, s17
	.p2align	6
.LBB104_88:                             ; =>This Inner Loop Header: Depth=1
	v_mov_b32_e32 v92, s51
	v_add_nc_u32_e32 v89, -1, v89
	s_add_i32 s51, s51, 16
	s_clause 0x3
	buffer_load_dword v90, v92, s[0:3], 0 offen offset:8
	buffer_load_dword v91, v92, s[0:3], 0 offen offset:12
	buffer_load_dword v98, v92, s[0:3], 0 offen
	buffer_load_dword v99, v92, s[0:3], 0 offen offset:4
	v_mov_b32_e32 v92, s50
	v_cmp_eq_u32_e32 vcc_lo, 0, v89
	s_add_i32 s50, s50, 16
	ds_read_b128 v[94:97], v92
	s_or_b32 s5, vcc_lo, s5
	s_waitcnt vmcnt(2) lgkmcnt(0)
	v_mul_f64 v[100:101], v[96:97], v[90:91]
	v_mul_f64 v[90:91], v[94:95], v[90:91]
	s_waitcnt vmcnt(0)
	v_fma_f64 v[94:95], v[94:95], v[98:99], -v[100:101]
	v_fma_f64 v[90:91], v[96:97], v[98:99], v[90:91]
	v_add_f64 v[1:2], v[1:2], v[94:95]
	v_add_f64 v[3:4], v[3:4], v[90:91]
	s_andn2_b32 exec_lo, exec_lo, s5
	s_cbranch_execnz .LBB104_88
; %bb.89:
	s_or_b32 exec_lo, exec_lo, s5
.LBB104_90:
	s_or_b32 exec_lo, exec_lo, s49
	v_mov_b32_e32 v89, 0
	ds_read_b128 v[89:92], v89 offset:464
	s_waitcnt lgkmcnt(0)
	v_mul_f64 v[94:95], v[3:4], v[91:92]
	v_mul_f64 v[91:92], v[1:2], v[91:92]
	v_fma_f64 v[1:2], v[1:2], v[89:90], -v[94:95]
	v_fma_f64 v[3:4], v[3:4], v[89:90], v[91:92]
	buffer_store_dword v2, off, s[0:3], 0 offset:468
	buffer_store_dword v1, off, s[0:3], 0 offset:464
	;; [unrolled: 1-line block ×4, first 2 shown]
.LBB104_91:
	s_or_b32 exec_lo, exec_lo, s8
	v_mov_b32_e32 v4, s19
	v_cmp_lt_u32_e64 s5, 28, v0
	s_clause 0x3
	buffer_load_dword v1, v4, s[0:3], 0 offen
	buffer_load_dword v2, v4, s[0:3], 0 offen offset:4
	buffer_load_dword v3, v4, s[0:3], 0 offen offset:8
	;; [unrolled: 1-line block ×3, first 2 shown]
	s_waitcnt vmcnt(0)
	ds_write_b128 v88, v[1:4]
	s_waitcnt lgkmcnt(0)
	s_waitcnt_vscnt null, 0x0
	s_barrier
	buffer_gl0_inv
	s_and_saveexec_b32 s8, s5
	s_cbranch_execz .LBB104_99
; %bb.92:
	ds_read_b128 v[1:4], v88
	s_andn2_b32 vcc_lo, exec_lo, s48
	s_cbranch_vccnz .LBB104_94
; %bb.93:
	s_clause 0x3
	buffer_load_dword v89, v87, s[0:3], 0 offen offset:8
	buffer_load_dword v90, v87, s[0:3], 0 offen offset:12
	buffer_load_dword v91, v87, s[0:3], 0 offen
	buffer_load_dword v92, v87, s[0:3], 0 offen offset:4
	s_waitcnt vmcnt(2) lgkmcnt(0)
	v_mul_f64 v[94:95], v[3:4], v[89:90]
	v_mul_f64 v[89:90], v[1:2], v[89:90]
	s_waitcnt vmcnt(0)
	v_fma_f64 v[1:2], v[1:2], v[91:92], -v[94:95]
	v_fma_f64 v[3:4], v[3:4], v[91:92], v[89:90]
.LBB104_94:
	s_and_saveexec_b32 s49, s4
	s_cbranch_execz .LBB104_98
; %bb.95:
	v_subrev_nc_u32_e32 v89, 29, v0
	s_movk_i32 s50, 0x460
	s_mov_b32 s4, 0
	s_mov_b32 s51, s18
	.p2align	6
.LBB104_96:                             ; =>This Inner Loop Header: Depth=1
	v_mov_b32_e32 v92, s51
	v_add_nc_u32_e32 v89, -1, v89
	s_add_i32 s51, s51, 16
	s_clause 0x3
	buffer_load_dword v90, v92, s[0:3], 0 offen offset:8
	buffer_load_dword v91, v92, s[0:3], 0 offen offset:12
	buffer_load_dword v98, v92, s[0:3], 0 offen
	buffer_load_dword v99, v92, s[0:3], 0 offen offset:4
	v_mov_b32_e32 v92, s50
	v_cmp_eq_u32_e32 vcc_lo, 0, v89
	s_add_i32 s50, s50, 16
	ds_read_b128 v[94:97], v92
	s_or_b32 s4, vcc_lo, s4
	s_waitcnt vmcnt(2) lgkmcnt(0)
	v_mul_f64 v[100:101], v[96:97], v[90:91]
	v_mul_f64 v[90:91], v[94:95], v[90:91]
	s_waitcnt vmcnt(0)
	v_fma_f64 v[94:95], v[94:95], v[98:99], -v[100:101]
	v_fma_f64 v[90:91], v[96:97], v[98:99], v[90:91]
	v_add_f64 v[1:2], v[1:2], v[94:95]
	v_add_f64 v[3:4], v[3:4], v[90:91]
	s_andn2_b32 exec_lo, exec_lo, s4
	s_cbranch_execnz .LBB104_96
; %bb.97:
	s_or_b32 exec_lo, exec_lo, s4
.LBB104_98:
	s_or_b32 exec_lo, exec_lo, s49
	v_mov_b32_e32 v89, 0
	ds_read_b128 v[89:92], v89 offset:448
	s_waitcnt lgkmcnt(0)
	v_mul_f64 v[94:95], v[3:4], v[91:92]
	v_mul_f64 v[91:92], v[1:2], v[91:92]
	v_fma_f64 v[1:2], v[1:2], v[89:90], -v[94:95]
	v_fma_f64 v[3:4], v[3:4], v[89:90], v[91:92]
	buffer_store_dword v2, off, s[0:3], 0 offset:452
	buffer_store_dword v1, off, s[0:3], 0 offset:448
	;; [unrolled: 1-line block ×4, first 2 shown]
.LBB104_99:
	s_or_b32 exec_lo, exec_lo, s8
	v_mov_b32_e32 v4, s20
	v_cmp_lt_u32_e64 s4, 27, v0
	s_clause 0x3
	buffer_load_dword v1, v4, s[0:3], 0 offen
	buffer_load_dword v2, v4, s[0:3], 0 offen offset:4
	buffer_load_dword v3, v4, s[0:3], 0 offen offset:8
	;; [unrolled: 1-line block ×3, first 2 shown]
	s_waitcnt vmcnt(0)
	ds_write_b128 v88, v[1:4]
	s_waitcnt lgkmcnt(0)
	s_waitcnt_vscnt null, 0x0
	s_barrier
	buffer_gl0_inv
	s_and_saveexec_b32 s8, s4
	s_cbranch_execz .LBB104_107
; %bb.100:
	ds_read_b128 v[1:4], v88
	s_andn2_b32 vcc_lo, exec_lo, s48
	s_cbranch_vccnz .LBB104_102
; %bb.101:
	s_clause 0x3
	buffer_load_dword v89, v87, s[0:3], 0 offen offset:8
	buffer_load_dword v90, v87, s[0:3], 0 offen offset:12
	buffer_load_dword v91, v87, s[0:3], 0 offen
	buffer_load_dword v92, v87, s[0:3], 0 offen offset:4
	s_waitcnt vmcnt(2) lgkmcnt(0)
	v_mul_f64 v[94:95], v[3:4], v[89:90]
	v_mul_f64 v[89:90], v[1:2], v[89:90]
	s_waitcnt vmcnt(0)
	v_fma_f64 v[1:2], v[1:2], v[91:92], -v[94:95]
	v_fma_f64 v[3:4], v[3:4], v[91:92], v[89:90]
.LBB104_102:
	s_and_saveexec_b32 s49, s5
	s_cbranch_execz .LBB104_106
; %bb.103:
	v_subrev_nc_u32_e32 v89, 28, v0
	s_movk_i32 s50, 0x450
	s_mov_b32 s5, 0
	s_mov_b32 s51, s19
	.p2align	6
.LBB104_104:                            ; =>This Inner Loop Header: Depth=1
	v_mov_b32_e32 v92, s51
	v_add_nc_u32_e32 v89, -1, v89
	s_add_i32 s51, s51, 16
	s_clause 0x3
	buffer_load_dword v90, v92, s[0:3], 0 offen offset:8
	buffer_load_dword v91, v92, s[0:3], 0 offen offset:12
	buffer_load_dword v98, v92, s[0:3], 0 offen
	buffer_load_dword v99, v92, s[0:3], 0 offen offset:4
	v_mov_b32_e32 v92, s50
	v_cmp_eq_u32_e32 vcc_lo, 0, v89
	s_add_i32 s50, s50, 16
	ds_read_b128 v[94:97], v92
	s_or_b32 s5, vcc_lo, s5
	s_waitcnt vmcnt(2) lgkmcnt(0)
	v_mul_f64 v[100:101], v[96:97], v[90:91]
	v_mul_f64 v[90:91], v[94:95], v[90:91]
	s_waitcnt vmcnt(0)
	v_fma_f64 v[94:95], v[94:95], v[98:99], -v[100:101]
	v_fma_f64 v[90:91], v[96:97], v[98:99], v[90:91]
	v_add_f64 v[1:2], v[1:2], v[94:95]
	v_add_f64 v[3:4], v[3:4], v[90:91]
	s_andn2_b32 exec_lo, exec_lo, s5
	s_cbranch_execnz .LBB104_104
; %bb.105:
	s_or_b32 exec_lo, exec_lo, s5
.LBB104_106:
	s_or_b32 exec_lo, exec_lo, s49
	v_mov_b32_e32 v89, 0
	ds_read_b128 v[89:92], v89 offset:432
	s_waitcnt lgkmcnt(0)
	v_mul_f64 v[94:95], v[3:4], v[91:92]
	v_mul_f64 v[91:92], v[1:2], v[91:92]
	v_fma_f64 v[1:2], v[1:2], v[89:90], -v[94:95]
	v_fma_f64 v[3:4], v[3:4], v[89:90], v[91:92]
	buffer_store_dword v2, off, s[0:3], 0 offset:436
	buffer_store_dword v1, off, s[0:3], 0 offset:432
	;; [unrolled: 1-line block ×4, first 2 shown]
.LBB104_107:
	s_or_b32 exec_lo, exec_lo, s8
	v_mov_b32_e32 v4, s21
	v_cmp_lt_u32_e64 s5, 26, v0
	s_clause 0x3
	buffer_load_dword v1, v4, s[0:3], 0 offen
	buffer_load_dword v2, v4, s[0:3], 0 offen offset:4
	buffer_load_dword v3, v4, s[0:3], 0 offen offset:8
	buffer_load_dword v4, v4, s[0:3], 0 offen offset:12
	s_waitcnt vmcnt(0)
	ds_write_b128 v88, v[1:4]
	s_waitcnt lgkmcnt(0)
	s_waitcnt_vscnt null, 0x0
	s_barrier
	buffer_gl0_inv
	s_and_saveexec_b32 s8, s5
	s_cbranch_execz .LBB104_115
; %bb.108:
	ds_read_b128 v[1:4], v88
	s_andn2_b32 vcc_lo, exec_lo, s48
	s_cbranch_vccnz .LBB104_110
; %bb.109:
	s_clause 0x3
	buffer_load_dword v89, v87, s[0:3], 0 offen offset:8
	buffer_load_dword v90, v87, s[0:3], 0 offen offset:12
	buffer_load_dword v91, v87, s[0:3], 0 offen
	buffer_load_dword v92, v87, s[0:3], 0 offen offset:4
	s_waitcnt vmcnt(2) lgkmcnt(0)
	v_mul_f64 v[94:95], v[3:4], v[89:90]
	v_mul_f64 v[89:90], v[1:2], v[89:90]
	s_waitcnt vmcnt(0)
	v_fma_f64 v[1:2], v[1:2], v[91:92], -v[94:95]
	v_fma_f64 v[3:4], v[3:4], v[91:92], v[89:90]
.LBB104_110:
	s_and_saveexec_b32 s49, s4
	s_cbranch_execz .LBB104_114
; %bb.111:
	v_subrev_nc_u32_e32 v89, 27, v0
	s_movk_i32 s50, 0x440
	s_mov_b32 s4, 0
	s_mov_b32 s51, s20
	.p2align	6
.LBB104_112:                            ; =>This Inner Loop Header: Depth=1
	v_mov_b32_e32 v92, s51
	v_add_nc_u32_e32 v89, -1, v89
	s_add_i32 s51, s51, 16
	s_clause 0x3
	buffer_load_dword v90, v92, s[0:3], 0 offen offset:8
	buffer_load_dword v91, v92, s[0:3], 0 offen offset:12
	buffer_load_dword v98, v92, s[0:3], 0 offen
	buffer_load_dword v99, v92, s[0:3], 0 offen offset:4
	v_mov_b32_e32 v92, s50
	v_cmp_eq_u32_e32 vcc_lo, 0, v89
	s_add_i32 s50, s50, 16
	ds_read_b128 v[94:97], v92
	s_or_b32 s4, vcc_lo, s4
	s_waitcnt vmcnt(2) lgkmcnt(0)
	v_mul_f64 v[100:101], v[96:97], v[90:91]
	v_mul_f64 v[90:91], v[94:95], v[90:91]
	s_waitcnt vmcnt(0)
	v_fma_f64 v[94:95], v[94:95], v[98:99], -v[100:101]
	v_fma_f64 v[90:91], v[96:97], v[98:99], v[90:91]
	v_add_f64 v[1:2], v[1:2], v[94:95]
	v_add_f64 v[3:4], v[3:4], v[90:91]
	s_andn2_b32 exec_lo, exec_lo, s4
	s_cbranch_execnz .LBB104_112
; %bb.113:
	s_or_b32 exec_lo, exec_lo, s4
.LBB104_114:
	s_or_b32 exec_lo, exec_lo, s49
	v_mov_b32_e32 v89, 0
	ds_read_b128 v[89:92], v89 offset:416
	s_waitcnt lgkmcnt(0)
	v_mul_f64 v[94:95], v[3:4], v[91:92]
	v_mul_f64 v[91:92], v[1:2], v[91:92]
	v_fma_f64 v[1:2], v[1:2], v[89:90], -v[94:95]
	v_fma_f64 v[3:4], v[3:4], v[89:90], v[91:92]
	buffer_store_dword v2, off, s[0:3], 0 offset:420
	buffer_store_dword v1, off, s[0:3], 0 offset:416
	;; [unrolled: 1-line block ×4, first 2 shown]
.LBB104_115:
	s_or_b32 exec_lo, exec_lo, s8
	v_mov_b32_e32 v4, s22
	v_cmp_lt_u32_e64 s4, 25, v0
	s_clause 0x3
	buffer_load_dword v1, v4, s[0:3], 0 offen
	buffer_load_dword v2, v4, s[0:3], 0 offen offset:4
	buffer_load_dword v3, v4, s[0:3], 0 offen offset:8
	buffer_load_dword v4, v4, s[0:3], 0 offen offset:12
	s_waitcnt vmcnt(0)
	ds_write_b128 v88, v[1:4]
	s_waitcnt lgkmcnt(0)
	s_waitcnt_vscnt null, 0x0
	s_barrier
	buffer_gl0_inv
	s_and_saveexec_b32 s8, s4
	s_cbranch_execz .LBB104_123
; %bb.116:
	ds_read_b128 v[1:4], v88
	s_andn2_b32 vcc_lo, exec_lo, s48
	s_cbranch_vccnz .LBB104_118
; %bb.117:
	s_clause 0x3
	buffer_load_dword v89, v87, s[0:3], 0 offen offset:8
	buffer_load_dword v90, v87, s[0:3], 0 offen offset:12
	buffer_load_dword v91, v87, s[0:3], 0 offen
	buffer_load_dword v92, v87, s[0:3], 0 offen offset:4
	s_waitcnt vmcnt(2) lgkmcnt(0)
	v_mul_f64 v[94:95], v[3:4], v[89:90]
	v_mul_f64 v[89:90], v[1:2], v[89:90]
	s_waitcnt vmcnt(0)
	v_fma_f64 v[1:2], v[1:2], v[91:92], -v[94:95]
	v_fma_f64 v[3:4], v[3:4], v[91:92], v[89:90]
.LBB104_118:
	s_and_saveexec_b32 s49, s5
	s_cbranch_execz .LBB104_122
; %bb.119:
	v_subrev_nc_u32_e32 v89, 26, v0
	s_movk_i32 s50, 0x430
	s_mov_b32 s5, 0
	s_mov_b32 s51, s21
	.p2align	6
.LBB104_120:                            ; =>This Inner Loop Header: Depth=1
	v_mov_b32_e32 v92, s51
	v_add_nc_u32_e32 v89, -1, v89
	s_add_i32 s51, s51, 16
	s_clause 0x3
	buffer_load_dword v90, v92, s[0:3], 0 offen offset:8
	buffer_load_dword v91, v92, s[0:3], 0 offen offset:12
	buffer_load_dword v98, v92, s[0:3], 0 offen
	buffer_load_dword v99, v92, s[0:3], 0 offen offset:4
	v_mov_b32_e32 v92, s50
	v_cmp_eq_u32_e32 vcc_lo, 0, v89
	s_add_i32 s50, s50, 16
	ds_read_b128 v[94:97], v92
	s_or_b32 s5, vcc_lo, s5
	s_waitcnt vmcnt(2) lgkmcnt(0)
	v_mul_f64 v[100:101], v[96:97], v[90:91]
	v_mul_f64 v[90:91], v[94:95], v[90:91]
	s_waitcnt vmcnt(0)
	v_fma_f64 v[94:95], v[94:95], v[98:99], -v[100:101]
	v_fma_f64 v[90:91], v[96:97], v[98:99], v[90:91]
	v_add_f64 v[1:2], v[1:2], v[94:95]
	v_add_f64 v[3:4], v[3:4], v[90:91]
	s_andn2_b32 exec_lo, exec_lo, s5
	s_cbranch_execnz .LBB104_120
; %bb.121:
	s_or_b32 exec_lo, exec_lo, s5
.LBB104_122:
	s_or_b32 exec_lo, exec_lo, s49
	v_mov_b32_e32 v89, 0
	ds_read_b128 v[89:92], v89 offset:400
	s_waitcnt lgkmcnt(0)
	v_mul_f64 v[94:95], v[3:4], v[91:92]
	v_mul_f64 v[91:92], v[1:2], v[91:92]
	v_fma_f64 v[1:2], v[1:2], v[89:90], -v[94:95]
	v_fma_f64 v[3:4], v[3:4], v[89:90], v[91:92]
	buffer_store_dword v2, off, s[0:3], 0 offset:404
	buffer_store_dword v1, off, s[0:3], 0 offset:400
	;; [unrolled: 1-line block ×4, first 2 shown]
.LBB104_123:
	s_or_b32 exec_lo, exec_lo, s8
	v_mov_b32_e32 v4, s23
	v_cmp_lt_u32_e64 s5, 24, v0
	s_clause 0x3
	buffer_load_dword v1, v4, s[0:3], 0 offen
	buffer_load_dword v2, v4, s[0:3], 0 offen offset:4
	buffer_load_dword v3, v4, s[0:3], 0 offen offset:8
	buffer_load_dword v4, v4, s[0:3], 0 offen offset:12
	s_waitcnt vmcnt(0)
	ds_write_b128 v88, v[1:4]
	s_waitcnt lgkmcnt(0)
	s_waitcnt_vscnt null, 0x0
	s_barrier
	buffer_gl0_inv
	s_and_saveexec_b32 s8, s5
	s_cbranch_execz .LBB104_131
; %bb.124:
	ds_read_b128 v[1:4], v88
	s_andn2_b32 vcc_lo, exec_lo, s48
	s_cbranch_vccnz .LBB104_126
; %bb.125:
	s_clause 0x3
	buffer_load_dword v89, v87, s[0:3], 0 offen offset:8
	buffer_load_dword v90, v87, s[0:3], 0 offen offset:12
	buffer_load_dword v91, v87, s[0:3], 0 offen
	buffer_load_dword v92, v87, s[0:3], 0 offen offset:4
	s_waitcnt vmcnt(2) lgkmcnt(0)
	v_mul_f64 v[94:95], v[3:4], v[89:90]
	v_mul_f64 v[89:90], v[1:2], v[89:90]
	s_waitcnt vmcnt(0)
	v_fma_f64 v[1:2], v[1:2], v[91:92], -v[94:95]
	v_fma_f64 v[3:4], v[3:4], v[91:92], v[89:90]
.LBB104_126:
	s_and_saveexec_b32 s49, s4
	s_cbranch_execz .LBB104_130
; %bb.127:
	v_subrev_nc_u32_e32 v89, 25, v0
	s_movk_i32 s50, 0x420
	s_mov_b32 s4, 0
	s_mov_b32 s51, s22
	.p2align	6
.LBB104_128:                            ; =>This Inner Loop Header: Depth=1
	v_mov_b32_e32 v92, s51
	v_add_nc_u32_e32 v89, -1, v89
	s_add_i32 s51, s51, 16
	s_clause 0x3
	buffer_load_dword v90, v92, s[0:3], 0 offen offset:8
	buffer_load_dword v91, v92, s[0:3], 0 offen offset:12
	buffer_load_dword v98, v92, s[0:3], 0 offen
	buffer_load_dword v99, v92, s[0:3], 0 offen offset:4
	v_mov_b32_e32 v92, s50
	v_cmp_eq_u32_e32 vcc_lo, 0, v89
	s_add_i32 s50, s50, 16
	ds_read_b128 v[94:97], v92
	s_or_b32 s4, vcc_lo, s4
	s_waitcnt vmcnt(2) lgkmcnt(0)
	v_mul_f64 v[100:101], v[96:97], v[90:91]
	v_mul_f64 v[90:91], v[94:95], v[90:91]
	s_waitcnt vmcnt(0)
	v_fma_f64 v[94:95], v[94:95], v[98:99], -v[100:101]
	v_fma_f64 v[90:91], v[96:97], v[98:99], v[90:91]
	v_add_f64 v[1:2], v[1:2], v[94:95]
	v_add_f64 v[3:4], v[3:4], v[90:91]
	s_andn2_b32 exec_lo, exec_lo, s4
	s_cbranch_execnz .LBB104_128
; %bb.129:
	s_or_b32 exec_lo, exec_lo, s4
.LBB104_130:
	s_or_b32 exec_lo, exec_lo, s49
	v_mov_b32_e32 v89, 0
	ds_read_b128 v[89:92], v89 offset:384
	s_waitcnt lgkmcnt(0)
	v_mul_f64 v[94:95], v[3:4], v[91:92]
	v_mul_f64 v[91:92], v[1:2], v[91:92]
	v_fma_f64 v[1:2], v[1:2], v[89:90], -v[94:95]
	v_fma_f64 v[3:4], v[3:4], v[89:90], v[91:92]
	buffer_store_dword v2, off, s[0:3], 0 offset:388
	buffer_store_dword v1, off, s[0:3], 0 offset:384
	;; [unrolled: 1-line block ×4, first 2 shown]
.LBB104_131:
	s_or_b32 exec_lo, exec_lo, s8
	v_mov_b32_e32 v4, s24
	v_cmp_lt_u32_e64 s4, 23, v0
	s_clause 0x3
	buffer_load_dword v1, v4, s[0:3], 0 offen
	buffer_load_dword v2, v4, s[0:3], 0 offen offset:4
	buffer_load_dword v3, v4, s[0:3], 0 offen offset:8
	;; [unrolled: 1-line block ×3, first 2 shown]
	s_waitcnt vmcnt(0)
	ds_write_b128 v88, v[1:4]
	s_waitcnt lgkmcnt(0)
	s_waitcnt_vscnt null, 0x0
	s_barrier
	buffer_gl0_inv
	s_and_saveexec_b32 s8, s4
	s_cbranch_execz .LBB104_139
; %bb.132:
	ds_read_b128 v[1:4], v88
	s_andn2_b32 vcc_lo, exec_lo, s48
	s_cbranch_vccnz .LBB104_134
; %bb.133:
	s_clause 0x3
	buffer_load_dword v89, v87, s[0:3], 0 offen offset:8
	buffer_load_dword v90, v87, s[0:3], 0 offen offset:12
	buffer_load_dword v91, v87, s[0:3], 0 offen
	buffer_load_dword v92, v87, s[0:3], 0 offen offset:4
	s_waitcnt vmcnt(2) lgkmcnt(0)
	v_mul_f64 v[94:95], v[3:4], v[89:90]
	v_mul_f64 v[89:90], v[1:2], v[89:90]
	s_waitcnt vmcnt(0)
	v_fma_f64 v[1:2], v[1:2], v[91:92], -v[94:95]
	v_fma_f64 v[3:4], v[3:4], v[91:92], v[89:90]
.LBB104_134:
	s_and_saveexec_b32 s49, s5
	s_cbranch_execz .LBB104_138
; %bb.135:
	v_subrev_nc_u32_e32 v89, 24, v0
	s_movk_i32 s50, 0x410
	s_mov_b32 s5, 0
	s_mov_b32 s51, s23
	.p2align	6
.LBB104_136:                            ; =>This Inner Loop Header: Depth=1
	v_mov_b32_e32 v92, s51
	v_add_nc_u32_e32 v89, -1, v89
	s_add_i32 s51, s51, 16
	s_clause 0x3
	buffer_load_dword v90, v92, s[0:3], 0 offen offset:8
	buffer_load_dword v91, v92, s[0:3], 0 offen offset:12
	buffer_load_dword v98, v92, s[0:3], 0 offen
	buffer_load_dword v99, v92, s[0:3], 0 offen offset:4
	v_mov_b32_e32 v92, s50
	v_cmp_eq_u32_e32 vcc_lo, 0, v89
	s_add_i32 s50, s50, 16
	ds_read_b128 v[94:97], v92
	s_or_b32 s5, vcc_lo, s5
	s_waitcnt vmcnt(2) lgkmcnt(0)
	v_mul_f64 v[100:101], v[96:97], v[90:91]
	v_mul_f64 v[90:91], v[94:95], v[90:91]
	s_waitcnt vmcnt(0)
	v_fma_f64 v[94:95], v[94:95], v[98:99], -v[100:101]
	v_fma_f64 v[90:91], v[96:97], v[98:99], v[90:91]
	v_add_f64 v[1:2], v[1:2], v[94:95]
	v_add_f64 v[3:4], v[3:4], v[90:91]
	s_andn2_b32 exec_lo, exec_lo, s5
	s_cbranch_execnz .LBB104_136
; %bb.137:
	s_or_b32 exec_lo, exec_lo, s5
.LBB104_138:
	s_or_b32 exec_lo, exec_lo, s49
	v_mov_b32_e32 v89, 0
	ds_read_b128 v[89:92], v89 offset:368
	s_waitcnt lgkmcnt(0)
	v_mul_f64 v[94:95], v[3:4], v[91:92]
	v_mul_f64 v[91:92], v[1:2], v[91:92]
	v_fma_f64 v[1:2], v[1:2], v[89:90], -v[94:95]
	v_fma_f64 v[3:4], v[3:4], v[89:90], v[91:92]
	buffer_store_dword v2, off, s[0:3], 0 offset:372
	buffer_store_dword v1, off, s[0:3], 0 offset:368
	;; [unrolled: 1-line block ×4, first 2 shown]
.LBB104_139:
	s_or_b32 exec_lo, exec_lo, s8
	v_mov_b32_e32 v4, s25
	v_cmp_lt_u32_e64 s5, 22, v0
	s_clause 0x3
	buffer_load_dword v1, v4, s[0:3], 0 offen
	buffer_load_dword v2, v4, s[0:3], 0 offen offset:4
	buffer_load_dword v3, v4, s[0:3], 0 offen offset:8
	;; [unrolled: 1-line block ×3, first 2 shown]
	s_waitcnt vmcnt(0)
	ds_write_b128 v88, v[1:4]
	s_waitcnt lgkmcnt(0)
	s_waitcnt_vscnt null, 0x0
	s_barrier
	buffer_gl0_inv
	s_and_saveexec_b32 s8, s5
	s_cbranch_execz .LBB104_147
; %bb.140:
	ds_read_b128 v[1:4], v88
	s_andn2_b32 vcc_lo, exec_lo, s48
	s_cbranch_vccnz .LBB104_142
; %bb.141:
	s_clause 0x3
	buffer_load_dword v89, v87, s[0:3], 0 offen offset:8
	buffer_load_dword v90, v87, s[0:3], 0 offen offset:12
	buffer_load_dword v91, v87, s[0:3], 0 offen
	buffer_load_dword v92, v87, s[0:3], 0 offen offset:4
	s_waitcnt vmcnt(2) lgkmcnt(0)
	v_mul_f64 v[94:95], v[3:4], v[89:90]
	v_mul_f64 v[89:90], v[1:2], v[89:90]
	s_waitcnt vmcnt(0)
	v_fma_f64 v[1:2], v[1:2], v[91:92], -v[94:95]
	v_fma_f64 v[3:4], v[3:4], v[91:92], v[89:90]
.LBB104_142:
	s_and_saveexec_b32 s49, s4
	s_cbranch_execz .LBB104_146
; %bb.143:
	v_subrev_nc_u32_e32 v89, 23, v0
	s_movk_i32 s50, 0x400
	s_mov_b32 s4, 0
	s_mov_b32 s51, s24
	.p2align	6
.LBB104_144:                            ; =>This Inner Loop Header: Depth=1
	v_mov_b32_e32 v92, s51
	v_add_nc_u32_e32 v89, -1, v89
	s_add_i32 s51, s51, 16
	s_clause 0x3
	buffer_load_dword v90, v92, s[0:3], 0 offen offset:8
	buffer_load_dword v91, v92, s[0:3], 0 offen offset:12
	buffer_load_dword v98, v92, s[0:3], 0 offen
	buffer_load_dword v99, v92, s[0:3], 0 offen offset:4
	v_mov_b32_e32 v92, s50
	v_cmp_eq_u32_e32 vcc_lo, 0, v89
	s_add_i32 s50, s50, 16
	ds_read_b128 v[94:97], v92
	s_or_b32 s4, vcc_lo, s4
	s_waitcnt vmcnt(2) lgkmcnt(0)
	v_mul_f64 v[100:101], v[96:97], v[90:91]
	v_mul_f64 v[90:91], v[94:95], v[90:91]
	s_waitcnt vmcnt(0)
	v_fma_f64 v[94:95], v[94:95], v[98:99], -v[100:101]
	v_fma_f64 v[90:91], v[96:97], v[98:99], v[90:91]
	v_add_f64 v[1:2], v[1:2], v[94:95]
	v_add_f64 v[3:4], v[3:4], v[90:91]
	s_andn2_b32 exec_lo, exec_lo, s4
	s_cbranch_execnz .LBB104_144
; %bb.145:
	s_or_b32 exec_lo, exec_lo, s4
.LBB104_146:
	s_or_b32 exec_lo, exec_lo, s49
	v_mov_b32_e32 v89, 0
	ds_read_b128 v[89:92], v89 offset:352
	s_waitcnt lgkmcnt(0)
	v_mul_f64 v[94:95], v[3:4], v[91:92]
	v_mul_f64 v[91:92], v[1:2], v[91:92]
	v_fma_f64 v[1:2], v[1:2], v[89:90], -v[94:95]
	v_fma_f64 v[3:4], v[3:4], v[89:90], v[91:92]
	buffer_store_dword v2, off, s[0:3], 0 offset:356
	buffer_store_dword v1, off, s[0:3], 0 offset:352
	;; [unrolled: 1-line block ×4, first 2 shown]
.LBB104_147:
	s_or_b32 exec_lo, exec_lo, s8
	v_mov_b32_e32 v4, s26
	v_cmp_lt_u32_e64 s4, 21, v0
	s_clause 0x3
	buffer_load_dword v1, v4, s[0:3], 0 offen
	buffer_load_dword v2, v4, s[0:3], 0 offen offset:4
	buffer_load_dword v3, v4, s[0:3], 0 offen offset:8
	;; [unrolled: 1-line block ×3, first 2 shown]
	s_waitcnt vmcnt(0)
	ds_write_b128 v88, v[1:4]
	s_waitcnt lgkmcnt(0)
	s_waitcnt_vscnt null, 0x0
	s_barrier
	buffer_gl0_inv
	s_and_saveexec_b32 s8, s4
	s_cbranch_execz .LBB104_155
; %bb.148:
	ds_read_b128 v[1:4], v88
	s_andn2_b32 vcc_lo, exec_lo, s48
	s_cbranch_vccnz .LBB104_150
; %bb.149:
	s_clause 0x3
	buffer_load_dword v89, v87, s[0:3], 0 offen offset:8
	buffer_load_dword v90, v87, s[0:3], 0 offen offset:12
	buffer_load_dword v91, v87, s[0:3], 0 offen
	buffer_load_dword v92, v87, s[0:3], 0 offen offset:4
	s_waitcnt vmcnt(2) lgkmcnt(0)
	v_mul_f64 v[94:95], v[3:4], v[89:90]
	v_mul_f64 v[89:90], v[1:2], v[89:90]
	s_waitcnt vmcnt(0)
	v_fma_f64 v[1:2], v[1:2], v[91:92], -v[94:95]
	v_fma_f64 v[3:4], v[3:4], v[91:92], v[89:90]
.LBB104_150:
	s_and_saveexec_b32 s49, s5
	s_cbranch_execz .LBB104_154
; %bb.151:
	v_subrev_nc_u32_e32 v89, 22, v0
	s_movk_i32 s50, 0x3f0
	s_mov_b32 s5, 0
	s_mov_b32 s51, s25
	.p2align	6
.LBB104_152:                            ; =>This Inner Loop Header: Depth=1
	v_mov_b32_e32 v92, s51
	v_add_nc_u32_e32 v89, -1, v89
	s_add_i32 s51, s51, 16
	s_clause 0x3
	buffer_load_dword v90, v92, s[0:3], 0 offen offset:8
	buffer_load_dword v91, v92, s[0:3], 0 offen offset:12
	buffer_load_dword v98, v92, s[0:3], 0 offen
	buffer_load_dword v99, v92, s[0:3], 0 offen offset:4
	v_mov_b32_e32 v92, s50
	v_cmp_eq_u32_e32 vcc_lo, 0, v89
	s_add_i32 s50, s50, 16
	ds_read_b128 v[94:97], v92
	s_or_b32 s5, vcc_lo, s5
	s_waitcnt vmcnt(2) lgkmcnt(0)
	v_mul_f64 v[100:101], v[96:97], v[90:91]
	v_mul_f64 v[90:91], v[94:95], v[90:91]
	s_waitcnt vmcnt(0)
	v_fma_f64 v[94:95], v[94:95], v[98:99], -v[100:101]
	v_fma_f64 v[90:91], v[96:97], v[98:99], v[90:91]
	v_add_f64 v[1:2], v[1:2], v[94:95]
	v_add_f64 v[3:4], v[3:4], v[90:91]
	s_andn2_b32 exec_lo, exec_lo, s5
	s_cbranch_execnz .LBB104_152
; %bb.153:
	s_or_b32 exec_lo, exec_lo, s5
.LBB104_154:
	s_or_b32 exec_lo, exec_lo, s49
	v_mov_b32_e32 v89, 0
	ds_read_b128 v[89:92], v89 offset:336
	s_waitcnt lgkmcnt(0)
	v_mul_f64 v[94:95], v[3:4], v[91:92]
	v_mul_f64 v[91:92], v[1:2], v[91:92]
	v_fma_f64 v[1:2], v[1:2], v[89:90], -v[94:95]
	v_fma_f64 v[3:4], v[3:4], v[89:90], v[91:92]
	buffer_store_dword v2, off, s[0:3], 0 offset:340
	buffer_store_dword v1, off, s[0:3], 0 offset:336
	;; [unrolled: 1-line block ×4, first 2 shown]
.LBB104_155:
	s_or_b32 exec_lo, exec_lo, s8
	v_mov_b32_e32 v4, s27
	v_cmp_lt_u32_e64 s5, 20, v0
	s_clause 0x3
	buffer_load_dword v1, v4, s[0:3], 0 offen
	buffer_load_dword v2, v4, s[0:3], 0 offen offset:4
	buffer_load_dword v3, v4, s[0:3], 0 offen offset:8
	;; [unrolled: 1-line block ×3, first 2 shown]
	s_waitcnt vmcnt(0)
	ds_write_b128 v88, v[1:4]
	s_waitcnt lgkmcnt(0)
	s_waitcnt_vscnt null, 0x0
	s_barrier
	buffer_gl0_inv
	s_and_saveexec_b32 s8, s5
	s_cbranch_execz .LBB104_163
; %bb.156:
	ds_read_b128 v[1:4], v88
	s_andn2_b32 vcc_lo, exec_lo, s48
	s_cbranch_vccnz .LBB104_158
; %bb.157:
	s_clause 0x3
	buffer_load_dword v89, v87, s[0:3], 0 offen offset:8
	buffer_load_dword v90, v87, s[0:3], 0 offen offset:12
	buffer_load_dword v91, v87, s[0:3], 0 offen
	buffer_load_dword v92, v87, s[0:3], 0 offen offset:4
	s_waitcnt vmcnt(2) lgkmcnt(0)
	v_mul_f64 v[94:95], v[3:4], v[89:90]
	v_mul_f64 v[89:90], v[1:2], v[89:90]
	s_waitcnt vmcnt(0)
	v_fma_f64 v[1:2], v[1:2], v[91:92], -v[94:95]
	v_fma_f64 v[3:4], v[3:4], v[91:92], v[89:90]
.LBB104_158:
	s_and_saveexec_b32 s49, s4
	s_cbranch_execz .LBB104_162
; %bb.159:
	v_subrev_nc_u32_e32 v89, 21, v0
	s_movk_i32 s50, 0x3e0
	s_mov_b32 s4, 0
	s_mov_b32 s51, s26
	.p2align	6
.LBB104_160:                            ; =>This Inner Loop Header: Depth=1
	v_mov_b32_e32 v92, s51
	v_add_nc_u32_e32 v89, -1, v89
	s_add_i32 s51, s51, 16
	s_clause 0x3
	buffer_load_dword v90, v92, s[0:3], 0 offen offset:8
	buffer_load_dword v91, v92, s[0:3], 0 offen offset:12
	buffer_load_dword v98, v92, s[0:3], 0 offen
	buffer_load_dword v99, v92, s[0:3], 0 offen offset:4
	v_mov_b32_e32 v92, s50
	v_cmp_eq_u32_e32 vcc_lo, 0, v89
	s_add_i32 s50, s50, 16
	ds_read_b128 v[94:97], v92
	s_or_b32 s4, vcc_lo, s4
	s_waitcnt vmcnt(2) lgkmcnt(0)
	v_mul_f64 v[100:101], v[96:97], v[90:91]
	v_mul_f64 v[90:91], v[94:95], v[90:91]
	s_waitcnt vmcnt(0)
	v_fma_f64 v[94:95], v[94:95], v[98:99], -v[100:101]
	v_fma_f64 v[90:91], v[96:97], v[98:99], v[90:91]
	v_add_f64 v[1:2], v[1:2], v[94:95]
	v_add_f64 v[3:4], v[3:4], v[90:91]
	s_andn2_b32 exec_lo, exec_lo, s4
	s_cbranch_execnz .LBB104_160
; %bb.161:
	s_or_b32 exec_lo, exec_lo, s4
.LBB104_162:
	s_or_b32 exec_lo, exec_lo, s49
	v_mov_b32_e32 v89, 0
	ds_read_b128 v[89:92], v89 offset:320
	s_waitcnt lgkmcnt(0)
	v_mul_f64 v[94:95], v[3:4], v[91:92]
	v_mul_f64 v[91:92], v[1:2], v[91:92]
	v_fma_f64 v[1:2], v[1:2], v[89:90], -v[94:95]
	v_fma_f64 v[3:4], v[3:4], v[89:90], v[91:92]
	buffer_store_dword v2, off, s[0:3], 0 offset:324
	buffer_store_dword v1, off, s[0:3], 0 offset:320
	;; [unrolled: 1-line block ×4, first 2 shown]
.LBB104_163:
	s_or_b32 exec_lo, exec_lo, s8
	v_mov_b32_e32 v4, s28
	v_cmp_lt_u32_e64 s4, 19, v0
	s_clause 0x3
	buffer_load_dword v1, v4, s[0:3], 0 offen
	buffer_load_dword v2, v4, s[0:3], 0 offen offset:4
	buffer_load_dword v3, v4, s[0:3], 0 offen offset:8
	;; [unrolled: 1-line block ×3, first 2 shown]
	s_waitcnt vmcnt(0)
	ds_write_b128 v88, v[1:4]
	s_waitcnt lgkmcnt(0)
	s_waitcnt_vscnt null, 0x0
	s_barrier
	buffer_gl0_inv
	s_and_saveexec_b32 s8, s4
	s_cbranch_execz .LBB104_171
; %bb.164:
	ds_read_b128 v[1:4], v88
	s_andn2_b32 vcc_lo, exec_lo, s48
	s_cbranch_vccnz .LBB104_166
; %bb.165:
	s_clause 0x3
	buffer_load_dword v89, v87, s[0:3], 0 offen offset:8
	buffer_load_dword v90, v87, s[0:3], 0 offen offset:12
	buffer_load_dword v91, v87, s[0:3], 0 offen
	buffer_load_dword v92, v87, s[0:3], 0 offen offset:4
	s_waitcnt vmcnt(2) lgkmcnt(0)
	v_mul_f64 v[94:95], v[3:4], v[89:90]
	v_mul_f64 v[89:90], v[1:2], v[89:90]
	s_waitcnt vmcnt(0)
	v_fma_f64 v[1:2], v[1:2], v[91:92], -v[94:95]
	v_fma_f64 v[3:4], v[3:4], v[91:92], v[89:90]
.LBB104_166:
	s_and_saveexec_b32 s49, s5
	s_cbranch_execz .LBB104_170
; %bb.167:
	v_subrev_nc_u32_e32 v89, 20, v0
	s_movk_i32 s50, 0x3d0
	s_mov_b32 s5, 0
	s_mov_b32 s51, s27
	.p2align	6
.LBB104_168:                            ; =>This Inner Loop Header: Depth=1
	v_mov_b32_e32 v92, s51
	v_add_nc_u32_e32 v89, -1, v89
	s_add_i32 s51, s51, 16
	s_clause 0x3
	buffer_load_dword v90, v92, s[0:3], 0 offen offset:8
	buffer_load_dword v91, v92, s[0:3], 0 offen offset:12
	buffer_load_dword v98, v92, s[0:3], 0 offen
	buffer_load_dword v99, v92, s[0:3], 0 offen offset:4
	v_mov_b32_e32 v92, s50
	v_cmp_eq_u32_e32 vcc_lo, 0, v89
	s_add_i32 s50, s50, 16
	ds_read_b128 v[94:97], v92
	s_or_b32 s5, vcc_lo, s5
	s_waitcnt vmcnt(2) lgkmcnt(0)
	v_mul_f64 v[100:101], v[96:97], v[90:91]
	v_mul_f64 v[90:91], v[94:95], v[90:91]
	s_waitcnt vmcnt(0)
	v_fma_f64 v[94:95], v[94:95], v[98:99], -v[100:101]
	v_fma_f64 v[90:91], v[96:97], v[98:99], v[90:91]
	v_add_f64 v[1:2], v[1:2], v[94:95]
	v_add_f64 v[3:4], v[3:4], v[90:91]
	s_andn2_b32 exec_lo, exec_lo, s5
	s_cbranch_execnz .LBB104_168
; %bb.169:
	s_or_b32 exec_lo, exec_lo, s5
.LBB104_170:
	s_or_b32 exec_lo, exec_lo, s49
	v_mov_b32_e32 v89, 0
	ds_read_b128 v[89:92], v89 offset:304
	s_waitcnt lgkmcnt(0)
	v_mul_f64 v[94:95], v[3:4], v[91:92]
	v_mul_f64 v[91:92], v[1:2], v[91:92]
	v_fma_f64 v[1:2], v[1:2], v[89:90], -v[94:95]
	v_fma_f64 v[3:4], v[3:4], v[89:90], v[91:92]
	buffer_store_dword v2, off, s[0:3], 0 offset:308
	buffer_store_dword v1, off, s[0:3], 0 offset:304
	;; [unrolled: 1-line block ×4, first 2 shown]
.LBB104_171:
	s_or_b32 exec_lo, exec_lo, s8
	v_mov_b32_e32 v4, s29
	v_cmp_lt_u32_e64 s5, 18, v0
	s_clause 0x3
	buffer_load_dword v1, v4, s[0:3], 0 offen
	buffer_load_dword v2, v4, s[0:3], 0 offen offset:4
	buffer_load_dword v3, v4, s[0:3], 0 offen offset:8
	;; [unrolled: 1-line block ×3, first 2 shown]
	s_waitcnt vmcnt(0)
	ds_write_b128 v88, v[1:4]
	s_waitcnt lgkmcnt(0)
	s_waitcnt_vscnt null, 0x0
	s_barrier
	buffer_gl0_inv
	s_and_saveexec_b32 s8, s5
	s_cbranch_execz .LBB104_179
; %bb.172:
	ds_read_b128 v[1:4], v88
	s_andn2_b32 vcc_lo, exec_lo, s48
	s_cbranch_vccnz .LBB104_174
; %bb.173:
	s_clause 0x3
	buffer_load_dword v89, v87, s[0:3], 0 offen offset:8
	buffer_load_dword v90, v87, s[0:3], 0 offen offset:12
	buffer_load_dword v91, v87, s[0:3], 0 offen
	buffer_load_dword v92, v87, s[0:3], 0 offen offset:4
	s_waitcnt vmcnt(2) lgkmcnt(0)
	v_mul_f64 v[94:95], v[3:4], v[89:90]
	v_mul_f64 v[89:90], v[1:2], v[89:90]
	s_waitcnt vmcnt(0)
	v_fma_f64 v[1:2], v[1:2], v[91:92], -v[94:95]
	v_fma_f64 v[3:4], v[3:4], v[91:92], v[89:90]
.LBB104_174:
	s_and_saveexec_b32 s49, s4
	s_cbranch_execz .LBB104_178
; %bb.175:
	v_subrev_nc_u32_e32 v89, 19, v0
	s_movk_i32 s50, 0x3c0
	s_mov_b32 s4, 0
	s_mov_b32 s51, s28
	.p2align	6
.LBB104_176:                            ; =>This Inner Loop Header: Depth=1
	v_mov_b32_e32 v92, s51
	v_add_nc_u32_e32 v89, -1, v89
	s_add_i32 s51, s51, 16
	s_clause 0x3
	buffer_load_dword v90, v92, s[0:3], 0 offen offset:8
	buffer_load_dword v91, v92, s[0:3], 0 offen offset:12
	buffer_load_dword v98, v92, s[0:3], 0 offen
	buffer_load_dword v99, v92, s[0:3], 0 offen offset:4
	v_mov_b32_e32 v92, s50
	v_cmp_eq_u32_e32 vcc_lo, 0, v89
	s_add_i32 s50, s50, 16
	ds_read_b128 v[94:97], v92
	s_or_b32 s4, vcc_lo, s4
	s_waitcnt vmcnt(2) lgkmcnt(0)
	v_mul_f64 v[100:101], v[96:97], v[90:91]
	v_mul_f64 v[90:91], v[94:95], v[90:91]
	s_waitcnt vmcnt(0)
	v_fma_f64 v[94:95], v[94:95], v[98:99], -v[100:101]
	v_fma_f64 v[90:91], v[96:97], v[98:99], v[90:91]
	v_add_f64 v[1:2], v[1:2], v[94:95]
	v_add_f64 v[3:4], v[3:4], v[90:91]
	s_andn2_b32 exec_lo, exec_lo, s4
	s_cbranch_execnz .LBB104_176
; %bb.177:
	s_or_b32 exec_lo, exec_lo, s4
.LBB104_178:
	s_or_b32 exec_lo, exec_lo, s49
	v_mov_b32_e32 v89, 0
	ds_read_b128 v[89:92], v89 offset:288
	s_waitcnt lgkmcnt(0)
	v_mul_f64 v[94:95], v[3:4], v[91:92]
	v_mul_f64 v[91:92], v[1:2], v[91:92]
	v_fma_f64 v[1:2], v[1:2], v[89:90], -v[94:95]
	v_fma_f64 v[3:4], v[3:4], v[89:90], v[91:92]
	buffer_store_dword v2, off, s[0:3], 0 offset:292
	buffer_store_dword v1, off, s[0:3], 0 offset:288
	;; [unrolled: 1-line block ×4, first 2 shown]
.LBB104_179:
	s_or_b32 exec_lo, exec_lo, s8
	v_mov_b32_e32 v4, s30
	v_cmp_lt_u32_e64 s4, 17, v0
	s_clause 0x3
	buffer_load_dword v1, v4, s[0:3], 0 offen
	buffer_load_dword v2, v4, s[0:3], 0 offen offset:4
	buffer_load_dword v3, v4, s[0:3], 0 offen offset:8
	;; [unrolled: 1-line block ×3, first 2 shown]
	s_waitcnt vmcnt(0)
	ds_write_b128 v88, v[1:4]
	s_waitcnt lgkmcnt(0)
	s_waitcnt_vscnt null, 0x0
	s_barrier
	buffer_gl0_inv
	s_and_saveexec_b32 s8, s4
	s_cbranch_execz .LBB104_187
; %bb.180:
	ds_read_b128 v[1:4], v88
	s_andn2_b32 vcc_lo, exec_lo, s48
	s_cbranch_vccnz .LBB104_182
; %bb.181:
	s_clause 0x3
	buffer_load_dword v89, v87, s[0:3], 0 offen offset:8
	buffer_load_dword v90, v87, s[0:3], 0 offen offset:12
	buffer_load_dword v91, v87, s[0:3], 0 offen
	buffer_load_dword v92, v87, s[0:3], 0 offen offset:4
	s_waitcnt vmcnt(2) lgkmcnt(0)
	v_mul_f64 v[94:95], v[3:4], v[89:90]
	v_mul_f64 v[89:90], v[1:2], v[89:90]
	s_waitcnt vmcnt(0)
	v_fma_f64 v[1:2], v[1:2], v[91:92], -v[94:95]
	v_fma_f64 v[3:4], v[3:4], v[91:92], v[89:90]
.LBB104_182:
	s_and_saveexec_b32 s49, s5
	s_cbranch_execz .LBB104_186
; %bb.183:
	v_subrev_nc_u32_e32 v89, 18, v0
	s_movk_i32 s50, 0x3b0
	s_mov_b32 s5, 0
	s_mov_b32 s51, s29
	.p2align	6
.LBB104_184:                            ; =>This Inner Loop Header: Depth=1
	v_mov_b32_e32 v92, s51
	v_add_nc_u32_e32 v89, -1, v89
	s_add_i32 s51, s51, 16
	s_clause 0x3
	buffer_load_dword v90, v92, s[0:3], 0 offen offset:8
	buffer_load_dword v91, v92, s[0:3], 0 offen offset:12
	buffer_load_dword v98, v92, s[0:3], 0 offen
	buffer_load_dword v99, v92, s[0:3], 0 offen offset:4
	v_mov_b32_e32 v92, s50
	v_cmp_eq_u32_e32 vcc_lo, 0, v89
	s_add_i32 s50, s50, 16
	ds_read_b128 v[94:97], v92
	s_or_b32 s5, vcc_lo, s5
	s_waitcnt vmcnt(2) lgkmcnt(0)
	v_mul_f64 v[100:101], v[96:97], v[90:91]
	v_mul_f64 v[90:91], v[94:95], v[90:91]
	s_waitcnt vmcnt(0)
	v_fma_f64 v[94:95], v[94:95], v[98:99], -v[100:101]
	v_fma_f64 v[90:91], v[96:97], v[98:99], v[90:91]
	v_add_f64 v[1:2], v[1:2], v[94:95]
	v_add_f64 v[3:4], v[3:4], v[90:91]
	s_andn2_b32 exec_lo, exec_lo, s5
	s_cbranch_execnz .LBB104_184
; %bb.185:
	s_or_b32 exec_lo, exec_lo, s5
.LBB104_186:
	s_or_b32 exec_lo, exec_lo, s49
	v_mov_b32_e32 v89, 0
	ds_read_b128 v[89:92], v89 offset:272
	s_waitcnt lgkmcnt(0)
	v_mul_f64 v[94:95], v[3:4], v[91:92]
	v_mul_f64 v[91:92], v[1:2], v[91:92]
	v_fma_f64 v[1:2], v[1:2], v[89:90], -v[94:95]
	v_fma_f64 v[3:4], v[3:4], v[89:90], v[91:92]
	buffer_store_dword v2, off, s[0:3], 0 offset:276
	buffer_store_dword v1, off, s[0:3], 0 offset:272
	;; [unrolled: 1-line block ×4, first 2 shown]
.LBB104_187:
	s_or_b32 exec_lo, exec_lo, s8
	v_mov_b32_e32 v4, s31
	v_cmp_lt_u32_e64 s5, 16, v0
	s_clause 0x3
	buffer_load_dword v1, v4, s[0:3], 0 offen
	buffer_load_dword v2, v4, s[0:3], 0 offen offset:4
	buffer_load_dword v3, v4, s[0:3], 0 offen offset:8
	;; [unrolled: 1-line block ×3, first 2 shown]
	s_waitcnt vmcnt(0)
	ds_write_b128 v88, v[1:4]
	s_waitcnt lgkmcnt(0)
	s_waitcnt_vscnt null, 0x0
	s_barrier
	buffer_gl0_inv
	s_and_saveexec_b32 s8, s5
	s_cbranch_execz .LBB104_195
; %bb.188:
	ds_read_b128 v[1:4], v88
	s_andn2_b32 vcc_lo, exec_lo, s48
	s_cbranch_vccnz .LBB104_190
; %bb.189:
	s_clause 0x3
	buffer_load_dword v89, v87, s[0:3], 0 offen offset:8
	buffer_load_dword v90, v87, s[0:3], 0 offen offset:12
	buffer_load_dword v91, v87, s[0:3], 0 offen
	buffer_load_dword v92, v87, s[0:3], 0 offen offset:4
	s_waitcnt vmcnt(2) lgkmcnt(0)
	v_mul_f64 v[94:95], v[3:4], v[89:90]
	v_mul_f64 v[89:90], v[1:2], v[89:90]
	s_waitcnt vmcnt(0)
	v_fma_f64 v[1:2], v[1:2], v[91:92], -v[94:95]
	v_fma_f64 v[3:4], v[3:4], v[91:92], v[89:90]
.LBB104_190:
	s_and_saveexec_b32 s49, s4
	s_cbranch_execz .LBB104_194
; %bb.191:
	v_subrev_nc_u32_e32 v89, 17, v0
	s_movk_i32 s50, 0x3a0
	s_mov_b32 s4, 0
	s_mov_b32 s51, s30
	.p2align	6
.LBB104_192:                            ; =>This Inner Loop Header: Depth=1
	v_mov_b32_e32 v92, s51
	v_add_nc_u32_e32 v89, -1, v89
	s_add_i32 s51, s51, 16
	s_clause 0x3
	buffer_load_dword v90, v92, s[0:3], 0 offen offset:8
	buffer_load_dword v91, v92, s[0:3], 0 offen offset:12
	buffer_load_dword v98, v92, s[0:3], 0 offen
	buffer_load_dword v99, v92, s[0:3], 0 offen offset:4
	v_mov_b32_e32 v92, s50
	v_cmp_eq_u32_e32 vcc_lo, 0, v89
	s_add_i32 s50, s50, 16
	ds_read_b128 v[94:97], v92
	s_or_b32 s4, vcc_lo, s4
	s_waitcnt vmcnt(2) lgkmcnt(0)
	v_mul_f64 v[100:101], v[96:97], v[90:91]
	v_mul_f64 v[90:91], v[94:95], v[90:91]
	s_waitcnt vmcnt(0)
	v_fma_f64 v[94:95], v[94:95], v[98:99], -v[100:101]
	v_fma_f64 v[90:91], v[96:97], v[98:99], v[90:91]
	v_add_f64 v[1:2], v[1:2], v[94:95]
	v_add_f64 v[3:4], v[3:4], v[90:91]
	s_andn2_b32 exec_lo, exec_lo, s4
	s_cbranch_execnz .LBB104_192
; %bb.193:
	s_or_b32 exec_lo, exec_lo, s4
.LBB104_194:
	s_or_b32 exec_lo, exec_lo, s49
	v_mov_b32_e32 v89, 0
	ds_read_b128 v[89:92], v89 offset:256
	s_waitcnt lgkmcnt(0)
	v_mul_f64 v[94:95], v[3:4], v[91:92]
	v_mul_f64 v[91:92], v[1:2], v[91:92]
	v_fma_f64 v[1:2], v[1:2], v[89:90], -v[94:95]
	v_fma_f64 v[3:4], v[3:4], v[89:90], v[91:92]
	buffer_store_dword v2, off, s[0:3], 0 offset:260
	buffer_store_dword v1, off, s[0:3], 0 offset:256
	;; [unrolled: 1-line block ×4, first 2 shown]
.LBB104_195:
	s_or_b32 exec_lo, exec_lo, s8
	v_mov_b32_e32 v4, s33
	v_cmp_lt_u32_e64 s4, 15, v0
	s_clause 0x3
	buffer_load_dword v1, v4, s[0:3], 0 offen
	buffer_load_dword v2, v4, s[0:3], 0 offen offset:4
	buffer_load_dword v3, v4, s[0:3], 0 offen offset:8
	;; [unrolled: 1-line block ×3, first 2 shown]
	s_waitcnt vmcnt(0)
	ds_write_b128 v88, v[1:4]
	s_waitcnt lgkmcnt(0)
	s_waitcnt_vscnt null, 0x0
	s_barrier
	buffer_gl0_inv
	s_and_saveexec_b32 s8, s4
	s_cbranch_execz .LBB104_203
; %bb.196:
	ds_read_b128 v[1:4], v88
	s_andn2_b32 vcc_lo, exec_lo, s48
	s_cbranch_vccnz .LBB104_198
; %bb.197:
	s_clause 0x3
	buffer_load_dword v89, v87, s[0:3], 0 offen offset:8
	buffer_load_dword v90, v87, s[0:3], 0 offen offset:12
	buffer_load_dword v91, v87, s[0:3], 0 offen
	buffer_load_dword v92, v87, s[0:3], 0 offen offset:4
	s_waitcnt vmcnt(2) lgkmcnt(0)
	v_mul_f64 v[94:95], v[3:4], v[89:90]
	v_mul_f64 v[89:90], v[1:2], v[89:90]
	s_waitcnt vmcnt(0)
	v_fma_f64 v[1:2], v[1:2], v[91:92], -v[94:95]
	v_fma_f64 v[3:4], v[3:4], v[91:92], v[89:90]
.LBB104_198:
	s_and_saveexec_b32 s49, s5
	s_cbranch_execz .LBB104_202
; %bb.199:
	v_add_nc_u32_e32 v89, -16, v0
	s_movk_i32 s50, 0x390
	s_mov_b32 s5, 0
	s_mov_b32 s51, s31
	.p2align	6
.LBB104_200:                            ; =>This Inner Loop Header: Depth=1
	v_mov_b32_e32 v92, s51
	v_add_nc_u32_e32 v89, -1, v89
	s_add_i32 s51, s51, 16
	s_clause 0x3
	buffer_load_dword v90, v92, s[0:3], 0 offen offset:8
	buffer_load_dword v91, v92, s[0:3], 0 offen offset:12
	buffer_load_dword v98, v92, s[0:3], 0 offen
	buffer_load_dword v99, v92, s[0:3], 0 offen offset:4
	v_mov_b32_e32 v92, s50
	v_cmp_eq_u32_e32 vcc_lo, 0, v89
	s_add_i32 s50, s50, 16
	ds_read_b128 v[94:97], v92
	s_or_b32 s5, vcc_lo, s5
	s_waitcnt vmcnt(2) lgkmcnt(0)
	v_mul_f64 v[100:101], v[96:97], v[90:91]
	v_mul_f64 v[90:91], v[94:95], v[90:91]
	s_waitcnt vmcnt(0)
	v_fma_f64 v[94:95], v[94:95], v[98:99], -v[100:101]
	v_fma_f64 v[90:91], v[96:97], v[98:99], v[90:91]
	v_add_f64 v[1:2], v[1:2], v[94:95]
	v_add_f64 v[3:4], v[3:4], v[90:91]
	s_andn2_b32 exec_lo, exec_lo, s5
	s_cbranch_execnz .LBB104_200
; %bb.201:
	s_or_b32 exec_lo, exec_lo, s5
.LBB104_202:
	s_or_b32 exec_lo, exec_lo, s49
	v_mov_b32_e32 v89, 0
	ds_read_b128 v[89:92], v89 offset:240
	s_waitcnt lgkmcnt(0)
	v_mul_f64 v[94:95], v[3:4], v[91:92]
	v_mul_f64 v[91:92], v[1:2], v[91:92]
	v_fma_f64 v[1:2], v[1:2], v[89:90], -v[94:95]
	v_fma_f64 v[3:4], v[3:4], v[89:90], v[91:92]
	buffer_store_dword v2, off, s[0:3], 0 offset:244
	buffer_store_dword v1, off, s[0:3], 0 offset:240
	;; [unrolled: 1-line block ×4, first 2 shown]
.LBB104_203:
	s_or_b32 exec_lo, exec_lo, s8
	v_mov_b32_e32 v4, s34
	v_cmp_lt_u32_e64 s5, 14, v0
	s_clause 0x3
	buffer_load_dword v1, v4, s[0:3], 0 offen
	buffer_load_dword v2, v4, s[0:3], 0 offen offset:4
	buffer_load_dword v3, v4, s[0:3], 0 offen offset:8
	;; [unrolled: 1-line block ×3, first 2 shown]
	s_waitcnt vmcnt(0)
	ds_write_b128 v88, v[1:4]
	s_waitcnt lgkmcnt(0)
	s_waitcnt_vscnt null, 0x0
	s_barrier
	buffer_gl0_inv
	s_and_saveexec_b32 s8, s5
	s_cbranch_execz .LBB104_211
; %bb.204:
	ds_read_b128 v[1:4], v88
	s_andn2_b32 vcc_lo, exec_lo, s48
	s_cbranch_vccnz .LBB104_206
; %bb.205:
	s_clause 0x3
	buffer_load_dword v89, v87, s[0:3], 0 offen offset:8
	buffer_load_dword v90, v87, s[0:3], 0 offen offset:12
	buffer_load_dword v91, v87, s[0:3], 0 offen
	buffer_load_dword v92, v87, s[0:3], 0 offen offset:4
	s_waitcnt vmcnt(2) lgkmcnt(0)
	v_mul_f64 v[94:95], v[3:4], v[89:90]
	v_mul_f64 v[89:90], v[1:2], v[89:90]
	s_waitcnt vmcnt(0)
	v_fma_f64 v[1:2], v[1:2], v[91:92], -v[94:95]
	v_fma_f64 v[3:4], v[3:4], v[91:92], v[89:90]
.LBB104_206:
	s_and_saveexec_b32 s49, s4
	s_cbranch_execz .LBB104_210
; %bb.207:
	v_add_nc_u32_e32 v89, -15, v0
	s_movk_i32 s50, 0x380
	s_mov_b32 s4, 0
	s_mov_b32 s51, s33
	.p2align	6
.LBB104_208:                            ; =>This Inner Loop Header: Depth=1
	v_mov_b32_e32 v92, s51
	v_add_nc_u32_e32 v89, -1, v89
	s_add_i32 s51, s51, 16
	s_clause 0x3
	buffer_load_dword v90, v92, s[0:3], 0 offen offset:8
	buffer_load_dword v91, v92, s[0:3], 0 offen offset:12
	buffer_load_dword v98, v92, s[0:3], 0 offen
	buffer_load_dword v99, v92, s[0:3], 0 offen offset:4
	v_mov_b32_e32 v92, s50
	v_cmp_eq_u32_e32 vcc_lo, 0, v89
	s_add_i32 s50, s50, 16
	ds_read_b128 v[94:97], v92
	s_or_b32 s4, vcc_lo, s4
	s_waitcnt vmcnt(2) lgkmcnt(0)
	v_mul_f64 v[100:101], v[96:97], v[90:91]
	v_mul_f64 v[90:91], v[94:95], v[90:91]
	s_waitcnt vmcnt(0)
	v_fma_f64 v[94:95], v[94:95], v[98:99], -v[100:101]
	v_fma_f64 v[90:91], v[96:97], v[98:99], v[90:91]
	v_add_f64 v[1:2], v[1:2], v[94:95]
	v_add_f64 v[3:4], v[3:4], v[90:91]
	s_andn2_b32 exec_lo, exec_lo, s4
	s_cbranch_execnz .LBB104_208
; %bb.209:
	s_or_b32 exec_lo, exec_lo, s4
.LBB104_210:
	s_or_b32 exec_lo, exec_lo, s49
	v_mov_b32_e32 v89, 0
	ds_read_b128 v[89:92], v89 offset:224
	s_waitcnt lgkmcnt(0)
	v_mul_f64 v[94:95], v[3:4], v[91:92]
	v_mul_f64 v[91:92], v[1:2], v[91:92]
	v_fma_f64 v[1:2], v[1:2], v[89:90], -v[94:95]
	v_fma_f64 v[3:4], v[3:4], v[89:90], v[91:92]
	buffer_store_dword v2, off, s[0:3], 0 offset:228
	buffer_store_dword v1, off, s[0:3], 0 offset:224
	;; [unrolled: 1-line block ×4, first 2 shown]
.LBB104_211:
	s_or_b32 exec_lo, exec_lo, s8
	v_mov_b32_e32 v4, s35
	v_cmp_lt_u32_e64 s4, 13, v0
	s_clause 0x3
	buffer_load_dword v1, v4, s[0:3], 0 offen
	buffer_load_dword v2, v4, s[0:3], 0 offen offset:4
	buffer_load_dword v3, v4, s[0:3], 0 offen offset:8
	;; [unrolled: 1-line block ×3, first 2 shown]
	s_waitcnt vmcnt(0)
	ds_write_b128 v88, v[1:4]
	s_waitcnt lgkmcnt(0)
	s_waitcnt_vscnt null, 0x0
	s_barrier
	buffer_gl0_inv
	s_and_saveexec_b32 s8, s4
	s_cbranch_execz .LBB104_219
; %bb.212:
	ds_read_b128 v[1:4], v88
	s_andn2_b32 vcc_lo, exec_lo, s48
	s_cbranch_vccnz .LBB104_214
; %bb.213:
	s_clause 0x3
	buffer_load_dword v89, v87, s[0:3], 0 offen offset:8
	buffer_load_dword v90, v87, s[0:3], 0 offen offset:12
	buffer_load_dword v91, v87, s[0:3], 0 offen
	buffer_load_dword v92, v87, s[0:3], 0 offen offset:4
	s_waitcnt vmcnt(2) lgkmcnt(0)
	v_mul_f64 v[94:95], v[3:4], v[89:90]
	v_mul_f64 v[89:90], v[1:2], v[89:90]
	s_waitcnt vmcnt(0)
	v_fma_f64 v[1:2], v[1:2], v[91:92], -v[94:95]
	v_fma_f64 v[3:4], v[3:4], v[91:92], v[89:90]
.LBB104_214:
	s_and_saveexec_b32 s49, s5
	s_cbranch_execz .LBB104_218
; %bb.215:
	v_add_nc_u32_e32 v89, -14, v0
	s_movk_i32 s50, 0x370
	s_mov_b32 s5, 0
	s_mov_b32 s51, s34
	.p2align	6
.LBB104_216:                            ; =>This Inner Loop Header: Depth=1
	v_mov_b32_e32 v92, s51
	v_add_nc_u32_e32 v89, -1, v89
	s_add_i32 s51, s51, 16
	s_clause 0x3
	buffer_load_dword v90, v92, s[0:3], 0 offen offset:8
	buffer_load_dword v91, v92, s[0:3], 0 offen offset:12
	buffer_load_dword v98, v92, s[0:3], 0 offen
	buffer_load_dword v99, v92, s[0:3], 0 offen offset:4
	v_mov_b32_e32 v92, s50
	v_cmp_eq_u32_e32 vcc_lo, 0, v89
	s_add_i32 s50, s50, 16
	ds_read_b128 v[94:97], v92
	s_or_b32 s5, vcc_lo, s5
	s_waitcnt vmcnt(2) lgkmcnt(0)
	v_mul_f64 v[100:101], v[96:97], v[90:91]
	v_mul_f64 v[90:91], v[94:95], v[90:91]
	s_waitcnt vmcnt(0)
	v_fma_f64 v[94:95], v[94:95], v[98:99], -v[100:101]
	v_fma_f64 v[90:91], v[96:97], v[98:99], v[90:91]
	v_add_f64 v[1:2], v[1:2], v[94:95]
	v_add_f64 v[3:4], v[3:4], v[90:91]
	s_andn2_b32 exec_lo, exec_lo, s5
	s_cbranch_execnz .LBB104_216
; %bb.217:
	s_or_b32 exec_lo, exec_lo, s5
.LBB104_218:
	s_or_b32 exec_lo, exec_lo, s49
	v_mov_b32_e32 v89, 0
	ds_read_b128 v[89:92], v89 offset:208
	s_waitcnt lgkmcnt(0)
	v_mul_f64 v[94:95], v[3:4], v[91:92]
	v_mul_f64 v[91:92], v[1:2], v[91:92]
	v_fma_f64 v[1:2], v[1:2], v[89:90], -v[94:95]
	v_fma_f64 v[3:4], v[3:4], v[89:90], v[91:92]
	buffer_store_dword v2, off, s[0:3], 0 offset:212
	buffer_store_dword v1, off, s[0:3], 0 offset:208
	;; [unrolled: 1-line block ×4, first 2 shown]
.LBB104_219:
	s_or_b32 exec_lo, exec_lo, s8
	v_mov_b32_e32 v4, s36
	v_cmp_lt_u32_e64 s5, 12, v0
	s_clause 0x3
	buffer_load_dword v1, v4, s[0:3], 0 offen
	buffer_load_dword v2, v4, s[0:3], 0 offen offset:4
	buffer_load_dword v3, v4, s[0:3], 0 offen offset:8
	;; [unrolled: 1-line block ×3, first 2 shown]
	s_waitcnt vmcnt(0)
	ds_write_b128 v88, v[1:4]
	s_waitcnt lgkmcnt(0)
	s_waitcnt_vscnt null, 0x0
	s_barrier
	buffer_gl0_inv
	s_and_saveexec_b32 s8, s5
	s_cbranch_execz .LBB104_227
; %bb.220:
	ds_read_b128 v[1:4], v88
	s_andn2_b32 vcc_lo, exec_lo, s48
	s_cbranch_vccnz .LBB104_222
; %bb.221:
	s_clause 0x3
	buffer_load_dword v89, v87, s[0:3], 0 offen offset:8
	buffer_load_dword v90, v87, s[0:3], 0 offen offset:12
	buffer_load_dword v91, v87, s[0:3], 0 offen
	buffer_load_dword v92, v87, s[0:3], 0 offen offset:4
	s_waitcnt vmcnt(2) lgkmcnt(0)
	v_mul_f64 v[94:95], v[3:4], v[89:90]
	v_mul_f64 v[89:90], v[1:2], v[89:90]
	s_waitcnt vmcnt(0)
	v_fma_f64 v[1:2], v[1:2], v[91:92], -v[94:95]
	v_fma_f64 v[3:4], v[3:4], v[91:92], v[89:90]
.LBB104_222:
	s_and_saveexec_b32 s49, s4
	s_cbranch_execz .LBB104_226
; %bb.223:
	v_add_nc_u32_e32 v89, -13, v0
	s_movk_i32 s50, 0x360
	s_mov_b32 s4, 0
	s_mov_b32 s51, s35
	.p2align	6
.LBB104_224:                            ; =>This Inner Loop Header: Depth=1
	v_mov_b32_e32 v92, s51
	v_add_nc_u32_e32 v89, -1, v89
	s_add_i32 s51, s51, 16
	s_clause 0x3
	buffer_load_dword v90, v92, s[0:3], 0 offen offset:8
	buffer_load_dword v91, v92, s[0:3], 0 offen offset:12
	buffer_load_dword v98, v92, s[0:3], 0 offen
	buffer_load_dword v99, v92, s[0:3], 0 offen offset:4
	v_mov_b32_e32 v92, s50
	v_cmp_eq_u32_e32 vcc_lo, 0, v89
	s_add_i32 s50, s50, 16
	ds_read_b128 v[94:97], v92
	s_or_b32 s4, vcc_lo, s4
	s_waitcnt vmcnt(2) lgkmcnt(0)
	v_mul_f64 v[100:101], v[96:97], v[90:91]
	v_mul_f64 v[90:91], v[94:95], v[90:91]
	s_waitcnt vmcnt(0)
	v_fma_f64 v[94:95], v[94:95], v[98:99], -v[100:101]
	v_fma_f64 v[90:91], v[96:97], v[98:99], v[90:91]
	v_add_f64 v[1:2], v[1:2], v[94:95]
	v_add_f64 v[3:4], v[3:4], v[90:91]
	s_andn2_b32 exec_lo, exec_lo, s4
	s_cbranch_execnz .LBB104_224
; %bb.225:
	s_or_b32 exec_lo, exec_lo, s4
.LBB104_226:
	s_or_b32 exec_lo, exec_lo, s49
	v_mov_b32_e32 v89, 0
	ds_read_b128 v[89:92], v89 offset:192
	s_waitcnt lgkmcnt(0)
	v_mul_f64 v[94:95], v[3:4], v[91:92]
	v_mul_f64 v[91:92], v[1:2], v[91:92]
	v_fma_f64 v[1:2], v[1:2], v[89:90], -v[94:95]
	v_fma_f64 v[3:4], v[3:4], v[89:90], v[91:92]
	buffer_store_dword v2, off, s[0:3], 0 offset:196
	buffer_store_dword v1, off, s[0:3], 0 offset:192
	;; [unrolled: 1-line block ×4, first 2 shown]
.LBB104_227:
	s_or_b32 exec_lo, exec_lo, s8
	v_mov_b32_e32 v4, s37
	v_cmp_lt_u32_e64 s4, 11, v0
	s_clause 0x3
	buffer_load_dword v1, v4, s[0:3], 0 offen
	buffer_load_dword v2, v4, s[0:3], 0 offen offset:4
	buffer_load_dword v3, v4, s[0:3], 0 offen offset:8
	buffer_load_dword v4, v4, s[0:3], 0 offen offset:12
	s_waitcnt vmcnt(0)
	ds_write_b128 v88, v[1:4]
	s_waitcnt lgkmcnt(0)
	s_waitcnt_vscnt null, 0x0
	s_barrier
	buffer_gl0_inv
	s_and_saveexec_b32 s8, s4
	s_cbranch_execz .LBB104_235
; %bb.228:
	ds_read_b128 v[1:4], v88
	s_andn2_b32 vcc_lo, exec_lo, s48
	s_cbranch_vccnz .LBB104_230
; %bb.229:
	s_clause 0x3
	buffer_load_dword v89, v87, s[0:3], 0 offen offset:8
	buffer_load_dword v90, v87, s[0:3], 0 offen offset:12
	buffer_load_dword v91, v87, s[0:3], 0 offen
	buffer_load_dword v92, v87, s[0:3], 0 offen offset:4
	s_waitcnt vmcnt(2) lgkmcnt(0)
	v_mul_f64 v[94:95], v[3:4], v[89:90]
	v_mul_f64 v[89:90], v[1:2], v[89:90]
	s_waitcnt vmcnt(0)
	v_fma_f64 v[1:2], v[1:2], v[91:92], -v[94:95]
	v_fma_f64 v[3:4], v[3:4], v[91:92], v[89:90]
.LBB104_230:
	s_and_saveexec_b32 s49, s5
	s_cbranch_execz .LBB104_234
; %bb.231:
	v_add_nc_u32_e32 v89, -12, v0
	s_movk_i32 s50, 0x350
	s_mov_b32 s5, 0
	s_mov_b32 s51, s36
	.p2align	6
.LBB104_232:                            ; =>This Inner Loop Header: Depth=1
	v_mov_b32_e32 v92, s51
	v_add_nc_u32_e32 v89, -1, v89
	s_add_i32 s51, s51, 16
	s_clause 0x3
	buffer_load_dword v90, v92, s[0:3], 0 offen offset:8
	buffer_load_dword v91, v92, s[0:3], 0 offen offset:12
	buffer_load_dword v98, v92, s[0:3], 0 offen
	buffer_load_dword v99, v92, s[0:3], 0 offen offset:4
	v_mov_b32_e32 v92, s50
	v_cmp_eq_u32_e32 vcc_lo, 0, v89
	s_add_i32 s50, s50, 16
	ds_read_b128 v[94:97], v92
	s_or_b32 s5, vcc_lo, s5
	s_waitcnt vmcnt(2) lgkmcnt(0)
	v_mul_f64 v[100:101], v[96:97], v[90:91]
	v_mul_f64 v[90:91], v[94:95], v[90:91]
	s_waitcnt vmcnt(0)
	v_fma_f64 v[94:95], v[94:95], v[98:99], -v[100:101]
	v_fma_f64 v[90:91], v[96:97], v[98:99], v[90:91]
	v_add_f64 v[1:2], v[1:2], v[94:95]
	v_add_f64 v[3:4], v[3:4], v[90:91]
	s_andn2_b32 exec_lo, exec_lo, s5
	s_cbranch_execnz .LBB104_232
; %bb.233:
	s_or_b32 exec_lo, exec_lo, s5
.LBB104_234:
	s_or_b32 exec_lo, exec_lo, s49
	v_mov_b32_e32 v89, 0
	ds_read_b128 v[89:92], v89 offset:176
	s_waitcnt lgkmcnt(0)
	v_mul_f64 v[94:95], v[3:4], v[91:92]
	v_mul_f64 v[91:92], v[1:2], v[91:92]
	v_fma_f64 v[1:2], v[1:2], v[89:90], -v[94:95]
	v_fma_f64 v[3:4], v[3:4], v[89:90], v[91:92]
	buffer_store_dword v2, off, s[0:3], 0 offset:180
	buffer_store_dword v1, off, s[0:3], 0 offset:176
	;; [unrolled: 1-line block ×4, first 2 shown]
.LBB104_235:
	s_or_b32 exec_lo, exec_lo, s8
	v_mov_b32_e32 v4, s38
	v_cmp_lt_u32_e64 s5, 10, v0
	s_clause 0x3
	buffer_load_dword v1, v4, s[0:3], 0 offen
	buffer_load_dword v2, v4, s[0:3], 0 offen offset:4
	buffer_load_dword v3, v4, s[0:3], 0 offen offset:8
	;; [unrolled: 1-line block ×3, first 2 shown]
	s_waitcnt vmcnt(0)
	ds_write_b128 v88, v[1:4]
	s_waitcnt lgkmcnt(0)
	s_waitcnt_vscnt null, 0x0
	s_barrier
	buffer_gl0_inv
	s_and_saveexec_b32 s8, s5
	s_cbranch_execz .LBB104_243
; %bb.236:
	ds_read_b128 v[1:4], v88
	s_andn2_b32 vcc_lo, exec_lo, s48
	s_cbranch_vccnz .LBB104_238
; %bb.237:
	s_clause 0x3
	buffer_load_dword v89, v87, s[0:3], 0 offen offset:8
	buffer_load_dword v90, v87, s[0:3], 0 offen offset:12
	buffer_load_dword v91, v87, s[0:3], 0 offen
	buffer_load_dword v92, v87, s[0:3], 0 offen offset:4
	s_waitcnt vmcnt(2) lgkmcnt(0)
	v_mul_f64 v[94:95], v[3:4], v[89:90]
	v_mul_f64 v[89:90], v[1:2], v[89:90]
	s_waitcnt vmcnt(0)
	v_fma_f64 v[1:2], v[1:2], v[91:92], -v[94:95]
	v_fma_f64 v[3:4], v[3:4], v[91:92], v[89:90]
.LBB104_238:
	s_and_saveexec_b32 s49, s4
	s_cbranch_execz .LBB104_242
; %bb.239:
	v_add_nc_u32_e32 v89, -11, v0
	s_movk_i32 s50, 0x340
	s_mov_b32 s4, 0
	s_mov_b32 s51, s37
	.p2align	6
.LBB104_240:                            ; =>This Inner Loop Header: Depth=1
	v_mov_b32_e32 v92, s51
	v_add_nc_u32_e32 v89, -1, v89
	s_add_i32 s51, s51, 16
	s_clause 0x3
	buffer_load_dword v90, v92, s[0:3], 0 offen offset:8
	buffer_load_dword v91, v92, s[0:3], 0 offen offset:12
	buffer_load_dword v98, v92, s[0:3], 0 offen
	buffer_load_dword v99, v92, s[0:3], 0 offen offset:4
	v_mov_b32_e32 v92, s50
	v_cmp_eq_u32_e32 vcc_lo, 0, v89
	s_add_i32 s50, s50, 16
	ds_read_b128 v[94:97], v92
	s_or_b32 s4, vcc_lo, s4
	s_waitcnt vmcnt(2) lgkmcnt(0)
	v_mul_f64 v[100:101], v[96:97], v[90:91]
	v_mul_f64 v[90:91], v[94:95], v[90:91]
	s_waitcnt vmcnt(0)
	v_fma_f64 v[94:95], v[94:95], v[98:99], -v[100:101]
	v_fma_f64 v[90:91], v[96:97], v[98:99], v[90:91]
	v_add_f64 v[1:2], v[1:2], v[94:95]
	v_add_f64 v[3:4], v[3:4], v[90:91]
	s_andn2_b32 exec_lo, exec_lo, s4
	s_cbranch_execnz .LBB104_240
; %bb.241:
	s_or_b32 exec_lo, exec_lo, s4
.LBB104_242:
	s_or_b32 exec_lo, exec_lo, s49
	v_mov_b32_e32 v89, 0
	ds_read_b128 v[89:92], v89 offset:160
	s_waitcnt lgkmcnt(0)
	v_mul_f64 v[94:95], v[3:4], v[91:92]
	v_mul_f64 v[91:92], v[1:2], v[91:92]
	v_fma_f64 v[1:2], v[1:2], v[89:90], -v[94:95]
	v_fma_f64 v[3:4], v[3:4], v[89:90], v[91:92]
	buffer_store_dword v2, off, s[0:3], 0 offset:164
	buffer_store_dword v1, off, s[0:3], 0 offset:160
	buffer_store_dword v4, off, s[0:3], 0 offset:172
	buffer_store_dword v3, off, s[0:3], 0 offset:168
.LBB104_243:
	s_or_b32 exec_lo, exec_lo, s8
	v_mov_b32_e32 v4, s39
	v_cmp_lt_u32_e64 s4, 9, v0
	s_clause 0x3
	buffer_load_dword v1, v4, s[0:3], 0 offen
	buffer_load_dword v2, v4, s[0:3], 0 offen offset:4
	buffer_load_dword v3, v4, s[0:3], 0 offen offset:8
	;; [unrolled: 1-line block ×3, first 2 shown]
	s_waitcnt vmcnt(0)
	ds_write_b128 v88, v[1:4]
	s_waitcnt lgkmcnt(0)
	s_waitcnt_vscnt null, 0x0
	s_barrier
	buffer_gl0_inv
	s_and_saveexec_b32 s8, s4
	s_cbranch_execz .LBB104_251
; %bb.244:
	ds_read_b128 v[1:4], v88
	s_andn2_b32 vcc_lo, exec_lo, s48
	s_cbranch_vccnz .LBB104_246
; %bb.245:
	s_clause 0x3
	buffer_load_dword v89, v87, s[0:3], 0 offen offset:8
	buffer_load_dword v90, v87, s[0:3], 0 offen offset:12
	buffer_load_dword v91, v87, s[0:3], 0 offen
	buffer_load_dword v92, v87, s[0:3], 0 offen offset:4
	s_waitcnt vmcnt(2) lgkmcnt(0)
	v_mul_f64 v[94:95], v[3:4], v[89:90]
	v_mul_f64 v[89:90], v[1:2], v[89:90]
	s_waitcnt vmcnt(0)
	v_fma_f64 v[1:2], v[1:2], v[91:92], -v[94:95]
	v_fma_f64 v[3:4], v[3:4], v[91:92], v[89:90]
.LBB104_246:
	s_and_saveexec_b32 s49, s5
	s_cbranch_execz .LBB104_250
; %bb.247:
	v_add_nc_u32_e32 v89, -10, v0
	s_movk_i32 s50, 0x330
	s_mov_b32 s5, 0
	s_mov_b32 s51, s38
	.p2align	6
.LBB104_248:                            ; =>This Inner Loop Header: Depth=1
	v_mov_b32_e32 v92, s51
	v_add_nc_u32_e32 v89, -1, v89
	s_add_i32 s51, s51, 16
	s_clause 0x3
	buffer_load_dword v90, v92, s[0:3], 0 offen offset:8
	buffer_load_dword v91, v92, s[0:3], 0 offen offset:12
	buffer_load_dword v98, v92, s[0:3], 0 offen
	buffer_load_dword v99, v92, s[0:3], 0 offen offset:4
	v_mov_b32_e32 v92, s50
	v_cmp_eq_u32_e32 vcc_lo, 0, v89
	s_add_i32 s50, s50, 16
	ds_read_b128 v[94:97], v92
	s_or_b32 s5, vcc_lo, s5
	s_waitcnt vmcnt(2) lgkmcnt(0)
	v_mul_f64 v[100:101], v[96:97], v[90:91]
	v_mul_f64 v[90:91], v[94:95], v[90:91]
	s_waitcnt vmcnt(0)
	v_fma_f64 v[94:95], v[94:95], v[98:99], -v[100:101]
	v_fma_f64 v[90:91], v[96:97], v[98:99], v[90:91]
	v_add_f64 v[1:2], v[1:2], v[94:95]
	v_add_f64 v[3:4], v[3:4], v[90:91]
	s_andn2_b32 exec_lo, exec_lo, s5
	s_cbranch_execnz .LBB104_248
; %bb.249:
	s_or_b32 exec_lo, exec_lo, s5
.LBB104_250:
	s_or_b32 exec_lo, exec_lo, s49
	v_mov_b32_e32 v89, 0
	ds_read_b128 v[89:92], v89 offset:144
	s_waitcnt lgkmcnt(0)
	v_mul_f64 v[94:95], v[3:4], v[91:92]
	v_mul_f64 v[91:92], v[1:2], v[91:92]
	v_fma_f64 v[1:2], v[1:2], v[89:90], -v[94:95]
	v_fma_f64 v[3:4], v[3:4], v[89:90], v[91:92]
	buffer_store_dword v2, off, s[0:3], 0 offset:148
	buffer_store_dword v1, off, s[0:3], 0 offset:144
	;; [unrolled: 1-line block ×4, first 2 shown]
.LBB104_251:
	s_or_b32 exec_lo, exec_lo, s8
	v_mov_b32_e32 v4, s40
	v_cmp_lt_u32_e64 s5, 8, v0
	s_clause 0x3
	buffer_load_dword v1, v4, s[0:3], 0 offen
	buffer_load_dword v2, v4, s[0:3], 0 offen offset:4
	buffer_load_dword v3, v4, s[0:3], 0 offen offset:8
	;; [unrolled: 1-line block ×3, first 2 shown]
	s_waitcnt vmcnt(0)
	ds_write_b128 v88, v[1:4]
	s_waitcnt lgkmcnt(0)
	s_waitcnt_vscnt null, 0x0
	s_barrier
	buffer_gl0_inv
	s_and_saveexec_b32 s8, s5
	s_cbranch_execz .LBB104_259
; %bb.252:
	ds_read_b128 v[1:4], v88
	s_andn2_b32 vcc_lo, exec_lo, s48
	s_cbranch_vccnz .LBB104_254
; %bb.253:
	s_clause 0x3
	buffer_load_dword v89, v87, s[0:3], 0 offen offset:8
	buffer_load_dword v90, v87, s[0:3], 0 offen offset:12
	buffer_load_dword v91, v87, s[0:3], 0 offen
	buffer_load_dword v92, v87, s[0:3], 0 offen offset:4
	s_waitcnt vmcnt(2) lgkmcnt(0)
	v_mul_f64 v[94:95], v[3:4], v[89:90]
	v_mul_f64 v[89:90], v[1:2], v[89:90]
	s_waitcnt vmcnt(0)
	v_fma_f64 v[1:2], v[1:2], v[91:92], -v[94:95]
	v_fma_f64 v[3:4], v[3:4], v[91:92], v[89:90]
.LBB104_254:
	s_and_saveexec_b32 s49, s4
	s_cbranch_execz .LBB104_258
; %bb.255:
	v_add_nc_u32_e32 v89, -9, v0
	s_movk_i32 s50, 0x320
	s_mov_b32 s4, 0
	s_mov_b32 s51, s39
	.p2align	6
.LBB104_256:                            ; =>This Inner Loop Header: Depth=1
	v_mov_b32_e32 v92, s51
	v_add_nc_u32_e32 v89, -1, v89
	s_add_i32 s51, s51, 16
	s_clause 0x3
	buffer_load_dword v90, v92, s[0:3], 0 offen offset:8
	buffer_load_dword v91, v92, s[0:3], 0 offen offset:12
	buffer_load_dword v98, v92, s[0:3], 0 offen
	buffer_load_dword v99, v92, s[0:3], 0 offen offset:4
	v_mov_b32_e32 v92, s50
	v_cmp_eq_u32_e32 vcc_lo, 0, v89
	s_add_i32 s50, s50, 16
	ds_read_b128 v[94:97], v92
	s_or_b32 s4, vcc_lo, s4
	s_waitcnt vmcnt(2) lgkmcnt(0)
	v_mul_f64 v[100:101], v[96:97], v[90:91]
	v_mul_f64 v[90:91], v[94:95], v[90:91]
	s_waitcnt vmcnt(0)
	v_fma_f64 v[94:95], v[94:95], v[98:99], -v[100:101]
	v_fma_f64 v[90:91], v[96:97], v[98:99], v[90:91]
	v_add_f64 v[1:2], v[1:2], v[94:95]
	v_add_f64 v[3:4], v[3:4], v[90:91]
	s_andn2_b32 exec_lo, exec_lo, s4
	s_cbranch_execnz .LBB104_256
; %bb.257:
	s_or_b32 exec_lo, exec_lo, s4
.LBB104_258:
	s_or_b32 exec_lo, exec_lo, s49
	v_mov_b32_e32 v89, 0
	ds_read_b128 v[89:92], v89 offset:128
	s_waitcnt lgkmcnt(0)
	v_mul_f64 v[94:95], v[3:4], v[91:92]
	v_mul_f64 v[91:92], v[1:2], v[91:92]
	v_fma_f64 v[1:2], v[1:2], v[89:90], -v[94:95]
	v_fma_f64 v[3:4], v[3:4], v[89:90], v[91:92]
	buffer_store_dword v2, off, s[0:3], 0 offset:132
	buffer_store_dword v1, off, s[0:3], 0 offset:128
	;; [unrolled: 1-line block ×4, first 2 shown]
.LBB104_259:
	s_or_b32 exec_lo, exec_lo, s8
	v_mov_b32_e32 v4, s41
	v_cmp_lt_u32_e64 s4, 7, v0
	s_clause 0x3
	buffer_load_dword v1, v4, s[0:3], 0 offen
	buffer_load_dword v2, v4, s[0:3], 0 offen offset:4
	buffer_load_dword v3, v4, s[0:3], 0 offen offset:8
	;; [unrolled: 1-line block ×3, first 2 shown]
	s_waitcnt vmcnt(0)
	ds_write_b128 v88, v[1:4]
	s_waitcnt lgkmcnt(0)
	s_waitcnt_vscnt null, 0x0
	s_barrier
	buffer_gl0_inv
	s_and_saveexec_b32 s8, s4
	s_cbranch_execz .LBB104_267
; %bb.260:
	ds_read_b128 v[1:4], v88
	s_andn2_b32 vcc_lo, exec_lo, s48
	s_cbranch_vccnz .LBB104_262
; %bb.261:
	s_clause 0x3
	buffer_load_dword v89, v87, s[0:3], 0 offen offset:8
	buffer_load_dword v90, v87, s[0:3], 0 offen offset:12
	buffer_load_dword v91, v87, s[0:3], 0 offen
	buffer_load_dword v92, v87, s[0:3], 0 offen offset:4
	s_waitcnt vmcnt(2) lgkmcnt(0)
	v_mul_f64 v[94:95], v[3:4], v[89:90]
	v_mul_f64 v[89:90], v[1:2], v[89:90]
	s_waitcnt vmcnt(0)
	v_fma_f64 v[1:2], v[1:2], v[91:92], -v[94:95]
	v_fma_f64 v[3:4], v[3:4], v[91:92], v[89:90]
.LBB104_262:
	s_and_saveexec_b32 s49, s5
	s_cbranch_execz .LBB104_266
; %bb.263:
	v_add_nc_u32_e32 v89, -8, v0
	s_movk_i32 s50, 0x310
	s_mov_b32 s5, 0
	s_mov_b32 s51, s40
	.p2align	6
.LBB104_264:                            ; =>This Inner Loop Header: Depth=1
	v_mov_b32_e32 v92, s51
	v_add_nc_u32_e32 v89, -1, v89
	s_add_i32 s51, s51, 16
	s_clause 0x3
	buffer_load_dword v90, v92, s[0:3], 0 offen offset:8
	buffer_load_dword v91, v92, s[0:3], 0 offen offset:12
	buffer_load_dword v98, v92, s[0:3], 0 offen
	buffer_load_dword v99, v92, s[0:3], 0 offen offset:4
	v_mov_b32_e32 v92, s50
	v_cmp_eq_u32_e32 vcc_lo, 0, v89
	s_add_i32 s50, s50, 16
	ds_read_b128 v[94:97], v92
	s_or_b32 s5, vcc_lo, s5
	s_waitcnt vmcnt(2) lgkmcnt(0)
	v_mul_f64 v[100:101], v[96:97], v[90:91]
	v_mul_f64 v[90:91], v[94:95], v[90:91]
	s_waitcnt vmcnt(0)
	v_fma_f64 v[94:95], v[94:95], v[98:99], -v[100:101]
	v_fma_f64 v[90:91], v[96:97], v[98:99], v[90:91]
	v_add_f64 v[1:2], v[1:2], v[94:95]
	v_add_f64 v[3:4], v[3:4], v[90:91]
	s_andn2_b32 exec_lo, exec_lo, s5
	s_cbranch_execnz .LBB104_264
; %bb.265:
	s_or_b32 exec_lo, exec_lo, s5
.LBB104_266:
	s_or_b32 exec_lo, exec_lo, s49
	v_mov_b32_e32 v89, 0
	ds_read_b128 v[89:92], v89 offset:112
	s_waitcnt lgkmcnt(0)
	v_mul_f64 v[94:95], v[3:4], v[91:92]
	v_mul_f64 v[91:92], v[1:2], v[91:92]
	v_fma_f64 v[1:2], v[1:2], v[89:90], -v[94:95]
	v_fma_f64 v[3:4], v[3:4], v[89:90], v[91:92]
	buffer_store_dword v2, off, s[0:3], 0 offset:116
	buffer_store_dword v1, off, s[0:3], 0 offset:112
	;; [unrolled: 1-line block ×4, first 2 shown]
.LBB104_267:
	s_or_b32 exec_lo, exec_lo, s8
	v_mov_b32_e32 v4, s42
	v_cmp_lt_u32_e64 s5, 6, v0
	s_clause 0x3
	buffer_load_dword v1, v4, s[0:3], 0 offen
	buffer_load_dword v2, v4, s[0:3], 0 offen offset:4
	buffer_load_dword v3, v4, s[0:3], 0 offen offset:8
	buffer_load_dword v4, v4, s[0:3], 0 offen offset:12
	s_waitcnt vmcnt(0)
	ds_write_b128 v88, v[1:4]
	s_waitcnt lgkmcnt(0)
	s_waitcnt_vscnt null, 0x0
	s_barrier
	buffer_gl0_inv
	s_and_saveexec_b32 s8, s5
	s_cbranch_execz .LBB104_275
; %bb.268:
	ds_read_b128 v[1:4], v88
	s_andn2_b32 vcc_lo, exec_lo, s48
	s_cbranch_vccnz .LBB104_270
; %bb.269:
	s_clause 0x3
	buffer_load_dword v89, v87, s[0:3], 0 offen offset:8
	buffer_load_dword v90, v87, s[0:3], 0 offen offset:12
	buffer_load_dword v91, v87, s[0:3], 0 offen
	buffer_load_dword v92, v87, s[0:3], 0 offen offset:4
	s_waitcnt vmcnt(2) lgkmcnt(0)
	v_mul_f64 v[94:95], v[3:4], v[89:90]
	v_mul_f64 v[89:90], v[1:2], v[89:90]
	s_waitcnt vmcnt(0)
	v_fma_f64 v[1:2], v[1:2], v[91:92], -v[94:95]
	v_fma_f64 v[3:4], v[3:4], v[91:92], v[89:90]
.LBB104_270:
	s_and_saveexec_b32 s49, s4
	s_cbranch_execz .LBB104_274
; %bb.271:
	v_add_nc_u32_e32 v89, -7, v0
	s_movk_i32 s50, 0x300
	s_mov_b32 s4, 0
	s_mov_b32 s51, s41
	.p2align	6
.LBB104_272:                            ; =>This Inner Loop Header: Depth=1
	v_mov_b32_e32 v92, s51
	v_add_nc_u32_e32 v89, -1, v89
	s_add_i32 s51, s51, 16
	s_clause 0x3
	buffer_load_dword v90, v92, s[0:3], 0 offen offset:8
	buffer_load_dword v91, v92, s[0:3], 0 offen offset:12
	buffer_load_dword v98, v92, s[0:3], 0 offen
	buffer_load_dword v99, v92, s[0:3], 0 offen offset:4
	v_mov_b32_e32 v92, s50
	v_cmp_eq_u32_e32 vcc_lo, 0, v89
	s_add_i32 s50, s50, 16
	ds_read_b128 v[94:97], v92
	s_or_b32 s4, vcc_lo, s4
	s_waitcnt vmcnt(2) lgkmcnt(0)
	v_mul_f64 v[100:101], v[96:97], v[90:91]
	v_mul_f64 v[90:91], v[94:95], v[90:91]
	s_waitcnt vmcnt(0)
	v_fma_f64 v[94:95], v[94:95], v[98:99], -v[100:101]
	v_fma_f64 v[90:91], v[96:97], v[98:99], v[90:91]
	v_add_f64 v[1:2], v[1:2], v[94:95]
	v_add_f64 v[3:4], v[3:4], v[90:91]
	s_andn2_b32 exec_lo, exec_lo, s4
	s_cbranch_execnz .LBB104_272
; %bb.273:
	s_or_b32 exec_lo, exec_lo, s4
.LBB104_274:
	s_or_b32 exec_lo, exec_lo, s49
	v_mov_b32_e32 v89, 0
	ds_read_b128 v[89:92], v89 offset:96
	s_waitcnt lgkmcnt(0)
	v_mul_f64 v[94:95], v[3:4], v[91:92]
	v_mul_f64 v[91:92], v[1:2], v[91:92]
	v_fma_f64 v[1:2], v[1:2], v[89:90], -v[94:95]
	v_fma_f64 v[3:4], v[3:4], v[89:90], v[91:92]
	buffer_store_dword v2, off, s[0:3], 0 offset:100
	buffer_store_dword v1, off, s[0:3], 0 offset:96
	buffer_store_dword v4, off, s[0:3], 0 offset:108
	buffer_store_dword v3, off, s[0:3], 0 offset:104
.LBB104_275:
	s_or_b32 exec_lo, exec_lo, s8
	v_mov_b32_e32 v4, s43
	v_cmp_lt_u32_e64 s4, 5, v0
	s_clause 0x3
	buffer_load_dword v1, v4, s[0:3], 0 offen
	buffer_load_dword v2, v4, s[0:3], 0 offen offset:4
	buffer_load_dword v3, v4, s[0:3], 0 offen offset:8
	;; [unrolled: 1-line block ×3, first 2 shown]
	s_waitcnt vmcnt(0)
	ds_write_b128 v88, v[1:4]
	s_waitcnt lgkmcnt(0)
	s_waitcnt_vscnt null, 0x0
	s_barrier
	buffer_gl0_inv
	s_and_saveexec_b32 s8, s4
	s_cbranch_execz .LBB104_283
; %bb.276:
	ds_read_b128 v[1:4], v88
	s_andn2_b32 vcc_lo, exec_lo, s48
	s_cbranch_vccnz .LBB104_278
; %bb.277:
	s_clause 0x3
	buffer_load_dword v89, v87, s[0:3], 0 offen offset:8
	buffer_load_dword v90, v87, s[0:3], 0 offen offset:12
	buffer_load_dword v91, v87, s[0:3], 0 offen
	buffer_load_dword v92, v87, s[0:3], 0 offen offset:4
	s_waitcnt vmcnt(2) lgkmcnt(0)
	v_mul_f64 v[94:95], v[3:4], v[89:90]
	v_mul_f64 v[89:90], v[1:2], v[89:90]
	s_waitcnt vmcnt(0)
	v_fma_f64 v[1:2], v[1:2], v[91:92], -v[94:95]
	v_fma_f64 v[3:4], v[3:4], v[91:92], v[89:90]
.LBB104_278:
	s_and_saveexec_b32 s49, s5
	s_cbranch_execz .LBB104_282
; %bb.279:
	v_add_nc_u32_e32 v89, -6, v0
	s_movk_i32 s50, 0x2f0
	s_mov_b32 s5, 0
	s_mov_b32 s51, s42
	.p2align	6
.LBB104_280:                            ; =>This Inner Loop Header: Depth=1
	v_mov_b32_e32 v92, s51
	v_add_nc_u32_e32 v89, -1, v89
	s_add_i32 s51, s51, 16
	s_clause 0x3
	buffer_load_dword v90, v92, s[0:3], 0 offen offset:8
	buffer_load_dword v91, v92, s[0:3], 0 offen offset:12
	buffer_load_dword v98, v92, s[0:3], 0 offen
	buffer_load_dword v99, v92, s[0:3], 0 offen offset:4
	v_mov_b32_e32 v92, s50
	v_cmp_eq_u32_e32 vcc_lo, 0, v89
	s_add_i32 s50, s50, 16
	ds_read_b128 v[94:97], v92
	s_or_b32 s5, vcc_lo, s5
	s_waitcnt vmcnt(2) lgkmcnt(0)
	v_mul_f64 v[100:101], v[96:97], v[90:91]
	v_mul_f64 v[90:91], v[94:95], v[90:91]
	s_waitcnt vmcnt(0)
	v_fma_f64 v[94:95], v[94:95], v[98:99], -v[100:101]
	v_fma_f64 v[90:91], v[96:97], v[98:99], v[90:91]
	v_add_f64 v[1:2], v[1:2], v[94:95]
	v_add_f64 v[3:4], v[3:4], v[90:91]
	s_andn2_b32 exec_lo, exec_lo, s5
	s_cbranch_execnz .LBB104_280
; %bb.281:
	s_or_b32 exec_lo, exec_lo, s5
.LBB104_282:
	s_or_b32 exec_lo, exec_lo, s49
	v_mov_b32_e32 v89, 0
	ds_read_b128 v[89:92], v89 offset:80
	s_waitcnt lgkmcnt(0)
	v_mul_f64 v[94:95], v[3:4], v[91:92]
	v_mul_f64 v[91:92], v[1:2], v[91:92]
	v_fma_f64 v[1:2], v[1:2], v[89:90], -v[94:95]
	v_fma_f64 v[3:4], v[3:4], v[89:90], v[91:92]
	buffer_store_dword v2, off, s[0:3], 0 offset:84
	buffer_store_dword v1, off, s[0:3], 0 offset:80
	;; [unrolled: 1-line block ×4, first 2 shown]
.LBB104_283:
	s_or_b32 exec_lo, exec_lo, s8
	v_mov_b32_e32 v4, s44
	v_cmp_lt_u32_e64 s5, 4, v0
	s_clause 0x3
	buffer_load_dword v1, v4, s[0:3], 0 offen
	buffer_load_dword v2, v4, s[0:3], 0 offen offset:4
	buffer_load_dword v3, v4, s[0:3], 0 offen offset:8
	;; [unrolled: 1-line block ×3, first 2 shown]
	s_waitcnt vmcnt(0)
	ds_write_b128 v88, v[1:4]
	s_waitcnt lgkmcnt(0)
	s_waitcnt_vscnt null, 0x0
	s_barrier
	buffer_gl0_inv
	s_and_saveexec_b32 s8, s5
	s_cbranch_execz .LBB104_291
; %bb.284:
	ds_read_b128 v[1:4], v88
	s_andn2_b32 vcc_lo, exec_lo, s48
	s_cbranch_vccnz .LBB104_286
; %bb.285:
	s_clause 0x3
	buffer_load_dword v89, v87, s[0:3], 0 offen offset:8
	buffer_load_dword v90, v87, s[0:3], 0 offen offset:12
	buffer_load_dword v91, v87, s[0:3], 0 offen
	buffer_load_dword v92, v87, s[0:3], 0 offen offset:4
	s_waitcnt vmcnt(2) lgkmcnt(0)
	v_mul_f64 v[94:95], v[3:4], v[89:90]
	v_mul_f64 v[89:90], v[1:2], v[89:90]
	s_waitcnt vmcnt(0)
	v_fma_f64 v[1:2], v[1:2], v[91:92], -v[94:95]
	v_fma_f64 v[3:4], v[3:4], v[91:92], v[89:90]
.LBB104_286:
	s_and_saveexec_b32 s49, s4
	s_cbranch_execz .LBB104_290
; %bb.287:
	v_add_nc_u32_e32 v89, -5, v0
	s_movk_i32 s50, 0x2e0
	s_mov_b32 s4, 0
	s_mov_b32 s51, s43
	.p2align	6
.LBB104_288:                            ; =>This Inner Loop Header: Depth=1
	v_mov_b32_e32 v92, s51
	v_add_nc_u32_e32 v89, -1, v89
	s_add_i32 s51, s51, 16
	s_clause 0x3
	buffer_load_dword v90, v92, s[0:3], 0 offen offset:8
	buffer_load_dword v91, v92, s[0:3], 0 offen offset:12
	buffer_load_dword v98, v92, s[0:3], 0 offen
	buffer_load_dword v99, v92, s[0:3], 0 offen offset:4
	v_mov_b32_e32 v92, s50
	v_cmp_eq_u32_e32 vcc_lo, 0, v89
	s_add_i32 s50, s50, 16
	ds_read_b128 v[94:97], v92
	s_or_b32 s4, vcc_lo, s4
	s_waitcnt vmcnt(2) lgkmcnt(0)
	v_mul_f64 v[100:101], v[96:97], v[90:91]
	v_mul_f64 v[90:91], v[94:95], v[90:91]
	s_waitcnt vmcnt(0)
	v_fma_f64 v[94:95], v[94:95], v[98:99], -v[100:101]
	v_fma_f64 v[90:91], v[96:97], v[98:99], v[90:91]
	v_add_f64 v[1:2], v[1:2], v[94:95]
	v_add_f64 v[3:4], v[3:4], v[90:91]
	s_andn2_b32 exec_lo, exec_lo, s4
	s_cbranch_execnz .LBB104_288
; %bb.289:
	s_or_b32 exec_lo, exec_lo, s4
.LBB104_290:
	s_or_b32 exec_lo, exec_lo, s49
	v_mov_b32_e32 v89, 0
	ds_read_b128 v[89:92], v89 offset:64
	s_waitcnt lgkmcnt(0)
	v_mul_f64 v[94:95], v[3:4], v[91:92]
	v_mul_f64 v[91:92], v[1:2], v[91:92]
	v_fma_f64 v[1:2], v[1:2], v[89:90], -v[94:95]
	v_fma_f64 v[3:4], v[3:4], v[89:90], v[91:92]
	buffer_store_dword v2, off, s[0:3], 0 offset:68
	buffer_store_dword v1, off, s[0:3], 0 offset:64
	buffer_store_dword v4, off, s[0:3], 0 offset:76
	buffer_store_dword v3, off, s[0:3], 0 offset:72
.LBB104_291:
	s_or_b32 exec_lo, exec_lo, s8
	v_mov_b32_e32 v4, s45
	v_cmp_lt_u32_e64 s4, 3, v0
	s_clause 0x3
	buffer_load_dword v1, v4, s[0:3], 0 offen
	buffer_load_dword v2, v4, s[0:3], 0 offen offset:4
	buffer_load_dword v3, v4, s[0:3], 0 offen offset:8
	;; [unrolled: 1-line block ×3, first 2 shown]
	s_waitcnt vmcnt(0)
	ds_write_b128 v88, v[1:4]
	s_waitcnt lgkmcnt(0)
	s_waitcnt_vscnt null, 0x0
	s_barrier
	buffer_gl0_inv
	s_and_saveexec_b32 s8, s4
	s_cbranch_execz .LBB104_299
; %bb.292:
	ds_read_b128 v[1:4], v88
	s_andn2_b32 vcc_lo, exec_lo, s48
	s_cbranch_vccnz .LBB104_294
; %bb.293:
	s_clause 0x3
	buffer_load_dword v89, v87, s[0:3], 0 offen offset:8
	buffer_load_dword v90, v87, s[0:3], 0 offen offset:12
	buffer_load_dword v91, v87, s[0:3], 0 offen
	buffer_load_dword v92, v87, s[0:3], 0 offen offset:4
	s_waitcnt vmcnt(2) lgkmcnt(0)
	v_mul_f64 v[94:95], v[3:4], v[89:90]
	v_mul_f64 v[89:90], v[1:2], v[89:90]
	s_waitcnt vmcnt(0)
	v_fma_f64 v[1:2], v[1:2], v[91:92], -v[94:95]
	v_fma_f64 v[3:4], v[3:4], v[91:92], v[89:90]
.LBB104_294:
	s_and_saveexec_b32 s49, s5
	s_cbranch_execz .LBB104_298
; %bb.295:
	v_add_nc_u32_e32 v89, -4, v0
	s_movk_i32 s50, 0x2d0
	s_mov_b32 s5, 0
	s_mov_b32 s51, s44
	.p2align	6
.LBB104_296:                            ; =>This Inner Loop Header: Depth=1
	v_mov_b32_e32 v92, s51
	v_add_nc_u32_e32 v89, -1, v89
	s_add_i32 s51, s51, 16
	s_clause 0x3
	buffer_load_dword v90, v92, s[0:3], 0 offen offset:8
	buffer_load_dword v91, v92, s[0:3], 0 offen offset:12
	buffer_load_dword v98, v92, s[0:3], 0 offen
	buffer_load_dword v99, v92, s[0:3], 0 offen offset:4
	v_mov_b32_e32 v92, s50
	v_cmp_eq_u32_e32 vcc_lo, 0, v89
	s_add_i32 s50, s50, 16
	ds_read_b128 v[94:97], v92
	s_or_b32 s5, vcc_lo, s5
	s_waitcnt vmcnt(2) lgkmcnt(0)
	v_mul_f64 v[100:101], v[96:97], v[90:91]
	v_mul_f64 v[90:91], v[94:95], v[90:91]
	s_waitcnt vmcnt(0)
	v_fma_f64 v[94:95], v[94:95], v[98:99], -v[100:101]
	v_fma_f64 v[90:91], v[96:97], v[98:99], v[90:91]
	v_add_f64 v[1:2], v[1:2], v[94:95]
	v_add_f64 v[3:4], v[3:4], v[90:91]
	s_andn2_b32 exec_lo, exec_lo, s5
	s_cbranch_execnz .LBB104_296
; %bb.297:
	s_or_b32 exec_lo, exec_lo, s5
.LBB104_298:
	s_or_b32 exec_lo, exec_lo, s49
	v_mov_b32_e32 v89, 0
	ds_read_b128 v[89:92], v89 offset:48
	s_waitcnt lgkmcnt(0)
	v_mul_f64 v[94:95], v[3:4], v[91:92]
	v_mul_f64 v[91:92], v[1:2], v[91:92]
	v_fma_f64 v[1:2], v[1:2], v[89:90], -v[94:95]
	v_fma_f64 v[3:4], v[3:4], v[89:90], v[91:92]
	buffer_store_dword v2, off, s[0:3], 0 offset:52
	buffer_store_dword v1, off, s[0:3], 0 offset:48
	buffer_store_dword v4, off, s[0:3], 0 offset:60
	buffer_store_dword v3, off, s[0:3], 0 offset:56
.LBB104_299:
	s_or_b32 exec_lo, exec_lo, s8
	v_mov_b32_e32 v4, s46
	v_cmp_lt_u32_e64 s5, 2, v0
	s_clause 0x3
	buffer_load_dword v1, v4, s[0:3], 0 offen
	buffer_load_dword v2, v4, s[0:3], 0 offen offset:4
	buffer_load_dword v3, v4, s[0:3], 0 offen offset:8
	;; [unrolled: 1-line block ×3, first 2 shown]
	s_waitcnt vmcnt(0)
	ds_write_b128 v88, v[1:4]
	s_waitcnt lgkmcnt(0)
	s_waitcnt_vscnt null, 0x0
	s_barrier
	buffer_gl0_inv
	s_and_saveexec_b32 s8, s5
	s_cbranch_execz .LBB104_307
; %bb.300:
	ds_read_b128 v[1:4], v88
	s_andn2_b32 vcc_lo, exec_lo, s48
	s_cbranch_vccnz .LBB104_302
; %bb.301:
	s_clause 0x3
	buffer_load_dword v89, v87, s[0:3], 0 offen offset:8
	buffer_load_dword v90, v87, s[0:3], 0 offen offset:12
	buffer_load_dword v91, v87, s[0:3], 0 offen
	buffer_load_dword v92, v87, s[0:3], 0 offen offset:4
	s_waitcnt vmcnt(2) lgkmcnt(0)
	v_mul_f64 v[94:95], v[3:4], v[89:90]
	v_mul_f64 v[89:90], v[1:2], v[89:90]
	s_waitcnt vmcnt(0)
	v_fma_f64 v[1:2], v[1:2], v[91:92], -v[94:95]
	v_fma_f64 v[3:4], v[3:4], v[91:92], v[89:90]
.LBB104_302:
	s_and_saveexec_b32 s49, s4
	s_cbranch_execz .LBB104_306
; %bb.303:
	v_add_nc_u32_e32 v89, -3, v0
	s_movk_i32 s50, 0x2c0
	s_mov_b32 s4, 0
	s_mov_b32 s51, s45
	.p2align	6
.LBB104_304:                            ; =>This Inner Loop Header: Depth=1
	v_mov_b32_e32 v92, s51
	v_add_nc_u32_e32 v89, -1, v89
	s_add_i32 s51, s51, 16
	s_clause 0x3
	buffer_load_dword v90, v92, s[0:3], 0 offen offset:8
	buffer_load_dword v91, v92, s[0:3], 0 offen offset:12
	buffer_load_dword v98, v92, s[0:3], 0 offen
	buffer_load_dword v99, v92, s[0:3], 0 offen offset:4
	v_mov_b32_e32 v92, s50
	v_cmp_eq_u32_e32 vcc_lo, 0, v89
	s_add_i32 s50, s50, 16
	ds_read_b128 v[94:97], v92
	s_or_b32 s4, vcc_lo, s4
	s_waitcnt vmcnt(2) lgkmcnt(0)
	v_mul_f64 v[100:101], v[96:97], v[90:91]
	v_mul_f64 v[90:91], v[94:95], v[90:91]
	s_waitcnt vmcnt(0)
	v_fma_f64 v[94:95], v[94:95], v[98:99], -v[100:101]
	v_fma_f64 v[90:91], v[96:97], v[98:99], v[90:91]
	v_add_f64 v[1:2], v[1:2], v[94:95]
	v_add_f64 v[3:4], v[3:4], v[90:91]
	s_andn2_b32 exec_lo, exec_lo, s4
	s_cbranch_execnz .LBB104_304
; %bb.305:
	s_or_b32 exec_lo, exec_lo, s4
.LBB104_306:
	s_or_b32 exec_lo, exec_lo, s49
	v_mov_b32_e32 v89, 0
	ds_read_b128 v[89:92], v89 offset:32
	s_waitcnt lgkmcnt(0)
	v_mul_f64 v[94:95], v[3:4], v[91:92]
	v_mul_f64 v[91:92], v[1:2], v[91:92]
	v_fma_f64 v[1:2], v[1:2], v[89:90], -v[94:95]
	v_fma_f64 v[3:4], v[3:4], v[89:90], v[91:92]
	buffer_store_dword v2, off, s[0:3], 0 offset:36
	buffer_store_dword v1, off, s[0:3], 0 offset:32
	;; [unrolled: 1-line block ×4, first 2 shown]
.LBB104_307:
	s_or_b32 exec_lo, exec_lo, s8
	v_mov_b32_e32 v4, s47
	v_cmp_lt_u32_e64 s4, 1, v0
	s_clause 0x3
	buffer_load_dword v1, v4, s[0:3], 0 offen
	buffer_load_dword v2, v4, s[0:3], 0 offen offset:4
	buffer_load_dword v3, v4, s[0:3], 0 offen offset:8
	;; [unrolled: 1-line block ×3, first 2 shown]
	s_waitcnt vmcnt(0)
	ds_write_b128 v88, v[1:4]
	s_waitcnt lgkmcnt(0)
	s_waitcnt_vscnt null, 0x0
	s_barrier
	buffer_gl0_inv
	s_and_saveexec_b32 s8, s4
	s_cbranch_execz .LBB104_315
; %bb.308:
	ds_read_b128 v[1:4], v88
	s_andn2_b32 vcc_lo, exec_lo, s48
	s_cbranch_vccnz .LBB104_310
; %bb.309:
	s_clause 0x3
	buffer_load_dword v89, v87, s[0:3], 0 offen offset:8
	buffer_load_dword v90, v87, s[0:3], 0 offen offset:12
	buffer_load_dword v91, v87, s[0:3], 0 offen
	buffer_load_dword v92, v87, s[0:3], 0 offen offset:4
	s_waitcnt vmcnt(2) lgkmcnt(0)
	v_mul_f64 v[94:95], v[3:4], v[89:90]
	v_mul_f64 v[89:90], v[1:2], v[89:90]
	s_waitcnt vmcnt(0)
	v_fma_f64 v[1:2], v[1:2], v[91:92], -v[94:95]
	v_fma_f64 v[3:4], v[3:4], v[91:92], v[89:90]
.LBB104_310:
	s_and_saveexec_b32 s49, s5
	s_cbranch_execz .LBB104_314
; %bb.311:
	v_add_nc_u32_e32 v89, -2, v0
	s_movk_i32 s50, 0x2b0
	s_mov_b32 s5, 0
	s_mov_b32 s51, s46
	.p2align	6
.LBB104_312:                            ; =>This Inner Loop Header: Depth=1
	v_mov_b32_e32 v92, s51
	v_add_nc_u32_e32 v89, -1, v89
	s_add_i32 s51, s51, 16
	s_clause 0x3
	buffer_load_dword v90, v92, s[0:3], 0 offen offset:8
	buffer_load_dword v91, v92, s[0:3], 0 offen offset:12
	buffer_load_dword v98, v92, s[0:3], 0 offen
	buffer_load_dword v99, v92, s[0:3], 0 offen offset:4
	v_mov_b32_e32 v92, s50
	v_cmp_eq_u32_e32 vcc_lo, 0, v89
	s_add_i32 s50, s50, 16
	ds_read_b128 v[94:97], v92
	s_or_b32 s5, vcc_lo, s5
	s_waitcnt vmcnt(2) lgkmcnt(0)
	v_mul_f64 v[100:101], v[96:97], v[90:91]
	v_mul_f64 v[90:91], v[94:95], v[90:91]
	s_waitcnt vmcnt(0)
	v_fma_f64 v[94:95], v[94:95], v[98:99], -v[100:101]
	v_fma_f64 v[90:91], v[96:97], v[98:99], v[90:91]
	v_add_f64 v[1:2], v[1:2], v[94:95]
	v_add_f64 v[3:4], v[3:4], v[90:91]
	s_andn2_b32 exec_lo, exec_lo, s5
	s_cbranch_execnz .LBB104_312
; %bb.313:
	s_or_b32 exec_lo, exec_lo, s5
.LBB104_314:
	s_or_b32 exec_lo, exec_lo, s49
	v_mov_b32_e32 v89, 0
	ds_read_b128 v[89:92], v89 offset:16
	s_waitcnt lgkmcnt(0)
	v_mul_f64 v[94:95], v[3:4], v[91:92]
	v_mul_f64 v[91:92], v[1:2], v[91:92]
	v_fma_f64 v[1:2], v[1:2], v[89:90], -v[94:95]
	v_fma_f64 v[3:4], v[3:4], v[89:90], v[91:92]
	buffer_store_dword v2, off, s[0:3], 0 offset:20
	buffer_store_dword v1, off, s[0:3], 0 offset:16
	;; [unrolled: 1-line block ×4, first 2 shown]
.LBB104_315:
	s_or_b32 exec_lo, exec_lo, s8
	s_clause 0x3
	buffer_load_dword v1, off, s[0:3], 0
	buffer_load_dword v2, off, s[0:3], 0 offset:4
	buffer_load_dword v3, off, s[0:3], 0 offset:8
	;; [unrolled: 1-line block ×3, first 2 shown]
	s_mov_b32 s8, 0
	s_mov_b32 s5, 0
	s_mov_b32 s49, exec_lo
                                        ; implicit-def: $sgpr50
	s_waitcnt vmcnt(0)
	ds_write_b128 v88, v[1:4]
	s_waitcnt lgkmcnt(0)
	s_waitcnt_vscnt null, 0x0
	s_barrier
	buffer_gl0_inv
                                        ; implicit-def: $vgpr1_vgpr2
	v_cmpx_ne_u32_e32 0, v0
	s_cbranch_execz .LBB104_323
; %bb.316:
	ds_read_b128 v[1:4], v88
	s_andn2_b32 vcc_lo, exec_lo, s48
	s_cbranch_vccnz .LBB104_318
; %bb.317:
	s_clause 0x3
	buffer_load_dword v89, v87, s[0:3], 0 offen offset:8
	buffer_load_dword v90, v87, s[0:3], 0 offen offset:12
	buffer_load_dword v91, v87, s[0:3], 0 offen
	buffer_load_dword v92, v87, s[0:3], 0 offen offset:4
	s_waitcnt vmcnt(2) lgkmcnt(0)
	v_mul_f64 v[94:95], v[3:4], v[89:90]
	v_mul_f64 v[89:90], v[1:2], v[89:90]
	s_waitcnt vmcnt(0)
	v_fma_f64 v[1:2], v[1:2], v[91:92], -v[94:95]
	v_fma_f64 v[3:4], v[3:4], v[91:92], v[89:90]
.LBB104_318:
	s_and_saveexec_b32 s5, s4
	s_cbranch_execz .LBB104_322
; %bb.319:
	v_add_nc_u32_e32 v89, -1, v0
	s_movk_i32 s50, 0x2a0
	s_mov_b32 s4, 0
	s_mov_b32 s51, s47
	.p2align	6
.LBB104_320:                            ; =>This Inner Loop Header: Depth=1
	v_mov_b32_e32 v92, s51
	v_add_nc_u32_e32 v89, -1, v89
	s_add_i32 s51, s51, 16
	s_clause 0x3
	buffer_load_dword v90, v92, s[0:3], 0 offen offset:8
	buffer_load_dword v91, v92, s[0:3], 0 offen offset:12
	buffer_load_dword v98, v92, s[0:3], 0 offen
	buffer_load_dword v99, v92, s[0:3], 0 offen offset:4
	v_mov_b32_e32 v92, s50
	v_cmp_eq_u32_e32 vcc_lo, 0, v89
	s_add_i32 s50, s50, 16
	ds_read_b128 v[94:97], v92
	s_or_b32 s4, vcc_lo, s4
	s_waitcnt vmcnt(2) lgkmcnt(0)
	v_mul_f64 v[100:101], v[96:97], v[90:91]
	v_mul_f64 v[90:91], v[94:95], v[90:91]
	s_waitcnt vmcnt(0)
	v_fma_f64 v[94:95], v[94:95], v[98:99], -v[100:101]
	v_fma_f64 v[90:91], v[96:97], v[98:99], v[90:91]
	v_add_f64 v[1:2], v[1:2], v[94:95]
	v_add_f64 v[3:4], v[3:4], v[90:91]
	s_andn2_b32 exec_lo, exec_lo, s4
	s_cbranch_execnz .LBB104_320
; %bb.321:
	s_or_b32 exec_lo, exec_lo, s4
.LBB104_322:
	s_or_b32 exec_lo, exec_lo, s5
	v_mov_b32_e32 v89, 0
	s_mov_b32 s5, exec_lo
	s_or_b32 s50, 0, 8
	ds_read_b128 v[89:92], v89
	s_waitcnt lgkmcnt(0)
	v_mul_f64 v[94:95], v[3:4], v[91:92]
	v_mul_f64 v[91:92], v[1:2], v[91:92]
	v_fma_f64 v[94:95], v[1:2], v[89:90], -v[94:95]
	v_fma_f64 v[1:2], v[3:4], v[89:90], v[91:92]
	buffer_store_dword v95, off, s[0:3], 0 offset:4
	buffer_store_dword v94, off, s[0:3], 0
.LBB104_323:
	s_or_b32 exec_lo, exec_lo, s49
	s_and_b32 vcc_lo, exec_lo, s8
	s_cbranch_vccnz .LBB104_325
	s_branch .LBB104_640
.LBB104_324:
	s_mov_b32 s5, 0
                                        ; implicit-def: $vgpr1_vgpr2
                                        ; implicit-def: $sgpr50
	s_cbranch_execz .LBB104_640
.LBB104_325:
	v_mov_b32_e32 v4, s47
	v_cmp_eq_u32_e64 s4, 0, v0
	v_cndmask_b32_e64 v89, 0, 1, s48
	s_clause 0x3
	buffer_load_dword v1, v4, s[0:3], 0 offen
	buffer_load_dword v2, v4, s[0:3], 0 offen offset:4
	buffer_load_dword v3, v4, s[0:3], 0 offen offset:8
	;; [unrolled: 1-line block ×3, first 2 shown]
	s_waitcnt vmcnt(0)
	ds_write_b128 v88, v[1:4]
	s_waitcnt lgkmcnt(0)
	s_waitcnt_vscnt null, 0x0
	s_barrier
	buffer_gl0_inv
	s_and_saveexec_b32 s8, s4
	s_cbranch_execz .LBB104_329
; %bb.326:
	ds_read_b128 v[1:4], v88
	s_andn2_b32 vcc_lo, exec_lo, s48
	s_cbranch_vccnz .LBB104_328
; %bb.327:
	s_clause 0x3
	buffer_load_dword v90, v87, s[0:3], 0 offen offset:8
	buffer_load_dword v91, v87, s[0:3], 0 offen offset:12
	buffer_load_dword v94, v87, s[0:3], 0 offen
	buffer_load_dword v95, v87, s[0:3], 0 offen offset:4
	s_waitcnt vmcnt(2) lgkmcnt(0)
	v_mul_f64 v[96:97], v[3:4], v[90:91]
	v_mul_f64 v[90:91], v[1:2], v[90:91]
	s_waitcnt vmcnt(0)
	v_fma_f64 v[1:2], v[1:2], v[94:95], -v[96:97]
	v_fma_f64 v[3:4], v[3:4], v[94:95], v[90:91]
.LBB104_328:
	v_mov_b32_e32 v90, 0
	ds_read_b128 v[94:97], v90 offset:16
	s_waitcnt lgkmcnt(0)
	v_mul_f64 v[90:91], v[3:4], v[96:97]
	v_mul_f64 v[96:97], v[1:2], v[96:97]
	v_fma_f64 v[1:2], v[1:2], v[94:95], -v[90:91]
	v_fma_f64 v[3:4], v[3:4], v[94:95], v[96:97]
	buffer_store_dword v2, off, s[0:3], 0 offset:20
	buffer_store_dword v1, off, s[0:3], 0 offset:16
	;; [unrolled: 1-line block ×4, first 2 shown]
.LBB104_329:
	s_or_b32 exec_lo, exec_lo, s8
	v_mov_b32_e32 v4, s46
	s_mov_b32 s8, exec_lo
	s_clause 0x3
	buffer_load_dword v1, v4, s[0:3], 0 offen
	buffer_load_dword v2, v4, s[0:3], 0 offen offset:4
	buffer_load_dword v3, v4, s[0:3], 0 offen offset:8
	;; [unrolled: 1-line block ×3, first 2 shown]
	s_waitcnt vmcnt(0)
	ds_write_b128 v88, v[1:4]
	s_waitcnt lgkmcnt(0)
	s_waitcnt_vscnt null, 0x0
	s_barrier
	buffer_gl0_inv
	v_cmpx_gt_u32_e32 2, v0
	s_cbranch_execz .LBB104_335
; %bb.330:
	ds_read_b128 v[1:4], v88
	v_cmp_ne_u32_e32 vcc_lo, 1, v89
	s_cbranch_vccnz .LBB104_332
; %bb.331:
	s_clause 0x3
	buffer_load_dword v90, v87, s[0:3], 0 offen offset:8
	buffer_load_dword v91, v87, s[0:3], 0 offen offset:12
	buffer_load_dword v94, v87, s[0:3], 0 offen
	buffer_load_dword v95, v87, s[0:3], 0 offen offset:4
	s_waitcnt vmcnt(2) lgkmcnt(0)
	v_mul_f64 v[96:97], v[3:4], v[90:91]
	v_mul_f64 v[90:91], v[1:2], v[90:91]
	s_waitcnt vmcnt(0)
	v_fma_f64 v[1:2], v[1:2], v[94:95], -v[96:97]
	v_fma_f64 v[3:4], v[3:4], v[94:95], v[90:91]
.LBB104_332:
	s_and_saveexec_b32 s48, s4
	s_cbranch_execz .LBB104_334
; %bb.333:
	s_clause 0x3
	buffer_load_dword v90, off, s[0:3], 0 offset:24
	buffer_load_dword v91, off, s[0:3], 0 offset:28
	;; [unrolled: 1-line block ×4, first 2 shown]
	v_mov_b32_e32 v92, 0
	ds_read_b128 v[94:97], v92 offset:672
	s_waitcnt vmcnt(2) lgkmcnt(0)
	v_mul_f64 v[100:101], v[96:97], v[90:91]
	v_mul_f64 v[90:91], v[94:95], v[90:91]
	s_waitcnt vmcnt(0)
	v_fma_f64 v[94:95], v[94:95], v[98:99], -v[100:101]
	v_fma_f64 v[90:91], v[96:97], v[98:99], v[90:91]
	v_add_f64 v[1:2], v[1:2], v[94:95]
	v_add_f64 v[3:4], v[3:4], v[90:91]
.LBB104_334:
	s_or_b32 exec_lo, exec_lo, s48
	v_mov_b32_e32 v90, 0
	ds_read_b128 v[94:97], v90 offset:32
	s_waitcnt lgkmcnt(0)
	v_mul_f64 v[90:91], v[3:4], v[96:97]
	v_mul_f64 v[96:97], v[1:2], v[96:97]
	v_fma_f64 v[1:2], v[1:2], v[94:95], -v[90:91]
	v_fma_f64 v[3:4], v[3:4], v[94:95], v[96:97]
	buffer_store_dword v2, off, s[0:3], 0 offset:36
	buffer_store_dword v1, off, s[0:3], 0 offset:32
	;; [unrolled: 1-line block ×4, first 2 shown]
.LBB104_335:
	s_or_b32 exec_lo, exec_lo, s8
	v_mov_b32_e32 v4, s45
	s_mov_b32 s8, exec_lo
	s_clause 0x3
	buffer_load_dword v1, v4, s[0:3], 0 offen
	buffer_load_dword v2, v4, s[0:3], 0 offen offset:4
	buffer_load_dword v3, v4, s[0:3], 0 offen offset:8
	;; [unrolled: 1-line block ×3, first 2 shown]
	s_waitcnt vmcnt(0)
	ds_write_b128 v88, v[1:4]
	s_waitcnt lgkmcnt(0)
	s_waitcnt_vscnt null, 0x0
	s_barrier
	buffer_gl0_inv
	v_cmpx_gt_u32_e32 3, v0
	s_cbranch_execz .LBB104_343
; %bb.336:
	ds_read_b128 v[1:4], v88
	v_cmp_ne_u32_e32 vcc_lo, 1, v89
	s_cbranch_vccnz .LBB104_338
; %bb.337:
	s_clause 0x3
	buffer_load_dword v90, v87, s[0:3], 0 offen offset:8
	buffer_load_dword v91, v87, s[0:3], 0 offen offset:12
	buffer_load_dword v94, v87, s[0:3], 0 offen
	buffer_load_dword v95, v87, s[0:3], 0 offen offset:4
	s_waitcnt vmcnt(2) lgkmcnt(0)
	v_mul_f64 v[96:97], v[3:4], v[90:91]
	v_mul_f64 v[90:91], v[1:2], v[90:91]
	s_waitcnt vmcnt(0)
	v_fma_f64 v[1:2], v[1:2], v[94:95], -v[96:97]
	v_fma_f64 v[3:4], v[3:4], v[94:95], v[90:91]
.LBB104_338:
	s_mov_b32 s48, exec_lo
	v_cmpx_ne_u32_e32 2, v0
	s_cbranch_execz .LBB104_342
; %bb.339:
	s_clause 0x3
	buffer_load_dword v90, v87, s[0:3], 0 offen offset:24
	buffer_load_dword v91, v87, s[0:3], 0 offen offset:28
	;; [unrolled: 1-line block ×4, first 2 shown]
	ds_read_b128 v[94:97], v88 offset:16
	s_waitcnt vmcnt(2) lgkmcnt(0)
	v_mul_f64 v[100:101], v[96:97], v[90:91]
	v_mul_f64 v[90:91], v[94:95], v[90:91]
	s_waitcnt vmcnt(0)
	v_fma_f64 v[94:95], v[94:95], v[98:99], -v[100:101]
	v_fma_f64 v[90:91], v[96:97], v[98:99], v[90:91]
	v_add_f64 v[1:2], v[1:2], v[94:95]
	v_add_f64 v[3:4], v[3:4], v[90:91]
	s_and_saveexec_b32 s49, s4
	s_cbranch_execz .LBB104_341
; %bb.340:
	s_clause 0x3
	buffer_load_dword v90, off, s[0:3], 0 offset:40
	buffer_load_dword v91, off, s[0:3], 0 offset:44
	;; [unrolled: 1-line block ×4, first 2 shown]
	v_mov_b32_e32 v92, 0
	ds_read_b128 v[94:97], v92 offset:688
	s_waitcnt vmcnt(2) lgkmcnt(0)
	v_mul_f64 v[100:101], v[94:95], v[90:91]
	v_mul_f64 v[90:91], v[96:97], v[90:91]
	s_waitcnt vmcnt(0)
	v_fma_f64 v[96:97], v[96:97], v[98:99], v[100:101]
	v_fma_f64 v[90:91], v[94:95], v[98:99], -v[90:91]
	v_add_f64 v[3:4], v[3:4], v[96:97]
	v_add_f64 v[1:2], v[1:2], v[90:91]
.LBB104_341:
	s_or_b32 exec_lo, exec_lo, s49
.LBB104_342:
	s_or_b32 exec_lo, exec_lo, s48
	v_mov_b32_e32 v90, 0
	ds_read_b128 v[94:97], v90 offset:48
	s_waitcnt lgkmcnt(0)
	v_mul_f64 v[90:91], v[3:4], v[96:97]
	v_mul_f64 v[96:97], v[1:2], v[96:97]
	v_fma_f64 v[1:2], v[1:2], v[94:95], -v[90:91]
	v_fma_f64 v[3:4], v[3:4], v[94:95], v[96:97]
	buffer_store_dword v2, off, s[0:3], 0 offset:52
	buffer_store_dword v1, off, s[0:3], 0 offset:48
	;; [unrolled: 1-line block ×4, first 2 shown]
.LBB104_343:
	s_or_b32 exec_lo, exec_lo, s8
	v_mov_b32_e32 v4, s44
	s_mov_b32 s4, exec_lo
	s_clause 0x3
	buffer_load_dword v1, v4, s[0:3], 0 offen
	buffer_load_dword v2, v4, s[0:3], 0 offen offset:4
	buffer_load_dword v3, v4, s[0:3], 0 offen offset:8
	;; [unrolled: 1-line block ×3, first 2 shown]
	s_waitcnt vmcnt(0)
	ds_write_b128 v88, v[1:4]
	s_waitcnt lgkmcnt(0)
	s_waitcnt_vscnt null, 0x0
	s_barrier
	buffer_gl0_inv
	v_cmpx_gt_u32_e32 4, v0
	s_cbranch_execz .LBB104_351
; %bb.344:
	ds_read_b128 v[1:4], v88
	v_cmp_ne_u32_e32 vcc_lo, 1, v89
	s_cbranch_vccnz .LBB104_346
; %bb.345:
	s_clause 0x3
	buffer_load_dword v90, v87, s[0:3], 0 offen offset:8
	buffer_load_dword v91, v87, s[0:3], 0 offen offset:12
	buffer_load_dword v94, v87, s[0:3], 0 offen
	buffer_load_dword v95, v87, s[0:3], 0 offen offset:4
	s_waitcnt vmcnt(2) lgkmcnt(0)
	v_mul_f64 v[96:97], v[3:4], v[90:91]
	v_mul_f64 v[90:91], v[1:2], v[90:91]
	s_waitcnt vmcnt(0)
	v_fma_f64 v[1:2], v[1:2], v[94:95], -v[96:97]
	v_fma_f64 v[3:4], v[3:4], v[94:95], v[90:91]
.LBB104_346:
	s_mov_b32 s8, exec_lo
	v_cmpx_ne_u32_e32 3, v0
	s_cbranch_execz .LBB104_350
; %bb.347:
	v_add_nc_u32_e32 v90, 0x2a0, v93
	v_add3_u32 v91, 0, v93, 16
	v_mov_b32_e32 v92, v0
	s_mov_b32 s48, 0
	.p2align	6
.LBB104_348:                            ; =>This Inner Loop Header: Depth=1
	s_clause 0x3
	buffer_load_dword v98, v91, s[0:3], 0 offen offset:8
	buffer_load_dword v99, v91, s[0:3], 0 offen offset:12
	buffer_load_dword v100, v91, s[0:3], 0 offen
	buffer_load_dword v101, v91, s[0:3], 0 offen offset:4
	ds_read_b128 v[94:97], v90
	v_add_nc_u32_e32 v92, 1, v92
	v_add_nc_u32_e32 v90, 16, v90
	v_add_nc_u32_e32 v91, 16, v91
	v_cmp_lt_u32_e32 vcc_lo, 2, v92
	s_or_b32 s48, vcc_lo, s48
	s_waitcnt vmcnt(2) lgkmcnt(0)
	v_mul_f64 v[102:103], v[96:97], v[98:99]
	v_mul_f64 v[98:99], v[94:95], v[98:99]
	s_waitcnt vmcnt(0)
	v_fma_f64 v[94:95], v[94:95], v[100:101], -v[102:103]
	v_fma_f64 v[96:97], v[96:97], v[100:101], v[98:99]
	v_add_f64 v[1:2], v[1:2], v[94:95]
	v_add_f64 v[3:4], v[3:4], v[96:97]
	s_andn2_b32 exec_lo, exec_lo, s48
	s_cbranch_execnz .LBB104_348
; %bb.349:
	s_or_b32 exec_lo, exec_lo, s48
.LBB104_350:
	s_or_b32 exec_lo, exec_lo, s8
	v_mov_b32_e32 v90, 0
	ds_read_b128 v[94:97], v90 offset:64
	s_waitcnt lgkmcnt(0)
	v_mul_f64 v[90:91], v[3:4], v[96:97]
	v_mul_f64 v[96:97], v[1:2], v[96:97]
	v_fma_f64 v[1:2], v[1:2], v[94:95], -v[90:91]
	v_fma_f64 v[3:4], v[3:4], v[94:95], v[96:97]
	buffer_store_dword v2, off, s[0:3], 0 offset:68
	buffer_store_dword v1, off, s[0:3], 0 offset:64
	buffer_store_dword v4, off, s[0:3], 0 offset:76
	buffer_store_dword v3, off, s[0:3], 0 offset:72
.LBB104_351:
	s_or_b32 exec_lo, exec_lo, s4
	v_mov_b32_e32 v4, s43
	s_mov_b32 s4, exec_lo
	s_clause 0x3
	buffer_load_dword v1, v4, s[0:3], 0 offen
	buffer_load_dword v2, v4, s[0:3], 0 offen offset:4
	buffer_load_dword v3, v4, s[0:3], 0 offen offset:8
	;; [unrolled: 1-line block ×3, first 2 shown]
	s_waitcnt vmcnt(0)
	ds_write_b128 v88, v[1:4]
	s_waitcnt lgkmcnt(0)
	s_waitcnt_vscnt null, 0x0
	s_barrier
	buffer_gl0_inv
	v_cmpx_gt_u32_e32 5, v0
	s_cbranch_execz .LBB104_359
; %bb.352:
	ds_read_b128 v[1:4], v88
	v_cmp_ne_u32_e32 vcc_lo, 1, v89
	s_cbranch_vccnz .LBB104_354
; %bb.353:
	s_clause 0x3
	buffer_load_dword v90, v87, s[0:3], 0 offen offset:8
	buffer_load_dword v91, v87, s[0:3], 0 offen offset:12
	buffer_load_dword v94, v87, s[0:3], 0 offen
	buffer_load_dword v95, v87, s[0:3], 0 offen offset:4
	s_waitcnt vmcnt(2) lgkmcnt(0)
	v_mul_f64 v[96:97], v[3:4], v[90:91]
	v_mul_f64 v[90:91], v[1:2], v[90:91]
	s_waitcnt vmcnt(0)
	v_fma_f64 v[1:2], v[1:2], v[94:95], -v[96:97]
	v_fma_f64 v[3:4], v[3:4], v[94:95], v[90:91]
.LBB104_354:
	s_mov_b32 s8, exec_lo
	v_cmpx_ne_u32_e32 4, v0
	s_cbranch_execz .LBB104_358
; %bb.355:
	v_add_nc_u32_e32 v90, 0x2a0, v93
	v_add3_u32 v91, 0, v93, 16
	v_mov_b32_e32 v92, v0
	s_mov_b32 s48, 0
	.p2align	6
.LBB104_356:                            ; =>This Inner Loop Header: Depth=1
	s_clause 0x3
	buffer_load_dword v98, v91, s[0:3], 0 offen offset:8
	buffer_load_dword v99, v91, s[0:3], 0 offen offset:12
	buffer_load_dword v100, v91, s[0:3], 0 offen
	buffer_load_dword v101, v91, s[0:3], 0 offen offset:4
	ds_read_b128 v[94:97], v90
	v_add_nc_u32_e32 v92, 1, v92
	v_add_nc_u32_e32 v90, 16, v90
	;; [unrolled: 1-line block ×3, first 2 shown]
	v_cmp_lt_u32_e32 vcc_lo, 3, v92
	s_or_b32 s48, vcc_lo, s48
	s_waitcnt vmcnt(2) lgkmcnt(0)
	v_mul_f64 v[102:103], v[96:97], v[98:99]
	v_mul_f64 v[98:99], v[94:95], v[98:99]
	s_waitcnt vmcnt(0)
	v_fma_f64 v[94:95], v[94:95], v[100:101], -v[102:103]
	v_fma_f64 v[96:97], v[96:97], v[100:101], v[98:99]
	v_add_f64 v[1:2], v[1:2], v[94:95]
	v_add_f64 v[3:4], v[3:4], v[96:97]
	s_andn2_b32 exec_lo, exec_lo, s48
	s_cbranch_execnz .LBB104_356
; %bb.357:
	s_or_b32 exec_lo, exec_lo, s48
.LBB104_358:
	s_or_b32 exec_lo, exec_lo, s8
	v_mov_b32_e32 v90, 0
	ds_read_b128 v[94:97], v90 offset:80
	s_waitcnt lgkmcnt(0)
	v_mul_f64 v[90:91], v[3:4], v[96:97]
	v_mul_f64 v[96:97], v[1:2], v[96:97]
	v_fma_f64 v[1:2], v[1:2], v[94:95], -v[90:91]
	v_fma_f64 v[3:4], v[3:4], v[94:95], v[96:97]
	buffer_store_dword v2, off, s[0:3], 0 offset:84
	buffer_store_dword v1, off, s[0:3], 0 offset:80
	;; [unrolled: 1-line block ×4, first 2 shown]
.LBB104_359:
	s_or_b32 exec_lo, exec_lo, s4
	v_mov_b32_e32 v4, s42
	s_mov_b32 s4, exec_lo
	s_clause 0x3
	buffer_load_dword v1, v4, s[0:3], 0 offen
	buffer_load_dword v2, v4, s[0:3], 0 offen offset:4
	buffer_load_dword v3, v4, s[0:3], 0 offen offset:8
	;; [unrolled: 1-line block ×3, first 2 shown]
	s_waitcnt vmcnt(0)
	ds_write_b128 v88, v[1:4]
	s_waitcnt lgkmcnt(0)
	s_waitcnt_vscnt null, 0x0
	s_barrier
	buffer_gl0_inv
	v_cmpx_gt_u32_e32 6, v0
	s_cbranch_execz .LBB104_367
; %bb.360:
	ds_read_b128 v[1:4], v88
	v_cmp_ne_u32_e32 vcc_lo, 1, v89
	s_cbranch_vccnz .LBB104_362
; %bb.361:
	s_clause 0x3
	buffer_load_dword v90, v87, s[0:3], 0 offen offset:8
	buffer_load_dword v91, v87, s[0:3], 0 offen offset:12
	buffer_load_dword v94, v87, s[0:3], 0 offen
	buffer_load_dword v95, v87, s[0:3], 0 offen offset:4
	s_waitcnt vmcnt(2) lgkmcnt(0)
	v_mul_f64 v[96:97], v[3:4], v[90:91]
	v_mul_f64 v[90:91], v[1:2], v[90:91]
	s_waitcnt vmcnt(0)
	v_fma_f64 v[1:2], v[1:2], v[94:95], -v[96:97]
	v_fma_f64 v[3:4], v[3:4], v[94:95], v[90:91]
.LBB104_362:
	s_mov_b32 s8, exec_lo
	v_cmpx_ne_u32_e32 5, v0
	s_cbranch_execz .LBB104_366
; %bb.363:
	v_add_nc_u32_e32 v90, 0x2a0, v93
	v_add3_u32 v91, 0, v93, 16
	v_mov_b32_e32 v92, v0
	s_mov_b32 s48, 0
	.p2align	6
.LBB104_364:                            ; =>This Inner Loop Header: Depth=1
	s_clause 0x3
	buffer_load_dword v98, v91, s[0:3], 0 offen offset:8
	buffer_load_dword v99, v91, s[0:3], 0 offen offset:12
	buffer_load_dword v100, v91, s[0:3], 0 offen
	buffer_load_dword v101, v91, s[0:3], 0 offen offset:4
	ds_read_b128 v[94:97], v90
	v_add_nc_u32_e32 v92, 1, v92
	v_add_nc_u32_e32 v90, 16, v90
	;; [unrolled: 1-line block ×3, first 2 shown]
	v_cmp_lt_u32_e32 vcc_lo, 4, v92
	s_or_b32 s48, vcc_lo, s48
	s_waitcnt vmcnt(2) lgkmcnt(0)
	v_mul_f64 v[102:103], v[96:97], v[98:99]
	v_mul_f64 v[98:99], v[94:95], v[98:99]
	s_waitcnt vmcnt(0)
	v_fma_f64 v[94:95], v[94:95], v[100:101], -v[102:103]
	v_fma_f64 v[96:97], v[96:97], v[100:101], v[98:99]
	v_add_f64 v[1:2], v[1:2], v[94:95]
	v_add_f64 v[3:4], v[3:4], v[96:97]
	s_andn2_b32 exec_lo, exec_lo, s48
	s_cbranch_execnz .LBB104_364
; %bb.365:
	s_or_b32 exec_lo, exec_lo, s48
.LBB104_366:
	s_or_b32 exec_lo, exec_lo, s8
	v_mov_b32_e32 v90, 0
	ds_read_b128 v[94:97], v90 offset:96
	s_waitcnt lgkmcnt(0)
	v_mul_f64 v[90:91], v[3:4], v[96:97]
	v_mul_f64 v[96:97], v[1:2], v[96:97]
	v_fma_f64 v[1:2], v[1:2], v[94:95], -v[90:91]
	v_fma_f64 v[3:4], v[3:4], v[94:95], v[96:97]
	buffer_store_dword v2, off, s[0:3], 0 offset:100
	buffer_store_dword v1, off, s[0:3], 0 offset:96
	;; [unrolled: 1-line block ×4, first 2 shown]
.LBB104_367:
	s_or_b32 exec_lo, exec_lo, s4
	v_mov_b32_e32 v4, s41
	s_mov_b32 s4, exec_lo
	s_clause 0x3
	buffer_load_dword v1, v4, s[0:3], 0 offen
	buffer_load_dword v2, v4, s[0:3], 0 offen offset:4
	buffer_load_dword v3, v4, s[0:3], 0 offen offset:8
	;; [unrolled: 1-line block ×3, first 2 shown]
	s_waitcnt vmcnt(0)
	ds_write_b128 v88, v[1:4]
	s_waitcnt lgkmcnt(0)
	s_waitcnt_vscnt null, 0x0
	s_barrier
	buffer_gl0_inv
	v_cmpx_gt_u32_e32 7, v0
	s_cbranch_execz .LBB104_375
; %bb.368:
	ds_read_b128 v[1:4], v88
	v_cmp_ne_u32_e32 vcc_lo, 1, v89
	s_cbranch_vccnz .LBB104_370
; %bb.369:
	s_clause 0x3
	buffer_load_dword v90, v87, s[0:3], 0 offen offset:8
	buffer_load_dword v91, v87, s[0:3], 0 offen offset:12
	buffer_load_dword v94, v87, s[0:3], 0 offen
	buffer_load_dword v95, v87, s[0:3], 0 offen offset:4
	s_waitcnt vmcnt(2) lgkmcnt(0)
	v_mul_f64 v[96:97], v[3:4], v[90:91]
	v_mul_f64 v[90:91], v[1:2], v[90:91]
	s_waitcnt vmcnt(0)
	v_fma_f64 v[1:2], v[1:2], v[94:95], -v[96:97]
	v_fma_f64 v[3:4], v[3:4], v[94:95], v[90:91]
.LBB104_370:
	s_mov_b32 s8, exec_lo
	v_cmpx_ne_u32_e32 6, v0
	s_cbranch_execz .LBB104_374
; %bb.371:
	v_add_nc_u32_e32 v90, 0x2a0, v93
	v_add3_u32 v91, 0, v93, 16
	v_mov_b32_e32 v92, v0
	s_mov_b32 s48, 0
	.p2align	6
.LBB104_372:                            ; =>This Inner Loop Header: Depth=1
	s_clause 0x3
	buffer_load_dword v98, v91, s[0:3], 0 offen offset:8
	buffer_load_dword v99, v91, s[0:3], 0 offen offset:12
	buffer_load_dword v100, v91, s[0:3], 0 offen
	buffer_load_dword v101, v91, s[0:3], 0 offen offset:4
	ds_read_b128 v[94:97], v90
	v_add_nc_u32_e32 v92, 1, v92
	v_add_nc_u32_e32 v90, 16, v90
	;; [unrolled: 1-line block ×3, first 2 shown]
	v_cmp_lt_u32_e32 vcc_lo, 5, v92
	s_or_b32 s48, vcc_lo, s48
	s_waitcnt vmcnt(2) lgkmcnt(0)
	v_mul_f64 v[102:103], v[96:97], v[98:99]
	v_mul_f64 v[98:99], v[94:95], v[98:99]
	s_waitcnt vmcnt(0)
	v_fma_f64 v[94:95], v[94:95], v[100:101], -v[102:103]
	v_fma_f64 v[96:97], v[96:97], v[100:101], v[98:99]
	v_add_f64 v[1:2], v[1:2], v[94:95]
	v_add_f64 v[3:4], v[3:4], v[96:97]
	s_andn2_b32 exec_lo, exec_lo, s48
	s_cbranch_execnz .LBB104_372
; %bb.373:
	s_or_b32 exec_lo, exec_lo, s48
.LBB104_374:
	s_or_b32 exec_lo, exec_lo, s8
	v_mov_b32_e32 v90, 0
	ds_read_b128 v[94:97], v90 offset:112
	s_waitcnt lgkmcnt(0)
	v_mul_f64 v[90:91], v[3:4], v[96:97]
	v_mul_f64 v[96:97], v[1:2], v[96:97]
	v_fma_f64 v[1:2], v[1:2], v[94:95], -v[90:91]
	v_fma_f64 v[3:4], v[3:4], v[94:95], v[96:97]
	buffer_store_dword v2, off, s[0:3], 0 offset:116
	buffer_store_dword v1, off, s[0:3], 0 offset:112
	;; [unrolled: 1-line block ×4, first 2 shown]
.LBB104_375:
	s_or_b32 exec_lo, exec_lo, s4
	v_mov_b32_e32 v4, s40
	s_mov_b32 s4, exec_lo
	s_clause 0x3
	buffer_load_dword v1, v4, s[0:3], 0 offen
	buffer_load_dword v2, v4, s[0:3], 0 offen offset:4
	buffer_load_dword v3, v4, s[0:3], 0 offen offset:8
	;; [unrolled: 1-line block ×3, first 2 shown]
	s_waitcnt vmcnt(0)
	ds_write_b128 v88, v[1:4]
	s_waitcnt lgkmcnt(0)
	s_waitcnt_vscnt null, 0x0
	s_barrier
	buffer_gl0_inv
	v_cmpx_gt_u32_e32 8, v0
	s_cbranch_execz .LBB104_383
; %bb.376:
	ds_read_b128 v[1:4], v88
	v_cmp_ne_u32_e32 vcc_lo, 1, v89
	s_cbranch_vccnz .LBB104_378
; %bb.377:
	s_clause 0x3
	buffer_load_dword v90, v87, s[0:3], 0 offen offset:8
	buffer_load_dword v91, v87, s[0:3], 0 offen offset:12
	buffer_load_dword v94, v87, s[0:3], 0 offen
	buffer_load_dword v95, v87, s[0:3], 0 offen offset:4
	s_waitcnt vmcnt(2) lgkmcnt(0)
	v_mul_f64 v[96:97], v[3:4], v[90:91]
	v_mul_f64 v[90:91], v[1:2], v[90:91]
	s_waitcnt vmcnt(0)
	v_fma_f64 v[1:2], v[1:2], v[94:95], -v[96:97]
	v_fma_f64 v[3:4], v[3:4], v[94:95], v[90:91]
.LBB104_378:
	s_mov_b32 s8, exec_lo
	v_cmpx_ne_u32_e32 7, v0
	s_cbranch_execz .LBB104_382
; %bb.379:
	v_add_nc_u32_e32 v90, 0x2a0, v93
	v_add3_u32 v91, 0, v93, 16
	v_mov_b32_e32 v92, v0
	s_mov_b32 s48, 0
	.p2align	6
.LBB104_380:                            ; =>This Inner Loop Header: Depth=1
	s_clause 0x3
	buffer_load_dword v98, v91, s[0:3], 0 offen offset:8
	buffer_load_dword v99, v91, s[0:3], 0 offen offset:12
	buffer_load_dword v100, v91, s[0:3], 0 offen
	buffer_load_dword v101, v91, s[0:3], 0 offen offset:4
	ds_read_b128 v[94:97], v90
	v_add_nc_u32_e32 v92, 1, v92
	v_add_nc_u32_e32 v90, 16, v90
	;; [unrolled: 1-line block ×3, first 2 shown]
	v_cmp_lt_u32_e32 vcc_lo, 6, v92
	s_or_b32 s48, vcc_lo, s48
	s_waitcnt vmcnt(2) lgkmcnt(0)
	v_mul_f64 v[102:103], v[96:97], v[98:99]
	v_mul_f64 v[98:99], v[94:95], v[98:99]
	s_waitcnt vmcnt(0)
	v_fma_f64 v[94:95], v[94:95], v[100:101], -v[102:103]
	v_fma_f64 v[96:97], v[96:97], v[100:101], v[98:99]
	v_add_f64 v[1:2], v[1:2], v[94:95]
	v_add_f64 v[3:4], v[3:4], v[96:97]
	s_andn2_b32 exec_lo, exec_lo, s48
	s_cbranch_execnz .LBB104_380
; %bb.381:
	s_or_b32 exec_lo, exec_lo, s48
.LBB104_382:
	s_or_b32 exec_lo, exec_lo, s8
	v_mov_b32_e32 v90, 0
	ds_read_b128 v[94:97], v90 offset:128
	s_waitcnt lgkmcnt(0)
	v_mul_f64 v[90:91], v[3:4], v[96:97]
	v_mul_f64 v[96:97], v[1:2], v[96:97]
	v_fma_f64 v[1:2], v[1:2], v[94:95], -v[90:91]
	v_fma_f64 v[3:4], v[3:4], v[94:95], v[96:97]
	buffer_store_dword v2, off, s[0:3], 0 offset:132
	buffer_store_dword v1, off, s[0:3], 0 offset:128
	;; [unrolled: 1-line block ×4, first 2 shown]
.LBB104_383:
	s_or_b32 exec_lo, exec_lo, s4
	v_mov_b32_e32 v4, s39
	s_mov_b32 s4, exec_lo
	s_clause 0x3
	buffer_load_dword v1, v4, s[0:3], 0 offen
	buffer_load_dword v2, v4, s[0:3], 0 offen offset:4
	buffer_load_dword v3, v4, s[0:3], 0 offen offset:8
	;; [unrolled: 1-line block ×3, first 2 shown]
	s_waitcnt vmcnt(0)
	ds_write_b128 v88, v[1:4]
	s_waitcnt lgkmcnt(0)
	s_waitcnt_vscnt null, 0x0
	s_barrier
	buffer_gl0_inv
	v_cmpx_gt_u32_e32 9, v0
	s_cbranch_execz .LBB104_391
; %bb.384:
	ds_read_b128 v[1:4], v88
	v_cmp_ne_u32_e32 vcc_lo, 1, v89
	s_cbranch_vccnz .LBB104_386
; %bb.385:
	s_clause 0x3
	buffer_load_dword v90, v87, s[0:3], 0 offen offset:8
	buffer_load_dword v91, v87, s[0:3], 0 offen offset:12
	buffer_load_dword v94, v87, s[0:3], 0 offen
	buffer_load_dword v95, v87, s[0:3], 0 offen offset:4
	s_waitcnt vmcnt(2) lgkmcnt(0)
	v_mul_f64 v[96:97], v[3:4], v[90:91]
	v_mul_f64 v[90:91], v[1:2], v[90:91]
	s_waitcnt vmcnt(0)
	v_fma_f64 v[1:2], v[1:2], v[94:95], -v[96:97]
	v_fma_f64 v[3:4], v[3:4], v[94:95], v[90:91]
.LBB104_386:
	s_mov_b32 s8, exec_lo
	v_cmpx_ne_u32_e32 8, v0
	s_cbranch_execz .LBB104_390
; %bb.387:
	v_add_nc_u32_e32 v90, 0x2a0, v93
	v_add3_u32 v91, 0, v93, 16
	v_mov_b32_e32 v92, v0
	s_mov_b32 s48, 0
	.p2align	6
.LBB104_388:                            ; =>This Inner Loop Header: Depth=1
	s_clause 0x3
	buffer_load_dword v98, v91, s[0:3], 0 offen offset:8
	buffer_load_dword v99, v91, s[0:3], 0 offen offset:12
	buffer_load_dword v100, v91, s[0:3], 0 offen
	buffer_load_dword v101, v91, s[0:3], 0 offen offset:4
	ds_read_b128 v[94:97], v90
	v_add_nc_u32_e32 v92, 1, v92
	v_add_nc_u32_e32 v90, 16, v90
	;; [unrolled: 1-line block ×3, first 2 shown]
	v_cmp_lt_u32_e32 vcc_lo, 7, v92
	s_or_b32 s48, vcc_lo, s48
	s_waitcnt vmcnt(2) lgkmcnt(0)
	v_mul_f64 v[102:103], v[96:97], v[98:99]
	v_mul_f64 v[98:99], v[94:95], v[98:99]
	s_waitcnt vmcnt(0)
	v_fma_f64 v[94:95], v[94:95], v[100:101], -v[102:103]
	v_fma_f64 v[96:97], v[96:97], v[100:101], v[98:99]
	v_add_f64 v[1:2], v[1:2], v[94:95]
	v_add_f64 v[3:4], v[3:4], v[96:97]
	s_andn2_b32 exec_lo, exec_lo, s48
	s_cbranch_execnz .LBB104_388
; %bb.389:
	s_or_b32 exec_lo, exec_lo, s48
.LBB104_390:
	s_or_b32 exec_lo, exec_lo, s8
	v_mov_b32_e32 v90, 0
	ds_read_b128 v[94:97], v90 offset:144
	s_waitcnt lgkmcnt(0)
	v_mul_f64 v[90:91], v[3:4], v[96:97]
	v_mul_f64 v[96:97], v[1:2], v[96:97]
	v_fma_f64 v[1:2], v[1:2], v[94:95], -v[90:91]
	v_fma_f64 v[3:4], v[3:4], v[94:95], v[96:97]
	buffer_store_dword v2, off, s[0:3], 0 offset:148
	buffer_store_dword v1, off, s[0:3], 0 offset:144
	;; [unrolled: 1-line block ×4, first 2 shown]
.LBB104_391:
	s_or_b32 exec_lo, exec_lo, s4
	v_mov_b32_e32 v4, s38
	s_mov_b32 s4, exec_lo
	s_clause 0x3
	buffer_load_dword v1, v4, s[0:3], 0 offen
	buffer_load_dword v2, v4, s[0:3], 0 offen offset:4
	buffer_load_dword v3, v4, s[0:3], 0 offen offset:8
	;; [unrolled: 1-line block ×3, first 2 shown]
	s_waitcnt vmcnt(0)
	ds_write_b128 v88, v[1:4]
	s_waitcnt lgkmcnt(0)
	s_waitcnt_vscnt null, 0x0
	s_barrier
	buffer_gl0_inv
	v_cmpx_gt_u32_e32 10, v0
	s_cbranch_execz .LBB104_399
; %bb.392:
	ds_read_b128 v[1:4], v88
	v_cmp_ne_u32_e32 vcc_lo, 1, v89
	s_cbranch_vccnz .LBB104_394
; %bb.393:
	s_clause 0x3
	buffer_load_dword v90, v87, s[0:3], 0 offen offset:8
	buffer_load_dword v91, v87, s[0:3], 0 offen offset:12
	buffer_load_dword v94, v87, s[0:3], 0 offen
	buffer_load_dword v95, v87, s[0:3], 0 offen offset:4
	s_waitcnt vmcnt(2) lgkmcnt(0)
	v_mul_f64 v[96:97], v[3:4], v[90:91]
	v_mul_f64 v[90:91], v[1:2], v[90:91]
	s_waitcnt vmcnt(0)
	v_fma_f64 v[1:2], v[1:2], v[94:95], -v[96:97]
	v_fma_f64 v[3:4], v[3:4], v[94:95], v[90:91]
.LBB104_394:
	s_mov_b32 s8, exec_lo
	v_cmpx_ne_u32_e32 9, v0
	s_cbranch_execz .LBB104_398
; %bb.395:
	v_add_nc_u32_e32 v90, 0x2a0, v93
	v_add3_u32 v91, 0, v93, 16
	v_mov_b32_e32 v92, v0
	s_mov_b32 s48, 0
	.p2align	6
.LBB104_396:                            ; =>This Inner Loop Header: Depth=1
	s_clause 0x3
	buffer_load_dword v98, v91, s[0:3], 0 offen offset:8
	buffer_load_dword v99, v91, s[0:3], 0 offen offset:12
	buffer_load_dword v100, v91, s[0:3], 0 offen
	buffer_load_dword v101, v91, s[0:3], 0 offen offset:4
	ds_read_b128 v[94:97], v90
	v_add_nc_u32_e32 v92, 1, v92
	v_add_nc_u32_e32 v90, 16, v90
	;; [unrolled: 1-line block ×3, first 2 shown]
	v_cmp_lt_u32_e32 vcc_lo, 8, v92
	s_or_b32 s48, vcc_lo, s48
	s_waitcnt vmcnt(2) lgkmcnt(0)
	v_mul_f64 v[102:103], v[96:97], v[98:99]
	v_mul_f64 v[98:99], v[94:95], v[98:99]
	s_waitcnt vmcnt(0)
	v_fma_f64 v[94:95], v[94:95], v[100:101], -v[102:103]
	v_fma_f64 v[96:97], v[96:97], v[100:101], v[98:99]
	v_add_f64 v[1:2], v[1:2], v[94:95]
	v_add_f64 v[3:4], v[3:4], v[96:97]
	s_andn2_b32 exec_lo, exec_lo, s48
	s_cbranch_execnz .LBB104_396
; %bb.397:
	s_or_b32 exec_lo, exec_lo, s48
.LBB104_398:
	s_or_b32 exec_lo, exec_lo, s8
	v_mov_b32_e32 v90, 0
	ds_read_b128 v[94:97], v90 offset:160
	s_waitcnt lgkmcnt(0)
	v_mul_f64 v[90:91], v[3:4], v[96:97]
	v_mul_f64 v[96:97], v[1:2], v[96:97]
	v_fma_f64 v[1:2], v[1:2], v[94:95], -v[90:91]
	v_fma_f64 v[3:4], v[3:4], v[94:95], v[96:97]
	buffer_store_dword v2, off, s[0:3], 0 offset:164
	buffer_store_dword v1, off, s[0:3], 0 offset:160
	;; [unrolled: 1-line block ×4, first 2 shown]
.LBB104_399:
	s_or_b32 exec_lo, exec_lo, s4
	v_mov_b32_e32 v4, s37
	s_mov_b32 s4, exec_lo
	s_clause 0x3
	buffer_load_dword v1, v4, s[0:3], 0 offen
	buffer_load_dword v2, v4, s[0:3], 0 offen offset:4
	buffer_load_dword v3, v4, s[0:3], 0 offen offset:8
	;; [unrolled: 1-line block ×3, first 2 shown]
	s_waitcnt vmcnt(0)
	ds_write_b128 v88, v[1:4]
	s_waitcnt lgkmcnt(0)
	s_waitcnt_vscnt null, 0x0
	s_barrier
	buffer_gl0_inv
	v_cmpx_gt_u32_e32 11, v0
	s_cbranch_execz .LBB104_407
; %bb.400:
	ds_read_b128 v[1:4], v88
	v_cmp_ne_u32_e32 vcc_lo, 1, v89
	s_cbranch_vccnz .LBB104_402
; %bb.401:
	s_clause 0x3
	buffer_load_dword v90, v87, s[0:3], 0 offen offset:8
	buffer_load_dword v91, v87, s[0:3], 0 offen offset:12
	buffer_load_dword v94, v87, s[0:3], 0 offen
	buffer_load_dword v95, v87, s[0:3], 0 offen offset:4
	s_waitcnt vmcnt(2) lgkmcnt(0)
	v_mul_f64 v[96:97], v[3:4], v[90:91]
	v_mul_f64 v[90:91], v[1:2], v[90:91]
	s_waitcnt vmcnt(0)
	v_fma_f64 v[1:2], v[1:2], v[94:95], -v[96:97]
	v_fma_f64 v[3:4], v[3:4], v[94:95], v[90:91]
.LBB104_402:
	s_mov_b32 s8, exec_lo
	v_cmpx_ne_u32_e32 10, v0
	s_cbranch_execz .LBB104_406
; %bb.403:
	v_add_nc_u32_e32 v90, 0x2a0, v93
	v_add3_u32 v91, 0, v93, 16
	v_mov_b32_e32 v92, v0
	s_mov_b32 s48, 0
	.p2align	6
.LBB104_404:                            ; =>This Inner Loop Header: Depth=1
	s_clause 0x3
	buffer_load_dword v98, v91, s[0:3], 0 offen offset:8
	buffer_load_dword v99, v91, s[0:3], 0 offen offset:12
	buffer_load_dword v100, v91, s[0:3], 0 offen
	buffer_load_dword v101, v91, s[0:3], 0 offen offset:4
	ds_read_b128 v[94:97], v90
	v_add_nc_u32_e32 v92, 1, v92
	v_add_nc_u32_e32 v90, 16, v90
	;; [unrolled: 1-line block ×3, first 2 shown]
	v_cmp_lt_u32_e32 vcc_lo, 9, v92
	s_or_b32 s48, vcc_lo, s48
	s_waitcnt vmcnt(2) lgkmcnt(0)
	v_mul_f64 v[102:103], v[96:97], v[98:99]
	v_mul_f64 v[98:99], v[94:95], v[98:99]
	s_waitcnt vmcnt(0)
	v_fma_f64 v[94:95], v[94:95], v[100:101], -v[102:103]
	v_fma_f64 v[96:97], v[96:97], v[100:101], v[98:99]
	v_add_f64 v[1:2], v[1:2], v[94:95]
	v_add_f64 v[3:4], v[3:4], v[96:97]
	s_andn2_b32 exec_lo, exec_lo, s48
	s_cbranch_execnz .LBB104_404
; %bb.405:
	s_or_b32 exec_lo, exec_lo, s48
.LBB104_406:
	s_or_b32 exec_lo, exec_lo, s8
	v_mov_b32_e32 v90, 0
	ds_read_b128 v[94:97], v90 offset:176
	s_waitcnt lgkmcnt(0)
	v_mul_f64 v[90:91], v[3:4], v[96:97]
	v_mul_f64 v[96:97], v[1:2], v[96:97]
	v_fma_f64 v[1:2], v[1:2], v[94:95], -v[90:91]
	v_fma_f64 v[3:4], v[3:4], v[94:95], v[96:97]
	buffer_store_dword v2, off, s[0:3], 0 offset:180
	buffer_store_dword v1, off, s[0:3], 0 offset:176
	;; [unrolled: 1-line block ×4, first 2 shown]
.LBB104_407:
	s_or_b32 exec_lo, exec_lo, s4
	v_mov_b32_e32 v4, s36
	s_mov_b32 s4, exec_lo
	s_clause 0x3
	buffer_load_dword v1, v4, s[0:3], 0 offen
	buffer_load_dword v2, v4, s[0:3], 0 offen offset:4
	buffer_load_dword v3, v4, s[0:3], 0 offen offset:8
	;; [unrolled: 1-line block ×3, first 2 shown]
	s_waitcnt vmcnt(0)
	ds_write_b128 v88, v[1:4]
	s_waitcnt lgkmcnt(0)
	s_waitcnt_vscnt null, 0x0
	s_barrier
	buffer_gl0_inv
	v_cmpx_gt_u32_e32 12, v0
	s_cbranch_execz .LBB104_415
; %bb.408:
	ds_read_b128 v[1:4], v88
	v_cmp_ne_u32_e32 vcc_lo, 1, v89
	s_cbranch_vccnz .LBB104_410
; %bb.409:
	s_clause 0x3
	buffer_load_dword v90, v87, s[0:3], 0 offen offset:8
	buffer_load_dword v91, v87, s[0:3], 0 offen offset:12
	buffer_load_dword v94, v87, s[0:3], 0 offen
	buffer_load_dword v95, v87, s[0:3], 0 offen offset:4
	s_waitcnt vmcnt(2) lgkmcnt(0)
	v_mul_f64 v[96:97], v[3:4], v[90:91]
	v_mul_f64 v[90:91], v[1:2], v[90:91]
	s_waitcnt vmcnt(0)
	v_fma_f64 v[1:2], v[1:2], v[94:95], -v[96:97]
	v_fma_f64 v[3:4], v[3:4], v[94:95], v[90:91]
.LBB104_410:
	s_mov_b32 s8, exec_lo
	v_cmpx_ne_u32_e32 11, v0
	s_cbranch_execz .LBB104_414
; %bb.411:
	v_add_nc_u32_e32 v90, 0x2a0, v93
	v_add3_u32 v91, 0, v93, 16
	v_mov_b32_e32 v92, v0
	s_mov_b32 s48, 0
	.p2align	6
.LBB104_412:                            ; =>This Inner Loop Header: Depth=1
	s_clause 0x3
	buffer_load_dword v98, v91, s[0:3], 0 offen offset:8
	buffer_load_dword v99, v91, s[0:3], 0 offen offset:12
	buffer_load_dword v100, v91, s[0:3], 0 offen
	buffer_load_dword v101, v91, s[0:3], 0 offen offset:4
	ds_read_b128 v[94:97], v90
	v_add_nc_u32_e32 v92, 1, v92
	v_add_nc_u32_e32 v90, 16, v90
	;; [unrolled: 1-line block ×3, first 2 shown]
	v_cmp_lt_u32_e32 vcc_lo, 10, v92
	s_or_b32 s48, vcc_lo, s48
	s_waitcnt vmcnt(2) lgkmcnt(0)
	v_mul_f64 v[102:103], v[96:97], v[98:99]
	v_mul_f64 v[98:99], v[94:95], v[98:99]
	s_waitcnt vmcnt(0)
	v_fma_f64 v[94:95], v[94:95], v[100:101], -v[102:103]
	v_fma_f64 v[96:97], v[96:97], v[100:101], v[98:99]
	v_add_f64 v[1:2], v[1:2], v[94:95]
	v_add_f64 v[3:4], v[3:4], v[96:97]
	s_andn2_b32 exec_lo, exec_lo, s48
	s_cbranch_execnz .LBB104_412
; %bb.413:
	s_or_b32 exec_lo, exec_lo, s48
.LBB104_414:
	s_or_b32 exec_lo, exec_lo, s8
	v_mov_b32_e32 v90, 0
	ds_read_b128 v[94:97], v90 offset:192
	s_waitcnt lgkmcnt(0)
	v_mul_f64 v[90:91], v[3:4], v[96:97]
	v_mul_f64 v[96:97], v[1:2], v[96:97]
	v_fma_f64 v[1:2], v[1:2], v[94:95], -v[90:91]
	v_fma_f64 v[3:4], v[3:4], v[94:95], v[96:97]
	buffer_store_dword v2, off, s[0:3], 0 offset:196
	buffer_store_dword v1, off, s[0:3], 0 offset:192
	;; [unrolled: 1-line block ×4, first 2 shown]
.LBB104_415:
	s_or_b32 exec_lo, exec_lo, s4
	v_mov_b32_e32 v4, s35
	s_mov_b32 s4, exec_lo
	s_clause 0x3
	buffer_load_dword v1, v4, s[0:3], 0 offen
	buffer_load_dword v2, v4, s[0:3], 0 offen offset:4
	buffer_load_dword v3, v4, s[0:3], 0 offen offset:8
	;; [unrolled: 1-line block ×3, first 2 shown]
	s_waitcnt vmcnt(0)
	ds_write_b128 v88, v[1:4]
	s_waitcnt lgkmcnt(0)
	s_waitcnt_vscnt null, 0x0
	s_barrier
	buffer_gl0_inv
	v_cmpx_gt_u32_e32 13, v0
	s_cbranch_execz .LBB104_423
; %bb.416:
	ds_read_b128 v[1:4], v88
	v_cmp_ne_u32_e32 vcc_lo, 1, v89
	s_cbranch_vccnz .LBB104_418
; %bb.417:
	s_clause 0x3
	buffer_load_dword v90, v87, s[0:3], 0 offen offset:8
	buffer_load_dword v91, v87, s[0:3], 0 offen offset:12
	buffer_load_dword v94, v87, s[0:3], 0 offen
	buffer_load_dword v95, v87, s[0:3], 0 offen offset:4
	s_waitcnt vmcnt(2) lgkmcnt(0)
	v_mul_f64 v[96:97], v[3:4], v[90:91]
	v_mul_f64 v[90:91], v[1:2], v[90:91]
	s_waitcnt vmcnt(0)
	v_fma_f64 v[1:2], v[1:2], v[94:95], -v[96:97]
	v_fma_f64 v[3:4], v[3:4], v[94:95], v[90:91]
.LBB104_418:
	s_mov_b32 s8, exec_lo
	v_cmpx_ne_u32_e32 12, v0
	s_cbranch_execz .LBB104_422
; %bb.419:
	v_add_nc_u32_e32 v90, 0x2a0, v93
	v_add3_u32 v91, 0, v93, 16
	v_mov_b32_e32 v92, v0
	s_mov_b32 s48, 0
	.p2align	6
.LBB104_420:                            ; =>This Inner Loop Header: Depth=1
	s_clause 0x3
	buffer_load_dword v98, v91, s[0:3], 0 offen offset:8
	buffer_load_dword v99, v91, s[0:3], 0 offen offset:12
	buffer_load_dword v100, v91, s[0:3], 0 offen
	buffer_load_dword v101, v91, s[0:3], 0 offen offset:4
	ds_read_b128 v[94:97], v90
	v_add_nc_u32_e32 v92, 1, v92
	v_add_nc_u32_e32 v90, 16, v90
	;; [unrolled: 1-line block ×3, first 2 shown]
	v_cmp_lt_u32_e32 vcc_lo, 11, v92
	s_or_b32 s48, vcc_lo, s48
	s_waitcnt vmcnt(2) lgkmcnt(0)
	v_mul_f64 v[102:103], v[96:97], v[98:99]
	v_mul_f64 v[98:99], v[94:95], v[98:99]
	s_waitcnt vmcnt(0)
	v_fma_f64 v[94:95], v[94:95], v[100:101], -v[102:103]
	v_fma_f64 v[96:97], v[96:97], v[100:101], v[98:99]
	v_add_f64 v[1:2], v[1:2], v[94:95]
	v_add_f64 v[3:4], v[3:4], v[96:97]
	s_andn2_b32 exec_lo, exec_lo, s48
	s_cbranch_execnz .LBB104_420
; %bb.421:
	s_or_b32 exec_lo, exec_lo, s48
.LBB104_422:
	s_or_b32 exec_lo, exec_lo, s8
	v_mov_b32_e32 v90, 0
	ds_read_b128 v[94:97], v90 offset:208
	s_waitcnt lgkmcnt(0)
	v_mul_f64 v[90:91], v[3:4], v[96:97]
	v_mul_f64 v[96:97], v[1:2], v[96:97]
	v_fma_f64 v[1:2], v[1:2], v[94:95], -v[90:91]
	v_fma_f64 v[3:4], v[3:4], v[94:95], v[96:97]
	buffer_store_dword v2, off, s[0:3], 0 offset:212
	buffer_store_dword v1, off, s[0:3], 0 offset:208
	buffer_store_dword v4, off, s[0:3], 0 offset:220
	buffer_store_dword v3, off, s[0:3], 0 offset:216
.LBB104_423:
	s_or_b32 exec_lo, exec_lo, s4
	v_mov_b32_e32 v4, s34
	s_mov_b32 s4, exec_lo
	s_clause 0x3
	buffer_load_dword v1, v4, s[0:3], 0 offen
	buffer_load_dword v2, v4, s[0:3], 0 offen offset:4
	buffer_load_dword v3, v4, s[0:3], 0 offen offset:8
	buffer_load_dword v4, v4, s[0:3], 0 offen offset:12
	s_waitcnt vmcnt(0)
	ds_write_b128 v88, v[1:4]
	s_waitcnt lgkmcnt(0)
	s_waitcnt_vscnt null, 0x0
	s_barrier
	buffer_gl0_inv
	v_cmpx_gt_u32_e32 14, v0
	s_cbranch_execz .LBB104_431
; %bb.424:
	ds_read_b128 v[1:4], v88
	v_cmp_ne_u32_e32 vcc_lo, 1, v89
	s_cbranch_vccnz .LBB104_426
; %bb.425:
	s_clause 0x3
	buffer_load_dword v90, v87, s[0:3], 0 offen offset:8
	buffer_load_dword v91, v87, s[0:3], 0 offen offset:12
	buffer_load_dword v94, v87, s[0:3], 0 offen
	buffer_load_dword v95, v87, s[0:3], 0 offen offset:4
	s_waitcnt vmcnt(2) lgkmcnt(0)
	v_mul_f64 v[96:97], v[3:4], v[90:91]
	v_mul_f64 v[90:91], v[1:2], v[90:91]
	s_waitcnt vmcnt(0)
	v_fma_f64 v[1:2], v[1:2], v[94:95], -v[96:97]
	v_fma_f64 v[3:4], v[3:4], v[94:95], v[90:91]
.LBB104_426:
	s_mov_b32 s8, exec_lo
	v_cmpx_ne_u32_e32 13, v0
	s_cbranch_execz .LBB104_430
; %bb.427:
	v_add_nc_u32_e32 v90, 0x2a0, v93
	v_add3_u32 v91, 0, v93, 16
	v_mov_b32_e32 v92, v0
	s_mov_b32 s48, 0
	.p2align	6
.LBB104_428:                            ; =>This Inner Loop Header: Depth=1
	s_clause 0x3
	buffer_load_dword v98, v91, s[0:3], 0 offen offset:8
	buffer_load_dword v99, v91, s[0:3], 0 offen offset:12
	buffer_load_dword v100, v91, s[0:3], 0 offen
	buffer_load_dword v101, v91, s[0:3], 0 offen offset:4
	ds_read_b128 v[94:97], v90
	v_add_nc_u32_e32 v92, 1, v92
	v_add_nc_u32_e32 v90, 16, v90
	;; [unrolled: 1-line block ×3, first 2 shown]
	v_cmp_lt_u32_e32 vcc_lo, 12, v92
	s_or_b32 s48, vcc_lo, s48
	s_waitcnt vmcnt(2) lgkmcnt(0)
	v_mul_f64 v[102:103], v[96:97], v[98:99]
	v_mul_f64 v[98:99], v[94:95], v[98:99]
	s_waitcnt vmcnt(0)
	v_fma_f64 v[94:95], v[94:95], v[100:101], -v[102:103]
	v_fma_f64 v[96:97], v[96:97], v[100:101], v[98:99]
	v_add_f64 v[1:2], v[1:2], v[94:95]
	v_add_f64 v[3:4], v[3:4], v[96:97]
	s_andn2_b32 exec_lo, exec_lo, s48
	s_cbranch_execnz .LBB104_428
; %bb.429:
	s_or_b32 exec_lo, exec_lo, s48
.LBB104_430:
	s_or_b32 exec_lo, exec_lo, s8
	v_mov_b32_e32 v90, 0
	ds_read_b128 v[94:97], v90 offset:224
	s_waitcnt lgkmcnt(0)
	v_mul_f64 v[90:91], v[3:4], v[96:97]
	v_mul_f64 v[96:97], v[1:2], v[96:97]
	v_fma_f64 v[1:2], v[1:2], v[94:95], -v[90:91]
	v_fma_f64 v[3:4], v[3:4], v[94:95], v[96:97]
	buffer_store_dword v2, off, s[0:3], 0 offset:228
	buffer_store_dword v1, off, s[0:3], 0 offset:224
	;; [unrolled: 1-line block ×4, first 2 shown]
.LBB104_431:
	s_or_b32 exec_lo, exec_lo, s4
	v_mov_b32_e32 v4, s33
	s_mov_b32 s4, exec_lo
	s_clause 0x3
	buffer_load_dword v1, v4, s[0:3], 0 offen
	buffer_load_dword v2, v4, s[0:3], 0 offen offset:4
	buffer_load_dword v3, v4, s[0:3], 0 offen offset:8
	;; [unrolled: 1-line block ×3, first 2 shown]
	s_waitcnt vmcnt(0)
	ds_write_b128 v88, v[1:4]
	s_waitcnt lgkmcnt(0)
	s_waitcnt_vscnt null, 0x0
	s_barrier
	buffer_gl0_inv
	v_cmpx_gt_u32_e32 15, v0
	s_cbranch_execz .LBB104_439
; %bb.432:
	ds_read_b128 v[1:4], v88
	v_cmp_ne_u32_e32 vcc_lo, 1, v89
	s_cbranch_vccnz .LBB104_434
; %bb.433:
	s_clause 0x3
	buffer_load_dword v90, v87, s[0:3], 0 offen offset:8
	buffer_load_dword v91, v87, s[0:3], 0 offen offset:12
	buffer_load_dword v94, v87, s[0:3], 0 offen
	buffer_load_dword v95, v87, s[0:3], 0 offen offset:4
	s_waitcnt vmcnt(2) lgkmcnt(0)
	v_mul_f64 v[96:97], v[3:4], v[90:91]
	v_mul_f64 v[90:91], v[1:2], v[90:91]
	s_waitcnt vmcnt(0)
	v_fma_f64 v[1:2], v[1:2], v[94:95], -v[96:97]
	v_fma_f64 v[3:4], v[3:4], v[94:95], v[90:91]
.LBB104_434:
	s_mov_b32 s8, exec_lo
	v_cmpx_ne_u32_e32 14, v0
	s_cbranch_execz .LBB104_438
; %bb.435:
	v_add_nc_u32_e32 v90, 0x2a0, v93
	v_add3_u32 v91, 0, v93, 16
	v_mov_b32_e32 v92, v0
	s_mov_b32 s48, 0
	.p2align	6
.LBB104_436:                            ; =>This Inner Loop Header: Depth=1
	s_clause 0x3
	buffer_load_dword v98, v91, s[0:3], 0 offen offset:8
	buffer_load_dword v99, v91, s[0:3], 0 offen offset:12
	buffer_load_dword v100, v91, s[0:3], 0 offen
	buffer_load_dword v101, v91, s[0:3], 0 offen offset:4
	ds_read_b128 v[94:97], v90
	v_add_nc_u32_e32 v92, 1, v92
	v_add_nc_u32_e32 v90, 16, v90
	v_add_nc_u32_e32 v91, 16, v91
	v_cmp_lt_u32_e32 vcc_lo, 13, v92
	s_or_b32 s48, vcc_lo, s48
	s_waitcnt vmcnt(2) lgkmcnt(0)
	v_mul_f64 v[102:103], v[96:97], v[98:99]
	v_mul_f64 v[98:99], v[94:95], v[98:99]
	s_waitcnt vmcnt(0)
	v_fma_f64 v[94:95], v[94:95], v[100:101], -v[102:103]
	v_fma_f64 v[96:97], v[96:97], v[100:101], v[98:99]
	v_add_f64 v[1:2], v[1:2], v[94:95]
	v_add_f64 v[3:4], v[3:4], v[96:97]
	s_andn2_b32 exec_lo, exec_lo, s48
	s_cbranch_execnz .LBB104_436
; %bb.437:
	s_or_b32 exec_lo, exec_lo, s48
.LBB104_438:
	s_or_b32 exec_lo, exec_lo, s8
	v_mov_b32_e32 v90, 0
	ds_read_b128 v[94:97], v90 offset:240
	s_waitcnt lgkmcnt(0)
	v_mul_f64 v[90:91], v[3:4], v[96:97]
	v_mul_f64 v[96:97], v[1:2], v[96:97]
	v_fma_f64 v[1:2], v[1:2], v[94:95], -v[90:91]
	v_fma_f64 v[3:4], v[3:4], v[94:95], v[96:97]
	buffer_store_dword v2, off, s[0:3], 0 offset:244
	buffer_store_dword v1, off, s[0:3], 0 offset:240
	;; [unrolled: 1-line block ×4, first 2 shown]
.LBB104_439:
	s_or_b32 exec_lo, exec_lo, s4
	v_mov_b32_e32 v4, s31
	s_mov_b32 s4, exec_lo
	s_clause 0x3
	buffer_load_dword v1, v4, s[0:3], 0 offen
	buffer_load_dword v2, v4, s[0:3], 0 offen offset:4
	buffer_load_dword v3, v4, s[0:3], 0 offen offset:8
	;; [unrolled: 1-line block ×3, first 2 shown]
	s_waitcnt vmcnt(0)
	ds_write_b128 v88, v[1:4]
	s_waitcnt lgkmcnt(0)
	s_waitcnt_vscnt null, 0x0
	s_barrier
	buffer_gl0_inv
	v_cmpx_gt_u32_e32 16, v0
	s_cbranch_execz .LBB104_447
; %bb.440:
	ds_read_b128 v[1:4], v88
	v_cmp_ne_u32_e32 vcc_lo, 1, v89
	s_cbranch_vccnz .LBB104_442
; %bb.441:
	s_clause 0x3
	buffer_load_dword v90, v87, s[0:3], 0 offen offset:8
	buffer_load_dword v91, v87, s[0:3], 0 offen offset:12
	buffer_load_dword v94, v87, s[0:3], 0 offen
	buffer_load_dword v95, v87, s[0:3], 0 offen offset:4
	s_waitcnt vmcnt(2) lgkmcnt(0)
	v_mul_f64 v[96:97], v[3:4], v[90:91]
	v_mul_f64 v[90:91], v[1:2], v[90:91]
	s_waitcnt vmcnt(0)
	v_fma_f64 v[1:2], v[1:2], v[94:95], -v[96:97]
	v_fma_f64 v[3:4], v[3:4], v[94:95], v[90:91]
.LBB104_442:
	s_mov_b32 s8, exec_lo
	v_cmpx_ne_u32_e32 15, v0
	s_cbranch_execz .LBB104_446
; %bb.443:
	v_add_nc_u32_e32 v90, 0x2a0, v93
	v_add3_u32 v91, 0, v93, 16
	v_mov_b32_e32 v92, v0
	s_mov_b32 s48, 0
	.p2align	6
.LBB104_444:                            ; =>This Inner Loop Header: Depth=1
	s_clause 0x3
	buffer_load_dword v98, v91, s[0:3], 0 offen offset:8
	buffer_load_dword v99, v91, s[0:3], 0 offen offset:12
	buffer_load_dword v100, v91, s[0:3], 0 offen
	buffer_load_dword v101, v91, s[0:3], 0 offen offset:4
	ds_read_b128 v[94:97], v90
	v_add_nc_u32_e32 v92, 1, v92
	v_add_nc_u32_e32 v90, 16, v90
	;; [unrolled: 1-line block ×3, first 2 shown]
	v_cmp_lt_u32_e32 vcc_lo, 14, v92
	s_or_b32 s48, vcc_lo, s48
	s_waitcnt vmcnt(2) lgkmcnt(0)
	v_mul_f64 v[102:103], v[96:97], v[98:99]
	v_mul_f64 v[98:99], v[94:95], v[98:99]
	s_waitcnt vmcnt(0)
	v_fma_f64 v[94:95], v[94:95], v[100:101], -v[102:103]
	v_fma_f64 v[96:97], v[96:97], v[100:101], v[98:99]
	v_add_f64 v[1:2], v[1:2], v[94:95]
	v_add_f64 v[3:4], v[3:4], v[96:97]
	s_andn2_b32 exec_lo, exec_lo, s48
	s_cbranch_execnz .LBB104_444
; %bb.445:
	s_or_b32 exec_lo, exec_lo, s48
.LBB104_446:
	s_or_b32 exec_lo, exec_lo, s8
	v_mov_b32_e32 v90, 0
	ds_read_b128 v[94:97], v90 offset:256
	s_waitcnt lgkmcnt(0)
	v_mul_f64 v[90:91], v[3:4], v[96:97]
	v_mul_f64 v[96:97], v[1:2], v[96:97]
	v_fma_f64 v[1:2], v[1:2], v[94:95], -v[90:91]
	v_fma_f64 v[3:4], v[3:4], v[94:95], v[96:97]
	buffer_store_dword v2, off, s[0:3], 0 offset:260
	buffer_store_dword v1, off, s[0:3], 0 offset:256
	;; [unrolled: 1-line block ×4, first 2 shown]
.LBB104_447:
	s_or_b32 exec_lo, exec_lo, s4
	v_mov_b32_e32 v4, s30
	s_mov_b32 s4, exec_lo
	s_clause 0x3
	buffer_load_dword v1, v4, s[0:3], 0 offen
	buffer_load_dword v2, v4, s[0:3], 0 offen offset:4
	buffer_load_dword v3, v4, s[0:3], 0 offen offset:8
	buffer_load_dword v4, v4, s[0:3], 0 offen offset:12
	s_waitcnt vmcnt(0)
	ds_write_b128 v88, v[1:4]
	s_waitcnt lgkmcnt(0)
	s_waitcnt_vscnt null, 0x0
	s_barrier
	buffer_gl0_inv
	v_cmpx_gt_u32_e32 17, v0
	s_cbranch_execz .LBB104_455
; %bb.448:
	ds_read_b128 v[1:4], v88
	v_cmp_ne_u32_e32 vcc_lo, 1, v89
	s_cbranch_vccnz .LBB104_450
; %bb.449:
	s_clause 0x3
	buffer_load_dword v90, v87, s[0:3], 0 offen offset:8
	buffer_load_dword v91, v87, s[0:3], 0 offen offset:12
	buffer_load_dword v94, v87, s[0:3], 0 offen
	buffer_load_dword v95, v87, s[0:3], 0 offen offset:4
	s_waitcnt vmcnt(2) lgkmcnt(0)
	v_mul_f64 v[96:97], v[3:4], v[90:91]
	v_mul_f64 v[90:91], v[1:2], v[90:91]
	s_waitcnt vmcnt(0)
	v_fma_f64 v[1:2], v[1:2], v[94:95], -v[96:97]
	v_fma_f64 v[3:4], v[3:4], v[94:95], v[90:91]
.LBB104_450:
	s_mov_b32 s8, exec_lo
	v_cmpx_ne_u32_e32 16, v0
	s_cbranch_execz .LBB104_454
; %bb.451:
	v_add_nc_u32_e32 v90, 0x2a0, v93
	v_add3_u32 v91, 0, v93, 16
	v_mov_b32_e32 v92, v0
	s_mov_b32 s48, 0
	.p2align	6
.LBB104_452:                            ; =>This Inner Loop Header: Depth=1
	s_clause 0x3
	buffer_load_dword v98, v91, s[0:3], 0 offen offset:8
	buffer_load_dword v99, v91, s[0:3], 0 offen offset:12
	buffer_load_dword v100, v91, s[0:3], 0 offen
	buffer_load_dword v101, v91, s[0:3], 0 offen offset:4
	ds_read_b128 v[94:97], v90
	v_add_nc_u32_e32 v92, 1, v92
	v_add_nc_u32_e32 v90, 16, v90
	;; [unrolled: 1-line block ×3, first 2 shown]
	v_cmp_lt_u32_e32 vcc_lo, 15, v92
	s_or_b32 s48, vcc_lo, s48
	s_waitcnt vmcnt(2) lgkmcnt(0)
	v_mul_f64 v[102:103], v[96:97], v[98:99]
	v_mul_f64 v[98:99], v[94:95], v[98:99]
	s_waitcnt vmcnt(0)
	v_fma_f64 v[94:95], v[94:95], v[100:101], -v[102:103]
	v_fma_f64 v[96:97], v[96:97], v[100:101], v[98:99]
	v_add_f64 v[1:2], v[1:2], v[94:95]
	v_add_f64 v[3:4], v[3:4], v[96:97]
	s_andn2_b32 exec_lo, exec_lo, s48
	s_cbranch_execnz .LBB104_452
; %bb.453:
	s_or_b32 exec_lo, exec_lo, s48
.LBB104_454:
	s_or_b32 exec_lo, exec_lo, s8
	v_mov_b32_e32 v90, 0
	ds_read_b128 v[94:97], v90 offset:272
	s_waitcnt lgkmcnt(0)
	v_mul_f64 v[90:91], v[3:4], v[96:97]
	v_mul_f64 v[96:97], v[1:2], v[96:97]
	v_fma_f64 v[1:2], v[1:2], v[94:95], -v[90:91]
	v_fma_f64 v[3:4], v[3:4], v[94:95], v[96:97]
	buffer_store_dword v2, off, s[0:3], 0 offset:276
	buffer_store_dword v1, off, s[0:3], 0 offset:272
	;; [unrolled: 1-line block ×4, first 2 shown]
.LBB104_455:
	s_or_b32 exec_lo, exec_lo, s4
	v_mov_b32_e32 v4, s29
	s_mov_b32 s4, exec_lo
	s_clause 0x3
	buffer_load_dword v1, v4, s[0:3], 0 offen
	buffer_load_dword v2, v4, s[0:3], 0 offen offset:4
	buffer_load_dword v3, v4, s[0:3], 0 offen offset:8
	;; [unrolled: 1-line block ×3, first 2 shown]
	s_waitcnt vmcnt(0)
	ds_write_b128 v88, v[1:4]
	s_waitcnt lgkmcnt(0)
	s_waitcnt_vscnt null, 0x0
	s_barrier
	buffer_gl0_inv
	v_cmpx_gt_u32_e32 18, v0
	s_cbranch_execz .LBB104_463
; %bb.456:
	ds_read_b128 v[1:4], v88
	v_cmp_ne_u32_e32 vcc_lo, 1, v89
	s_cbranch_vccnz .LBB104_458
; %bb.457:
	s_clause 0x3
	buffer_load_dword v90, v87, s[0:3], 0 offen offset:8
	buffer_load_dword v91, v87, s[0:3], 0 offen offset:12
	buffer_load_dword v94, v87, s[0:3], 0 offen
	buffer_load_dword v95, v87, s[0:3], 0 offen offset:4
	s_waitcnt vmcnt(2) lgkmcnt(0)
	v_mul_f64 v[96:97], v[3:4], v[90:91]
	v_mul_f64 v[90:91], v[1:2], v[90:91]
	s_waitcnt vmcnt(0)
	v_fma_f64 v[1:2], v[1:2], v[94:95], -v[96:97]
	v_fma_f64 v[3:4], v[3:4], v[94:95], v[90:91]
.LBB104_458:
	s_mov_b32 s8, exec_lo
	v_cmpx_ne_u32_e32 17, v0
	s_cbranch_execz .LBB104_462
; %bb.459:
	v_add_nc_u32_e32 v90, 0x2a0, v93
	v_add3_u32 v91, 0, v93, 16
	v_mov_b32_e32 v92, v0
	s_mov_b32 s48, 0
	.p2align	6
.LBB104_460:                            ; =>This Inner Loop Header: Depth=1
	s_clause 0x3
	buffer_load_dword v98, v91, s[0:3], 0 offen offset:8
	buffer_load_dword v99, v91, s[0:3], 0 offen offset:12
	buffer_load_dword v100, v91, s[0:3], 0 offen
	buffer_load_dword v101, v91, s[0:3], 0 offen offset:4
	ds_read_b128 v[94:97], v90
	v_add_nc_u32_e32 v92, 1, v92
	v_add_nc_u32_e32 v90, 16, v90
	;; [unrolled: 1-line block ×3, first 2 shown]
	v_cmp_lt_u32_e32 vcc_lo, 16, v92
	s_or_b32 s48, vcc_lo, s48
	s_waitcnt vmcnt(2) lgkmcnt(0)
	v_mul_f64 v[102:103], v[96:97], v[98:99]
	v_mul_f64 v[98:99], v[94:95], v[98:99]
	s_waitcnt vmcnt(0)
	v_fma_f64 v[94:95], v[94:95], v[100:101], -v[102:103]
	v_fma_f64 v[96:97], v[96:97], v[100:101], v[98:99]
	v_add_f64 v[1:2], v[1:2], v[94:95]
	v_add_f64 v[3:4], v[3:4], v[96:97]
	s_andn2_b32 exec_lo, exec_lo, s48
	s_cbranch_execnz .LBB104_460
; %bb.461:
	s_or_b32 exec_lo, exec_lo, s48
.LBB104_462:
	s_or_b32 exec_lo, exec_lo, s8
	v_mov_b32_e32 v90, 0
	ds_read_b128 v[94:97], v90 offset:288
	s_waitcnt lgkmcnt(0)
	v_mul_f64 v[90:91], v[3:4], v[96:97]
	v_mul_f64 v[96:97], v[1:2], v[96:97]
	v_fma_f64 v[1:2], v[1:2], v[94:95], -v[90:91]
	v_fma_f64 v[3:4], v[3:4], v[94:95], v[96:97]
	buffer_store_dword v2, off, s[0:3], 0 offset:292
	buffer_store_dword v1, off, s[0:3], 0 offset:288
	;; [unrolled: 1-line block ×4, first 2 shown]
.LBB104_463:
	s_or_b32 exec_lo, exec_lo, s4
	v_mov_b32_e32 v4, s28
	s_mov_b32 s4, exec_lo
	s_clause 0x3
	buffer_load_dword v1, v4, s[0:3], 0 offen
	buffer_load_dword v2, v4, s[0:3], 0 offen offset:4
	buffer_load_dword v3, v4, s[0:3], 0 offen offset:8
	;; [unrolled: 1-line block ×3, first 2 shown]
	s_waitcnt vmcnt(0)
	ds_write_b128 v88, v[1:4]
	s_waitcnt lgkmcnt(0)
	s_waitcnt_vscnt null, 0x0
	s_barrier
	buffer_gl0_inv
	v_cmpx_gt_u32_e32 19, v0
	s_cbranch_execz .LBB104_471
; %bb.464:
	ds_read_b128 v[1:4], v88
	v_cmp_ne_u32_e32 vcc_lo, 1, v89
	s_cbranch_vccnz .LBB104_466
; %bb.465:
	s_clause 0x3
	buffer_load_dword v90, v87, s[0:3], 0 offen offset:8
	buffer_load_dword v91, v87, s[0:3], 0 offen offset:12
	buffer_load_dword v94, v87, s[0:3], 0 offen
	buffer_load_dword v95, v87, s[0:3], 0 offen offset:4
	s_waitcnt vmcnt(2) lgkmcnt(0)
	v_mul_f64 v[96:97], v[3:4], v[90:91]
	v_mul_f64 v[90:91], v[1:2], v[90:91]
	s_waitcnt vmcnt(0)
	v_fma_f64 v[1:2], v[1:2], v[94:95], -v[96:97]
	v_fma_f64 v[3:4], v[3:4], v[94:95], v[90:91]
.LBB104_466:
	s_mov_b32 s8, exec_lo
	v_cmpx_ne_u32_e32 18, v0
	s_cbranch_execz .LBB104_470
; %bb.467:
	v_add_nc_u32_e32 v90, 0x2a0, v93
	v_add3_u32 v91, 0, v93, 16
	v_mov_b32_e32 v92, v0
	s_mov_b32 s48, 0
	.p2align	6
.LBB104_468:                            ; =>This Inner Loop Header: Depth=1
	s_clause 0x3
	buffer_load_dword v98, v91, s[0:3], 0 offen offset:8
	buffer_load_dword v99, v91, s[0:3], 0 offen offset:12
	buffer_load_dword v100, v91, s[0:3], 0 offen
	buffer_load_dword v101, v91, s[0:3], 0 offen offset:4
	ds_read_b128 v[94:97], v90
	v_add_nc_u32_e32 v92, 1, v92
	v_add_nc_u32_e32 v90, 16, v90
	;; [unrolled: 1-line block ×3, first 2 shown]
	v_cmp_lt_u32_e32 vcc_lo, 17, v92
	s_or_b32 s48, vcc_lo, s48
	s_waitcnt vmcnt(2) lgkmcnt(0)
	v_mul_f64 v[102:103], v[96:97], v[98:99]
	v_mul_f64 v[98:99], v[94:95], v[98:99]
	s_waitcnt vmcnt(0)
	v_fma_f64 v[94:95], v[94:95], v[100:101], -v[102:103]
	v_fma_f64 v[96:97], v[96:97], v[100:101], v[98:99]
	v_add_f64 v[1:2], v[1:2], v[94:95]
	v_add_f64 v[3:4], v[3:4], v[96:97]
	s_andn2_b32 exec_lo, exec_lo, s48
	s_cbranch_execnz .LBB104_468
; %bb.469:
	s_or_b32 exec_lo, exec_lo, s48
.LBB104_470:
	s_or_b32 exec_lo, exec_lo, s8
	v_mov_b32_e32 v90, 0
	ds_read_b128 v[94:97], v90 offset:304
	s_waitcnt lgkmcnt(0)
	v_mul_f64 v[90:91], v[3:4], v[96:97]
	v_mul_f64 v[96:97], v[1:2], v[96:97]
	v_fma_f64 v[1:2], v[1:2], v[94:95], -v[90:91]
	v_fma_f64 v[3:4], v[3:4], v[94:95], v[96:97]
	buffer_store_dword v2, off, s[0:3], 0 offset:308
	buffer_store_dword v1, off, s[0:3], 0 offset:304
	;; [unrolled: 1-line block ×4, first 2 shown]
.LBB104_471:
	s_or_b32 exec_lo, exec_lo, s4
	v_mov_b32_e32 v4, s27
	s_mov_b32 s4, exec_lo
	s_clause 0x3
	buffer_load_dword v1, v4, s[0:3], 0 offen
	buffer_load_dword v2, v4, s[0:3], 0 offen offset:4
	buffer_load_dword v3, v4, s[0:3], 0 offen offset:8
	;; [unrolled: 1-line block ×3, first 2 shown]
	s_waitcnt vmcnt(0)
	ds_write_b128 v88, v[1:4]
	s_waitcnt lgkmcnt(0)
	s_waitcnt_vscnt null, 0x0
	s_barrier
	buffer_gl0_inv
	v_cmpx_gt_u32_e32 20, v0
	s_cbranch_execz .LBB104_479
; %bb.472:
	ds_read_b128 v[1:4], v88
	v_cmp_ne_u32_e32 vcc_lo, 1, v89
	s_cbranch_vccnz .LBB104_474
; %bb.473:
	s_clause 0x3
	buffer_load_dword v90, v87, s[0:3], 0 offen offset:8
	buffer_load_dword v91, v87, s[0:3], 0 offen offset:12
	buffer_load_dword v94, v87, s[0:3], 0 offen
	buffer_load_dword v95, v87, s[0:3], 0 offen offset:4
	s_waitcnt vmcnt(2) lgkmcnt(0)
	v_mul_f64 v[96:97], v[3:4], v[90:91]
	v_mul_f64 v[90:91], v[1:2], v[90:91]
	s_waitcnt vmcnt(0)
	v_fma_f64 v[1:2], v[1:2], v[94:95], -v[96:97]
	v_fma_f64 v[3:4], v[3:4], v[94:95], v[90:91]
.LBB104_474:
	s_mov_b32 s8, exec_lo
	v_cmpx_ne_u32_e32 19, v0
	s_cbranch_execz .LBB104_478
; %bb.475:
	v_add_nc_u32_e32 v90, 0x2a0, v93
	v_add3_u32 v91, 0, v93, 16
	v_mov_b32_e32 v92, v0
	s_mov_b32 s48, 0
	.p2align	6
.LBB104_476:                            ; =>This Inner Loop Header: Depth=1
	s_clause 0x3
	buffer_load_dword v98, v91, s[0:3], 0 offen offset:8
	buffer_load_dword v99, v91, s[0:3], 0 offen offset:12
	buffer_load_dword v100, v91, s[0:3], 0 offen
	buffer_load_dword v101, v91, s[0:3], 0 offen offset:4
	ds_read_b128 v[94:97], v90
	v_add_nc_u32_e32 v92, 1, v92
	v_add_nc_u32_e32 v90, 16, v90
	;; [unrolled: 1-line block ×3, first 2 shown]
	v_cmp_lt_u32_e32 vcc_lo, 18, v92
	s_or_b32 s48, vcc_lo, s48
	s_waitcnt vmcnt(2) lgkmcnt(0)
	v_mul_f64 v[102:103], v[96:97], v[98:99]
	v_mul_f64 v[98:99], v[94:95], v[98:99]
	s_waitcnt vmcnt(0)
	v_fma_f64 v[94:95], v[94:95], v[100:101], -v[102:103]
	v_fma_f64 v[96:97], v[96:97], v[100:101], v[98:99]
	v_add_f64 v[1:2], v[1:2], v[94:95]
	v_add_f64 v[3:4], v[3:4], v[96:97]
	s_andn2_b32 exec_lo, exec_lo, s48
	s_cbranch_execnz .LBB104_476
; %bb.477:
	s_or_b32 exec_lo, exec_lo, s48
.LBB104_478:
	s_or_b32 exec_lo, exec_lo, s8
	v_mov_b32_e32 v90, 0
	ds_read_b128 v[94:97], v90 offset:320
	s_waitcnt lgkmcnt(0)
	v_mul_f64 v[90:91], v[3:4], v[96:97]
	v_mul_f64 v[96:97], v[1:2], v[96:97]
	v_fma_f64 v[1:2], v[1:2], v[94:95], -v[90:91]
	v_fma_f64 v[3:4], v[3:4], v[94:95], v[96:97]
	buffer_store_dword v2, off, s[0:3], 0 offset:324
	buffer_store_dword v1, off, s[0:3], 0 offset:320
	;; [unrolled: 1-line block ×4, first 2 shown]
.LBB104_479:
	s_or_b32 exec_lo, exec_lo, s4
	v_mov_b32_e32 v4, s26
	s_mov_b32 s4, exec_lo
	s_clause 0x3
	buffer_load_dword v1, v4, s[0:3], 0 offen
	buffer_load_dword v2, v4, s[0:3], 0 offen offset:4
	buffer_load_dword v3, v4, s[0:3], 0 offen offset:8
	;; [unrolled: 1-line block ×3, first 2 shown]
	s_waitcnt vmcnt(0)
	ds_write_b128 v88, v[1:4]
	s_waitcnt lgkmcnt(0)
	s_waitcnt_vscnt null, 0x0
	s_barrier
	buffer_gl0_inv
	v_cmpx_gt_u32_e32 21, v0
	s_cbranch_execz .LBB104_487
; %bb.480:
	ds_read_b128 v[1:4], v88
	v_cmp_ne_u32_e32 vcc_lo, 1, v89
	s_cbranch_vccnz .LBB104_482
; %bb.481:
	s_clause 0x3
	buffer_load_dword v90, v87, s[0:3], 0 offen offset:8
	buffer_load_dword v91, v87, s[0:3], 0 offen offset:12
	buffer_load_dword v94, v87, s[0:3], 0 offen
	buffer_load_dword v95, v87, s[0:3], 0 offen offset:4
	s_waitcnt vmcnt(2) lgkmcnt(0)
	v_mul_f64 v[96:97], v[3:4], v[90:91]
	v_mul_f64 v[90:91], v[1:2], v[90:91]
	s_waitcnt vmcnt(0)
	v_fma_f64 v[1:2], v[1:2], v[94:95], -v[96:97]
	v_fma_f64 v[3:4], v[3:4], v[94:95], v[90:91]
.LBB104_482:
	s_mov_b32 s8, exec_lo
	v_cmpx_ne_u32_e32 20, v0
	s_cbranch_execz .LBB104_486
; %bb.483:
	v_add_nc_u32_e32 v90, 0x2a0, v93
	v_add3_u32 v91, 0, v93, 16
	v_mov_b32_e32 v92, v0
	s_mov_b32 s48, 0
	.p2align	6
.LBB104_484:                            ; =>This Inner Loop Header: Depth=1
	s_clause 0x3
	buffer_load_dword v98, v91, s[0:3], 0 offen offset:8
	buffer_load_dword v99, v91, s[0:3], 0 offen offset:12
	buffer_load_dword v100, v91, s[0:3], 0 offen
	buffer_load_dword v101, v91, s[0:3], 0 offen offset:4
	ds_read_b128 v[94:97], v90
	v_add_nc_u32_e32 v92, 1, v92
	v_add_nc_u32_e32 v90, 16, v90
	;; [unrolled: 1-line block ×3, first 2 shown]
	v_cmp_lt_u32_e32 vcc_lo, 19, v92
	s_or_b32 s48, vcc_lo, s48
	s_waitcnt vmcnt(2) lgkmcnt(0)
	v_mul_f64 v[102:103], v[96:97], v[98:99]
	v_mul_f64 v[98:99], v[94:95], v[98:99]
	s_waitcnt vmcnt(0)
	v_fma_f64 v[94:95], v[94:95], v[100:101], -v[102:103]
	v_fma_f64 v[96:97], v[96:97], v[100:101], v[98:99]
	v_add_f64 v[1:2], v[1:2], v[94:95]
	v_add_f64 v[3:4], v[3:4], v[96:97]
	s_andn2_b32 exec_lo, exec_lo, s48
	s_cbranch_execnz .LBB104_484
; %bb.485:
	s_or_b32 exec_lo, exec_lo, s48
.LBB104_486:
	s_or_b32 exec_lo, exec_lo, s8
	v_mov_b32_e32 v90, 0
	ds_read_b128 v[94:97], v90 offset:336
	s_waitcnt lgkmcnt(0)
	v_mul_f64 v[90:91], v[3:4], v[96:97]
	v_mul_f64 v[96:97], v[1:2], v[96:97]
	v_fma_f64 v[1:2], v[1:2], v[94:95], -v[90:91]
	v_fma_f64 v[3:4], v[3:4], v[94:95], v[96:97]
	buffer_store_dword v2, off, s[0:3], 0 offset:340
	buffer_store_dword v1, off, s[0:3], 0 offset:336
	;; [unrolled: 1-line block ×4, first 2 shown]
.LBB104_487:
	s_or_b32 exec_lo, exec_lo, s4
	v_mov_b32_e32 v4, s25
	s_mov_b32 s4, exec_lo
	s_clause 0x3
	buffer_load_dword v1, v4, s[0:3], 0 offen
	buffer_load_dword v2, v4, s[0:3], 0 offen offset:4
	buffer_load_dword v3, v4, s[0:3], 0 offen offset:8
	;; [unrolled: 1-line block ×3, first 2 shown]
	s_waitcnt vmcnt(0)
	ds_write_b128 v88, v[1:4]
	s_waitcnt lgkmcnt(0)
	s_waitcnt_vscnt null, 0x0
	s_barrier
	buffer_gl0_inv
	v_cmpx_gt_u32_e32 22, v0
	s_cbranch_execz .LBB104_495
; %bb.488:
	ds_read_b128 v[1:4], v88
	v_cmp_ne_u32_e32 vcc_lo, 1, v89
	s_cbranch_vccnz .LBB104_490
; %bb.489:
	s_clause 0x3
	buffer_load_dword v90, v87, s[0:3], 0 offen offset:8
	buffer_load_dword v91, v87, s[0:3], 0 offen offset:12
	buffer_load_dword v94, v87, s[0:3], 0 offen
	buffer_load_dword v95, v87, s[0:3], 0 offen offset:4
	s_waitcnt vmcnt(2) lgkmcnt(0)
	v_mul_f64 v[96:97], v[3:4], v[90:91]
	v_mul_f64 v[90:91], v[1:2], v[90:91]
	s_waitcnt vmcnt(0)
	v_fma_f64 v[1:2], v[1:2], v[94:95], -v[96:97]
	v_fma_f64 v[3:4], v[3:4], v[94:95], v[90:91]
.LBB104_490:
	s_mov_b32 s8, exec_lo
	v_cmpx_ne_u32_e32 21, v0
	s_cbranch_execz .LBB104_494
; %bb.491:
	v_add_nc_u32_e32 v90, 0x2a0, v93
	v_add3_u32 v91, 0, v93, 16
	v_mov_b32_e32 v92, v0
	s_mov_b32 s48, 0
	.p2align	6
.LBB104_492:                            ; =>This Inner Loop Header: Depth=1
	s_clause 0x3
	buffer_load_dword v98, v91, s[0:3], 0 offen offset:8
	buffer_load_dword v99, v91, s[0:3], 0 offen offset:12
	buffer_load_dword v100, v91, s[0:3], 0 offen
	buffer_load_dword v101, v91, s[0:3], 0 offen offset:4
	ds_read_b128 v[94:97], v90
	v_add_nc_u32_e32 v92, 1, v92
	v_add_nc_u32_e32 v90, 16, v90
	;; [unrolled: 1-line block ×3, first 2 shown]
	v_cmp_lt_u32_e32 vcc_lo, 20, v92
	s_or_b32 s48, vcc_lo, s48
	s_waitcnt vmcnt(2) lgkmcnt(0)
	v_mul_f64 v[102:103], v[96:97], v[98:99]
	v_mul_f64 v[98:99], v[94:95], v[98:99]
	s_waitcnt vmcnt(0)
	v_fma_f64 v[94:95], v[94:95], v[100:101], -v[102:103]
	v_fma_f64 v[96:97], v[96:97], v[100:101], v[98:99]
	v_add_f64 v[1:2], v[1:2], v[94:95]
	v_add_f64 v[3:4], v[3:4], v[96:97]
	s_andn2_b32 exec_lo, exec_lo, s48
	s_cbranch_execnz .LBB104_492
; %bb.493:
	s_or_b32 exec_lo, exec_lo, s48
.LBB104_494:
	s_or_b32 exec_lo, exec_lo, s8
	v_mov_b32_e32 v90, 0
	ds_read_b128 v[94:97], v90 offset:352
	s_waitcnt lgkmcnt(0)
	v_mul_f64 v[90:91], v[3:4], v[96:97]
	v_mul_f64 v[96:97], v[1:2], v[96:97]
	v_fma_f64 v[1:2], v[1:2], v[94:95], -v[90:91]
	v_fma_f64 v[3:4], v[3:4], v[94:95], v[96:97]
	buffer_store_dword v2, off, s[0:3], 0 offset:356
	buffer_store_dword v1, off, s[0:3], 0 offset:352
	;; [unrolled: 1-line block ×4, first 2 shown]
.LBB104_495:
	s_or_b32 exec_lo, exec_lo, s4
	v_mov_b32_e32 v4, s24
	s_mov_b32 s4, exec_lo
	s_clause 0x3
	buffer_load_dword v1, v4, s[0:3], 0 offen
	buffer_load_dword v2, v4, s[0:3], 0 offen offset:4
	buffer_load_dword v3, v4, s[0:3], 0 offen offset:8
	;; [unrolled: 1-line block ×3, first 2 shown]
	s_waitcnt vmcnt(0)
	ds_write_b128 v88, v[1:4]
	s_waitcnt lgkmcnt(0)
	s_waitcnt_vscnt null, 0x0
	s_barrier
	buffer_gl0_inv
	v_cmpx_gt_u32_e32 23, v0
	s_cbranch_execz .LBB104_503
; %bb.496:
	ds_read_b128 v[1:4], v88
	v_cmp_ne_u32_e32 vcc_lo, 1, v89
	s_cbranch_vccnz .LBB104_498
; %bb.497:
	s_clause 0x3
	buffer_load_dword v90, v87, s[0:3], 0 offen offset:8
	buffer_load_dword v91, v87, s[0:3], 0 offen offset:12
	buffer_load_dword v94, v87, s[0:3], 0 offen
	buffer_load_dword v95, v87, s[0:3], 0 offen offset:4
	s_waitcnt vmcnt(2) lgkmcnt(0)
	v_mul_f64 v[96:97], v[3:4], v[90:91]
	v_mul_f64 v[90:91], v[1:2], v[90:91]
	s_waitcnt vmcnt(0)
	v_fma_f64 v[1:2], v[1:2], v[94:95], -v[96:97]
	v_fma_f64 v[3:4], v[3:4], v[94:95], v[90:91]
.LBB104_498:
	s_mov_b32 s8, exec_lo
	v_cmpx_ne_u32_e32 22, v0
	s_cbranch_execz .LBB104_502
; %bb.499:
	v_add_nc_u32_e32 v90, 0x2a0, v93
	v_add3_u32 v91, 0, v93, 16
	v_mov_b32_e32 v92, v0
	s_mov_b32 s48, 0
	.p2align	6
.LBB104_500:                            ; =>This Inner Loop Header: Depth=1
	s_clause 0x3
	buffer_load_dword v98, v91, s[0:3], 0 offen offset:8
	buffer_load_dword v99, v91, s[0:3], 0 offen offset:12
	buffer_load_dword v100, v91, s[0:3], 0 offen
	buffer_load_dword v101, v91, s[0:3], 0 offen offset:4
	ds_read_b128 v[94:97], v90
	v_add_nc_u32_e32 v92, 1, v92
	v_add_nc_u32_e32 v90, 16, v90
	v_add_nc_u32_e32 v91, 16, v91
	v_cmp_lt_u32_e32 vcc_lo, 21, v92
	s_or_b32 s48, vcc_lo, s48
	s_waitcnt vmcnt(2) lgkmcnt(0)
	v_mul_f64 v[102:103], v[96:97], v[98:99]
	v_mul_f64 v[98:99], v[94:95], v[98:99]
	s_waitcnt vmcnt(0)
	v_fma_f64 v[94:95], v[94:95], v[100:101], -v[102:103]
	v_fma_f64 v[96:97], v[96:97], v[100:101], v[98:99]
	v_add_f64 v[1:2], v[1:2], v[94:95]
	v_add_f64 v[3:4], v[3:4], v[96:97]
	s_andn2_b32 exec_lo, exec_lo, s48
	s_cbranch_execnz .LBB104_500
; %bb.501:
	s_or_b32 exec_lo, exec_lo, s48
.LBB104_502:
	s_or_b32 exec_lo, exec_lo, s8
	v_mov_b32_e32 v90, 0
	ds_read_b128 v[94:97], v90 offset:368
	s_waitcnt lgkmcnt(0)
	v_mul_f64 v[90:91], v[3:4], v[96:97]
	v_mul_f64 v[96:97], v[1:2], v[96:97]
	v_fma_f64 v[1:2], v[1:2], v[94:95], -v[90:91]
	v_fma_f64 v[3:4], v[3:4], v[94:95], v[96:97]
	buffer_store_dword v2, off, s[0:3], 0 offset:372
	buffer_store_dword v1, off, s[0:3], 0 offset:368
	;; [unrolled: 1-line block ×4, first 2 shown]
.LBB104_503:
	s_or_b32 exec_lo, exec_lo, s4
	v_mov_b32_e32 v4, s23
	s_mov_b32 s4, exec_lo
	s_clause 0x3
	buffer_load_dword v1, v4, s[0:3], 0 offen
	buffer_load_dword v2, v4, s[0:3], 0 offen offset:4
	buffer_load_dword v3, v4, s[0:3], 0 offen offset:8
	;; [unrolled: 1-line block ×3, first 2 shown]
	s_waitcnt vmcnt(0)
	ds_write_b128 v88, v[1:4]
	s_waitcnt lgkmcnt(0)
	s_waitcnt_vscnt null, 0x0
	s_barrier
	buffer_gl0_inv
	v_cmpx_gt_u32_e32 24, v0
	s_cbranch_execz .LBB104_511
; %bb.504:
	ds_read_b128 v[1:4], v88
	v_cmp_ne_u32_e32 vcc_lo, 1, v89
	s_cbranch_vccnz .LBB104_506
; %bb.505:
	s_clause 0x3
	buffer_load_dword v90, v87, s[0:3], 0 offen offset:8
	buffer_load_dword v91, v87, s[0:3], 0 offen offset:12
	buffer_load_dword v94, v87, s[0:3], 0 offen
	buffer_load_dword v95, v87, s[0:3], 0 offen offset:4
	s_waitcnt vmcnt(2) lgkmcnt(0)
	v_mul_f64 v[96:97], v[3:4], v[90:91]
	v_mul_f64 v[90:91], v[1:2], v[90:91]
	s_waitcnt vmcnt(0)
	v_fma_f64 v[1:2], v[1:2], v[94:95], -v[96:97]
	v_fma_f64 v[3:4], v[3:4], v[94:95], v[90:91]
.LBB104_506:
	s_mov_b32 s8, exec_lo
	v_cmpx_ne_u32_e32 23, v0
	s_cbranch_execz .LBB104_510
; %bb.507:
	v_add_nc_u32_e32 v90, 0x2a0, v93
	v_add3_u32 v91, 0, v93, 16
	v_mov_b32_e32 v92, v0
	s_mov_b32 s48, 0
	.p2align	6
.LBB104_508:                            ; =>This Inner Loop Header: Depth=1
	s_clause 0x3
	buffer_load_dword v98, v91, s[0:3], 0 offen offset:8
	buffer_load_dword v99, v91, s[0:3], 0 offen offset:12
	buffer_load_dword v100, v91, s[0:3], 0 offen
	buffer_load_dword v101, v91, s[0:3], 0 offen offset:4
	ds_read_b128 v[94:97], v90
	v_add_nc_u32_e32 v92, 1, v92
	v_add_nc_u32_e32 v90, 16, v90
	;; [unrolled: 1-line block ×3, first 2 shown]
	v_cmp_lt_u32_e32 vcc_lo, 22, v92
	s_or_b32 s48, vcc_lo, s48
	s_waitcnt vmcnt(2) lgkmcnt(0)
	v_mul_f64 v[102:103], v[96:97], v[98:99]
	v_mul_f64 v[98:99], v[94:95], v[98:99]
	s_waitcnt vmcnt(0)
	v_fma_f64 v[94:95], v[94:95], v[100:101], -v[102:103]
	v_fma_f64 v[96:97], v[96:97], v[100:101], v[98:99]
	v_add_f64 v[1:2], v[1:2], v[94:95]
	v_add_f64 v[3:4], v[3:4], v[96:97]
	s_andn2_b32 exec_lo, exec_lo, s48
	s_cbranch_execnz .LBB104_508
; %bb.509:
	s_or_b32 exec_lo, exec_lo, s48
.LBB104_510:
	s_or_b32 exec_lo, exec_lo, s8
	v_mov_b32_e32 v90, 0
	ds_read_b128 v[94:97], v90 offset:384
	s_waitcnt lgkmcnt(0)
	v_mul_f64 v[90:91], v[3:4], v[96:97]
	v_mul_f64 v[96:97], v[1:2], v[96:97]
	v_fma_f64 v[1:2], v[1:2], v[94:95], -v[90:91]
	v_fma_f64 v[3:4], v[3:4], v[94:95], v[96:97]
	buffer_store_dword v2, off, s[0:3], 0 offset:388
	buffer_store_dword v1, off, s[0:3], 0 offset:384
	;; [unrolled: 1-line block ×4, first 2 shown]
.LBB104_511:
	s_or_b32 exec_lo, exec_lo, s4
	v_mov_b32_e32 v4, s22
	s_mov_b32 s4, exec_lo
	s_clause 0x3
	buffer_load_dword v1, v4, s[0:3], 0 offen
	buffer_load_dword v2, v4, s[0:3], 0 offen offset:4
	buffer_load_dword v3, v4, s[0:3], 0 offen offset:8
	;; [unrolled: 1-line block ×3, first 2 shown]
	s_waitcnt vmcnt(0)
	ds_write_b128 v88, v[1:4]
	s_waitcnt lgkmcnt(0)
	s_waitcnt_vscnt null, 0x0
	s_barrier
	buffer_gl0_inv
	v_cmpx_gt_u32_e32 25, v0
	s_cbranch_execz .LBB104_519
; %bb.512:
	ds_read_b128 v[1:4], v88
	v_cmp_ne_u32_e32 vcc_lo, 1, v89
	s_cbranch_vccnz .LBB104_514
; %bb.513:
	s_clause 0x3
	buffer_load_dword v90, v87, s[0:3], 0 offen offset:8
	buffer_load_dword v91, v87, s[0:3], 0 offen offset:12
	buffer_load_dword v94, v87, s[0:3], 0 offen
	buffer_load_dword v95, v87, s[0:3], 0 offen offset:4
	s_waitcnt vmcnt(2) lgkmcnt(0)
	v_mul_f64 v[96:97], v[3:4], v[90:91]
	v_mul_f64 v[90:91], v[1:2], v[90:91]
	s_waitcnt vmcnt(0)
	v_fma_f64 v[1:2], v[1:2], v[94:95], -v[96:97]
	v_fma_f64 v[3:4], v[3:4], v[94:95], v[90:91]
.LBB104_514:
	s_mov_b32 s8, exec_lo
	v_cmpx_ne_u32_e32 24, v0
	s_cbranch_execz .LBB104_518
; %bb.515:
	v_add_nc_u32_e32 v90, 0x2a0, v93
	v_add3_u32 v91, 0, v93, 16
	v_mov_b32_e32 v92, v0
	s_mov_b32 s48, 0
	.p2align	6
.LBB104_516:                            ; =>This Inner Loop Header: Depth=1
	s_clause 0x3
	buffer_load_dword v98, v91, s[0:3], 0 offen offset:8
	buffer_load_dword v99, v91, s[0:3], 0 offen offset:12
	buffer_load_dword v100, v91, s[0:3], 0 offen
	buffer_load_dword v101, v91, s[0:3], 0 offen offset:4
	ds_read_b128 v[94:97], v90
	v_add_nc_u32_e32 v92, 1, v92
	v_add_nc_u32_e32 v90, 16, v90
	;; [unrolled: 1-line block ×3, first 2 shown]
	v_cmp_lt_u32_e32 vcc_lo, 23, v92
	s_or_b32 s48, vcc_lo, s48
	s_waitcnt vmcnt(2) lgkmcnt(0)
	v_mul_f64 v[102:103], v[96:97], v[98:99]
	v_mul_f64 v[98:99], v[94:95], v[98:99]
	s_waitcnt vmcnt(0)
	v_fma_f64 v[94:95], v[94:95], v[100:101], -v[102:103]
	v_fma_f64 v[96:97], v[96:97], v[100:101], v[98:99]
	v_add_f64 v[1:2], v[1:2], v[94:95]
	v_add_f64 v[3:4], v[3:4], v[96:97]
	s_andn2_b32 exec_lo, exec_lo, s48
	s_cbranch_execnz .LBB104_516
; %bb.517:
	s_or_b32 exec_lo, exec_lo, s48
.LBB104_518:
	s_or_b32 exec_lo, exec_lo, s8
	v_mov_b32_e32 v90, 0
	ds_read_b128 v[94:97], v90 offset:400
	s_waitcnt lgkmcnt(0)
	v_mul_f64 v[90:91], v[3:4], v[96:97]
	v_mul_f64 v[96:97], v[1:2], v[96:97]
	v_fma_f64 v[1:2], v[1:2], v[94:95], -v[90:91]
	v_fma_f64 v[3:4], v[3:4], v[94:95], v[96:97]
	buffer_store_dword v2, off, s[0:3], 0 offset:404
	buffer_store_dword v1, off, s[0:3], 0 offset:400
	;; [unrolled: 1-line block ×4, first 2 shown]
.LBB104_519:
	s_or_b32 exec_lo, exec_lo, s4
	v_mov_b32_e32 v4, s21
	s_mov_b32 s4, exec_lo
	s_clause 0x3
	buffer_load_dword v1, v4, s[0:3], 0 offen
	buffer_load_dword v2, v4, s[0:3], 0 offen offset:4
	buffer_load_dword v3, v4, s[0:3], 0 offen offset:8
	;; [unrolled: 1-line block ×3, first 2 shown]
	s_waitcnt vmcnt(0)
	ds_write_b128 v88, v[1:4]
	s_waitcnt lgkmcnt(0)
	s_waitcnt_vscnt null, 0x0
	s_barrier
	buffer_gl0_inv
	v_cmpx_gt_u32_e32 26, v0
	s_cbranch_execz .LBB104_527
; %bb.520:
	ds_read_b128 v[1:4], v88
	v_cmp_ne_u32_e32 vcc_lo, 1, v89
	s_cbranch_vccnz .LBB104_522
; %bb.521:
	s_clause 0x3
	buffer_load_dword v90, v87, s[0:3], 0 offen offset:8
	buffer_load_dword v91, v87, s[0:3], 0 offen offset:12
	buffer_load_dword v94, v87, s[0:3], 0 offen
	buffer_load_dword v95, v87, s[0:3], 0 offen offset:4
	s_waitcnt vmcnt(2) lgkmcnt(0)
	v_mul_f64 v[96:97], v[3:4], v[90:91]
	v_mul_f64 v[90:91], v[1:2], v[90:91]
	s_waitcnt vmcnt(0)
	v_fma_f64 v[1:2], v[1:2], v[94:95], -v[96:97]
	v_fma_f64 v[3:4], v[3:4], v[94:95], v[90:91]
.LBB104_522:
	s_mov_b32 s8, exec_lo
	v_cmpx_ne_u32_e32 25, v0
	s_cbranch_execz .LBB104_526
; %bb.523:
	v_add_nc_u32_e32 v90, 0x2a0, v93
	v_add3_u32 v91, 0, v93, 16
	v_mov_b32_e32 v92, v0
	s_mov_b32 s48, 0
	.p2align	6
.LBB104_524:                            ; =>This Inner Loop Header: Depth=1
	s_clause 0x3
	buffer_load_dword v98, v91, s[0:3], 0 offen offset:8
	buffer_load_dword v99, v91, s[0:3], 0 offen offset:12
	buffer_load_dword v100, v91, s[0:3], 0 offen
	buffer_load_dword v101, v91, s[0:3], 0 offen offset:4
	ds_read_b128 v[94:97], v90
	v_add_nc_u32_e32 v92, 1, v92
	v_add_nc_u32_e32 v90, 16, v90
	;; [unrolled: 1-line block ×3, first 2 shown]
	v_cmp_lt_u32_e32 vcc_lo, 24, v92
	s_or_b32 s48, vcc_lo, s48
	s_waitcnt vmcnt(2) lgkmcnt(0)
	v_mul_f64 v[102:103], v[96:97], v[98:99]
	v_mul_f64 v[98:99], v[94:95], v[98:99]
	s_waitcnt vmcnt(0)
	v_fma_f64 v[94:95], v[94:95], v[100:101], -v[102:103]
	v_fma_f64 v[96:97], v[96:97], v[100:101], v[98:99]
	v_add_f64 v[1:2], v[1:2], v[94:95]
	v_add_f64 v[3:4], v[3:4], v[96:97]
	s_andn2_b32 exec_lo, exec_lo, s48
	s_cbranch_execnz .LBB104_524
; %bb.525:
	s_or_b32 exec_lo, exec_lo, s48
.LBB104_526:
	s_or_b32 exec_lo, exec_lo, s8
	v_mov_b32_e32 v90, 0
	ds_read_b128 v[94:97], v90 offset:416
	s_waitcnt lgkmcnt(0)
	v_mul_f64 v[90:91], v[3:4], v[96:97]
	v_mul_f64 v[96:97], v[1:2], v[96:97]
	v_fma_f64 v[1:2], v[1:2], v[94:95], -v[90:91]
	v_fma_f64 v[3:4], v[3:4], v[94:95], v[96:97]
	buffer_store_dword v2, off, s[0:3], 0 offset:420
	buffer_store_dword v1, off, s[0:3], 0 offset:416
	buffer_store_dword v4, off, s[0:3], 0 offset:428
	buffer_store_dword v3, off, s[0:3], 0 offset:424
.LBB104_527:
	s_or_b32 exec_lo, exec_lo, s4
	v_mov_b32_e32 v4, s20
	s_mov_b32 s4, exec_lo
	s_clause 0x3
	buffer_load_dword v1, v4, s[0:3], 0 offen
	buffer_load_dword v2, v4, s[0:3], 0 offen offset:4
	buffer_load_dword v3, v4, s[0:3], 0 offen offset:8
	;; [unrolled: 1-line block ×3, first 2 shown]
	s_waitcnt vmcnt(0)
	ds_write_b128 v88, v[1:4]
	s_waitcnt lgkmcnt(0)
	s_waitcnt_vscnt null, 0x0
	s_barrier
	buffer_gl0_inv
	v_cmpx_gt_u32_e32 27, v0
	s_cbranch_execz .LBB104_535
; %bb.528:
	ds_read_b128 v[1:4], v88
	v_cmp_ne_u32_e32 vcc_lo, 1, v89
	s_cbranch_vccnz .LBB104_530
; %bb.529:
	s_clause 0x3
	buffer_load_dword v90, v87, s[0:3], 0 offen offset:8
	buffer_load_dword v91, v87, s[0:3], 0 offen offset:12
	buffer_load_dword v94, v87, s[0:3], 0 offen
	buffer_load_dword v95, v87, s[0:3], 0 offen offset:4
	s_waitcnt vmcnt(2) lgkmcnt(0)
	v_mul_f64 v[96:97], v[3:4], v[90:91]
	v_mul_f64 v[90:91], v[1:2], v[90:91]
	s_waitcnt vmcnt(0)
	v_fma_f64 v[1:2], v[1:2], v[94:95], -v[96:97]
	v_fma_f64 v[3:4], v[3:4], v[94:95], v[90:91]
.LBB104_530:
	s_mov_b32 s8, exec_lo
	v_cmpx_ne_u32_e32 26, v0
	s_cbranch_execz .LBB104_534
; %bb.531:
	v_add_nc_u32_e32 v90, 0x2a0, v93
	v_add3_u32 v91, 0, v93, 16
	v_mov_b32_e32 v92, v0
	s_mov_b32 s48, 0
	.p2align	6
.LBB104_532:                            ; =>This Inner Loop Header: Depth=1
	s_clause 0x3
	buffer_load_dword v98, v91, s[0:3], 0 offen offset:8
	buffer_load_dword v99, v91, s[0:3], 0 offen offset:12
	buffer_load_dword v100, v91, s[0:3], 0 offen
	buffer_load_dword v101, v91, s[0:3], 0 offen offset:4
	ds_read_b128 v[94:97], v90
	v_add_nc_u32_e32 v92, 1, v92
	v_add_nc_u32_e32 v90, 16, v90
	;; [unrolled: 1-line block ×3, first 2 shown]
	v_cmp_lt_u32_e32 vcc_lo, 25, v92
	s_or_b32 s48, vcc_lo, s48
	s_waitcnt vmcnt(2) lgkmcnt(0)
	v_mul_f64 v[102:103], v[96:97], v[98:99]
	v_mul_f64 v[98:99], v[94:95], v[98:99]
	s_waitcnt vmcnt(0)
	v_fma_f64 v[94:95], v[94:95], v[100:101], -v[102:103]
	v_fma_f64 v[96:97], v[96:97], v[100:101], v[98:99]
	v_add_f64 v[1:2], v[1:2], v[94:95]
	v_add_f64 v[3:4], v[3:4], v[96:97]
	s_andn2_b32 exec_lo, exec_lo, s48
	s_cbranch_execnz .LBB104_532
; %bb.533:
	s_or_b32 exec_lo, exec_lo, s48
.LBB104_534:
	s_or_b32 exec_lo, exec_lo, s8
	v_mov_b32_e32 v90, 0
	ds_read_b128 v[94:97], v90 offset:432
	s_waitcnt lgkmcnt(0)
	v_mul_f64 v[90:91], v[3:4], v[96:97]
	v_mul_f64 v[96:97], v[1:2], v[96:97]
	v_fma_f64 v[1:2], v[1:2], v[94:95], -v[90:91]
	v_fma_f64 v[3:4], v[3:4], v[94:95], v[96:97]
	buffer_store_dword v2, off, s[0:3], 0 offset:436
	buffer_store_dword v1, off, s[0:3], 0 offset:432
	;; [unrolled: 1-line block ×4, first 2 shown]
.LBB104_535:
	s_or_b32 exec_lo, exec_lo, s4
	v_mov_b32_e32 v4, s19
	s_mov_b32 s4, exec_lo
	s_clause 0x3
	buffer_load_dword v1, v4, s[0:3], 0 offen
	buffer_load_dword v2, v4, s[0:3], 0 offen offset:4
	buffer_load_dword v3, v4, s[0:3], 0 offen offset:8
	;; [unrolled: 1-line block ×3, first 2 shown]
	s_waitcnt vmcnt(0)
	ds_write_b128 v88, v[1:4]
	s_waitcnt lgkmcnt(0)
	s_waitcnt_vscnt null, 0x0
	s_barrier
	buffer_gl0_inv
	v_cmpx_gt_u32_e32 28, v0
	s_cbranch_execz .LBB104_543
; %bb.536:
	ds_read_b128 v[1:4], v88
	v_cmp_ne_u32_e32 vcc_lo, 1, v89
	s_cbranch_vccnz .LBB104_538
; %bb.537:
	s_clause 0x3
	buffer_load_dword v90, v87, s[0:3], 0 offen offset:8
	buffer_load_dword v91, v87, s[0:3], 0 offen offset:12
	buffer_load_dword v94, v87, s[0:3], 0 offen
	buffer_load_dword v95, v87, s[0:3], 0 offen offset:4
	s_waitcnt vmcnt(2) lgkmcnt(0)
	v_mul_f64 v[96:97], v[3:4], v[90:91]
	v_mul_f64 v[90:91], v[1:2], v[90:91]
	s_waitcnt vmcnt(0)
	v_fma_f64 v[1:2], v[1:2], v[94:95], -v[96:97]
	v_fma_f64 v[3:4], v[3:4], v[94:95], v[90:91]
.LBB104_538:
	s_mov_b32 s8, exec_lo
	v_cmpx_ne_u32_e32 27, v0
	s_cbranch_execz .LBB104_542
; %bb.539:
	v_add_nc_u32_e32 v90, 0x2a0, v93
	v_add3_u32 v91, 0, v93, 16
	v_mov_b32_e32 v92, v0
	s_mov_b32 s48, 0
	.p2align	6
.LBB104_540:                            ; =>This Inner Loop Header: Depth=1
	s_clause 0x3
	buffer_load_dword v98, v91, s[0:3], 0 offen offset:8
	buffer_load_dword v99, v91, s[0:3], 0 offen offset:12
	buffer_load_dword v100, v91, s[0:3], 0 offen
	buffer_load_dword v101, v91, s[0:3], 0 offen offset:4
	ds_read_b128 v[94:97], v90
	v_add_nc_u32_e32 v92, 1, v92
	v_add_nc_u32_e32 v90, 16, v90
	;; [unrolled: 1-line block ×3, first 2 shown]
	v_cmp_lt_u32_e32 vcc_lo, 26, v92
	s_or_b32 s48, vcc_lo, s48
	s_waitcnt vmcnt(2) lgkmcnt(0)
	v_mul_f64 v[102:103], v[96:97], v[98:99]
	v_mul_f64 v[98:99], v[94:95], v[98:99]
	s_waitcnt vmcnt(0)
	v_fma_f64 v[94:95], v[94:95], v[100:101], -v[102:103]
	v_fma_f64 v[96:97], v[96:97], v[100:101], v[98:99]
	v_add_f64 v[1:2], v[1:2], v[94:95]
	v_add_f64 v[3:4], v[3:4], v[96:97]
	s_andn2_b32 exec_lo, exec_lo, s48
	s_cbranch_execnz .LBB104_540
; %bb.541:
	s_or_b32 exec_lo, exec_lo, s48
.LBB104_542:
	s_or_b32 exec_lo, exec_lo, s8
	v_mov_b32_e32 v90, 0
	ds_read_b128 v[94:97], v90 offset:448
	s_waitcnt lgkmcnt(0)
	v_mul_f64 v[90:91], v[3:4], v[96:97]
	v_mul_f64 v[96:97], v[1:2], v[96:97]
	v_fma_f64 v[1:2], v[1:2], v[94:95], -v[90:91]
	v_fma_f64 v[3:4], v[3:4], v[94:95], v[96:97]
	buffer_store_dword v2, off, s[0:3], 0 offset:452
	buffer_store_dword v1, off, s[0:3], 0 offset:448
	;; [unrolled: 1-line block ×4, first 2 shown]
.LBB104_543:
	s_or_b32 exec_lo, exec_lo, s4
	v_mov_b32_e32 v4, s18
	s_mov_b32 s4, exec_lo
	s_clause 0x3
	buffer_load_dword v1, v4, s[0:3], 0 offen
	buffer_load_dword v2, v4, s[0:3], 0 offen offset:4
	buffer_load_dword v3, v4, s[0:3], 0 offen offset:8
	;; [unrolled: 1-line block ×3, first 2 shown]
	s_waitcnt vmcnt(0)
	ds_write_b128 v88, v[1:4]
	s_waitcnt lgkmcnt(0)
	s_waitcnt_vscnt null, 0x0
	s_barrier
	buffer_gl0_inv
	v_cmpx_gt_u32_e32 29, v0
	s_cbranch_execz .LBB104_551
; %bb.544:
	ds_read_b128 v[1:4], v88
	v_cmp_ne_u32_e32 vcc_lo, 1, v89
	s_cbranch_vccnz .LBB104_546
; %bb.545:
	s_clause 0x3
	buffer_load_dword v90, v87, s[0:3], 0 offen offset:8
	buffer_load_dword v91, v87, s[0:3], 0 offen offset:12
	buffer_load_dword v94, v87, s[0:3], 0 offen
	buffer_load_dword v95, v87, s[0:3], 0 offen offset:4
	s_waitcnt vmcnt(2) lgkmcnt(0)
	v_mul_f64 v[96:97], v[3:4], v[90:91]
	v_mul_f64 v[90:91], v[1:2], v[90:91]
	s_waitcnt vmcnt(0)
	v_fma_f64 v[1:2], v[1:2], v[94:95], -v[96:97]
	v_fma_f64 v[3:4], v[3:4], v[94:95], v[90:91]
.LBB104_546:
	s_mov_b32 s8, exec_lo
	v_cmpx_ne_u32_e32 28, v0
	s_cbranch_execz .LBB104_550
; %bb.547:
	v_add_nc_u32_e32 v90, 0x2a0, v93
	v_add3_u32 v91, 0, v93, 16
	v_mov_b32_e32 v92, v0
	s_mov_b32 s48, 0
	.p2align	6
.LBB104_548:                            ; =>This Inner Loop Header: Depth=1
	s_clause 0x3
	buffer_load_dword v98, v91, s[0:3], 0 offen offset:8
	buffer_load_dword v99, v91, s[0:3], 0 offen offset:12
	buffer_load_dword v100, v91, s[0:3], 0 offen
	buffer_load_dword v101, v91, s[0:3], 0 offen offset:4
	ds_read_b128 v[94:97], v90
	v_add_nc_u32_e32 v92, 1, v92
	v_add_nc_u32_e32 v90, 16, v90
	;; [unrolled: 1-line block ×3, first 2 shown]
	v_cmp_lt_u32_e32 vcc_lo, 27, v92
	s_or_b32 s48, vcc_lo, s48
	s_waitcnt vmcnt(2) lgkmcnt(0)
	v_mul_f64 v[102:103], v[96:97], v[98:99]
	v_mul_f64 v[98:99], v[94:95], v[98:99]
	s_waitcnt vmcnt(0)
	v_fma_f64 v[94:95], v[94:95], v[100:101], -v[102:103]
	v_fma_f64 v[96:97], v[96:97], v[100:101], v[98:99]
	v_add_f64 v[1:2], v[1:2], v[94:95]
	v_add_f64 v[3:4], v[3:4], v[96:97]
	s_andn2_b32 exec_lo, exec_lo, s48
	s_cbranch_execnz .LBB104_548
; %bb.549:
	s_or_b32 exec_lo, exec_lo, s48
.LBB104_550:
	s_or_b32 exec_lo, exec_lo, s8
	v_mov_b32_e32 v90, 0
	ds_read_b128 v[94:97], v90 offset:464
	s_waitcnt lgkmcnt(0)
	v_mul_f64 v[90:91], v[3:4], v[96:97]
	v_mul_f64 v[96:97], v[1:2], v[96:97]
	v_fma_f64 v[1:2], v[1:2], v[94:95], -v[90:91]
	v_fma_f64 v[3:4], v[3:4], v[94:95], v[96:97]
	buffer_store_dword v2, off, s[0:3], 0 offset:468
	buffer_store_dword v1, off, s[0:3], 0 offset:464
	;; [unrolled: 1-line block ×4, first 2 shown]
.LBB104_551:
	s_or_b32 exec_lo, exec_lo, s4
	v_mov_b32_e32 v4, s17
	s_mov_b32 s4, exec_lo
	s_clause 0x3
	buffer_load_dword v1, v4, s[0:3], 0 offen
	buffer_load_dword v2, v4, s[0:3], 0 offen offset:4
	buffer_load_dword v3, v4, s[0:3], 0 offen offset:8
	buffer_load_dword v4, v4, s[0:3], 0 offen offset:12
	s_waitcnt vmcnt(0)
	ds_write_b128 v88, v[1:4]
	s_waitcnt lgkmcnt(0)
	s_waitcnt_vscnt null, 0x0
	s_barrier
	buffer_gl0_inv
	v_cmpx_gt_u32_e32 30, v0
	s_cbranch_execz .LBB104_559
; %bb.552:
	ds_read_b128 v[1:4], v88
	v_cmp_ne_u32_e32 vcc_lo, 1, v89
	s_cbranch_vccnz .LBB104_554
; %bb.553:
	s_clause 0x3
	buffer_load_dword v90, v87, s[0:3], 0 offen offset:8
	buffer_load_dword v91, v87, s[0:3], 0 offen offset:12
	buffer_load_dword v94, v87, s[0:3], 0 offen
	buffer_load_dword v95, v87, s[0:3], 0 offen offset:4
	s_waitcnt vmcnt(2) lgkmcnt(0)
	v_mul_f64 v[96:97], v[3:4], v[90:91]
	v_mul_f64 v[90:91], v[1:2], v[90:91]
	s_waitcnt vmcnt(0)
	v_fma_f64 v[1:2], v[1:2], v[94:95], -v[96:97]
	v_fma_f64 v[3:4], v[3:4], v[94:95], v[90:91]
.LBB104_554:
	s_mov_b32 s8, exec_lo
	v_cmpx_ne_u32_e32 29, v0
	s_cbranch_execz .LBB104_558
; %bb.555:
	v_add_nc_u32_e32 v90, 0x2a0, v93
	v_add3_u32 v91, 0, v93, 16
	v_mov_b32_e32 v92, v0
	s_mov_b32 s48, 0
	.p2align	6
.LBB104_556:                            ; =>This Inner Loop Header: Depth=1
	s_clause 0x3
	buffer_load_dword v98, v91, s[0:3], 0 offen offset:8
	buffer_load_dword v99, v91, s[0:3], 0 offen offset:12
	buffer_load_dword v100, v91, s[0:3], 0 offen
	buffer_load_dword v101, v91, s[0:3], 0 offen offset:4
	ds_read_b128 v[94:97], v90
	v_add_nc_u32_e32 v92, 1, v92
	v_add_nc_u32_e32 v90, 16, v90
	v_add_nc_u32_e32 v91, 16, v91
	v_cmp_lt_u32_e32 vcc_lo, 28, v92
	s_or_b32 s48, vcc_lo, s48
	s_waitcnt vmcnt(2) lgkmcnt(0)
	v_mul_f64 v[102:103], v[96:97], v[98:99]
	v_mul_f64 v[98:99], v[94:95], v[98:99]
	s_waitcnt vmcnt(0)
	v_fma_f64 v[94:95], v[94:95], v[100:101], -v[102:103]
	v_fma_f64 v[96:97], v[96:97], v[100:101], v[98:99]
	v_add_f64 v[1:2], v[1:2], v[94:95]
	v_add_f64 v[3:4], v[3:4], v[96:97]
	s_andn2_b32 exec_lo, exec_lo, s48
	s_cbranch_execnz .LBB104_556
; %bb.557:
	s_or_b32 exec_lo, exec_lo, s48
.LBB104_558:
	s_or_b32 exec_lo, exec_lo, s8
	v_mov_b32_e32 v90, 0
	ds_read_b128 v[94:97], v90 offset:480
	s_waitcnt lgkmcnt(0)
	v_mul_f64 v[90:91], v[3:4], v[96:97]
	v_mul_f64 v[96:97], v[1:2], v[96:97]
	v_fma_f64 v[1:2], v[1:2], v[94:95], -v[90:91]
	v_fma_f64 v[3:4], v[3:4], v[94:95], v[96:97]
	buffer_store_dword v2, off, s[0:3], 0 offset:484
	buffer_store_dword v1, off, s[0:3], 0 offset:480
	;; [unrolled: 1-line block ×4, first 2 shown]
.LBB104_559:
	s_or_b32 exec_lo, exec_lo, s4
	v_mov_b32_e32 v4, s16
	s_mov_b32 s4, exec_lo
	s_clause 0x3
	buffer_load_dword v1, v4, s[0:3], 0 offen
	buffer_load_dword v2, v4, s[0:3], 0 offen offset:4
	buffer_load_dword v3, v4, s[0:3], 0 offen offset:8
	;; [unrolled: 1-line block ×3, first 2 shown]
	s_waitcnt vmcnt(0)
	ds_write_b128 v88, v[1:4]
	s_waitcnt lgkmcnt(0)
	s_waitcnt_vscnt null, 0x0
	s_barrier
	buffer_gl0_inv
	v_cmpx_gt_u32_e32 31, v0
	s_cbranch_execz .LBB104_567
; %bb.560:
	ds_read_b128 v[1:4], v88
	v_cmp_ne_u32_e32 vcc_lo, 1, v89
	s_cbranch_vccnz .LBB104_562
; %bb.561:
	s_clause 0x3
	buffer_load_dword v90, v87, s[0:3], 0 offen offset:8
	buffer_load_dword v91, v87, s[0:3], 0 offen offset:12
	buffer_load_dword v94, v87, s[0:3], 0 offen
	buffer_load_dword v95, v87, s[0:3], 0 offen offset:4
	s_waitcnt vmcnt(2) lgkmcnt(0)
	v_mul_f64 v[96:97], v[3:4], v[90:91]
	v_mul_f64 v[90:91], v[1:2], v[90:91]
	s_waitcnt vmcnt(0)
	v_fma_f64 v[1:2], v[1:2], v[94:95], -v[96:97]
	v_fma_f64 v[3:4], v[3:4], v[94:95], v[90:91]
.LBB104_562:
	s_mov_b32 s8, exec_lo
	v_cmpx_ne_u32_e32 30, v0
	s_cbranch_execz .LBB104_566
; %bb.563:
	v_add_nc_u32_e32 v90, 0x2a0, v93
	v_add3_u32 v91, 0, v93, 16
	v_mov_b32_e32 v92, v0
	s_mov_b32 s48, 0
	.p2align	6
.LBB104_564:                            ; =>This Inner Loop Header: Depth=1
	s_clause 0x3
	buffer_load_dword v98, v91, s[0:3], 0 offen offset:8
	buffer_load_dword v99, v91, s[0:3], 0 offen offset:12
	buffer_load_dword v100, v91, s[0:3], 0 offen
	buffer_load_dword v101, v91, s[0:3], 0 offen offset:4
	ds_read_b128 v[94:97], v90
	v_add_nc_u32_e32 v92, 1, v92
	v_add_nc_u32_e32 v90, 16, v90
	;; [unrolled: 1-line block ×3, first 2 shown]
	v_cmp_lt_u32_e32 vcc_lo, 29, v92
	s_or_b32 s48, vcc_lo, s48
	s_waitcnt vmcnt(2) lgkmcnt(0)
	v_mul_f64 v[102:103], v[96:97], v[98:99]
	v_mul_f64 v[98:99], v[94:95], v[98:99]
	s_waitcnt vmcnt(0)
	v_fma_f64 v[94:95], v[94:95], v[100:101], -v[102:103]
	v_fma_f64 v[96:97], v[96:97], v[100:101], v[98:99]
	v_add_f64 v[1:2], v[1:2], v[94:95]
	v_add_f64 v[3:4], v[3:4], v[96:97]
	s_andn2_b32 exec_lo, exec_lo, s48
	s_cbranch_execnz .LBB104_564
; %bb.565:
	s_or_b32 exec_lo, exec_lo, s48
.LBB104_566:
	s_or_b32 exec_lo, exec_lo, s8
	v_mov_b32_e32 v90, 0
	ds_read_b128 v[94:97], v90 offset:496
	s_waitcnt lgkmcnt(0)
	v_mul_f64 v[90:91], v[3:4], v[96:97]
	v_mul_f64 v[96:97], v[1:2], v[96:97]
	v_fma_f64 v[1:2], v[1:2], v[94:95], -v[90:91]
	v_fma_f64 v[3:4], v[3:4], v[94:95], v[96:97]
	buffer_store_dword v2, off, s[0:3], 0 offset:500
	buffer_store_dword v1, off, s[0:3], 0 offset:496
	;; [unrolled: 1-line block ×4, first 2 shown]
.LBB104_567:
	s_or_b32 exec_lo, exec_lo, s4
	v_mov_b32_e32 v4, s15
	s_mov_b32 s4, exec_lo
	s_clause 0x3
	buffer_load_dword v1, v4, s[0:3], 0 offen
	buffer_load_dword v2, v4, s[0:3], 0 offen offset:4
	buffer_load_dword v3, v4, s[0:3], 0 offen offset:8
	;; [unrolled: 1-line block ×3, first 2 shown]
	s_waitcnt vmcnt(0)
	ds_write_b128 v88, v[1:4]
	s_waitcnt lgkmcnt(0)
	s_waitcnt_vscnt null, 0x0
	s_barrier
	buffer_gl0_inv
	v_cmpx_gt_u32_e32 32, v0
	s_cbranch_execz .LBB104_575
; %bb.568:
	ds_read_b128 v[1:4], v88
	v_cmp_ne_u32_e32 vcc_lo, 1, v89
	s_cbranch_vccnz .LBB104_570
; %bb.569:
	s_clause 0x3
	buffer_load_dword v90, v87, s[0:3], 0 offen offset:8
	buffer_load_dword v91, v87, s[0:3], 0 offen offset:12
	buffer_load_dword v94, v87, s[0:3], 0 offen
	buffer_load_dword v95, v87, s[0:3], 0 offen offset:4
	s_waitcnt vmcnt(2) lgkmcnt(0)
	v_mul_f64 v[96:97], v[3:4], v[90:91]
	v_mul_f64 v[90:91], v[1:2], v[90:91]
	s_waitcnt vmcnt(0)
	v_fma_f64 v[1:2], v[1:2], v[94:95], -v[96:97]
	v_fma_f64 v[3:4], v[3:4], v[94:95], v[90:91]
.LBB104_570:
	s_mov_b32 s8, exec_lo
	v_cmpx_ne_u32_e32 31, v0
	s_cbranch_execz .LBB104_574
; %bb.571:
	v_add_nc_u32_e32 v90, 0x2a0, v93
	v_add3_u32 v91, 0, v93, 16
	v_mov_b32_e32 v92, v0
	s_mov_b32 s48, 0
	.p2align	6
.LBB104_572:                            ; =>This Inner Loop Header: Depth=1
	s_clause 0x3
	buffer_load_dword v98, v91, s[0:3], 0 offen offset:8
	buffer_load_dword v99, v91, s[0:3], 0 offen offset:12
	buffer_load_dword v100, v91, s[0:3], 0 offen
	buffer_load_dword v101, v91, s[0:3], 0 offen offset:4
	ds_read_b128 v[94:97], v90
	v_add_nc_u32_e32 v92, 1, v92
	v_add_nc_u32_e32 v90, 16, v90
	;; [unrolled: 1-line block ×3, first 2 shown]
	v_cmp_lt_u32_e32 vcc_lo, 30, v92
	s_or_b32 s48, vcc_lo, s48
	s_waitcnt vmcnt(2) lgkmcnt(0)
	v_mul_f64 v[102:103], v[96:97], v[98:99]
	v_mul_f64 v[98:99], v[94:95], v[98:99]
	s_waitcnt vmcnt(0)
	v_fma_f64 v[94:95], v[94:95], v[100:101], -v[102:103]
	v_fma_f64 v[96:97], v[96:97], v[100:101], v[98:99]
	v_add_f64 v[1:2], v[1:2], v[94:95]
	v_add_f64 v[3:4], v[3:4], v[96:97]
	s_andn2_b32 exec_lo, exec_lo, s48
	s_cbranch_execnz .LBB104_572
; %bb.573:
	s_or_b32 exec_lo, exec_lo, s48
.LBB104_574:
	s_or_b32 exec_lo, exec_lo, s8
	v_mov_b32_e32 v90, 0
	ds_read_b128 v[94:97], v90 offset:512
	s_waitcnt lgkmcnt(0)
	v_mul_f64 v[90:91], v[3:4], v[96:97]
	v_mul_f64 v[96:97], v[1:2], v[96:97]
	v_fma_f64 v[1:2], v[1:2], v[94:95], -v[90:91]
	v_fma_f64 v[3:4], v[3:4], v[94:95], v[96:97]
	buffer_store_dword v2, off, s[0:3], 0 offset:516
	buffer_store_dword v1, off, s[0:3], 0 offset:512
	;; [unrolled: 1-line block ×4, first 2 shown]
.LBB104_575:
	s_or_b32 exec_lo, exec_lo, s4
	v_mov_b32_e32 v4, s14
	s_mov_b32 s4, exec_lo
	s_clause 0x3
	buffer_load_dword v1, v4, s[0:3], 0 offen
	buffer_load_dword v2, v4, s[0:3], 0 offen offset:4
	buffer_load_dword v3, v4, s[0:3], 0 offen offset:8
	;; [unrolled: 1-line block ×3, first 2 shown]
	s_waitcnt vmcnt(0)
	ds_write_b128 v88, v[1:4]
	s_waitcnt lgkmcnt(0)
	s_waitcnt_vscnt null, 0x0
	s_barrier
	buffer_gl0_inv
	v_cmpx_gt_u32_e32 33, v0
	s_cbranch_execz .LBB104_583
; %bb.576:
	ds_read_b128 v[1:4], v88
	v_cmp_ne_u32_e32 vcc_lo, 1, v89
	s_cbranch_vccnz .LBB104_578
; %bb.577:
	s_clause 0x3
	buffer_load_dword v90, v87, s[0:3], 0 offen offset:8
	buffer_load_dword v91, v87, s[0:3], 0 offen offset:12
	buffer_load_dword v94, v87, s[0:3], 0 offen
	buffer_load_dword v95, v87, s[0:3], 0 offen offset:4
	s_waitcnt vmcnt(2) lgkmcnt(0)
	v_mul_f64 v[96:97], v[3:4], v[90:91]
	v_mul_f64 v[90:91], v[1:2], v[90:91]
	s_waitcnt vmcnt(0)
	v_fma_f64 v[1:2], v[1:2], v[94:95], -v[96:97]
	v_fma_f64 v[3:4], v[3:4], v[94:95], v[90:91]
.LBB104_578:
	s_mov_b32 s8, exec_lo
	v_cmpx_ne_u32_e32 32, v0
	s_cbranch_execz .LBB104_582
; %bb.579:
	v_add_nc_u32_e32 v90, 0x2a0, v93
	v_add3_u32 v91, 0, v93, 16
	v_mov_b32_e32 v92, v0
	s_mov_b32 s48, 0
	.p2align	6
.LBB104_580:                            ; =>This Inner Loop Header: Depth=1
	s_clause 0x3
	buffer_load_dword v98, v91, s[0:3], 0 offen offset:8
	buffer_load_dword v99, v91, s[0:3], 0 offen offset:12
	buffer_load_dword v100, v91, s[0:3], 0 offen
	buffer_load_dword v101, v91, s[0:3], 0 offen offset:4
	ds_read_b128 v[94:97], v90
	v_add_nc_u32_e32 v92, 1, v92
	v_add_nc_u32_e32 v90, 16, v90
	;; [unrolled: 1-line block ×3, first 2 shown]
	v_cmp_lt_u32_e32 vcc_lo, 31, v92
	s_or_b32 s48, vcc_lo, s48
	s_waitcnt vmcnt(2) lgkmcnt(0)
	v_mul_f64 v[102:103], v[96:97], v[98:99]
	v_mul_f64 v[98:99], v[94:95], v[98:99]
	s_waitcnt vmcnt(0)
	v_fma_f64 v[94:95], v[94:95], v[100:101], -v[102:103]
	v_fma_f64 v[96:97], v[96:97], v[100:101], v[98:99]
	v_add_f64 v[1:2], v[1:2], v[94:95]
	v_add_f64 v[3:4], v[3:4], v[96:97]
	s_andn2_b32 exec_lo, exec_lo, s48
	s_cbranch_execnz .LBB104_580
; %bb.581:
	s_or_b32 exec_lo, exec_lo, s48
.LBB104_582:
	s_or_b32 exec_lo, exec_lo, s8
	v_mov_b32_e32 v90, 0
	ds_read_b128 v[94:97], v90 offset:528
	s_waitcnt lgkmcnt(0)
	v_mul_f64 v[90:91], v[3:4], v[96:97]
	v_mul_f64 v[96:97], v[1:2], v[96:97]
	v_fma_f64 v[1:2], v[1:2], v[94:95], -v[90:91]
	v_fma_f64 v[3:4], v[3:4], v[94:95], v[96:97]
	buffer_store_dword v2, off, s[0:3], 0 offset:532
	buffer_store_dword v1, off, s[0:3], 0 offset:528
	;; [unrolled: 1-line block ×4, first 2 shown]
.LBB104_583:
	s_or_b32 exec_lo, exec_lo, s4
	v_mov_b32_e32 v4, s13
	s_mov_b32 s4, exec_lo
	s_clause 0x3
	buffer_load_dword v1, v4, s[0:3], 0 offen
	buffer_load_dword v2, v4, s[0:3], 0 offen offset:4
	buffer_load_dword v3, v4, s[0:3], 0 offen offset:8
	;; [unrolled: 1-line block ×3, first 2 shown]
	s_waitcnt vmcnt(0)
	ds_write_b128 v88, v[1:4]
	s_waitcnt lgkmcnt(0)
	s_waitcnt_vscnt null, 0x0
	s_barrier
	buffer_gl0_inv
	v_cmpx_gt_u32_e32 34, v0
	s_cbranch_execz .LBB104_591
; %bb.584:
	ds_read_b128 v[1:4], v88
	v_cmp_ne_u32_e32 vcc_lo, 1, v89
	s_cbranch_vccnz .LBB104_586
; %bb.585:
	s_clause 0x3
	buffer_load_dword v90, v87, s[0:3], 0 offen offset:8
	buffer_load_dword v91, v87, s[0:3], 0 offen offset:12
	buffer_load_dword v94, v87, s[0:3], 0 offen
	buffer_load_dword v95, v87, s[0:3], 0 offen offset:4
	s_waitcnt vmcnt(2) lgkmcnt(0)
	v_mul_f64 v[96:97], v[3:4], v[90:91]
	v_mul_f64 v[90:91], v[1:2], v[90:91]
	s_waitcnt vmcnt(0)
	v_fma_f64 v[1:2], v[1:2], v[94:95], -v[96:97]
	v_fma_f64 v[3:4], v[3:4], v[94:95], v[90:91]
.LBB104_586:
	s_mov_b32 s8, exec_lo
	v_cmpx_ne_u32_e32 33, v0
	s_cbranch_execz .LBB104_590
; %bb.587:
	v_add_nc_u32_e32 v90, 0x2a0, v93
	v_add3_u32 v91, 0, v93, 16
	v_mov_b32_e32 v92, v0
	s_mov_b32 s48, 0
	.p2align	6
.LBB104_588:                            ; =>This Inner Loop Header: Depth=1
	s_clause 0x3
	buffer_load_dword v98, v91, s[0:3], 0 offen offset:8
	buffer_load_dword v99, v91, s[0:3], 0 offen offset:12
	buffer_load_dword v100, v91, s[0:3], 0 offen
	buffer_load_dword v101, v91, s[0:3], 0 offen offset:4
	ds_read_b128 v[94:97], v90
	v_add_nc_u32_e32 v92, 1, v92
	v_add_nc_u32_e32 v90, 16, v90
	;; [unrolled: 1-line block ×3, first 2 shown]
	v_cmp_lt_u32_e32 vcc_lo, 32, v92
	s_or_b32 s48, vcc_lo, s48
	s_waitcnt vmcnt(2) lgkmcnt(0)
	v_mul_f64 v[102:103], v[96:97], v[98:99]
	v_mul_f64 v[98:99], v[94:95], v[98:99]
	s_waitcnt vmcnt(0)
	v_fma_f64 v[94:95], v[94:95], v[100:101], -v[102:103]
	v_fma_f64 v[96:97], v[96:97], v[100:101], v[98:99]
	v_add_f64 v[1:2], v[1:2], v[94:95]
	v_add_f64 v[3:4], v[3:4], v[96:97]
	s_andn2_b32 exec_lo, exec_lo, s48
	s_cbranch_execnz .LBB104_588
; %bb.589:
	s_or_b32 exec_lo, exec_lo, s48
.LBB104_590:
	s_or_b32 exec_lo, exec_lo, s8
	v_mov_b32_e32 v90, 0
	ds_read_b128 v[94:97], v90 offset:544
	s_waitcnt lgkmcnt(0)
	v_mul_f64 v[90:91], v[3:4], v[96:97]
	v_mul_f64 v[96:97], v[1:2], v[96:97]
	v_fma_f64 v[1:2], v[1:2], v[94:95], -v[90:91]
	v_fma_f64 v[3:4], v[3:4], v[94:95], v[96:97]
	buffer_store_dword v2, off, s[0:3], 0 offset:548
	buffer_store_dword v1, off, s[0:3], 0 offset:544
	;; [unrolled: 1-line block ×4, first 2 shown]
.LBB104_591:
	s_or_b32 exec_lo, exec_lo, s4
	v_mov_b32_e32 v4, s12
	s_mov_b32 s4, exec_lo
	s_clause 0x3
	buffer_load_dword v1, v4, s[0:3], 0 offen
	buffer_load_dword v2, v4, s[0:3], 0 offen offset:4
	buffer_load_dword v3, v4, s[0:3], 0 offen offset:8
	;; [unrolled: 1-line block ×3, first 2 shown]
	s_waitcnt vmcnt(0)
	ds_write_b128 v88, v[1:4]
	s_waitcnt lgkmcnt(0)
	s_waitcnt_vscnt null, 0x0
	s_barrier
	buffer_gl0_inv
	v_cmpx_gt_u32_e32 35, v0
	s_cbranch_execz .LBB104_599
; %bb.592:
	ds_read_b128 v[1:4], v88
	v_cmp_ne_u32_e32 vcc_lo, 1, v89
	s_cbranch_vccnz .LBB104_594
; %bb.593:
	s_clause 0x3
	buffer_load_dword v90, v87, s[0:3], 0 offen offset:8
	buffer_load_dword v91, v87, s[0:3], 0 offen offset:12
	buffer_load_dword v94, v87, s[0:3], 0 offen
	buffer_load_dword v95, v87, s[0:3], 0 offen offset:4
	s_waitcnt vmcnt(2) lgkmcnt(0)
	v_mul_f64 v[96:97], v[3:4], v[90:91]
	v_mul_f64 v[90:91], v[1:2], v[90:91]
	s_waitcnt vmcnt(0)
	v_fma_f64 v[1:2], v[1:2], v[94:95], -v[96:97]
	v_fma_f64 v[3:4], v[3:4], v[94:95], v[90:91]
.LBB104_594:
	s_mov_b32 s8, exec_lo
	v_cmpx_ne_u32_e32 34, v0
	s_cbranch_execz .LBB104_598
; %bb.595:
	v_add_nc_u32_e32 v90, 0x2a0, v93
	v_add3_u32 v91, 0, v93, 16
	v_mov_b32_e32 v92, v0
	s_mov_b32 s48, 0
	.p2align	6
.LBB104_596:                            ; =>This Inner Loop Header: Depth=1
	s_clause 0x3
	buffer_load_dword v98, v91, s[0:3], 0 offen offset:8
	buffer_load_dword v99, v91, s[0:3], 0 offen offset:12
	buffer_load_dword v100, v91, s[0:3], 0 offen
	buffer_load_dword v101, v91, s[0:3], 0 offen offset:4
	ds_read_b128 v[94:97], v90
	v_add_nc_u32_e32 v92, 1, v92
	v_add_nc_u32_e32 v90, 16, v90
	;; [unrolled: 1-line block ×3, first 2 shown]
	v_cmp_lt_u32_e32 vcc_lo, 33, v92
	s_or_b32 s48, vcc_lo, s48
	s_waitcnt vmcnt(2) lgkmcnt(0)
	v_mul_f64 v[102:103], v[96:97], v[98:99]
	v_mul_f64 v[98:99], v[94:95], v[98:99]
	s_waitcnt vmcnt(0)
	v_fma_f64 v[94:95], v[94:95], v[100:101], -v[102:103]
	v_fma_f64 v[96:97], v[96:97], v[100:101], v[98:99]
	v_add_f64 v[1:2], v[1:2], v[94:95]
	v_add_f64 v[3:4], v[3:4], v[96:97]
	s_andn2_b32 exec_lo, exec_lo, s48
	s_cbranch_execnz .LBB104_596
; %bb.597:
	s_or_b32 exec_lo, exec_lo, s48
.LBB104_598:
	s_or_b32 exec_lo, exec_lo, s8
	v_mov_b32_e32 v90, 0
	ds_read_b128 v[94:97], v90 offset:560
	s_waitcnt lgkmcnt(0)
	v_mul_f64 v[90:91], v[3:4], v[96:97]
	v_mul_f64 v[96:97], v[1:2], v[96:97]
	v_fma_f64 v[1:2], v[1:2], v[94:95], -v[90:91]
	v_fma_f64 v[3:4], v[3:4], v[94:95], v[96:97]
	buffer_store_dword v2, off, s[0:3], 0 offset:564
	buffer_store_dword v1, off, s[0:3], 0 offset:560
	;; [unrolled: 1-line block ×4, first 2 shown]
.LBB104_599:
	s_or_b32 exec_lo, exec_lo, s4
	v_mov_b32_e32 v4, s11
	s_mov_b32 s4, exec_lo
	s_clause 0x3
	buffer_load_dword v1, v4, s[0:3], 0 offen
	buffer_load_dword v2, v4, s[0:3], 0 offen offset:4
	buffer_load_dword v3, v4, s[0:3], 0 offen offset:8
	;; [unrolled: 1-line block ×3, first 2 shown]
	s_waitcnt vmcnt(0)
	ds_write_b128 v88, v[1:4]
	s_waitcnt lgkmcnt(0)
	s_waitcnt_vscnt null, 0x0
	s_barrier
	buffer_gl0_inv
	v_cmpx_gt_u32_e32 36, v0
	s_cbranch_execz .LBB104_607
; %bb.600:
	ds_read_b128 v[1:4], v88
	v_cmp_ne_u32_e32 vcc_lo, 1, v89
	s_cbranch_vccnz .LBB104_602
; %bb.601:
	s_clause 0x3
	buffer_load_dword v90, v87, s[0:3], 0 offen offset:8
	buffer_load_dword v91, v87, s[0:3], 0 offen offset:12
	buffer_load_dword v94, v87, s[0:3], 0 offen
	buffer_load_dword v95, v87, s[0:3], 0 offen offset:4
	s_waitcnt vmcnt(2) lgkmcnt(0)
	v_mul_f64 v[96:97], v[3:4], v[90:91]
	v_mul_f64 v[90:91], v[1:2], v[90:91]
	s_waitcnt vmcnt(0)
	v_fma_f64 v[1:2], v[1:2], v[94:95], -v[96:97]
	v_fma_f64 v[3:4], v[3:4], v[94:95], v[90:91]
.LBB104_602:
	s_mov_b32 s8, exec_lo
	v_cmpx_ne_u32_e32 35, v0
	s_cbranch_execz .LBB104_606
; %bb.603:
	v_add_nc_u32_e32 v90, 0x2a0, v93
	v_add3_u32 v91, 0, v93, 16
	v_mov_b32_e32 v92, v0
	s_mov_b32 s48, 0
	.p2align	6
.LBB104_604:                            ; =>This Inner Loop Header: Depth=1
	s_clause 0x3
	buffer_load_dword v98, v91, s[0:3], 0 offen offset:8
	buffer_load_dword v99, v91, s[0:3], 0 offen offset:12
	buffer_load_dword v100, v91, s[0:3], 0 offen
	buffer_load_dword v101, v91, s[0:3], 0 offen offset:4
	ds_read_b128 v[94:97], v90
	v_add_nc_u32_e32 v92, 1, v92
	v_add_nc_u32_e32 v90, 16, v90
	;; [unrolled: 1-line block ×3, first 2 shown]
	v_cmp_lt_u32_e32 vcc_lo, 34, v92
	s_or_b32 s48, vcc_lo, s48
	s_waitcnt vmcnt(2) lgkmcnt(0)
	v_mul_f64 v[102:103], v[96:97], v[98:99]
	v_mul_f64 v[98:99], v[94:95], v[98:99]
	s_waitcnt vmcnt(0)
	v_fma_f64 v[94:95], v[94:95], v[100:101], -v[102:103]
	v_fma_f64 v[96:97], v[96:97], v[100:101], v[98:99]
	v_add_f64 v[1:2], v[1:2], v[94:95]
	v_add_f64 v[3:4], v[3:4], v[96:97]
	s_andn2_b32 exec_lo, exec_lo, s48
	s_cbranch_execnz .LBB104_604
; %bb.605:
	s_or_b32 exec_lo, exec_lo, s48
.LBB104_606:
	s_or_b32 exec_lo, exec_lo, s8
	v_mov_b32_e32 v90, 0
	ds_read_b128 v[94:97], v90 offset:576
	s_waitcnt lgkmcnt(0)
	v_mul_f64 v[90:91], v[3:4], v[96:97]
	v_mul_f64 v[96:97], v[1:2], v[96:97]
	v_fma_f64 v[1:2], v[1:2], v[94:95], -v[90:91]
	v_fma_f64 v[3:4], v[3:4], v[94:95], v[96:97]
	buffer_store_dword v2, off, s[0:3], 0 offset:580
	buffer_store_dword v1, off, s[0:3], 0 offset:576
	;; [unrolled: 1-line block ×4, first 2 shown]
.LBB104_607:
	s_or_b32 exec_lo, exec_lo, s4
	v_mov_b32_e32 v4, s10
	s_mov_b32 s4, exec_lo
	s_clause 0x3
	buffer_load_dword v1, v4, s[0:3], 0 offen
	buffer_load_dword v2, v4, s[0:3], 0 offen offset:4
	buffer_load_dword v3, v4, s[0:3], 0 offen offset:8
	;; [unrolled: 1-line block ×3, first 2 shown]
	s_waitcnt vmcnt(0)
	ds_write_b128 v88, v[1:4]
	s_waitcnt lgkmcnt(0)
	s_waitcnt_vscnt null, 0x0
	s_barrier
	buffer_gl0_inv
	v_cmpx_gt_u32_e32 37, v0
	s_cbranch_execz .LBB104_615
; %bb.608:
	ds_read_b128 v[1:4], v88
	v_cmp_ne_u32_e32 vcc_lo, 1, v89
	s_cbranch_vccnz .LBB104_610
; %bb.609:
	s_clause 0x3
	buffer_load_dword v90, v87, s[0:3], 0 offen offset:8
	buffer_load_dword v91, v87, s[0:3], 0 offen offset:12
	buffer_load_dword v94, v87, s[0:3], 0 offen
	buffer_load_dword v95, v87, s[0:3], 0 offen offset:4
	s_waitcnt vmcnt(2) lgkmcnt(0)
	v_mul_f64 v[96:97], v[3:4], v[90:91]
	v_mul_f64 v[90:91], v[1:2], v[90:91]
	s_waitcnt vmcnt(0)
	v_fma_f64 v[1:2], v[1:2], v[94:95], -v[96:97]
	v_fma_f64 v[3:4], v[3:4], v[94:95], v[90:91]
.LBB104_610:
	s_mov_b32 s8, exec_lo
	v_cmpx_ne_u32_e32 36, v0
	s_cbranch_execz .LBB104_614
; %bb.611:
	v_add_nc_u32_e32 v90, 0x2a0, v93
	v_add3_u32 v91, 0, v93, 16
	v_mov_b32_e32 v92, v0
	s_mov_b32 s48, 0
	.p2align	6
.LBB104_612:                            ; =>This Inner Loop Header: Depth=1
	s_clause 0x3
	buffer_load_dword v98, v91, s[0:3], 0 offen offset:8
	buffer_load_dword v99, v91, s[0:3], 0 offen offset:12
	buffer_load_dword v100, v91, s[0:3], 0 offen
	buffer_load_dword v101, v91, s[0:3], 0 offen offset:4
	ds_read_b128 v[94:97], v90
	v_add_nc_u32_e32 v92, 1, v92
	v_add_nc_u32_e32 v90, 16, v90
	;; [unrolled: 1-line block ×3, first 2 shown]
	v_cmp_lt_u32_e32 vcc_lo, 35, v92
	s_or_b32 s48, vcc_lo, s48
	s_waitcnt vmcnt(2) lgkmcnt(0)
	v_mul_f64 v[102:103], v[96:97], v[98:99]
	v_mul_f64 v[98:99], v[94:95], v[98:99]
	s_waitcnt vmcnt(0)
	v_fma_f64 v[94:95], v[94:95], v[100:101], -v[102:103]
	v_fma_f64 v[96:97], v[96:97], v[100:101], v[98:99]
	v_add_f64 v[1:2], v[1:2], v[94:95]
	v_add_f64 v[3:4], v[3:4], v[96:97]
	s_andn2_b32 exec_lo, exec_lo, s48
	s_cbranch_execnz .LBB104_612
; %bb.613:
	s_or_b32 exec_lo, exec_lo, s48
.LBB104_614:
	s_or_b32 exec_lo, exec_lo, s8
	v_mov_b32_e32 v90, 0
	ds_read_b128 v[94:97], v90 offset:592
	s_waitcnt lgkmcnt(0)
	v_mul_f64 v[90:91], v[3:4], v[96:97]
	v_mul_f64 v[96:97], v[1:2], v[96:97]
	v_fma_f64 v[1:2], v[1:2], v[94:95], -v[90:91]
	v_fma_f64 v[3:4], v[3:4], v[94:95], v[96:97]
	buffer_store_dword v2, off, s[0:3], 0 offset:596
	buffer_store_dword v1, off, s[0:3], 0 offset:592
	;; [unrolled: 1-line block ×4, first 2 shown]
.LBB104_615:
	s_or_b32 exec_lo, exec_lo, s4
	v_mov_b32_e32 v4, s9
	s_mov_b32 s4, exec_lo
	s_clause 0x3
	buffer_load_dword v1, v4, s[0:3], 0 offen
	buffer_load_dword v2, v4, s[0:3], 0 offen offset:4
	buffer_load_dword v3, v4, s[0:3], 0 offen offset:8
	;; [unrolled: 1-line block ×3, first 2 shown]
	s_waitcnt vmcnt(0)
	ds_write_b128 v88, v[1:4]
	s_waitcnt lgkmcnt(0)
	s_waitcnt_vscnt null, 0x0
	s_barrier
	buffer_gl0_inv
	v_cmpx_gt_u32_e32 38, v0
	s_cbranch_execz .LBB104_623
; %bb.616:
	ds_read_b128 v[1:4], v88
	v_cmp_ne_u32_e32 vcc_lo, 1, v89
	s_cbranch_vccnz .LBB104_618
; %bb.617:
	s_clause 0x3
	buffer_load_dword v90, v87, s[0:3], 0 offen offset:8
	buffer_load_dword v91, v87, s[0:3], 0 offen offset:12
	buffer_load_dword v94, v87, s[0:3], 0 offen
	buffer_load_dword v95, v87, s[0:3], 0 offen offset:4
	s_waitcnt vmcnt(2) lgkmcnt(0)
	v_mul_f64 v[96:97], v[3:4], v[90:91]
	v_mul_f64 v[90:91], v[1:2], v[90:91]
	s_waitcnt vmcnt(0)
	v_fma_f64 v[1:2], v[1:2], v[94:95], -v[96:97]
	v_fma_f64 v[3:4], v[3:4], v[94:95], v[90:91]
.LBB104_618:
	s_mov_b32 s8, exec_lo
	v_cmpx_ne_u32_e32 37, v0
	s_cbranch_execz .LBB104_622
; %bb.619:
	v_add_nc_u32_e32 v90, 0x2a0, v93
	v_add3_u32 v91, 0, v93, 16
	v_mov_b32_e32 v92, v0
	s_mov_b32 s48, 0
	.p2align	6
.LBB104_620:                            ; =>This Inner Loop Header: Depth=1
	s_clause 0x3
	buffer_load_dword v98, v91, s[0:3], 0 offen offset:8
	buffer_load_dword v99, v91, s[0:3], 0 offen offset:12
	buffer_load_dword v100, v91, s[0:3], 0 offen
	buffer_load_dword v101, v91, s[0:3], 0 offen offset:4
	ds_read_b128 v[94:97], v90
	v_add_nc_u32_e32 v92, 1, v92
	v_add_nc_u32_e32 v90, 16, v90
	;; [unrolled: 1-line block ×3, first 2 shown]
	v_cmp_lt_u32_e32 vcc_lo, 36, v92
	s_or_b32 s48, vcc_lo, s48
	s_waitcnt vmcnt(2) lgkmcnt(0)
	v_mul_f64 v[102:103], v[96:97], v[98:99]
	v_mul_f64 v[98:99], v[94:95], v[98:99]
	s_waitcnt vmcnt(0)
	v_fma_f64 v[94:95], v[94:95], v[100:101], -v[102:103]
	v_fma_f64 v[96:97], v[96:97], v[100:101], v[98:99]
	v_add_f64 v[1:2], v[1:2], v[94:95]
	v_add_f64 v[3:4], v[3:4], v[96:97]
	s_andn2_b32 exec_lo, exec_lo, s48
	s_cbranch_execnz .LBB104_620
; %bb.621:
	s_or_b32 exec_lo, exec_lo, s48
.LBB104_622:
	s_or_b32 exec_lo, exec_lo, s8
	v_mov_b32_e32 v90, 0
	ds_read_b128 v[94:97], v90 offset:608
	s_waitcnt lgkmcnt(0)
	v_mul_f64 v[90:91], v[3:4], v[96:97]
	v_mul_f64 v[96:97], v[1:2], v[96:97]
	v_fma_f64 v[1:2], v[1:2], v[94:95], -v[90:91]
	v_fma_f64 v[3:4], v[3:4], v[94:95], v[96:97]
	buffer_store_dword v2, off, s[0:3], 0 offset:612
	buffer_store_dword v1, off, s[0:3], 0 offset:608
	;; [unrolled: 1-line block ×4, first 2 shown]
.LBB104_623:
	s_or_b32 exec_lo, exec_lo, s4
	v_mov_b32_e32 v4, s7
	v_cmp_gt_u32_e64 s4, 39, v0
	s_clause 0x3
	buffer_load_dword v1, v4, s[0:3], 0 offen
	buffer_load_dword v2, v4, s[0:3], 0 offen offset:4
	buffer_load_dword v3, v4, s[0:3], 0 offen offset:8
	;; [unrolled: 1-line block ×3, first 2 shown]
	s_waitcnt vmcnt(0)
	ds_write_b128 v88, v[1:4]
	s_waitcnt lgkmcnt(0)
	s_waitcnt_vscnt null, 0x0
	s_barrier
	buffer_gl0_inv
	s_and_saveexec_b32 s8, s4
	s_cbranch_execz .LBB104_631
; %bb.624:
	ds_read_b128 v[1:4], v88
	v_cmp_ne_u32_e32 vcc_lo, 1, v89
	s_cbranch_vccnz .LBB104_626
; %bb.625:
	s_clause 0x3
	buffer_load_dword v90, v87, s[0:3], 0 offen offset:8
	buffer_load_dword v91, v87, s[0:3], 0 offen offset:12
	buffer_load_dword v94, v87, s[0:3], 0 offen
	buffer_load_dword v95, v87, s[0:3], 0 offen offset:4
	s_waitcnt vmcnt(2) lgkmcnt(0)
	v_mul_f64 v[96:97], v[3:4], v[90:91]
	v_mul_f64 v[90:91], v[1:2], v[90:91]
	s_waitcnt vmcnt(0)
	v_fma_f64 v[1:2], v[1:2], v[94:95], -v[96:97]
	v_fma_f64 v[3:4], v[3:4], v[94:95], v[90:91]
.LBB104_626:
	s_mov_b32 s48, exec_lo
	v_cmpx_ne_u32_e32 38, v0
	s_cbranch_execz .LBB104_630
; %bb.627:
	v_add_nc_u32_e32 v90, 0x2a0, v93
	v_add3_u32 v91, 0, v93, 16
	v_mov_b32_e32 v92, v0
	s_mov_b32 s49, 0
	.p2align	6
.LBB104_628:                            ; =>This Inner Loop Header: Depth=1
	s_clause 0x3
	buffer_load_dword v98, v91, s[0:3], 0 offen offset:8
	buffer_load_dword v99, v91, s[0:3], 0 offen offset:12
	buffer_load_dword v100, v91, s[0:3], 0 offen
	buffer_load_dword v101, v91, s[0:3], 0 offen offset:4
	ds_read_b128 v[94:97], v90
	v_add_nc_u32_e32 v92, 1, v92
	v_add_nc_u32_e32 v90, 16, v90
	;; [unrolled: 1-line block ×3, first 2 shown]
	v_cmp_lt_u32_e32 vcc_lo, 37, v92
	s_or_b32 s49, vcc_lo, s49
	s_waitcnt vmcnt(2) lgkmcnt(0)
	v_mul_f64 v[102:103], v[96:97], v[98:99]
	v_mul_f64 v[98:99], v[94:95], v[98:99]
	s_waitcnt vmcnt(0)
	v_fma_f64 v[94:95], v[94:95], v[100:101], -v[102:103]
	v_fma_f64 v[96:97], v[96:97], v[100:101], v[98:99]
	v_add_f64 v[1:2], v[1:2], v[94:95]
	v_add_f64 v[3:4], v[3:4], v[96:97]
	s_andn2_b32 exec_lo, exec_lo, s49
	s_cbranch_execnz .LBB104_628
; %bb.629:
	s_or_b32 exec_lo, exec_lo, s49
.LBB104_630:
	s_or_b32 exec_lo, exec_lo, s48
	v_mov_b32_e32 v90, 0
	ds_read_b128 v[94:97], v90 offset:624
	s_waitcnt lgkmcnt(0)
	v_mul_f64 v[90:91], v[3:4], v[96:97]
	v_mul_f64 v[96:97], v[1:2], v[96:97]
	v_fma_f64 v[1:2], v[1:2], v[94:95], -v[90:91]
	v_fma_f64 v[3:4], v[3:4], v[94:95], v[96:97]
	buffer_store_dword v2, off, s[0:3], 0 offset:628
	buffer_store_dword v1, off, s[0:3], 0 offset:624
	;; [unrolled: 1-line block ×4, first 2 shown]
.LBB104_631:
	s_or_b32 exec_lo, exec_lo, s8
	v_mov_b32_e32 v4, s6
	s_mov_b32 s8, exec_lo
                                        ; implicit-def: $sgpr50
	s_clause 0x3
	buffer_load_dword v1, v4, s[0:3], 0 offen
	buffer_load_dword v2, v4, s[0:3], 0 offen offset:4
	buffer_load_dword v3, v4, s[0:3], 0 offen offset:8
	;; [unrolled: 1-line block ×3, first 2 shown]
	s_waitcnt vmcnt(0)
	ds_write_b128 v88, v[1:4]
	s_waitcnt lgkmcnt(0)
	s_waitcnt_vscnt null, 0x0
	s_barrier
	buffer_gl0_inv
                                        ; implicit-def: $vgpr1_vgpr2
	v_cmpx_ne_u32_e32 40, v0
	s_cbranch_execz .LBB104_639
; %bb.632:
	ds_read_b128 v[1:4], v88
	v_cmp_ne_u32_e32 vcc_lo, 1, v89
	s_cbranch_vccnz .LBB104_634
; %bb.633:
	s_clause 0x3
	buffer_load_dword v88, v87, s[0:3], 0 offen offset:8
	buffer_load_dword v89, v87, s[0:3], 0 offen offset:12
	buffer_load_dword v90, v87, s[0:3], 0 offen
	buffer_load_dword v91, v87, s[0:3], 0 offen offset:4
	s_waitcnt vmcnt(2) lgkmcnt(0)
	v_mul_f64 v[94:95], v[3:4], v[88:89]
	v_mul_f64 v[87:88], v[1:2], v[88:89]
	s_waitcnt vmcnt(0)
	v_fma_f64 v[1:2], v[1:2], v[90:91], -v[94:95]
	v_fma_f64 v[3:4], v[3:4], v[90:91], v[87:88]
.LBB104_634:
	s_and_saveexec_b32 s48, s4
	s_cbranch_execz .LBB104_638
; %bb.635:
	v_add_nc_u32_e32 v87, 0x2a0, v93
	v_add3_u32 v88, 0, v93, 16
	s_mov_b32 s4, 0
	.p2align	6
.LBB104_636:                            ; =>This Inner Loop Header: Depth=1
	s_clause 0x3
	buffer_load_dword v93, v88, s[0:3], 0 offen offset:8
	buffer_load_dword v94, v88, s[0:3], 0 offen offset:12
	buffer_load_dword v95, v88, s[0:3], 0 offen
	buffer_load_dword v96, v88, s[0:3], 0 offen offset:4
	ds_read_b128 v[89:92], v87
	v_add_nc_u32_e32 v0, 1, v0
	v_add_nc_u32_e32 v87, 16, v87
	;; [unrolled: 1-line block ×3, first 2 shown]
	v_cmp_lt_u32_e32 vcc_lo, 38, v0
	s_or_b32 s4, vcc_lo, s4
	s_waitcnt vmcnt(2) lgkmcnt(0)
	v_mul_f64 v[97:98], v[91:92], v[93:94]
	v_mul_f64 v[93:94], v[89:90], v[93:94]
	s_waitcnt vmcnt(0)
	v_fma_f64 v[89:90], v[89:90], v[95:96], -v[97:98]
	v_fma_f64 v[91:92], v[91:92], v[95:96], v[93:94]
	v_add_f64 v[1:2], v[1:2], v[89:90]
	v_add_f64 v[3:4], v[3:4], v[91:92]
	s_andn2_b32 exec_lo, exec_lo, s4
	s_cbranch_execnz .LBB104_636
; %bb.637:
	s_or_b32 exec_lo, exec_lo, s4
.LBB104_638:
	s_or_b32 exec_lo, exec_lo, s48
	v_mov_b32_e32 v0, 0
	s_movk_i32 s50, 0x288
	s_or_b32 s5, s5, exec_lo
	ds_read_b128 v[87:90], v0 offset:640
	s_waitcnt lgkmcnt(0)
	v_mul_f64 v[91:92], v[3:4], v[89:90]
	v_mul_f64 v[89:90], v[1:2], v[89:90]
	v_fma_f64 v[91:92], v[1:2], v[87:88], -v[91:92]
	v_fma_f64 v[1:2], v[3:4], v[87:88], v[89:90]
	buffer_store_dword v92, off, s[0:3], 0 offset:644
	buffer_store_dword v91, off, s[0:3], 0 offset:640
.LBB104_639:
	s_or_b32 exec_lo, exec_lo, s8
.LBB104_640:
	s_and_saveexec_b32 s4, s5
	s_cbranch_execz .LBB104_642
; %bb.641:
	v_mov_b32_e32 v0, s50
	buffer_store_dword v2, v0, s[0:3], 0 offen offset:4
	buffer_store_dword v1, v0, s[0:3], 0 offen
.LBB104_642:
	s_or_b32 exec_lo, exec_lo, s4
	s_clause 0x3
	buffer_load_dword v0, off, s[0:3], 0
	buffer_load_dword v1, off, s[0:3], 0 offset:4
	buffer_load_dword v2, off, s[0:3], 0 offset:8
	;; [unrolled: 1-line block ×3, first 2 shown]
	v_mov_b32_e32 v4, s47
	s_waitcnt vmcnt(0)
	flat_store_dwordx4 v[5:6], v[0:3]
	s_clause 0x3
	buffer_load_dword v0, v4, s[0:3], 0 offen
	buffer_load_dword v1, v4, s[0:3], 0 offen offset:4
	buffer_load_dword v2, v4, s[0:3], 0 offen offset:8
	buffer_load_dword v3, v4, s[0:3], 0 offen offset:12
	v_mov_b32_e32 v4, s46
	s_waitcnt vmcnt(0)
	flat_store_dwordx4 v[59:60], v[0:3]
	s_clause 0x3
	buffer_load_dword v0, v4, s[0:3], 0 offen
	buffer_load_dword v1, v4, s[0:3], 0 offen offset:4
	buffer_load_dword v2, v4, s[0:3], 0 offen offset:8
	buffer_load_dword v3, v4, s[0:3], 0 offen offset:12
	;; [unrolled: 8-line block ×40, first 2 shown]
	s_waitcnt vmcnt(0)
	flat_store_dwordx4 v[85:86], v[0:3]
.LBB104_643:
	s_endpgm
	.section	.rodata,"a",@progbits
	.p2align	6, 0x0
	.amdhsa_kernel _ZN9rocsolver6v33100L18trti2_kernel_smallILi41E19rocblas_complex_numIdEPKPS3_EEv13rocblas_fill_17rocblas_diagonal_T1_iil
		.amdhsa_group_segment_fixed_size 1312
		.amdhsa_private_segment_fixed_size 672
		.amdhsa_kernarg_size 32
		.amdhsa_user_sgpr_count 6
		.amdhsa_user_sgpr_private_segment_buffer 1
		.amdhsa_user_sgpr_dispatch_ptr 0
		.amdhsa_user_sgpr_queue_ptr 0
		.amdhsa_user_sgpr_kernarg_segment_ptr 1
		.amdhsa_user_sgpr_dispatch_id 0
		.amdhsa_user_sgpr_flat_scratch_init 0
		.amdhsa_user_sgpr_private_segment_size 0
		.amdhsa_wavefront_size32 1
		.amdhsa_uses_dynamic_stack 0
		.amdhsa_system_sgpr_private_segment_wavefront_offset 1
		.amdhsa_system_sgpr_workgroup_id_x 1
		.amdhsa_system_sgpr_workgroup_id_y 0
		.amdhsa_system_sgpr_workgroup_id_z 0
		.amdhsa_system_sgpr_workgroup_info 0
		.amdhsa_system_vgpr_workitem_id 0
		.amdhsa_next_free_vgpr 104
		.amdhsa_next_free_sgpr 66
		.amdhsa_reserve_vcc 1
		.amdhsa_reserve_flat_scratch 0
		.amdhsa_float_round_mode_32 0
		.amdhsa_float_round_mode_16_64 0
		.amdhsa_float_denorm_mode_32 3
		.amdhsa_float_denorm_mode_16_64 3
		.amdhsa_dx10_clamp 1
		.amdhsa_ieee_mode 1
		.amdhsa_fp16_overflow 0
		.amdhsa_workgroup_processor_mode 1
		.amdhsa_memory_ordered 1
		.amdhsa_forward_progress 1
		.amdhsa_shared_vgpr_count 0
		.amdhsa_exception_fp_ieee_invalid_op 0
		.amdhsa_exception_fp_denorm_src 0
		.amdhsa_exception_fp_ieee_div_zero 0
		.amdhsa_exception_fp_ieee_overflow 0
		.amdhsa_exception_fp_ieee_underflow 0
		.amdhsa_exception_fp_ieee_inexact 0
		.amdhsa_exception_int_div_zero 0
	.end_amdhsa_kernel
	.section	.text._ZN9rocsolver6v33100L18trti2_kernel_smallILi41E19rocblas_complex_numIdEPKPS3_EEv13rocblas_fill_17rocblas_diagonal_T1_iil,"axG",@progbits,_ZN9rocsolver6v33100L18trti2_kernel_smallILi41E19rocblas_complex_numIdEPKPS3_EEv13rocblas_fill_17rocblas_diagonal_T1_iil,comdat
.Lfunc_end104:
	.size	_ZN9rocsolver6v33100L18trti2_kernel_smallILi41E19rocblas_complex_numIdEPKPS3_EEv13rocblas_fill_17rocblas_diagonal_T1_iil, .Lfunc_end104-_ZN9rocsolver6v33100L18trti2_kernel_smallILi41E19rocblas_complex_numIdEPKPS3_EEv13rocblas_fill_17rocblas_diagonal_T1_iil
                                        ; -- End function
	.set _ZN9rocsolver6v33100L18trti2_kernel_smallILi41E19rocblas_complex_numIdEPKPS3_EEv13rocblas_fill_17rocblas_diagonal_T1_iil.num_vgpr, 104
	.set _ZN9rocsolver6v33100L18trti2_kernel_smallILi41E19rocblas_complex_numIdEPKPS3_EEv13rocblas_fill_17rocblas_diagonal_T1_iil.num_agpr, 0
	.set _ZN9rocsolver6v33100L18trti2_kernel_smallILi41E19rocblas_complex_numIdEPKPS3_EEv13rocblas_fill_17rocblas_diagonal_T1_iil.numbered_sgpr, 66
	.set _ZN9rocsolver6v33100L18trti2_kernel_smallILi41E19rocblas_complex_numIdEPKPS3_EEv13rocblas_fill_17rocblas_diagonal_T1_iil.num_named_barrier, 0
	.set _ZN9rocsolver6v33100L18trti2_kernel_smallILi41E19rocblas_complex_numIdEPKPS3_EEv13rocblas_fill_17rocblas_diagonal_T1_iil.private_seg_size, 672
	.set _ZN9rocsolver6v33100L18trti2_kernel_smallILi41E19rocblas_complex_numIdEPKPS3_EEv13rocblas_fill_17rocblas_diagonal_T1_iil.uses_vcc, 1
	.set _ZN9rocsolver6v33100L18trti2_kernel_smallILi41E19rocblas_complex_numIdEPKPS3_EEv13rocblas_fill_17rocblas_diagonal_T1_iil.uses_flat_scratch, 0
	.set _ZN9rocsolver6v33100L18trti2_kernel_smallILi41E19rocblas_complex_numIdEPKPS3_EEv13rocblas_fill_17rocblas_diagonal_T1_iil.has_dyn_sized_stack, 0
	.set _ZN9rocsolver6v33100L18trti2_kernel_smallILi41E19rocblas_complex_numIdEPKPS3_EEv13rocblas_fill_17rocblas_diagonal_T1_iil.has_recursion, 0
	.set _ZN9rocsolver6v33100L18trti2_kernel_smallILi41E19rocblas_complex_numIdEPKPS3_EEv13rocblas_fill_17rocblas_diagonal_T1_iil.has_indirect_call, 0
	.section	.AMDGPU.csdata,"",@progbits
; Kernel info:
; codeLenInByte = 41672
; TotalNumSgprs: 68
; NumVgprs: 104
; ScratchSize: 672
; MemoryBound: 0
; FloatMode: 240
; IeeeMode: 1
; LDSByteSize: 1312 bytes/workgroup (compile time only)
; SGPRBlocks: 0
; VGPRBlocks: 12
; NumSGPRsForWavesPerEU: 68
; NumVGPRsForWavesPerEU: 104
; Occupancy: 9
; WaveLimiterHint : 1
; COMPUTE_PGM_RSRC2:SCRATCH_EN: 1
; COMPUTE_PGM_RSRC2:USER_SGPR: 6
; COMPUTE_PGM_RSRC2:TRAP_HANDLER: 0
; COMPUTE_PGM_RSRC2:TGID_X_EN: 1
; COMPUTE_PGM_RSRC2:TGID_Y_EN: 0
; COMPUTE_PGM_RSRC2:TGID_Z_EN: 0
; COMPUTE_PGM_RSRC2:TIDIG_COMP_CNT: 0
	.section	.text._ZN9rocsolver6v33100L18trti2_kernel_smallILi42E19rocblas_complex_numIdEPKPS3_EEv13rocblas_fill_17rocblas_diagonal_T1_iil,"axG",@progbits,_ZN9rocsolver6v33100L18trti2_kernel_smallILi42E19rocblas_complex_numIdEPKPS3_EEv13rocblas_fill_17rocblas_diagonal_T1_iil,comdat
	.globl	_ZN9rocsolver6v33100L18trti2_kernel_smallILi42E19rocblas_complex_numIdEPKPS3_EEv13rocblas_fill_17rocblas_diagonal_T1_iil ; -- Begin function _ZN9rocsolver6v33100L18trti2_kernel_smallILi42E19rocblas_complex_numIdEPKPS3_EEv13rocblas_fill_17rocblas_diagonal_T1_iil
	.p2align	8
	.type	_ZN9rocsolver6v33100L18trti2_kernel_smallILi42E19rocblas_complex_numIdEPKPS3_EEv13rocblas_fill_17rocblas_diagonal_T1_iil,@function
_ZN9rocsolver6v33100L18trti2_kernel_smallILi42E19rocblas_complex_numIdEPKPS3_EEv13rocblas_fill_17rocblas_diagonal_T1_iil: ; @_ZN9rocsolver6v33100L18trti2_kernel_smallILi42E19rocblas_complex_numIdEPKPS3_EEv13rocblas_fill_17rocblas_diagonal_T1_iil
; %bb.0:
	s_add_u32 s0, s0, s7
	s_addc_u32 s1, s1, 0
	s_mov_b32 s7, exec_lo
	v_cmpx_gt_u32_e32 42, v0
	s_cbranch_execz .LBB105_659
; %bb.1:
	s_clause 0x1
	s_load_dwordx2 s[12:13], s[4:5], 0x10
	s_load_dwordx4 s[8:11], s[4:5], 0x0
	s_ashr_i32 s7, s6, 31
	v_lshlrev_b32_e32 v95, 4, v0
	s_lshl_b64 s[4:5], s[6:7], 3
	s_movk_i32 s14, 0xd0
	s_movk_i32 s15, 0xe0
	;; [unrolled: 1-line block ×15, first 2 shown]
	s_waitcnt lgkmcnt(0)
	s_ashr_i32 s7, s12, 31
	s_add_u32 s4, s10, s4
	s_addc_u32 s5, s11, s5
	s_mov_b32 s6, s12
	s_load_dwordx2 s[4:5], s[4:5], 0x0
	s_lshl_b64 s[6:7], s[6:7], 4
	v_add3_u32 v7, s13, s13, v0
	s_movk_i32 s10, 0x90
	s_movk_i32 s11, 0xa0
	;; [unrolled: 1-line block ×4, first 2 shown]
	v_ashrrev_i32_e32 v8, 31, v7
	s_movk_i32 s55, 0x1d0
	s_movk_i32 s56, 0x1e0
	;; [unrolled: 1-line block ×4, first 2 shown]
	v_lshlrev_b64 v[8:9], 4, v[7:8]
	v_add_nc_u32_e32 v7, s13, v7
	s_movk_i32 s59, 0x210
	s_movk_i32 s60, 0x220
	s_movk_i32 s61, 0x230
	s_movk_i32 s62, 0x240
	s_movk_i32 s63, 0x250
	s_movk_i32 s64, 0x260
	s_waitcnt lgkmcnt(0)
	s_add_u32 s6, s4, s6
	s_addc_u32 s7, s5, s7
	v_add_co_u32 v5, s4, s6, v95
	v_add_co_ci_u32_e64 v6, null, s7, 0, s4
	s_mov_b32 s4, s13
	s_ashr_i32 s5, s13, 31
	s_movk_i32 s65, 0x270
	flat_load_dwordx4 v[1:4], v[5:6]
	s_lshl_b64 s[4:5], s[4:5], 4
	s_cmpk_lg_i32 s9, 0x84
	v_add_co_u32 v59, vcc_lo, v5, s4
	v_add_co_ci_u32_e64 v60, null, s5, v6, vcc_lo
	v_add_co_u32 v57, vcc_lo, s6, v8
	v_add_co_ci_u32_e64 v58, null, s7, v9, vcc_lo
	v_ashrrev_i32_e32 v8, 31, v7
	s_movk_i32 s4, 0x50
	s_movk_i32 s5, 0x60
	;; [unrolled: 1-line block ×4, first 2 shown]
	v_lshlrev_b64 v[8:9], 4, v[7:8]
	v_add_nc_u32_e32 v7, s13, v7
	s_cselect_b32 s50, -1, 0
	s_cmpk_eq_i32 s9, 0x84
	s_waitcnt vmcnt(0) lgkmcnt(0)
	buffer_store_dword v4, off, s[0:3], 0 offset:12
	buffer_store_dword v3, off, s[0:3], 0 offset:8
	;; [unrolled: 1-line block ×3, first 2 shown]
	buffer_store_dword v1, off, s[0:3], 0
	flat_load_dwordx4 v[1:4], v[59:60]
	v_add_co_u32 v55, vcc_lo, s6, v8
	v_add_co_ci_u32_e64 v56, null, s7, v9, vcc_lo
	v_ashrrev_i32_e32 v8, 31, v7
	s_waitcnt vmcnt(0) lgkmcnt(0)
	buffer_store_dword v4, off, s[0:3], 0 offset:28
	buffer_store_dword v3, off, s[0:3], 0 offset:24
	;; [unrolled: 1-line block ×4, first 2 shown]
	flat_load_dwordx4 v[1:4], v[57:58]
	v_lshlrev_b64 v[8:9], 4, v[7:8]
	v_add_nc_u32_e32 v7, s13, v7
	s_waitcnt vmcnt(0) lgkmcnt(0)
	buffer_store_dword v4, off, s[0:3], 0 offset:44
	buffer_store_dword v3, off, s[0:3], 0 offset:40
	;; [unrolled: 1-line block ×4, first 2 shown]
	flat_load_dwordx4 v[1:4], v[55:56]
	v_add_co_u32 v53, vcc_lo, s6, v8
	v_add_co_ci_u32_e64 v54, null, s7, v9, vcc_lo
	v_ashrrev_i32_e32 v8, 31, v7
	s_waitcnt vmcnt(0) lgkmcnt(0)
	buffer_store_dword v4, off, s[0:3], 0 offset:60
	buffer_store_dword v3, off, s[0:3], 0 offset:56
	;; [unrolled: 1-line block ×4, first 2 shown]
	flat_load_dwordx4 v[1:4], v[53:54]
	v_lshlrev_b64 v[8:9], 4, v[7:8]
	v_add_nc_u32_e32 v7, s13, v7
	s_waitcnt vmcnt(0) lgkmcnt(0)
	buffer_store_dword v4, off, s[0:3], 0 offset:76
	buffer_store_dword v3, off, s[0:3], 0 offset:72
	;; [unrolled: 1-line block ×4, first 2 shown]
	v_add_co_u32 v49, vcc_lo, s6, v8
	v_add_co_ci_u32_e64 v50, null, s7, v9, vcc_lo
	v_ashrrev_i32_e32 v8, 31, v7
	flat_load_dwordx4 v[1:4], v[49:50]
	s_waitcnt vmcnt(0) lgkmcnt(0)
	buffer_store_dword v4, off, s[0:3], 0 offset:92
	buffer_store_dword v3, off, s[0:3], 0 offset:88
	buffer_store_dword v2, off, s[0:3], 0 offset:84
	buffer_store_dword v1, off, s[0:3], 0 offset:80
	v_lshlrev_b64 v[8:9], 4, v[7:8]
	v_add_nc_u32_e32 v7, s13, v7
	v_add_co_u32 v47, vcc_lo, s6, v8
	v_add_co_ci_u32_e64 v48, null, s7, v9, vcc_lo
	v_ashrrev_i32_e32 v8, 31, v7
	flat_load_dwordx4 v[1:4], v[47:48]
	s_waitcnt vmcnt(0) lgkmcnt(0)
	buffer_store_dword v4, off, s[0:3], 0 offset:108
	buffer_store_dword v3, off, s[0:3], 0 offset:104
	buffer_store_dword v2, off, s[0:3], 0 offset:100
	buffer_store_dword v1, off, s[0:3], 0 offset:96
	v_lshlrev_b64 v[8:9], 4, v[7:8]
	v_add_nc_u32_e32 v7, s13, v7
	;; [unrolled: 11-line block ×18, first 2 shown]
	v_add_co_u32 v11, vcc_lo, s6, v8
	v_add_co_ci_u32_e64 v12, null, s7, v9, vcc_lo
	v_ashrrev_i32_e32 v8, 31, v7
	v_add_nc_u32_e32 v33, s13, v7
	flat_load_dwordx4 v[1:4], v[11:12]
	s_waitcnt vmcnt(0) lgkmcnt(0)
	buffer_store_dword v4, off, s[0:3], 0 offset:380
	buffer_store_dword v3, off, s[0:3], 0 offset:376
	;; [unrolled: 1-line block ×4, first 2 shown]
	v_lshlrev_b64 v[9:10], 4, v[7:8]
	v_ashrrev_i32_e32 v34, 31, v33
	v_add_nc_u32_e32 v51, s13, v33
	v_add_co_u32 v9, vcc_lo, s6, v9
	v_add_co_ci_u32_e64 v10, null, s7, v10, vcc_lo
	v_lshlrev_b64 v[7:8], 4, v[33:34]
	v_ashrrev_i32_e32 v52, 31, v51
	v_add_nc_u32_e32 v61, s13, v51
	flat_load_dwordx4 v[1:4], v[9:10]
	s_waitcnt vmcnt(0) lgkmcnt(0)
	buffer_store_dword v4, off, s[0:3], 0 offset:396
	buffer_store_dword v3, off, s[0:3], 0 offset:392
	buffer_store_dword v2, off, s[0:3], 0 offset:388
	buffer_store_dword v1, off, s[0:3], 0 offset:384
	v_add_co_u32 v7, vcc_lo, s6, v7
	v_add_co_ci_u32_e64 v8, null, s7, v8, vcc_lo
	v_lshlrev_b64 v[33:34], 4, v[51:52]
	v_ashrrev_i32_e32 v62, 31, v61
	v_add_nc_u32_e32 v63, s13, v61
	flat_load_dwordx4 v[1:4], v[7:8]
	s_waitcnt vmcnt(0) lgkmcnt(0)
	buffer_store_dword v4, off, s[0:3], 0 offset:412
	buffer_store_dword v3, off, s[0:3], 0 offset:408
	buffer_store_dword v2, off, s[0:3], 0 offset:404
	buffer_store_dword v1, off, s[0:3], 0 offset:400
	;; [unrolled: 11-line block ×14, first 2 shown]
	v_add_co_u32 v81, vcc_lo, s6, v81
	v_add_co_ci_u32_e64 v82, null, s7, v82, vcc_lo
	v_lshlrev_b64 v[83:84], 4, v[85:86]
	v_ashrrev_i32_e32 v88, 31, v87
	flat_load_dwordx4 v[1:4], v[81:82]
	s_waitcnt vmcnt(0) lgkmcnt(0)
	buffer_store_dword v4, off, s[0:3], 0 offset:620
	buffer_store_dword v3, off, s[0:3], 0 offset:616
	;; [unrolled: 1-line block ×4, first 2 shown]
	v_add_co_u32 v83, vcc_lo, s6, v83
	v_add_co_ci_u32_e64 v84, null, s7, v84, vcc_lo
	v_lshlrev_b64 v[85:86], 4, v[87:88]
	v_add_nc_u32_e32 v87, s13, v87
	s_movk_i32 s13, 0xc0
	flat_load_dwordx4 v[1:4], v[83:84]
	s_waitcnt vmcnt(0) lgkmcnt(0)
	buffer_store_dword v4, off, s[0:3], 0 offset:636
	buffer_store_dword v3, off, s[0:3], 0 offset:632
	;; [unrolled: 1-line block ×4, first 2 shown]
	v_add_co_u32 v85, vcc_lo, s6, v85
	v_add_co_ci_u32_e64 v86, null, s7, v86, vcc_lo
	v_ashrrev_i32_e32 v88, 31, v87
	flat_load_dwordx4 v[1:4], v[85:86]
	s_waitcnt vmcnt(0) lgkmcnt(0)
	buffer_store_dword v4, off, s[0:3], 0 offset:652
	buffer_store_dword v3, off, s[0:3], 0 offset:648
	;; [unrolled: 1-line block ×4, first 2 shown]
	v_lshlrev_b64 v[87:88], 4, v[87:88]
	v_add_co_u32 v87, vcc_lo, s6, v87
	v_add_co_ci_u32_e64 v88, null, s7, v88, vcc_lo
	s_movk_i32 s6, 0x70
	s_movk_i32 s7, 0x80
	flat_load_dwordx4 v[1:4], v[87:88]
	s_waitcnt vmcnt(0) lgkmcnt(0)
	buffer_store_dword v4, off, s[0:3], 0 offset:668
	buffer_store_dword v3, off, s[0:3], 0 offset:664
	;; [unrolled: 1-line block ×4, first 2 shown]
	s_cbranch_scc1 .LBB105_7
; %bb.2:
	v_lshl_add_u32 v96, v0, 4, 0
                                        ; implicit-def: $vgpr91_vgpr92
                                        ; implicit-def: $vgpr3_vgpr4
	s_clause 0x3
	buffer_load_dword v89, v96, s[0:3], 0 offen
	buffer_load_dword v90, v96, s[0:3], 0 offen offset:4
	buffer_load_dword v93, v96, s[0:3], 0 offen offset:8
	;; [unrolled: 1-line block ×3, first 2 shown]
	s_waitcnt vmcnt(0)
	v_cmp_ngt_f64_e64 s9, |v[89:90]|, |v[93:94]|
	s_and_saveexec_b32 s26, s9
	s_xor_b32 s9, exec_lo, s26
	s_cbranch_execz .LBB105_4
; %bb.3:
	v_div_scale_f64 v[1:2], null, v[93:94], v[93:94], v[89:90]
	v_div_scale_f64 v[97:98], vcc_lo, v[89:90], v[93:94], v[89:90]
	v_rcp_f64_e32 v[3:4], v[1:2]
	v_fma_f64 v[91:92], -v[1:2], v[3:4], 1.0
	v_fma_f64 v[3:4], v[3:4], v[91:92], v[3:4]
	v_fma_f64 v[91:92], -v[1:2], v[3:4], 1.0
	v_fma_f64 v[3:4], v[3:4], v[91:92], v[3:4]
	v_mul_f64 v[91:92], v[97:98], v[3:4]
	v_fma_f64 v[1:2], -v[1:2], v[91:92], v[97:98]
	v_div_fmas_f64 v[1:2], v[1:2], v[3:4], v[91:92]
	v_div_fixup_f64 v[1:2], v[1:2], v[93:94], v[89:90]
	v_fma_f64 v[3:4], v[89:90], v[1:2], v[93:94]
	v_div_scale_f64 v[89:90], null, v[3:4], v[3:4], 1.0
	v_div_scale_f64 v[97:98], vcc_lo, 1.0, v[3:4], 1.0
	v_rcp_f64_e32 v[91:92], v[89:90]
	v_fma_f64 v[93:94], -v[89:90], v[91:92], 1.0
	v_fma_f64 v[91:92], v[91:92], v[93:94], v[91:92]
	v_fma_f64 v[93:94], -v[89:90], v[91:92], 1.0
	v_fma_f64 v[91:92], v[91:92], v[93:94], v[91:92]
	v_mul_f64 v[93:94], v[97:98], v[91:92]
	v_fma_f64 v[89:90], -v[89:90], v[93:94], v[97:98]
	v_div_fmas_f64 v[89:90], v[89:90], v[91:92], v[93:94]
                                        ; implicit-def: $vgpr93_vgpr94
	v_div_fixup_f64 v[3:4], v[89:90], v[3:4], 1.0
                                        ; implicit-def: $vgpr89_vgpr90
	v_mul_f64 v[91:92], v[1:2], v[3:4]
	v_xor_b32_e32 v4, 0x80000000, v4
	v_xor_b32_e32 v2, 0x80000000, v92
	v_mov_b32_e32 v1, v91
.LBB105_4:
	s_andn2_saveexec_b32 s9, s9
	s_cbranch_execz .LBB105_6
; %bb.5:
	v_div_scale_f64 v[1:2], null, v[89:90], v[89:90], v[93:94]
	v_div_scale_f64 v[97:98], vcc_lo, v[93:94], v[89:90], v[93:94]
	v_rcp_f64_e32 v[3:4], v[1:2]
	v_fma_f64 v[91:92], -v[1:2], v[3:4], 1.0
	v_fma_f64 v[3:4], v[3:4], v[91:92], v[3:4]
	v_fma_f64 v[91:92], -v[1:2], v[3:4], 1.0
	v_fma_f64 v[3:4], v[3:4], v[91:92], v[3:4]
	v_mul_f64 v[91:92], v[97:98], v[3:4]
	v_fma_f64 v[1:2], -v[1:2], v[91:92], v[97:98]
	v_div_fmas_f64 v[1:2], v[1:2], v[3:4], v[91:92]
	v_div_fixup_f64 v[1:2], v[1:2], v[89:90], v[93:94]
	v_fma_f64 v[3:4], v[93:94], v[1:2], v[89:90]
	v_div_scale_f64 v[89:90], null, v[3:4], v[3:4], 1.0
	v_rcp_f64_e32 v[91:92], v[89:90]
	v_fma_f64 v[93:94], -v[89:90], v[91:92], 1.0
	v_fma_f64 v[91:92], v[91:92], v[93:94], v[91:92]
	v_fma_f64 v[93:94], -v[89:90], v[91:92], 1.0
	v_fma_f64 v[91:92], v[91:92], v[93:94], v[91:92]
	v_div_scale_f64 v[93:94], vcc_lo, 1.0, v[3:4], 1.0
	v_mul_f64 v[97:98], v[93:94], v[91:92]
	v_fma_f64 v[89:90], -v[89:90], v[97:98], v[93:94]
	v_div_fmas_f64 v[89:90], v[89:90], v[91:92], v[97:98]
	v_div_fixup_f64 v[91:92], v[89:90], v[3:4], 1.0
	v_mul_f64 v[3:4], v[1:2], -v[91:92]
	v_xor_b32_e32 v2, 0x80000000, v92
	v_mov_b32_e32 v1, v91
.LBB105_6:
	s_or_b32 exec_lo, exec_lo, s9
	buffer_store_dword v4, v96, s[0:3], 0 offen offset:12
	v_xor_b32_e32 v4, 0x80000000, v4
	buffer_store_dword v92, v96, s[0:3], 0 offen offset:4
	buffer_store_dword v91, v96, s[0:3], 0 offen
	buffer_store_dword v3, v96, s[0:3], 0 offen offset:8
	s_branch .LBB105_8
.LBB105_7:
	v_mov_b32_e32 v1, 0
	v_mov_b32_e32 v3, 0
	;; [unrolled: 1-line block ×4, first 2 shown]
.LBB105_8:
	v_add_nc_u32_e32 v90, 0x2a0, v95
	v_mov_b32_e32 v89, v95
	s_mov_b32 s49, 16
	s_mov_b32 s48, 32
	s_mov_b32 s47, 48
	s_mov_b32 s46, 64
	s_mov_b32 s45, s4
	s_mov_b32 s44, s5
	s_mov_b32 s43, s6
	s_mov_b32 s42, s7
	s_mov_b32 s41, s10
	s_mov_b32 s40, s11
	s_mov_b32 s39, s12
	s_mov_b32 s38, s13
	s_mov_b32 s37, s14
	s_mov_b32 s36, s15
	s_mov_b32 s35, s16
	s_mov_b32 s34, s17
	s_mov_b32 s33, s18
	s_mov_b32 s31, s19
	s_mov_b32 s30, s20
	s_mov_b32 s29, s21
	s_mov_b32 s28, s22
	s_mov_b32 s27, s23
	s_mov_b32 s26, s24
	s_mov_b32 s24, s51
	s_mov_b32 s23, s52
	s_mov_b32 s22, s53
	s_mov_b32 s21, s54
	s_mov_b32 s20, s55
	s_mov_b32 s19, s56
	s_mov_b32 s18, s57
	s_mov_b32 s17, s58
	s_mov_b32 s16, s59
	s_mov_b32 s15, s60
	s_mov_b32 s14, s61
	s_mov_b32 s13, s62
	s_mov_b32 s12, s63
	s_mov_b32 s11, s64
	s_mov_b32 s10, s65
	s_mov_b32 s9, s66
	s_mov_b32 s7, s67
	s_cmpk_eq_i32 s8, 0x79
	ds_write_b128 v95, v[1:4]
	s_cbranch_scc1 .LBB105_332
; %bb.9:
	v_mov_b32_e32 v4, s9
	v_cmp_eq_u32_e64 s4, 41, v0
	s_clause 0x3
	buffer_load_dword v1, v4, s[0:3], 0 offen
	buffer_load_dword v2, v4, s[0:3], 0 offen offset:4
	buffer_load_dword v3, v4, s[0:3], 0 offen offset:8
	;; [unrolled: 1-line block ×3, first 2 shown]
	s_waitcnt vmcnt(0)
	ds_write_b128 v90, v[1:4]
	s_waitcnt lgkmcnt(0)
	s_waitcnt_vscnt null, 0x0
	s_barrier
	buffer_gl0_inv
	s_and_saveexec_b32 s5, s4
	s_cbranch_execz .LBB105_13
; %bb.10:
	ds_read_b128 v[1:4], v90
	s_andn2_b32 vcc_lo, exec_lo, s50
	s_cbranch_vccnz .LBB105_12
; %bb.11:
	s_clause 0x3
	buffer_load_dword v91, v89, s[0:3], 0 offen offset:8
	buffer_load_dword v92, v89, s[0:3], 0 offen offset:12
	buffer_load_dword v93, v89, s[0:3], 0 offen
	buffer_load_dword v94, v89, s[0:3], 0 offen offset:4
	s_waitcnt vmcnt(2) lgkmcnt(0)
	v_mul_f64 v[96:97], v[3:4], v[91:92]
	v_mul_f64 v[91:92], v[1:2], v[91:92]
	s_waitcnt vmcnt(0)
	v_fma_f64 v[1:2], v[1:2], v[93:94], -v[96:97]
	v_fma_f64 v[3:4], v[3:4], v[93:94], v[91:92]
.LBB105_12:
	v_mov_b32_e32 v91, 0
	ds_read_b128 v[91:94], v91 offset:640
	s_waitcnt lgkmcnt(0)
	v_mul_f64 v[96:97], v[3:4], v[93:94]
	v_mul_f64 v[93:94], v[1:2], v[93:94]
	v_fma_f64 v[1:2], v[1:2], v[91:92], -v[96:97]
	v_fma_f64 v[3:4], v[3:4], v[91:92], v[93:94]
	buffer_store_dword v2, off, s[0:3], 0 offset:644
	buffer_store_dword v1, off, s[0:3], 0 offset:640
	;; [unrolled: 1-line block ×4, first 2 shown]
.LBB105_13:
	s_or_b32 exec_lo, exec_lo, s5
	v_mov_b32_e32 v4, s10
	v_cmp_lt_u32_e64 s5, 39, v0
	s_clause 0x3
	buffer_load_dword v1, v4, s[0:3], 0 offen
	buffer_load_dword v2, v4, s[0:3], 0 offen offset:4
	buffer_load_dword v3, v4, s[0:3], 0 offen offset:8
	;; [unrolled: 1-line block ×3, first 2 shown]
	s_waitcnt vmcnt(0)
	ds_write_b128 v90, v[1:4]
	s_waitcnt lgkmcnt(0)
	s_waitcnt_vscnt null, 0x0
	s_barrier
	buffer_gl0_inv
	s_and_saveexec_b32 s6, s5
	s_cbranch_execz .LBB105_19
; %bb.14:
	ds_read_b128 v[1:4], v90
	s_andn2_b32 vcc_lo, exec_lo, s50
	s_cbranch_vccnz .LBB105_16
; %bb.15:
	s_clause 0x3
	buffer_load_dword v91, v89, s[0:3], 0 offen offset:8
	buffer_load_dword v92, v89, s[0:3], 0 offen offset:12
	buffer_load_dword v93, v89, s[0:3], 0 offen
	buffer_load_dword v94, v89, s[0:3], 0 offen offset:4
	s_waitcnt vmcnt(2) lgkmcnt(0)
	v_mul_f64 v[96:97], v[3:4], v[91:92]
	v_mul_f64 v[91:92], v[1:2], v[91:92]
	s_waitcnt vmcnt(0)
	v_fma_f64 v[1:2], v[1:2], v[93:94], -v[96:97]
	v_fma_f64 v[3:4], v[3:4], v[93:94], v[91:92]
.LBB105_16:
	s_and_saveexec_b32 s8, s4
	s_cbranch_execz .LBB105_18
; %bb.17:
	s_clause 0x3
	buffer_load_dword v96, off, s[0:3], 0 offset:648
	buffer_load_dword v97, off, s[0:3], 0 offset:652
	;; [unrolled: 1-line block ×4, first 2 shown]
	v_mov_b32_e32 v91, 0
	ds_read_b128 v[91:94], v91 offset:1312
	s_waitcnt vmcnt(2) lgkmcnt(0)
	v_mul_f64 v[100:101], v[91:92], v[96:97]
	v_mul_f64 v[96:97], v[93:94], v[96:97]
	s_waitcnt vmcnt(0)
	v_fma_f64 v[93:94], v[93:94], v[98:99], v[100:101]
	v_fma_f64 v[91:92], v[91:92], v[98:99], -v[96:97]
	v_add_f64 v[3:4], v[3:4], v[93:94]
	v_add_f64 v[1:2], v[1:2], v[91:92]
.LBB105_18:
	s_or_b32 exec_lo, exec_lo, s8
	v_mov_b32_e32 v91, 0
	ds_read_b128 v[91:94], v91 offset:624
	s_waitcnt lgkmcnt(0)
	v_mul_f64 v[96:97], v[3:4], v[93:94]
	v_mul_f64 v[93:94], v[1:2], v[93:94]
	v_fma_f64 v[1:2], v[1:2], v[91:92], -v[96:97]
	v_fma_f64 v[3:4], v[3:4], v[91:92], v[93:94]
	buffer_store_dword v2, off, s[0:3], 0 offset:628
	buffer_store_dword v1, off, s[0:3], 0 offset:624
	buffer_store_dword v4, off, s[0:3], 0 offset:636
	buffer_store_dword v3, off, s[0:3], 0 offset:632
.LBB105_19:
	s_or_b32 exec_lo, exec_lo, s6
	v_mov_b32_e32 v4, s11
	v_cmp_lt_u32_e64 s4, 38, v0
	s_clause 0x3
	buffer_load_dword v1, v4, s[0:3], 0 offen
	buffer_load_dword v2, v4, s[0:3], 0 offen offset:4
	buffer_load_dword v3, v4, s[0:3], 0 offen offset:8
	;; [unrolled: 1-line block ×3, first 2 shown]
	s_waitcnt vmcnt(0)
	ds_write_b128 v90, v[1:4]
	s_waitcnt lgkmcnt(0)
	s_waitcnt_vscnt null, 0x0
	s_barrier
	buffer_gl0_inv
	s_and_saveexec_b32 s6, s4
	s_cbranch_execz .LBB105_27
; %bb.20:
	ds_read_b128 v[1:4], v90
	s_andn2_b32 vcc_lo, exec_lo, s50
	s_cbranch_vccnz .LBB105_22
; %bb.21:
	s_clause 0x3
	buffer_load_dword v91, v89, s[0:3], 0 offen offset:8
	buffer_load_dword v92, v89, s[0:3], 0 offen offset:12
	buffer_load_dword v93, v89, s[0:3], 0 offen
	buffer_load_dword v94, v89, s[0:3], 0 offen offset:4
	s_waitcnt vmcnt(2) lgkmcnt(0)
	v_mul_f64 v[96:97], v[3:4], v[91:92]
	v_mul_f64 v[91:92], v[1:2], v[91:92]
	s_waitcnt vmcnt(0)
	v_fma_f64 v[1:2], v[1:2], v[93:94], -v[96:97]
	v_fma_f64 v[3:4], v[3:4], v[93:94], v[91:92]
.LBB105_22:
	s_and_saveexec_b32 s8, s5
	s_cbranch_execz .LBB105_26
; %bb.23:
	v_subrev_nc_u32_e32 v91, 39, v0
	s_movk_i32 s51, 0x510
	s_mov_b32 s5, 0
	s_mov_b32 s52, s10
	.p2align	6
.LBB105_24:                             ; =>This Inner Loop Header: Depth=1
	v_mov_b32_e32 v94, s52
	v_add_nc_u32_e32 v91, -1, v91
	s_add_i32 s52, s52, 16
	s_clause 0x3
	buffer_load_dword v92, v94, s[0:3], 0 offen offset:8
	buffer_load_dword v93, v94, s[0:3], 0 offen offset:12
	buffer_load_dword v100, v94, s[0:3], 0 offen
	buffer_load_dword v101, v94, s[0:3], 0 offen offset:4
	v_mov_b32_e32 v94, s51
	v_cmp_eq_u32_e32 vcc_lo, 0, v91
	s_add_i32 s51, s51, 16
	ds_read_b128 v[96:99], v94
	s_or_b32 s5, vcc_lo, s5
	s_waitcnt vmcnt(2) lgkmcnt(0)
	v_mul_f64 v[102:103], v[98:99], v[92:93]
	v_mul_f64 v[92:93], v[96:97], v[92:93]
	s_waitcnt vmcnt(0)
	v_fma_f64 v[96:97], v[96:97], v[100:101], -v[102:103]
	v_fma_f64 v[92:93], v[98:99], v[100:101], v[92:93]
	v_add_f64 v[1:2], v[1:2], v[96:97]
	v_add_f64 v[3:4], v[3:4], v[92:93]
	s_andn2_b32 exec_lo, exec_lo, s5
	s_cbranch_execnz .LBB105_24
; %bb.25:
	s_or_b32 exec_lo, exec_lo, s5
.LBB105_26:
	s_or_b32 exec_lo, exec_lo, s8
	v_mov_b32_e32 v91, 0
	ds_read_b128 v[91:94], v91 offset:608
	s_waitcnt lgkmcnt(0)
	v_mul_f64 v[96:97], v[3:4], v[93:94]
	v_mul_f64 v[93:94], v[1:2], v[93:94]
	v_fma_f64 v[1:2], v[1:2], v[91:92], -v[96:97]
	v_fma_f64 v[3:4], v[3:4], v[91:92], v[93:94]
	buffer_store_dword v2, off, s[0:3], 0 offset:612
	buffer_store_dword v1, off, s[0:3], 0 offset:608
	;; [unrolled: 1-line block ×4, first 2 shown]
.LBB105_27:
	s_or_b32 exec_lo, exec_lo, s6
	v_mov_b32_e32 v4, s12
	v_cmp_lt_u32_e64 s5, 37, v0
	s_clause 0x3
	buffer_load_dword v1, v4, s[0:3], 0 offen
	buffer_load_dword v2, v4, s[0:3], 0 offen offset:4
	buffer_load_dword v3, v4, s[0:3], 0 offen offset:8
	;; [unrolled: 1-line block ×3, first 2 shown]
	s_waitcnt vmcnt(0)
	ds_write_b128 v90, v[1:4]
	s_waitcnt lgkmcnt(0)
	s_waitcnt_vscnt null, 0x0
	s_barrier
	buffer_gl0_inv
	s_and_saveexec_b32 s6, s5
	s_cbranch_execz .LBB105_35
; %bb.28:
	ds_read_b128 v[1:4], v90
	s_andn2_b32 vcc_lo, exec_lo, s50
	s_cbranch_vccnz .LBB105_30
; %bb.29:
	s_clause 0x3
	buffer_load_dword v91, v89, s[0:3], 0 offen offset:8
	buffer_load_dword v92, v89, s[0:3], 0 offen offset:12
	buffer_load_dword v93, v89, s[0:3], 0 offen
	buffer_load_dword v94, v89, s[0:3], 0 offen offset:4
	s_waitcnt vmcnt(2) lgkmcnt(0)
	v_mul_f64 v[96:97], v[3:4], v[91:92]
	v_mul_f64 v[91:92], v[1:2], v[91:92]
	s_waitcnt vmcnt(0)
	v_fma_f64 v[1:2], v[1:2], v[93:94], -v[96:97]
	v_fma_f64 v[3:4], v[3:4], v[93:94], v[91:92]
.LBB105_30:
	s_and_saveexec_b32 s8, s4
	s_cbranch_execz .LBB105_34
; %bb.31:
	v_subrev_nc_u32_e32 v91, 38, v0
	s_movk_i32 s51, 0x500
	s_mov_b32 s4, 0
	s_mov_b32 s52, s11
	.p2align	6
.LBB105_32:                             ; =>This Inner Loop Header: Depth=1
	v_mov_b32_e32 v94, s52
	v_add_nc_u32_e32 v91, -1, v91
	s_add_i32 s52, s52, 16
	s_clause 0x3
	buffer_load_dword v92, v94, s[0:3], 0 offen offset:8
	buffer_load_dword v93, v94, s[0:3], 0 offen offset:12
	buffer_load_dword v100, v94, s[0:3], 0 offen
	buffer_load_dword v101, v94, s[0:3], 0 offen offset:4
	v_mov_b32_e32 v94, s51
	v_cmp_eq_u32_e32 vcc_lo, 0, v91
	s_add_i32 s51, s51, 16
	ds_read_b128 v[96:99], v94
	s_or_b32 s4, vcc_lo, s4
	s_waitcnt vmcnt(2) lgkmcnt(0)
	v_mul_f64 v[102:103], v[98:99], v[92:93]
	v_mul_f64 v[92:93], v[96:97], v[92:93]
	s_waitcnt vmcnt(0)
	v_fma_f64 v[96:97], v[96:97], v[100:101], -v[102:103]
	v_fma_f64 v[92:93], v[98:99], v[100:101], v[92:93]
	v_add_f64 v[1:2], v[1:2], v[96:97]
	v_add_f64 v[3:4], v[3:4], v[92:93]
	s_andn2_b32 exec_lo, exec_lo, s4
	s_cbranch_execnz .LBB105_32
; %bb.33:
	s_or_b32 exec_lo, exec_lo, s4
.LBB105_34:
	s_or_b32 exec_lo, exec_lo, s8
	v_mov_b32_e32 v91, 0
	ds_read_b128 v[91:94], v91 offset:592
	s_waitcnt lgkmcnt(0)
	v_mul_f64 v[96:97], v[3:4], v[93:94]
	v_mul_f64 v[93:94], v[1:2], v[93:94]
	v_fma_f64 v[1:2], v[1:2], v[91:92], -v[96:97]
	v_fma_f64 v[3:4], v[3:4], v[91:92], v[93:94]
	buffer_store_dword v2, off, s[0:3], 0 offset:596
	buffer_store_dword v1, off, s[0:3], 0 offset:592
	;; [unrolled: 1-line block ×4, first 2 shown]
.LBB105_35:
	s_or_b32 exec_lo, exec_lo, s6
	v_mov_b32_e32 v4, s13
	v_cmp_lt_u32_e64 s4, 36, v0
	s_clause 0x3
	buffer_load_dword v1, v4, s[0:3], 0 offen
	buffer_load_dword v2, v4, s[0:3], 0 offen offset:4
	buffer_load_dword v3, v4, s[0:3], 0 offen offset:8
	;; [unrolled: 1-line block ×3, first 2 shown]
	s_waitcnt vmcnt(0)
	ds_write_b128 v90, v[1:4]
	s_waitcnt lgkmcnt(0)
	s_waitcnt_vscnt null, 0x0
	s_barrier
	buffer_gl0_inv
	s_and_saveexec_b32 s6, s4
	s_cbranch_execz .LBB105_43
; %bb.36:
	ds_read_b128 v[1:4], v90
	s_andn2_b32 vcc_lo, exec_lo, s50
	s_cbranch_vccnz .LBB105_38
; %bb.37:
	s_clause 0x3
	buffer_load_dword v91, v89, s[0:3], 0 offen offset:8
	buffer_load_dword v92, v89, s[0:3], 0 offen offset:12
	buffer_load_dword v93, v89, s[0:3], 0 offen
	buffer_load_dword v94, v89, s[0:3], 0 offen offset:4
	s_waitcnt vmcnt(2) lgkmcnt(0)
	v_mul_f64 v[96:97], v[3:4], v[91:92]
	v_mul_f64 v[91:92], v[1:2], v[91:92]
	s_waitcnt vmcnt(0)
	v_fma_f64 v[1:2], v[1:2], v[93:94], -v[96:97]
	v_fma_f64 v[3:4], v[3:4], v[93:94], v[91:92]
.LBB105_38:
	s_and_saveexec_b32 s8, s5
	s_cbranch_execz .LBB105_42
; %bb.39:
	v_subrev_nc_u32_e32 v91, 37, v0
	s_movk_i32 s51, 0x4f0
	s_mov_b32 s5, 0
	s_mov_b32 s52, s12
	.p2align	6
.LBB105_40:                             ; =>This Inner Loop Header: Depth=1
	v_mov_b32_e32 v94, s52
	v_add_nc_u32_e32 v91, -1, v91
	s_add_i32 s52, s52, 16
	s_clause 0x3
	buffer_load_dword v92, v94, s[0:3], 0 offen offset:8
	buffer_load_dword v93, v94, s[0:3], 0 offen offset:12
	buffer_load_dword v100, v94, s[0:3], 0 offen
	buffer_load_dword v101, v94, s[0:3], 0 offen offset:4
	v_mov_b32_e32 v94, s51
	v_cmp_eq_u32_e32 vcc_lo, 0, v91
	s_add_i32 s51, s51, 16
	ds_read_b128 v[96:99], v94
	s_or_b32 s5, vcc_lo, s5
	s_waitcnt vmcnt(2) lgkmcnt(0)
	v_mul_f64 v[102:103], v[98:99], v[92:93]
	v_mul_f64 v[92:93], v[96:97], v[92:93]
	s_waitcnt vmcnt(0)
	v_fma_f64 v[96:97], v[96:97], v[100:101], -v[102:103]
	v_fma_f64 v[92:93], v[98:99], v[100:101], v[92:93]
	v_add_f64 v[1:2], v[1:2], v[96:97]
	v_add_f64 v[3:4], v[3:4], v[92:93]
	s_andn2_b32 exec_lo, exec_lo, s5
	s_cbranch_execnz .LBB105_40
; %bb.41:
	s_or_b32 exec_lo, exec_lo, s5
.LBB105_42:
	s_or_b32 exec_lo, exec_lo, s8
	v_mov_b32_e32 v91, 0
	ds_read_b128 v[91:94], v91 offset:576
	s_waitcnt lgkmcnt(0)
	v_mul_f64 v[96:97], v[3:4], v[93:94]
	v_mul_f64 v[93:94], v[1:2], v[93:94]
	v_fma_f64 v[1:2], v[1:2], v[91:92], -v[96:97]
	v_fma_f64 v[3:4], v[3:4], v[91:92], v[93:94]
	buffer_store_dword v2, off, s[0:3], 0 offset:580
	buffer_store_dword v1, off, s[0:3], 0 offset:576
	;; [unrolled: 1-line block ×4, first 2 shown]
.LBB105_43:
	s_or_b32 exec_lo, exec_lo, s6
	v_mov_b32_e32 v4, s14
	v_cmp_lt_u32_e64 s5, 35, v0
	s_clause 0x3
	buffer_load_dword v1, v4, s[0:3], 0 offen
	buffer_load_dword v2, v4, s[0:3], 0 offen offset:4
	buffer_load_dword v3, v4, s[0:3], 0 offen offset:8
	;; [unrolled: 1-line block ×3, first 2 shown]
	s_waitcnt vmcnt(0)
	ds_write_b128 v90, v[1:4]
	s_waitcnt lgkmcnt(0)
	s_waitcnt_vscnt null, 0x0
	s_barrier
	buffer_gl0_inv
	s_and_saveexec_b32 s6, s5
	s_cbranch_execz .LBB105_51
; %bb.44:
	ds_read_b128 v[1:4], v90
	s_andn2_b32 vcc_lo, exec_lo, s50
	s_cbranch_vccnz .LBB105_46
; %bb.45:
	s_clause 0x3
	buffer_load_dword v91, v89, s[0:3], 0 offen offset:8
	buffer_load_dword v92, v89, s[0:3], 0 offen offset:12
	buffer_load_dword v93, v89, s[0:3], 0 offen
	buffer_load_dword v94, v89, s[0:3], 0 offen offset:4
	s_waitcnt vmcnt(2) lgkmcnt(0)
	v_mul_f64 v[96:97], v[3:4], v[91:92]
	v_mul_f64 v[91:92], v[1:2], v[91:92]
	s_waitcnt vmcnt(0)
	v_fma_f64 v[1:2], v[1:2], v[93:94], -v[96:97]
	v_fma_f64 v[3:4], v[3:4], v[93:94], v[91:92]
.LBB105_46:
	s_and_saveexec_b32 s8, s4
	s_cbranch_execz .LBB105_50
; %bb.47:
	v_subrev_nc_u32_e32 v91, 36, v0
	s_movk_i32 s51, 0x4e0
	s_mov_b32 s4, 0
	s_mov_b32 s52, s13
	.p2align	6
.LBB105_48:                             ; =>This Inner Loop Header: Depth=1
	v_mov_b32_e32 v94, s52
	v_add_nc_u32_e32 v91, -1, v91
	s_add_i32 s52, s52, 16
	s_clause 0x3
	buffer_load_dword v92, v94, s[0:3], 0 offen offset:8
	buffer_load_dword v93, v94, s[0:3], 0 offen offset:12
	buffer_load_dword v100, v94, s[0:3], 0 offen
	buffer_load_dword v101, v94, s[0:3], 0 offen offset:4
	v_mov_b32_e32 v94, s51
	v_cmp_eq_u32_e32 vcc_lo, 0, v91
	s_add_i32 s51, s51, 16
	ds_read_b128 v[96:99], v94
	s_or_b32 s4, vcc_lo, s4
	s_waitcnt vmcnt(2) lgkmcnt(0)
	v_mul_f64 v[102:103], v[98:99], v[92:93]
	v_mul_f64 v[92:93], v[96:97], v[92:93]
	s_waitcnt vmcnt(0)
	v_fma_f64 v[96:97], v[96:97], v[100:101], -v[102:103]
	v_fma_f64 v[92:93], v[98:99], v[100:101], v[92:93]
	v_add_f64 v[1:2], v[1:2], v[96:97]
	v_add_f64 v[3:4], v[3:4], v[92:93]
	s_andn2_b32 exec_lo, exec_lo, s4
	s_cbranch_execnz .LBB105_48
; %bb.49:
	s_or_b32 exec_lo, exec_lo, s4
.LBB105_50:
	s_or_b32 exec_lo, exec_lo, s8
	v_mov_b32_e32 v91, 0
	ds_read_b128 v[91:94], v91 offset:560
	s_waitcnt lgkmcnt(0)
	v_mul_f64 v[96:97], v[3:4], v[93:94]
	v_mul_f64 v[93:94], v[1:2], v[93:94]
	v_fma_f64 v[1:2], v[1:2], v[91:92], -v[96:97]
	v_fma_f64 v[3:4], v[3:4], v[91:92], v[93:94]
	buffer_store_dword v2, off, s[0:3], 0 offset:564
	buffer_store_dword v1, off, s[0:3], 0 offset:560
	;; [unrolled: 1-line block ×4, first 2 shown]
.LBB105_51:
	s_or_b32 exec_lo, exec_lo, s6
	v_mov_b32_e32 v4, s15
	v_cmp_lt_u32_e64 s4, 34, v0
	s_clause 0x3
	buffer_load_dword v1, v4, s[0:3], 0 offen
	buffer_load_dword v2, v4, s[0:3], 0 offen offset:4
	buffer_load_dword v3, v4, s[0:3], 0 offen offset:8
	;; [unrolled: 1-line block ×3, first 2 shown]
	s_waitcnt vmcnt(0)
	ds_write_b128 v90, v[1:4]
	s_waitcnt lgkmcnt(0)
	s_waitcnt_vscnt null, 0x0
	s_barrier
	buffer_gl0_inv
	s_and_saveexec_b32 s6, s4
	s_cbranch_execz .LBB105_59
; %bb.52:
	ds_read_b128 v[1:4], v90
	s_andn2_b32 vcc_lo, exec_lo, s50
	s_cbranch_vccnz .LBB105_54
; %bb.53:
	s_clause 0x3
	buffer_load_dword v91, v89, s[0:3], 0 offen offset:8
	buffer_load_dword v92, v89, s[0:3], 0 offen offset:12
	buffer_load_dword v93, v89, s[0:3], 0 offen
	buffer_load_dword v94, v89, s[0:3], 0 offen offset:4
	s_waitcnt vmcnt(2) lgkmcnt(0)
	v_mul_f64 v[96:97], v[3:4], v[91:92]
	v_mul_f64 v[91:92], v[1:2], v[91:92]
	s_waitcnt vmcnt(0)
	v_fma_f64 v[1:2], v[1:2], v[93:94], -v[96:97]
	v_fma_f64 v[3:4], v[3:4], v[93:94], v[91:92]
.LBB105_54:
	s_and_saveexec_b32 s8, s5
	s_cbranch_execz .LBB105_58
; %bb.55:
	v_subrev_nc_u32_e32 v91, 35, v0
	s_movk_i32 s51, 0x4d0
	s_mov_b32 s5, 0
	s_mov_b32 s52, s14
	.p2align	6
.LBB105_56:                             ; =>This Inner Loop Header: Depth=1
	v_mov_b32_e32 v94, s52
	v_add_nc_u32_e32 v91, -1, v91
	s_add_i32 s52, s52, 16
	s_clause 0x3
	buffer_load_dword v92, v94, s[0:3], 0 offen offset:8
	buffer_load_dword v93, v94, s[0:3], 0 offen offset:12
	buffer_load_dword v100, v94, s[0:3], 0 offen
	buffer_load_dword v101, v94, s[0:3], 0 offen offset:4
	v_mov_b32_e32 v94, s51
	v_cmp_eq_u32_e32 vcc_lo, 0, v91
	s_add_i32 s51, s51, 16
	ds_read_b128 v[96:99], v94
	s_or_b32 s5, vcc_lo, s5
	s_waitcnt vmcnt(2) lgkmcnt(0)
	v_mul_f64 v[102:103], v[98:99], v[92:93]
	v_mul_f64 v[92:93], v[96:97], v[92:93]
	s_waitcnt vmcnt(0)
	v_fma_f64 v[96:97], v[96:97], v[100:101], -v[102:103]
	v_fma_f64 v[92:93], v[98:99], v[100:101], v[92:93]
	v_add_f64 v[1:2], v[1:2], v[96:97]
	v_add_f64 v[3:4], v[3:4], v[92:93]
	s_andn2_b32 exec_lo, exec_lo, s5
	s_cbranch_execnz .LBB105_56
; %bb.57:
	s_or_b32 exec_lo, exec_lo, s5
.LBB105_58:
	s_or_b32 exec_lo, exec_lo, s8
	v_mov_b32_e32 v91, 0
	ds_read_b128 v[91:94], v91 offset:544
	s_waitcnt lgkmcnt(0)
	v_mul_f64 v[96:97], v[3:4], v[93:94]
	v_mul_f64 v[93:94], v[1:2], v[93:94]
	v_fma_f64 v[1:2], v[1:2], v[91:92], -v[96:97]
	v_fma_f64 v[3:4], v[3:4], v[91:92], v[93:94]
	buffer_store_dword v2, off, s[0:3], 0 offset:548
	buffer_store_dword v1, off, s[0:3], 0 offset:544
	;; [unrolled: 1-line block ×4, first 2 shown]
.LBB105_59:
	s_or_b32 exec_lo, exec_lo, s6
	v_mov_b32_e32 v4, s16
	v_cmp_lt_u32_e64 s5, 33, v0
	s_clause 0x3
	buffer_load_dword v1, v4, s[0:3], 0 offen
	buffer_load_dword v2, v4, s[0:3], 0 offen offset:4
	buffer_load_dword v3, v4, s[0:3], 0 offen offset:8
	;; [unrolled: 1-line block ×3, first 2 shown]
	s_waitcnt vmcnt(0)
	ds_write_b128 v90, v[1:4]
	s_waitcnt lgkmcnt(0)
	s_waitcnt_vscnt null, 0x0
	s_barrier
	buffer_gl0_inv
	s_and_saveexec_b32 s6, s5
	s_cbranch_execz .LBB105_67
; %bb.60:
	ds_read_b128 v[1:4], v90
	s_andn2_b32 vcc_lo, exec_lo, s50
	s_cbranch_vccnz .LBB105_62
; %bb.61:
	s_clause 0x3
	buffer_load_dword v91, v89, s[0:3], 0 offen offset:8
	buffer_load_dword v92, v89, s[0:3], 0 offen offset:12
	buffer_load_dword v93, v89, s[0:3], 0 offen
	buffer_load_dword v94, v89, s[0:3], 0 offen offset:4
	s_waitcnt vmcnt(2) lgkmcnt(0)
	v_mul_f64 v[96:97], v[3:4], v[91:92]
	v_mul_f64 v[91:92], v[1:2], v[91:92]
	s_waitcnt vmcnt(0)
	v_fma_f64 v[1:2], v[1:2], v[93:94], -v[96:97]
	v_fma_f64 v[3:4], v[3:4], v[93:94], v[91:92]
.LBB105_62:
	s_and_saveexec_b32 s8, s4
	s_cbranch_execz .LBB105_66
; %bb.63:
	v_subrev_nc_u32_e32 v91, 34, v0
	s_movk_i32 s51, 0x4c0
	s_mov_b32 s4, 0
	s_mov_b32 s52, s15
	.p2align	6
.LBB105_64:                             ; =>This Inner Loop Header: Depth=1
	v_mov_b32_e32 v94, s52
	v_add_nc_u32_e32 v91, -1, v91
	s_add_i32 s52, s52, 16
	s_clause 0x3
	buffer_load_dword v92, v94, s[0:3], 0 offen offset:8
	buffer_load_dword v93, v94, s[0:3], 0 offen offset:12
	buffer_load_dword v100, v94, s[0:3], 0 offen
	buffer_load_dword v101, v94, s[0:3], 0 offen offset:4
	v_mov_b32_e32 v94, s51
	v_cmp_eq_u32_e32 vcc_lo, 0, v91
	s_add_i32 s51, s51, 16
	ds_read_b128 v[96:99], v94
	s_or_b32 s4, vcc_lo, s4
	s_waitcnt vmcnt(2) lgkmcnt(0)
	v_mul_f64 v[102:103], v[98:99], v[92:93]
	v_mul_f64 v[92:93], v[96:97], v[92:93]
	s_waitcnt vmcnt(0)
	v_fma_f64 v[96:97], v[96:97], v[100:101], -v[102:103]
	v_fma_f64 v[92:93], v[98:99], v[100:101], v[92:93]
	v_add_f64 v[1:2], v[1:2], v[96:97]
	v_add_f64 v[3:4], v[3:4], v[92:93]
	s_andn2_b32 exec_lo, exec_lo, s4
	s_cbranch_execnz .LBB105_64
; %bb.65:
	s_or_b32 exec_lo, exec_lo, s4
.LBB105_66:
	s_or_b32 exec_lo, exec_lo, s8
	v_mov_b32_e32 v91, 0
	ds_read_b128 v[91:94], v91 offset:528
	s_waitcnt lgkmcnt(0)
	v_mul_f64 v[96:97], v[3:4], v[93:94]
	v_mul_f64 v[93:94], v[1:2], v[93:94]
	v_fma_f64 v[1:2], v[1:2], v[91:92], -v[96:97]
	v_fma_f64 v[3:4], v[3:4], v[91:92], v[93:94]
	buffer_store_dword v2, off, s[0:3], 0 offset:532
	buffer_store_dword v1, off, s[0:3], 0 offset:528
	;; [unrolled: 1-line block ×4, first 2 shown]
.LBB105_67:
	s_or_b32 exec_lo, exec_lo, s6
	v_mov_b32_e32 v4, s17
	v_cmp_lt_u32_e64 s4, 32, v0
	s_clause 0x3
	buffer_load_dword v1, v4, s[0:3], 0 offen
	buffer_load_dword v2, v4, s[0:3], 0 offen offset:4
	buffer_load_dword v3, v4, s[0:3], 0 offen offset:8
	;; [unrolled: 1-line block ×3, first 2 shown]
	s_waitcnt vmcnt(0)
	ds_write_b128 v90, v[1:4]
	s_waitcnt lgkmcnt(0)
	s_waitcnt_vscnt null, 0x0
	s_barrier
	buffer_gl0_inv
	s_and_saveexec_b32 s6, s4
	s_cbranch_execz .LBB105_75
; %bb.68:
	ds_read_b128 v[1:4], v90
	s_andn2_b32 vcc_lo, exec_lo, s50
	s_cbranch_vccnz .LBB105_70
; %bb.69:
	s_clause 0x3
	buffer_load_dword v91, v89, s[0:3], 0 offen offset:8
	buffer_load_dword v92, v89, s[0:3], 0 offen offset:12
	buffer_load_dword v93, v89, s[0:3], 0 offen
	buffer_load_dword v94, v89, s[0:3], 0 offen offset:4
	s_waitcnt vmcnt(2) lgkmcnt(0)
	v_mul_f64 v[96:97], v[3:4], v[91:92]
	v_mul_f64 v[91:92], v[1:2], v[91:92]
	s_waitcnt vmcnt(0)
	v_fma_f64 v[1:2], v[1:2], v[93:94], -v[96:97]
	v_fma_f64 v[3:4], v[3:4], v[93:94], v[91:92]
.LBB105_70:
	s_and_saveexec_b32 s8, s5
	s_cbranch_execz .LBB105_74
; %bb.71:
	v_subrev_nc_u32_e32 v91, 33, v0
	s_movk_i32 s51, 0x4b0
	s_mov_b32 s5, 0
	s_mov_b32 s52, s16
	.p2align	6
.LBB105_72:                             ; =>This Inner Loop Header: Depth=1
	v_mov_b32_e32 v94, s52
	v_add_nc_u32_e32 v91, -1, v91
	s_add_i32 s52, s52, 16
	s_clause 0x3
	buffer_load_dword v92, v94, s[0:3], 0 offen offset:8
	buffer_load_dword v93, v94, s[0:3], 0 offen offset:12
	buffer_load_dword v100, v94, s[0:3], 0 offen
	buffer_load_dword v101, v94, s[0:3], 0 offen offset:4
	v_mov_b32_e32 v94, s51
	v_cmp_eq_u32_e32 vcc_lo, 0, v91
	s_add_i32 s51, s51, 16
	ds_read_b128 v[96:99], v94
	s_or_b32 s5, vcc_lo, s5
	s_waitcnt vmcnt(2) lgkmcnt(0)
	v_mul_f64 v[102:103], v[98:99], v[92:93]
	v_mul_f64 v[92:93], v[96:97], v[92:93]
	s_waitcnt vmcnt(0)
	v_fma_f64 v[96:97], v[96:97], v[100:101], -v[102:103]
	v_fma_f64 v[92:93], v[98:99], v[100:101], v[92:93]
	v_add_f64 v[1:2], v[1:2], v[96:97]
	v_add_f64 v[3:4], v[3:4], v[92:93]
	s_andn2_b32 exec_lo, exec_lo, s5
	s_cbranch_execnz .LBB105_72
; %bb.73:
	s_or_b32 exec_lo, exec_lo, s5
.LBB105_74:
	s_or_b32 exec_lo, exec_lo, s8
	v_mov_b32_e32 v91, 0
	ds_read_b128 v[91:94], v91 offset:512
	s_waitcnt lgkmcnt(0)
	v_mul_f64 v[96:97], v[3:4], v[93:94]
	v_mul_f64 v[93:94], v[1:2], v[93:94]
	v_fma_f64 v[1:2], v[1:2], v[91:92], -v[96:97]
	v_fma_f64 v[3:4], v[3:4], v[91:92], v[93:94]
	buffer_store_dword v2, off, s[0:3], 0 offset:516
	buffer_store_dword v1, off, s[0:3], 0 offset:512
	;; [unrolled: 1-line block ×4, first 2 shown]
.LBB105_75:
	s_or_b32 exec_lo, exec_lo, s6
	v_mov_b32_e32 v4, s18
	v_cmp_lt_u32_e64 s5, 31, v0
	s_clause 0x3
	buffer_load_dword v1, v4, s[0:3], 0 offen
	buffer_load_dword v2, v4, s[0:3], 0 offen offset:4
	buffer_load_dword v3, v4, s[0:3], 0 offen offset:8
	;; [unrolled: 1-line block ×3, first 2 shown]
	s_waitcnt vmcnt(0)
	ds_write_b128 v90, v[1:4]
	s_waitcnt lgkmcnt(0)
	s_waitcnt_vscnt null, 0x0
	s_barrier
	buffer_gl0_inv
	s_and_saveexec_b32 s6, s5
	s_cbranch_execz .LBB105_83
; %bb.76:
	ds_read_b128 v[1:4], v90
	s_andn2_b32 vcc_lo, exec_lo, s50
	s_cbranch_vccnz .LBB105_78
; %bb.77:
	s_clause 0x3
	buffer_load_dword v91, v89, s[0:3], 0 offen offset:8
	buffer_load_dword v92, v89, s[0:3], 0 offen offset:12
	buffer_load_dword v93, v89, s[0:3], 0 offen
	buffer_load_dword v94, v89, s[0:3], 0 offen offset:4
	s_waitcnt vmcnt(2) lgkmcnt(0)
	v_mul_f64 v[96:97], v[3:4], v[91:92]
	v_mul_f64 v[91:92], v[1:2], v[91:92]
	s_waitcnt vmcnt(0)
	v_fma_f64 v[1:2], v[1:2], v[93:94], -v[96:97]
	v_fma_f64 v[3:4], v[3:4], v[93:94], v[91:92]
.LBB105_78:
	s_and_saveexec_b32 s8, s4
	s_cbranch_execz .LBB105_82
; %bb.79:
	v_subrev_nc_u32_e32 v91, 32, v0
	s_movk_i32 s51, 0x4a0
	s_mov_b32 s4, 0
	s_mov_b32 s52, s17
	.p2align	6
.LBB105_80:                             ; =>This Inner Loop Header: Depth=1
	v_mov_b32_e32 v94, s52
	v_add_nc_u32_e32 v91, -1, v91
	s_add_i32 s52, s52, 16
	s_clause 0x3
	buffer_load_dword v92, v94, s[0:3], 0 offen offset:8
	buffer_load_dword v93, v94, s[0:3], 0 offen offset:12
	buffer_load_dword v100, v94, s[0:3], 0 offen
	buffer_load_dword v101, v94, s[0:3], 0 offen offset:4
	v_mov_b32_e32 v94, s51
	v_cmp_eq_u32_e32 vcc_lo, 0, v91
	s_add_i32 s51, s51, 16
	ds_read_b128 v[96:99], v94
	s_or_b32 s4, vcc_lo, s4
	s_waitcnt vmcnt(2) lgkmcnt(0)
	v_mul_f64 v[102:103], v[98:99], v[92:93]
	v_mul_f64 v[92:93], v[96:97], v[92:93]
	s_waitcnt vmcnt(0)
	v_fma_f64 v[96:97], v[96:97], v[100:101], -v[102:103]
	v_fma_f64 v[92:93], v[98:99], v[100:101], v[92:93]
	v_add_f64 v[1:2], v[1:2], v[96:97]
	v_add_f64 v[3:4], v[3:4], v[92:93]
	s_andn2_b32 exec_lo, exec_lo, s4
	s_cbranch_execnz .LBB105_80
; %bb.81:
	s_or_b32 exec_lo, exec_lo, s4
.LBB105_82:
	s_or_b32 exec_lo, exec_lo, s8
	v_mov_b32_e32 v91, 0
	ds_read_b128 v[91:94], v91 offset:496
	s_waitcnt lgkmcnt(0)
	v_mul_f64 v[96:97], v[3:4], v[93:94]
	v_mul_f64 v[93:94], v[1:2], v[93:94]
	v_fma_f64 v[1:2], v[1:2], v[91:92], -v[96:97]
	v_fma_f64 v[3:4], v[3:4], v[91:92], v[93:94]
	buffer_store_dword v2, off, s[0:3], 0 offset:500
	buffer_store_dword v1, off, s[0:3], 0 offset:496
	;; [unrolled: 1-line block ×4, first 2 shown]
.LBB105_83:
	s_or_b32 exec_lo, exec_lo, s6
	v_mov_b32_e32 v4, s19
	v_cmp_lt_u32_e64 s4, 30, v0
	s_clause 0x3
	buffer_load_dword v1, v4, s[0:3], 0 offen
	buffer_load_dword v2, v4, s[0:3], 0 offen offset:4
	buffer_load_dword v3, v4, s[0:3], 0 offen offset:8
	;; [unrolled: 1-line block ×3, first 2 shown]
	s_waitcnt vmcnt(0)
	ds_write_b128 v90, v[1:4]
	s_waitcnt lgkmcnt(0)
	s_waitcnt_vscnt null, 0x0
	s_barrier
	buffer_gl0_inv
	s_and_saveexec_b32 s6, s4
	s_cbranch_execz .LBB105_91
; %bb.84:
	ds_read_b128 v[1:4], v90
	s_andn2_b32 vcc_lo, exec_lo, s50
	s_cbranch_vccnz .LBB105_86
; %bb.85:
	s_clause 0x3
	buffer_load_dword v91, v89, s[0:3], 0 offen offset:8
	buffer_load_dword v92, v89, s[0:3], 0 offen offset:12
	buffer_load_dword v93, v89, s[0:3], 0 offen
	buffer_load_dword v94, v89, s[0:3], 0 offen offset:4
	s_waitcnt vmcnt(2) lgkmcnt(0)
	v_mul_f64 v[96:97], v[3:4], v[91:92]
	v_mul_f64 v[91:92], v[1:2], v[91:92]
	s_waitcnt vmcnt(0)
	v_fma_f64 v[1:2], v[1:2], v[93:94], -v[96:97]
	v_fma_f64 v[3:4], v[3:4], v[93:94], v[91:92]
.LBB105_86:
	s_and_saveexec_b32 s8, s5
	s_cbranch_execz .LBB105_90
; %bb.87:
	v_subrev_nc_u32_e32 v91, 31, v0
	s_movk_i32 s51, 0x490
	s_mov_b32 s5, 0
	s_mov_b32 s52, s18
	.p2align	6
.LBB105_88:                             ; =>This Inner Loop Header: Depth=1
	v_mov_b32_e32 v94, s52
	v_add_nc_u32_e32 v91, -1, v91
	s_add_i32 s52, s52, 16
	s_clause 0x3
	buffer_load_dword v92, v94, s[0:3], 0 offen offset:8
	buffer_load_dword v93, v94, s[0:3], 0 offen offset:12
	buffer_load_dword v100, v94, s[0:3], 0 offen
	buffer_load_dword v101, v94, s[0:3], 0 offen offset:4
	v_mov_b32_e32 v94, s51
	v_cmp_eq_u32_e32 vcc_lo, 0, v91
	s_add_i32 s51, s51, 16
	ds_read_b128 v[96:99], v94
	s_or_b32 s5, vcc_lo, s5
	s_waitcnt vmcnt(2) lgkmcnt(0)
	v_mul_f64 v[102:103], v[98:99], v[92:93]
	v_mul_f64 v[92:93], v[96:97], v[92:93]
	s_waitcnt vmcnt(0)
	v_fma_f64 v[96:97], v[96:97], v[100:101], -v[102:103]
	v_fma_f64 v[92:93], v[98:99], v[100:101], v[92:93]
	v_add_f64 v[1:2], v[1:2], v[96:97]
	v_add_f64 v[3:4], v[3:4], v[92:93]
	s_andn2_b32 exec_lo, exec_lo, s5
	s_cbranch_execnz .LBB105_88
; %bb.89:
	s_or_b32 exec_lo, exec_lo, s5
.LBB105_90:
	s_or_b32 exec_lo, exec_lo, s8
	v_mov_b32_e32 v91, 0
	ds_read_b128 v[91:94], v91 offset:480
	s_waitcnt lgkmcnt(0)
	v_mul_f64 v[96:97], v[3:4], v[93:94]
	v_mul_f64 v[93:94], v[1:2], v[93:94]
	v_fma_f64 v[1:2], v[1:2], v[91:92], -v[96:97]
	v_fma_f64 v[3:4], v[3:4], v[91:92], v[93:94]
	buffer_store_dword v2, off, s[0:3], 0 offset:484
	buffer_store_dword v1, off, s[0:3], 0 offset:480
	;; [unrolled: 1-line block ×4, first 2 shown]
.LBB105_91:
	s_or_b32 exec_lo, exec_lo, s6
	v_mov_b32_e32 v4, s20
	v_cmp_lt_u32_e64 s5, 29, v0
	s_clause 0x3
	buffer_load_dword v1, v4, s[0:3], 0 offen
	buffer_load_dword v2, v4, s[0:3], 0 offen offset:4
	buffer_load_dword v3, v4, s[0:3], 0 offen offset:8
	;; [unrolled: 1-line block ×3, first 2 shown]
	s_waitcnt vmcnt(0)
	ds_write_b128 v90, v[1:4]
	s_waitcnt lgkmcnt(0)
	s_waitcnt_vscnt null, 0x0
	s_barrier
	buffer_gl0_inv
	s_and_saveexec_b32 s6, s5
	s_cbranch_execz .LBB105_99
; %bb.92:
	ds_read_b128 v[1:4], v90
	s_andn2_b32 vcc_lo, exec_lo, s50
	s_cbranch_vccnz .LBB105_94
; %bb.93:
	s_clause 0x3
	buffer_load_dword v91, v89, s[0:3], 0 offen offset:8
	buffer_load_dword v92, v89, s[0:3], 0 offen offset:12
	buffer_load_dword v93, v89, s[0:3], 0 offen
	buffer_load_dword v94, v89, s[0:3], 0 offen offset:4
	s_waitcnt vmcnt(2) lgkmcnt(0)
	v_mul_f64 v[96:97], v[3:4], v[91:92]
	v_mul_f64 v[91:92], v[1:2], v[91:92]
	s_waitcnt vmcnt(0)
	v_fma_f64 v[1:2], v[1:2], v[93:94], -v[96:97]
	v_fma_f64 v[3:4], v[3:4], v[93:94], v[91:92]
.LBB105_94:
	s_and_saveexec_b32 s8, s4
	s_cbranch_execz .LBB105_98
; %bb.95:
	v_subrev_nc_u32_e32 v91, 30, v0
	s_movk_i32 s51, 0x480
	s_mov_b32 s4, 0
	s_mov_b32 s52, s19
	.p2align	6
.LBB105_96:                             ; =>This Inner Loop Header: Depth=1
	v_mov_b32_e32 v94, s52
	v_add_nc_u32_e32 v91, -1, v91
	s_add_i32 s52, s52, 16
	s_clause 0x3
	buffer_load_dword v92, v94, s[0:3], 0 offen offset:8
	buffer_load_dword v93, v94, s[0:3], 0 offen offset:12
	buffer_load_dword v100, v94, s[0:3], 0 offen
	buffer_load_dword v101, v94, s[0:3], 0 offen offset:4
	v_mov_b32_e32 v94, s51
	v_cmp_eq_u32_e32 vcc_lo, 0, v91
	s_add_i32 s51, s51, 16
	ds_read_b128 v[96:99], v94
	s_or_b32 s4, vcc_lo, s4
	s_waitcnt vmcnt(2) lgkmcnt(0)
	v_mul_f64 v[102:103], v[98:99], v[92:93]
	v_mul_f64 v[92:93], v[96:97], v[92:93]
	s_waitcnt vmcnt(0)
	v_fma_f64 v[96:97], v[96:97], v[100:101], -v[102:103]
	v_fma_f64 v[92:93], v[98:99], v[100:101], v[92:93]
	v_add_f64 v[1:2], v[1:2], v[96:97]
	v_add_f64 v[3:4], v[3:4], v[92:93]
	s_andn2_b32 exec_lo, exec_lo, s4
	s_cbranch_execnz .LBB105_96
; %bb.97:
	s_or_b32 exec_lo, exec_lo, s4
.LBB105_98:
	s_or_b32 exec_lo, exec_lo, s8
	v_mov_b32_e32 v91, 0
	ds_read_b128 v[91:94], v91 offset:464
	s_waitcnt lgkmcnt(0)
	v_mul_f64 v[96:97], v[3:4], v[93:94]
	v_mul_f64 v[93:94], v[1:2], v[93:94]
	v_fma_f64 v[1:2], v[1:2], v[91:92], -v[96:97]
	v_fma_f64 v[3:4], v[3:4], v[91:92], v[93:94]
	buffer_store_dword v2, off, s[0:3], 0 offset:468
	buffer_store_dword v1, off, s[0:3], 0 offset:464
	buffer_store_dword v4, off, s[0:3], 0 offset:476
	buffer_store_dword v3, off, s[0:3], 0 offset:472
.LBB105_99:
	s_or_b32 exec_lo, exec_lo, s6
	v_mov_b32_e32 v4, s21
	v_cmp_lt_u32_e64 s4, 28, v0
	s_clause 0x3
	buffer_load_dword v1, v4, s[0:3], 0 offen
	buffer_load_dword v2, v4, s[0:3], 0 offen offset:4
	buffer_load_dword v3, v4, s[0:3], 0 offen offset:8
	;; [unrolled: 1-line block ×3, first 2 shown]
	s_waitcnt vmcnt(0)
	ds_write_b128 v90, v[1:4]
	s_waitcnt lgkmcnt(0)
	s_waitcnt_vscnt null, 0x0
	s_barrier
	buffer_gl0_inv
	s_and_saveexec_b32 s6, s4
	s_cbranch_execz .LBB105_107
; %bb.100:
	ds_read_b128 v[1:4], v90
	s_andn2_b32 vcc_lo, exec_lo, s50
	s_cbranch_vccnz .LBB105_102
; %bb.101:
	s_clause 0x3
	buffer_load_dword v91, v89, s[0:3], 0 offen offset:8
	buffer_load_dword v92, v89, s[0:3], 0 offen offset:12
	buffer_load_dword v93, v89, s[0:3], 0 offen
	buffer_load_dword v94, v89, s[0:3], 0 offen offset:4
	s_waitcnt vmcnt(2) lgkmcnt(0)
	v_mul_f64 v[96:97], v[3:4], v[91:92]
	v_mul_f64 v[91:92], v[1:2], v[91:92]
	s_waitcnt vmcnt(0)
	v_fma_f64 v[1:2], v[1:2], v[93:94], -v[96:97]
	v_fma_f64 v[3:4], v[3:4], v[93:94], v[91:92]
.LBB105_102:
	s_and_saveexec_b32 s8, s5
	s_cbranch_execz .LBB105_106
; %bb.103:
	v_subrev_nc_u32_e32 v91, 29, v0
	s_movk_i32 s51, 0x470
	s_mov_b32 s5, 0
	s_mov_b32 s52, s20
	.p2align	6
.LBB105_104:                            ; =>This Inner Loop Header: Depth=1
	v_mov_b32_e32 v94, s52
	v_add_nc_u32_e32 v91, -1, v91
	s_add_i32 s52, s52, 16
	s_clause 0x3
	buffer_load_dword v92, v94, s[0:3], 0 offen offset:8
	buffer_load_dword v93, v94, s[0:3], 0 offen offset:12
	buffer_load_dword v100, v94, s[0:3], 0 offen
	buffer_load_dword v101, v94, s[0:3], 0 offen offset:4
	v_mov_b32_e32 v94, s51
	v_cmp_eq_u32_e32 vcc_lo, 0, v91
	s_add_i32 s51, s51, 16
	ds_read_b128 v[96:99], v94
	s_or_b32 s5, vcc_lo, s5
	s_waitcnt vmcnt(2) lgkmcnt(0)
	v_mul_f64 v[102:103], v[98:99], v[92:93]
	v_mul_f64 v[92:93], v[96:97], v[92:93]
	s_waitcnt vmcnt(0)
	v_fma_f64 v[96:97], v[96:97], v[100:101], -v[102:103]
	v_fma_f64 v[92:93], v[98:99], v[100:101], v[92:93]
	v_add_f64 v[1:2], v[1:2], v[96:97]
	v_add_f64 v[3:4], v[3:4], v[92:93]
	s_andn2_b32 exec_lo, exec_lo, s5
	s_cbranch_execnz .LBB105_104
; %bb.105:
	s_or_b32 exec_lo, exec_lo, s5
.LBB105_106:
	s_or_b32 exec_lo, exec_lo, s8
	v_mov_b32_e32 v91, 0
	ds_read_b128 v[91:94], v91 offset:448
	s_waitcnt lgkmcnt(0)
	v_mul_f64 v[96:97], v[3:4], v[93:94]
	v_mul_f64 v[93:94], v[1:2], v[93:94]
	v_fma_f64 v[1:2], v[1:2], v[91:92], -v[96:97]
	v_fma_f64 v[3:4], v[3:4], v[91:92], v[93:94]
	buffer_store_dword v2, off, s[0:3], 0 offset:452
	buffer_store_dword v1, off, s[0:3], 0 offset:448
	;; [unrolled: 1-line block ×4, first 2 shown]
.LBB105_107:
	s_or_b32 exec_lo, exec_lo, s6
	v_mov_b32_e32 v4, s22
	v_cmp_lt_u32_e64 s5, 27, v0
	s_clause 0x3
	buffer_load_dword v1, v4, s[0:3], 0 offen
	buffer_load_dword v2, v4, s[0:3], 0 offen offset:4
	buffer_load_dword v3, v4, s[0:3], 0 offen offset:8
	;; [unrolled: 1-line block ×3, first 2 shown]
	s_waitcnt vmcnt(0)
	ds_write_b128 v90, v[1:4]
	s_waitcnt lgkmcnt(0)
	s_waitcnt_vscnt null, 0x0
	s_barrier
	buffer_gl0_inv
	s_and_saveexec_b32 s6, s5
	s_cbranch_execz .LBB105_115
; %bb.108:
	ds_read_b128 v[1:4], v90
	s_andn2_b32 vcc_lo, exec_lo, s50
	s_cbranch_vccnz .LBB105_110
; %bb.109:
	s_clause 0x3
	buffer_load_dword v91, v89, s[0:3], 0 offen offset:8
	buffer_load_dword v92, v89, s[0:3], 0 offen offset:12
	buffer_load_dword v93, v89, s[0:3], 0 offen
	buffer_load_dword v94, v89, s[0:3], 0 offen offset:4
	s_waitcnt vmcnt(2) lgkmcnt(0)
	v_mul_f64 v[96:97], v[3:4], v[91:92]
	v_mul_f64 v[91:92], v[1:2], v[91:92]
	s_waitcnt vmcnt(0)
	v_fma_f64 v[1:2], v[1:2], v[93:94], -v[96:97]
	v_fma_f64 v[3:4], v[3:4], v[93:94], v[91:92]
.LBB105_110:
	s_and_saveexec_b32 s8, s4
	s_cbranch_execz .LBB105_114
; %bb.111:
	v_subrev_nc_u32_e32 v91, 28, v0
	s_movk_i32 s51, 0x460
	s_mov_b32 s4, 0
	s_mov_b32 s52, s21
	.p2align	6
.LBB105_112:                            ; =>This Inner Loop Header: Depth=1
	v_mov_b32_e32 v94, s52
	v_add_nc_u32_e32 v91, -1, v91
	s_add_i32 s52, s52, 16
	s_clause 0x3
	buffer_load_dword v92, v94, s[0:3], 0 offen offset:8
	buffer_load_dword v93, v94, s[0:3], 0 offen offset:12
	buffer_load_dword v100, v94, s[0:3], 0 offen
	buffer_load_dword v101, v94, s[0:3], 0 offen offset:4
	v_mov_b32_e32 v94, s51
	v_cmp_eq_u32_e32 vcc_lo, 0, v91
	s_add_i32 s51, s51, 16
	ds_read_b128 v[96:99], v94
	s_or_b32 s4, vcc_lo, s4
	s_waitcnt vmcnt(2) lgkmcnt(0)
	v_mul_f64 v[102:103], v[98:99], v[92:93]
	v_mul_f64 v[92:93], v[96:97], v[92:93]
	s_waitcnt vmcnt(0)
	v_fma_f64 v[96:97], v[96:97], v[100:101], -v[102:103]
	v_fma_f64 v[92:93], v[98:99], v[100:101], v[92:93]
	v_add_f64 v[1:2], v[1:2], v[96:97]
	v_add_f64 v[3:4], v[3:4], v[92:93]
	s_andn2_b32 exec_lo, exec_lo, s4
	s_cbranch_execnz .LBB105_112
; %bb.113:
	s_or_b32 exec_lo, exec_lo, s4
.LBB105_114:
	s_or_b32 exec_lo, exec_lo, s8
	v_mov_b32_e32 v91, 0
	ds_read_b128 v[91:94], v91 offset:432
	s_waitcnt lgkmcnt(0)
	v_mul_f64 v[96:97], v[3:4], v[93:94]
	v_mul_f64 v[93:94], v[1:2], v[93:94]
	v_fma_f64 v[1:2], v[1:2], v[91:92], -v[96:97]
	v_fma_f64 v[3:4], v[3:4], v[91:92], v[93:94]
	buffer_store_dword v2, off, s[0:3], 0 offset:436
	buffer_store_dword v1, off, s[0:3], 0 offset:432
	;; [unrolled: 1-line block ×4, first 2 shown]
.LBB105_115:
	s_or_b32 exec_lo, exec_lo, s6
	v_mov_b32_e32 v4, s23
	v_cmp_lt_u32_e64 s4, 26, v0
	s_clause 0x3
	buffer_load_dword v1, v4, s[0:3], 0 offen
	buffer_load_dword v2, v4, s[0:3], 0 offen offset:4
	buffer_load_dword v3, v4, s[0:3], 0 offen offset:8
	;; [unrolled: 1-line block ×3, first 2 shown]
	s_waitcnt vmcnt(0)
	ds_write_b128 v90, v[1:4]
	s_waitcnt lgkmcnt(0)
	s_waitcnt_vscnt null, 0x0
	s_barrier
	buffer_gl0_inv
	s_and_saveexec_b32 s6, s4
	s_cbranch_execz .LBB105_123
; %bb.116:
	ds_read_b128 v[1:4], v90
	s_andn2_b32 vcc_lo, exec_lo, s50
	s_cbranch_vccnz .LBB105_118
; %bb.117:
	s_clause 0x3
	buffer_load_dword v91, v89, s[0:3], 0 offen offset:8
	buffer_load_dword v92, v89, s[0:3], 0 offen offset:12
	buffer_load_dword v93, v89, s[0:3], 0 offen
	buffer_load_dword v94, v89, s[0:3], 0 offen offset:4
	s_waitcnt vmcnt(2) lgkmcnt(0)
	v_mul_f64 v[96:97], v[3:4], v[91:92]
	v_mul_f64 v[91:92], v[1:2], v[91:92]
	s_waitcnt vmcnt(0)
	v_fma_f64 v[1:2], v[1:2], v[93:94], -v[96:97]
	v_fma_f64 v[3:4], v[3:4], v[93:94], v[91:92]
.LBB105_118:
	s_and_saveexec_b32 s8, s5
	s_cbranch_execz .LBB105_122
; %bb.119:
	v_subrev_nc_u32_e32 v91, 27, v0
	s_movk_i32 s51, 0x450
	s_mov_b32 s5, 0
	s_mov_b32 s52, s22
	.p2align	6
.LBB105_120:                            ; =>This Inner Loop Header: Depth=1
	v_mov_b32_e32 v94, s52
	v_add_nc_u32_e32 v91, -1, v91
	s_add_i32 s52, s52, 16
	s_clause 0x3
	buffer_load_dword v92, v94, s[0:3], 0 offen offset:8
	buffer_load_dword v93, v94, s[0:3], 0 offen offset:12
	buffer_load_dword v100, v94, s[0:3], 0 offen
	buffer_load_dword v101, v94, s[0:3], 0 offen offset:4
	v_mov_b32_e32 v94, s51
	v_cmp_eq_u32_e32 vcc_lo, 0, v91
	s_add_i32 s51, s51, 16
	ds_read_b128 v[96:99], v94
	s_or_b32 s5, vcc_lo, s5
	s_waitcnt vmcnt(2) lgkmcnt(0)
	v_mul_f64 v[102:103], v[98:99], v[92:93]
	v_mul_f64 v[92:93], v[96:97], v[92:93]
	s_waitcnt vmcnt(0)
	v_fma_f64 v[96:97], v[96:97], v[100:101], -v[102:103]
	v_fma_f64 v[92:93], v[98:99], v[100:101], v[92:93]
	v_add_f64 v[1:2], v[1:2], v[96:97]
	v_add_f64 v[3:4], v[3:4], v[92:93]
	s_andn2_b32 exec_lo, exec_lo, s5
	s_cbranch_execnz .LBB105_120
; %bb.121:
	s_or_b32 exec_lo, exec_lo, s5
.LBB105_122:
	s_or_b32 exec_lo, exec_lo, s8
	v_mov_b32_e32 v91, 0
	ds_read_b128 v[91:94], v91 offset:416
	s_waitcnt lgkmcnt(0)
	v_mul_f64 v[96:97], v[3:4], v[93:94]
	v_mul_f64 v[93:94], v[1:2], v[93:94]
	v_fma_f64 v[1:2], v[1:2], v[91:92], -v[96:97]
	v_fma_f64 v[3:4], v[3:4], v[91:92], v[93:94]
	buffer_store_dword v2, off, s[0:3], 0 offset:420
	buffer_store_dword v1, off, s[0:3], 0 offset:416
	;; [unrolled: 1-line block ×4, first 2 shown]
.LBB105_123:
	s_or_b32 exec_lo, exec_lo, s6
	v_mov_b32_e32 v4, s24
	v_cmp_lt_u32_e64 s5, 25, v0
	s_clause 0x3
	buffer_load_dword v1, v4, s[0:3], 0 offen
	buffer_load_dword v2, v4, s[0:3], 0 offen offset:4
	buffer_load_dword v3, v4, s[0:3], 0 offen offset:8
	;; [unrolled: 1-line block ×3, first 2 shown]
	s_waitcnt vmcnt(0)
	ds_write_b128 v90, v[1:4]
	s_waitcnt lgkmcnt(0)
	s_waitcnt_vscnt null, 0x0
	s_barrier
	buffer_gl0_inv
	s_and_saveexec_b32 s6, s5
	s_cbranch_execz .LBB105_131
; %bb.124:
	ds_read_b128 v[1:4], v90
	s_andn2_b32 vcc_lo, exec_lo, s50
	s_cbranch_vccnz .LBB105_126
; %bb.125:
	s_clause 0x3
	buffer_load_dword v91, v89, s[0:3], 0 offen offset:8
	buffer_load_dword v92, v89, s[0:3], 0 offen offset:12
	buffer_load_dword v93, v89, s[0:3], 0 offen
	buffer_load_dword v94, v89, s[0:3], 0 offen offset:4
	s_waitcnt vmcnt(2) lgkmcnt(0)
	v_mul_f64 v[96:97], v[3:4], v[91:92]
	v_mul_f64 v[91:92], v[1:2], v[91:92]
	s_waitcnt vmcnt(0)
	v_fma_f64 v[1:2], v[1:2], v[93:94], -v[96:97]
	v_fma_f64 v[3:4], v[3:4], v[93:94], v[91:92]
.LBB105_126:
	s_and_saveexec_b32 s8, s4
	s_cbranch_execz .LBB105_130
; %bb.127:
	v_subrev_nc_u32_e32 v91, 26, v0
	s_movk_i32 s51, 0x440
	s_mov_b32 s4, 0
	s_mov_b32 s52, s23
	.p2align	6
.LBB105_128:                            ; =>This Inner Loop Header: Depth=1
	v_mov_b32_e32 v94, s52
	v_add_nc_u32_e32 v91, -1, v91
	s_add_i32 s52, s52, 16
	s_clause 0x3
	buffer_load_dword v92, v94, s[0:3], 0 offen offset:8
	buffer_load_dword v93, v94, s[0:3], 0 offen offset:12
	buffer_load_dword v100, v94, s[0:3], 0 offen
	buffer_load_dword v101, v94, s[0:3], 0 offen offset:4
	v_mov_b32_e32 v94, s51
	v_cmp_eq_u32_e32 vcc_lo, 0, v91
	s_add_i32 s51, s51, 16
	ds_read_b128 v[96:99], v94
	s_or_b32 s4, vcc_lo, s4
	s_waitcnt vmcnt(2) lgkmcnt(0)
	v_mul_f64 v[102:103], v[98:99], v[92:93]
	v_mul_f64 v[92:93], v[96:97], v[92:93]
	s_waitcnt vmcnt(0)
	v_fma_f64 v[96:97], v[96:97], v[100:101], -v[102:103]
	v_fma_f64 v[92:93], v[98:99], v[100:101], v[92:93]
	v_add_f64 v[1:2], v[1:2], v[96:97]
	v_add_f64 v[3:4], v[3:4], v[92:93]
	s_andn2_b32 exec_lo, exec_lo, s4
	s_cbranch_execnz .LBB105_128
; %bb.129:
	s_or_b32 exec_lo, exec_lo, s4
.LBB105_130:
	s_or_b32 exec_lo, exec_lo, s8
	v_mov_b32_e32 v91, 0
	ds_read_b128 v[91:94], v91 offset:400
	s_waitcnt lgkmcnt(0)
	v_mul_f64 v[96:97], v[3:4], v[93:94]
	v_mul_f64 v[93:94], v[1:2], v[93:94]
	v_fma_f64 v[1:2], v[1:2], v[91:92], -v[96:97]
	v_fma_f64 v[3:4], v[3:4], v[91:92], v[93:94]
	buffer_store_dword v2, off, s[0:3], 0 offset:404
	buffer_store_dword v1, off, s[0:3], 0 offset:400
	;; [unrolled: 1-line block ×4, first 2 shown]
.LBB105_131:
	s_or_b32 exec_lo, exec_lo, s6
	v_mov_b32_e32 v4, s25
	v_cmp_lt_u32_e64 s4, 24, v0
	s_clause 0x3
	buffer_load_dword v1, v4, s[0:3], 0 offen
	buffer_load_dword v2, v4, s[0:3], 0 offen offset:4
	buffer_load_dword v3, v4, s[0:3], 0 offen offset:8
	;; [unrolled: 1-line block ×3, first 2 shown]
	s_waitcnt vmcnt(0)
	ds_write_b128 v90, v[1:4]
	s_waitcnt lgkmcnt(0)
	s_waitcnt_vscnt null, 0x0
	s_barrier
	buffer_gl0_inv
	s_and_saveexec_b32 s6, s4
	s_cbranch_execz .LBB105_139
; %bb.132:
	ds_read_b128 v[1:4], v90
	s_andn2_b32 vcc_lo, exec_lo, s50
	s_cbranch_vccnz .LBB105_134
; %bb.133:
	s_clause 0x3
	buffer_load_dword v91, v89, s[0:3], 0 offen offset:8
	buffer_load_dword v92, v89, s[0:3], 0 offen offset:12
	buffer_load_dword v93, v89, s[0:3], 0 offen
	buffer_load_dword v94, v89, s[0:3], 0 offen offset:4
	s_waitcnt vmcnt(2) lgkmcnt(0)
	v_mul_f64 v[96:97], v[3:4], v[91:92]
	v_mul_f64 v[91:92], v[1:2], v[91:92]
	s_waitcnt vmcnt(0)
	v_fma_f64 v[1:2], v[1:2], v[93:94], -v[96:97]
	v_fma_f64 v[3:4], v[3:4], v[93:94], v[91:92]
.LBB105_134:
	s_and_saveexec_b32 s8, s5
	s_cbranch_execz .LBB105_138
; %bb.135:
	v_subrev_nc_u32_e32 v91, 25, v0
	s_movk_i32 s51, 0x430
	s_mov_b32 s5, 0
	s_mov_b32 s52, s24
	.p2align	6
.LBB105_136:                            ; =>This Inner Loop Header: Depth=1
	v_mov_b32_e32 v94, s52
	v_add_nc_u32_e32 v91, -1, v91
	s_add_i32 s52, s52, 16
	s_clause 0x3
	buffer_load_dword v92, v94, s[0:3], 0 offen offset:8
	buffer_load_dword v93, v94, s[0:3], 0 offen offset:12
	buffer_load_dword v100, v94, s[0:3], 0 offen
	buffer_load_dword v101, v94, s[0:3], 0 offen offset:4
	v_mov_b32_e32 v94, s51
	v_cmp_eq_u32_e32 vcc_lo, 0, v91
	s_add_i32 s51, s51, 16
	ds_read_b128 v[96:99], v94
	s_or_b32 s5, vcc_lo, s5
	s_waitcnt vmcnt(2) lgkmcnt(0)
	v_mul_f64 v[102:103], v[98:99], v[92:93]
	v_mul_f64 v[92:93], v[96:97], v[92:93]
	s_waitcnt vmcnt(0)
	v_fma_f64 v[96:97], v[96:97], v[100:101], -v[102:103]
	v_fma_f64 v[92:93], v[98:99], v[100:101], v[92:93]
	v_add_f64 v[1:2], v[1:2], v[96:97]
	v_add_f64 v[3:4], v[3:4], v[92:93]
	s_andn2_b32 exec_lo, exec_lo, s5
	s_cbranch_execnz .LBB105_136
; %bb.137:
	s_or_b32 exec_lo, exec_lo, s5
.LBB105_138:
	s_or_b32 exec_lo, exec_lo, s8
	v_mov_b32_e32 v91, 0
	ds_read_b128 v[91:94], v91 offset:384
	s_waitcnt lgkmcnt(0)
	v_mul_f64 v[96:97], v[3:4], v[93:94]
	v_mul_f64 v[93:94], v[1:2], v[93:94]
	v_fma_f64 v[1:2], v[1:2], v[91:92], -v[96:97]
	v_fma_f64 v[3:4], v[3:4], v[91:92], v[93:94]
	buffer_store_dword v2, off, s[0:3], 0 offset:388
	buffer_store_dword v1, off, s[0:3], 0 offset:384
	buffer_store_dword v4, off, s[0:3], 0 offset:396
	buffer_store_dword v3, off, s[0:3], 0 offset:392
.LBB105_139:
	s_or_b32 exec_lo, exec_lo, s6
	v_mov_b32_e32 v4, s26
	v_cmp_lt_u32_e64 s5, 23, v0
	s_clause 0x3
	buffer_load_dword v1, v4, s[0:3], 0 offen
	buffer_load_dword v2, v4, s[0:3], 0 offen offset:4
	buffer_load_dword v3, v4, s[0:3], 0 offen offset:8
	;; [unrolled: 1-line block ×3, first 2 shown]
	s_waitcnt vmcnt(0)
	ds_write_b128 v90, v[1:4]
	s_waitcnt lgkmcnt(0)
	s_waitcnt_vscnt null, 0x0
	s_barrier
	buffer_gl0_inv
	s_and_saveexec_b32 s6, s5
	s_cbranch_execz .LBB105_147
; %bb.140:
	ds_read_b128 v[1:4], v90
	s_andn2_b32 vcc_lo, exec_lo, s50
	s_cbranch_vccnz .LBB105_142
; %bb.141:
	s_clause 0x3
	buffer_load_dword v91, v89, s[0:3], 0 offen offset:8
	buffer_load_dword v92, v89, s[0:3], 0 offen offset:12
	buffer_load_dword v93, v89, s[0:3], 0 offen
	buffer_load_dword v94, v89, s[0:3], 0 offen offset:4
	s_waitcnt vmcnt(2) lgkmcnt(0)
	v_mul_f64 v[96:97], v[3:4], v[91:92]
	v_mul_f64 v[91:92], v[1:2], v[91:92]
	s_waitcnt vmcnt(0)
	v_fma_f64 v[1:2], v[1:2], v[93:94], -v[96:97]
	v_fma_f64 v[3:4], v[3:4], v[93:94], v[91:92]
.LBB105_142:
	s_and_saveexec_b32 s8, s4
	s_cbranch_execz .LBB105_146
; %bb.143:
	v_subrev_nc_u32_e32 v91, 24, v0
	s_movk_i32 s51, 0x420
	s_mov_b32 s4, 0
	s_mov_b32 s52, s25
	.p2align	6
.LBB105_144:                            ; =>This Inner Loop Header: Depth=1
	v_mov_b32_e32 v94, s52
	v_add_nc_u32_e32 v91, -1, v91
	s_add_i32 s52, s52, 16
	s_clause 0x3
	buffer_load_dword v92, v94, s[0:3], 0 offen offset:8
	buffer_load_dword v93, v94, s[0:3], 0 offen offset:12
	buffer_load_dword v100, v94, s[0:3], 0 offen
	buffer_load_dword v101, v94, s[0:3], 0 offen offset:4
	v_mov_b32_e32 v94, s51
	v_cmp_eq_u32_e32 vcc_lo, 0, v91
	s_add_i32 s51, s51, 16
	ds_read_b128 v[96:99], v94
	s_or_b32 s4, vcc_lo, s4
	s_waitcnt vmcnt(2) lgkmcnt(0)
	v_mul_f64 v[102:103], v[98:99], v[92:93]
	v_mul_f64 v[92:93], v[96:97], v[92:93]
	s_waitcnt vmcnt(0)
	v_fma_f64 v[96:97], v[96:97], v[100:101], -v[102:103]
	v_fma_f64 v[92:93], v[98:99], v[100:101], v[92:93]
	v_add_f64 v[1:2], v[1:2], v[96:97]
	v_add_f64 v[3:4], v[3:4], v[92:93]
	s_andn2_b32 exec_lo, exec_lo, s4
	s_cbranch_execnz .LBB105_144
; %bb.145:
	s_or_b32 exec_lo, exec_lo, s4
.LBB105_146:
	s_or_b32 exec_lo, exec_lo, s8
	v_mov_b32_e32 v91, 0
	ds_read_b128 v[91:94], v91 offset:368
	s_waitcnt lgkmcnt(0)
	v_mul_f64 v[96:97], v[3:4], v[93:94]
	v_mul_f64 v[93:94], v[1:2], v[93:94]
	v_fma_f64 v[1:2], v[1:2], v[91:92], -v[96:97]
	v_fma_f64 v[3:4], v[3:4], v[91:92], v[93:94]
	buffer_store_dword v2, off, s[0:3], 0 offset:372
	buffer_store_dword v1, off, s[0:3], 0 offset:368
	;; [unrolled: 1-line block ×4, first 2 shown]
.LBB105_147:
	s_or_b32 exec_lo, exec_lo, s6
	v_mov_b32_e32 v4, s27
	v_cmp_lt_u32_e64 s4, 22, v0
	s_clause 0x3
	buffer_load_dword v1, v4, s[0:3], 0 offen
	buffer_load_dword v2, v4, s[0:3], 0 offen offset:4
	buffer_load_dword v3, v4, s[0:3], 0 offen offset:8
	buffer_load_dword v4, v4, s[0:3], 0 offen offset:12
	s_waitcnt vmcnt(0)
	ds_write_b128 v90, v[1:4]
	s_waitcnt lgkmcnt(0)
	s_waitcnt_vscnt null, 0x0
	s_barrier
	buffer_gl0_inv
	s_and_saveexec_b32 s6, s4
	s_cbranch_execz .LBB105_155
; %bb.148:
	ds_read_b128 v[1:4], v90
	s_andn2_b32 vcc_lo, exec_lo, s50
	s_cbranch_vccnz .LBB105_150
; %bb.149:
	s_clause 0x3
	buffer_load_dword v91, v89, s[0:3], 0 offen offset:8
	buffer_load_dword v92, v89, s[0:3], 0 offen offset:12
	buffer_load_dword v93, v89, s[0:3], 0 offen
	buffer_load_dword v94, v89, s[0:3], 0 offen offset:4
	s_waitcnt vmcnt(2) lgkmcnt(0)
	v_mul_f64 v[96:97], v[3:4], v[91:92]
	v_mul_f64 v[91:92], v[1:2], v[91:92]
	s_waitcnt vmcnt(0)
	v_fma_f64 v[1:2], v[1:2], v[93:94], -v[96:97]
	v_fma_f64 v[3:4], v[3:4], v[93:94], v[91:92]
.LBB105_150:
	s_and_saveexec_b32 s8, s5
	s_cbranch_execz .LBB105_154
; %bb.151:
	v_subrev_nc_u32_e32 v91, 23, v0
	s_movk_i32 s51, 0x410
	s_mov_b32 s5, 0
	s_mov_b32 s52, s26
	.p2align	6
.LBB105_152:                            ; =>This Inner Loop Header: Depth=1
	v_mov_b32_e32 v94, s52
	v_add_nc_u32_e32 v91, -1, v91
	s_add_i32 s52, s52, 16
	s_clause 0x3
	buffer_load_dword v92, v94, s[0:3], 0 offen offset:8
	buffer_load_dword v93, v94, s[0:3], 0 offen offset:12
	buffer_load_dword v100, v94, s[0:3], 0 offen
	buffer_load_dword v101, v94, s[0:3], 0 offen offset:4
	v_mov_b32_e32 v94, s51
	v_cmp_eq_u32_e32 vcc_lo, 0, v91
	s_add_i32 s51, s51, 16
	ds_read_b128 v[96:99], v94
	s_or_b32 s5, vcc_lo, s5
	s_waitcnt vmcnt(2) lgkmcnt(0)
	v_mul_f64 v[102:103], v[98:99], v[92:93]
	v_mul_f64 v[92:93], v[96:97], v[92:93]
	s_waitcnt vmcnt(0)
	v_fma_f64 v[96:97], v[96:97], v[100:101], -v[102:103]
	v_fma_f64 v[92:93], v[98:99], v[100:101], v[92:93]
	v_add_f64 v[1:2], v[1:2], v[96:97]
	v_add_f64 v[3:4], v[3:4], v[92:93]
	s_andn2_b32 exec_lo, exec_lo, s5
	s_cbranch_execnz .LBB105_152
; %bb.153:
	s_or_b32 exec_lo, exec_lo, s5
.LBB105_154:
	s_or_b32 exec_lo, exec_lo, s8
	v_mov_b32_e32 v91, 0
	ds_read_b128 v[91:94], v91 offset:352
	s_waitcnt lgkmcnt(0)
	v_mul_f64 v[96:97], v[3:4], v[93:94]
	v_mul_f64 v[93:94], v[1:2], v[93:94]
	v_fma_f64 v[1:2], v[1:2], v[91:92], -v[96:97]
	v_fma_f64 v[3:4], v[3:4], v[91:92], v[93:94]
	buffer_store_dword v2, off, s[0:3], 0 offset:356
	buffer_store_dword v1, off, s[0:3], 0 offset:352
	;; [unrolled: 1-line block ×4, first 2 shown]
.LBB105_155:
	s_or_b32 exec_lo, exec_lo, s6
	v_mov_b32_e32 v4, s28
	v_cmp_lt_u32_e64 s5, 21, v0
	s_clause 0x3
	buffer_load_dword v1, v4, s[0:3], 0 offen
	buffer_load_dword v2, v4, s[0:3], 0 offen offset:4
	buffer_load_dword v3, v4, s[0:3], 0 offen offset:8
	;; [unrolled: 1-line block ×3, first 2 shown]
	s_waitcnt vmcnt(0)
	ds_write_b128 v90, v[1:4]
	s_waitcnt lgkmcnt(0)
	s_waitcnt_vscnt null, 0x0
	s_barrier
	buffer_gl0_inv
	s_and_saveexec_b32 s6, s5
	s_cbranch_execz .LBB105_163
; %bb.156:
	ds_read_b128 v[1:4], v90
	s_andn2_b32 vcc_lo, exec_lo, s50
	s_cbranch_vccnz .LBB105_158
; %bb.157:
	s_clause 0x3
	buffer_load_dword v91, v89, s[0:3], 0 offen offset:8
	buffer_load_dword v92, v89, s[0:3], 0 offen offset:12
	buffer_load_dword v93, v89, s[0:3], 0 offen
	buffer_load_dword v94, v89, s[0:3], 0 offen offset:4
	s_waitcnt vmcnt(2) lgkmcnt(0)
	v_mul_f64 v[96:97], v[3:4], v[91:92]
	v_mul_f64 v[91:92], v[1:2], v[91:92]
	s_waitcnt vmcnt(0)
	v_fma_f64 v[1:2], v[1:2], v[93:94], -v[96:97]
	v_fma_f64 v[3:4], v[3:4], v[93:94], v[91:92]
.LBB105_158:
	s_and_saveexec_b32 s8, s4
	s_cbranch_execz .LBB105_162
; %bb.159:
	v_subrev_nc_u32_e32 v91, 22, v0
	s_movk_i32 s51, 0x400
	s_mov_b32 s4, 0
	s_mov_b32 s52, s27
	.p2align	6
.LBB105_160:                            ; =>This Inner Loop Header: Depth=1
	v_mov_b32_e32 v94, s52
	v_add_nc_u32_e32 v91, -1, v91
	s_add_i32 s52, s52, 16
	s_clause 0x3
	buffer_load_dword v92, v94, s[0:3], 0 offen offset:8
	buffer_load_dword v93, v94, s[0:3], 0 offen offset:12
	buffer_load_dword v100, v94, s[0:3], 0 offen
	buffer_load_dword v101, v94, s[0:3], 0 offen offset:4
	v_mov_b32_e32 v94, s51
	v_cmp_eq_u32_e32 vcc_lo, 0, v91
	s_add_i32 s51, s51, 16
	ds_read_b128 v[96:99], v94
	s_or_b32 s4, vcc_lo, s4
	s_waitcnt vmcnt(2) lgkmcnt(0)
	v_mul_f64 v[102:103], v[98:99], v[92:93]
	v_mul_f64 v[92:93], v[96:97], v[92:93]
	s_waitcnt vmcnt(0)
	v_fma_f64 v[96:97], v[96:97], v[100:101], -v[102:103]
	v_fma_f64 v[92:93], v[98:99], v[100:101], v[92:93]
	v_add_f64 v[1:2], v[1:2], v[96:97]
	v_add_f64 v[3:4], v[3:4], v[92:93]
	s_andn2_b32 exec_lo, exec_lo, s4
	s_cbranch_execnz .LBB105_160
; %bb.161:
	s_or_b32 exec_lo, exec_lo, s4
.LBB105_162:
	s_or_b32 exec_lo, exec_lo, s8
	v_mov_b32_e32 v91, 0
	ds_read_b128 v[91:94], v91 offset:336
	s_waitcnt lgkmcnt(0)
	v_mul_f64 v[96:97], v[3:4], v[93:94]
	v_mul_f64 v[93:94], v[1:2], v[93:94]
	v_fma_f64 v[1:2], v[1:2], v[91:92], -v[96:97]
	v_fma_f64 v[3:4], v[3:4], v[91:92], v[93:94]
	buffer_store_dword v2, off, s[0:3], 0 offset:340
	buffer_store_dword v1, off, s[0:3], 0 offset:336
	;; [unrolled: 1-line block ×4, first 2 shown]
.LBB105_163:
	s_or_b32 exec_lo, exec_lo, s6
	v_mov_b32_e32 v4, s29
	v_cmp_lt_u32_e64 s4, 20, v0
	s_clause 0x3
	buffer_load_dword v1, v4, s[0:3], 0 offen
	buffer_load_dword v2, v4, s[0:3], 0 offen offset:4
	buffer_load_dword v3, v4, s[0:3], 0 offen offset:8
	;; [unrolled: 1-line block ×3, first 2 shown]
	s_waitcnt vmcnt(0)
	ds_write_b128 v90, v[1:4]
	s_waitcnt lgkmcnt(0)
	s_waitcnt_vscnt null, 0x0
	s_barrier
	buffer_gl0_inv
	s_and_saveexec_b32 s6, s4
	s_cbranch_execz .LBB105_171
; %bb.164:
	ds_read_b128 v[1:4], v90
	s_andn2_b32 vcc_lo, exec_lo, s50
	s_cbranch_vccnz .LBB105_166
; %bb.165:
	s_clause 0x3
	buffer_load_dword v91, v89, s[0:3], 0 offen offset:8
	buffer_load_dword v92, v89, s[0:3], 0 offen offset:12
	buffer_load_dword v93, v89, s[0:3], 0 offen
	buffer_load_dword v94, v89, s[0:3], 0 offen offset:4
	s_waitcnt vmcnt(2) lgkmcnt(0)
	v_mul_f64 v[96:97], v[3:4], v[91:92]
	v_mul_f64 v[91:92], v[1:2], v[91:92]
	s_waitcnt vmcnt(0)
	v_fma_f64 v[1:2], v[1:2], v[93:94], -v[96:97]
	v_fma_f64 v[3:4], v[3:4], v[93:94], v[91:92]
.LBB105_166:
	s_and_saveexec_b32 s8, s5
	s_cbranch_execz .LBB105_170
; %bb.167:
	v_subrev_nc_u32_e32 v91, 21, v0
	s_movk_i32 s51, 0x3f0
	s_mov_b32 s5, 0
	s_mov_b32 s52, s28
	.p2align	6
.LBB105_168:                            ; =>This Inner Loop Header: Depth=1
	v_mov_b32_e32 v94, s52
	v_add_nc_u32_e32 v91, -1, v91
	s_add_i32 s52, s52, 16
	s_clause 0x3
	buffer_load_dword v92, v94, s[0:3], 0 offen offset:8
	buffer_load_dword v93, v94, s[0:3], 0 offen offset:12
	buffer_load_dword v100, v94, s[0:3], 0 offen
	buffer_load_dword v101, v94, s[0:3], 0 offen offset:4
	v_mov_b32_e32 v94, s51
	v_cmp_eq_u32_e32 vcc_lo, 0, v91
	s_add_i32 s51, s51, 16
	ds_read_b128 v[96:99], v94
	s_or_b32 s5, vcc_lo, s5
	s_waitcnt vmcnt(2) lgkmcnt(0)
	v_mul_f64 v[102:103], v[98:99], v[92:93]
	v_mul_f64 v[92:93], v[96:97], v[92:93]
	s_waitcnt vmcnt(0)
	v_fma_f64 v[96:97], v[96:97], v[100:101], -v[102:103]
	v_fma_f64 v[92:93], v[98:99], v[100:101], v[92:93]
	v_add_f64 v[1:2], v[1:2], v[96:97]
	v_add_f64 v[3:4], v[3:4], v[92:93]
	s_andn2_b32 exec_lo, exec_lo, s5
	s_cbranch_execnz .LBB105_168
; %bb.169:
	s_or_b32 exec_lo, exec_lo, s5
.LBB105_170:
	s_or_b32 exec_lo, exec_lo, s8
	v_mov_b32_e32 v91, 0
	ds_read_b128 v[91:94], v91 offset:320
	s_waitcnt lgkmcnt(0)
	v_mul_f64 v[96:97], v[3:4], v[93:94]
	v_mul_f64 v[93:94], v[1:2], v[93:94]
	v_fma_f64 v[1:2], v[1:2], v[91:92], -v[96:97]
	v_fma_f64 v[3:4], v[3:4], v[91:92], v[93:94]
	buffer_store_dword v2, off, s[0:3], 0 offset:324
	buffer_store_dword v1, off, s[0:3], 0 offset:320
	;; [unrolled: 1-line block ×4, first 2 shown]
.LBB105_171:
	s_or_b32 exec_lo, exec_lo, s6
	v_mov_b32_e32 v4, s30
	v_cmp_lt_u32_e64 s5, 19, v0
	s_clause 0x3
	buffer_load_dword v1, v4, s[0:3], 0 offen
	buffer_load_dword v2, v4, s[0:3], 0 offen offset:4
	buffer_load_dword v3, v4, s[0:3], 0 offen offset:8
	;; [unrolled: 1-line block ×3, first 2 shown]
	s_waitcnt vmcnt(0)
	ds_write_b128 v90, v[1:4]
	s_waitcnt lgkmcnt(0)
	s_waitcnt_vscnt null, 0x0
	s_barrier
	buffer_gl0_inv
	s_and_saveexec_b32 s6, s5
	s_cbranch_execz .LBB105_179
; %bb.172:
	ds_read_b128 v[1:4], v90
	s_andn2_b32 vcc_lo, exec_lo, s50
	s_cbranch_vccnz .LBB105_174
; %bb.173:
	s_clause 0x3
	buffer_load_dword v91, v89, s[0:3], 0 offen offset:8
	buffer_load_dword v92, v89, s[0:3], 0 offen offset:12
	buffer_load_dword v93, v89, s[0:3], 0 offen
	buffer_load_dword v94, v89, s[0:3], 0 offen offset:4
	s_waitcnt vmcnt(2) lgkmcnt(0)
	v_mul_f64 v[96:97], v[3:4], v[91:92]
	v_mul_f64 v[91:92], v[1:2], v[91:92]
	s_waitcnt vmcnt(0)
	v_fma_f64 v[1:2], v[1:2], v[93:94], -v[96:97]
	v_fma_f64 v[3:4], v[3:4], v[93:94], v[91:92]
.LBB105_174:
	s_and_saveexec_b32 s8, s4
	s_cbranch_execz .LBB105_178
; %bb.175:
	v_subrev_nc_u32_e32 v91, 20, v0
	s_movk_i32 s51, 0x3e0
	s_mov_b32 s4, 0
	s_mov_b32 s52, s29
	.p2align	6
.LBB105_176:                            ; =>This Inner Loop Header: Depth=1
	v_mov_b32_e32 v94, s52
	v_add_nc_u32_e32 v91, -1, v91
	s_add_i32 s52, s52, 16
	s_clause 0x3
	buffer_load_dword v92, v94, s[0:3], 0 offen offset:8
	buffer_load_dword v93, v94, s[0:3], 0 offen offset:12
	buffer_load_dword v100, v94, s[0:3], 0 offen
	buffer_load_dword v101, v94, s[0:3], 0 offen offset:4
	v_mov_b32_e32 v94, s51
	v_cmp_eq_u32_e32 vcc_lo, 0, v91
	s_add_i32 s51, s51, 16
	ds_read_b128 v[96:99], v94
	s_or_b32 s4, vcc_lo, s4
	s_waitcnt vmcnt(2) lgkmcnt(0)
	v_mul_f64 v[102:103], v[98:99], v[92:93]
	v_mul_f64 v[92:93], v[96:97], v[92:93]
	s_waitcnt vmcnt(0)
	v_fma_f64 v[96:97], v[96:97], v[100:101], -v[102:103]
	v_fma_f64 v[92:93], v[98:99], v[100:101], v[92:93]
	v_add_f64 v[1:2], v[1:2], v[96:97]
	v_add_f64 v[3:4], v[3:4], v[92:93]
	s_andn2_b32 exec_lo, exec_lo, s4
	s_cbranch_execnz .LBB105_176
; %bb.177:
	s_or_b32 exec_lo, exec_lo, s4
.LBB105_178:
	s_or_b32 exec_lo, exec_lo, s8
	v_mov_b32_e32 v91, 0
	ds_read_b128 v[91:94], v91 offset:304
	s_waitcnt lgkmcnt(0)
	v_mul_f64 v[96:97], v[3:4], v[93:94]
	v_mul_f64 v[93:94], v[1:2], v[93:94]
	v_fma_f64 v[1:2], v[1:2], v[91:92], -v[96:97]
	v_fma_f64 v[3:4], v[3:4], v[91:92], v[93:94]
	buffer_store_dword v2, off, s[0:3], 0 offset:308
	buffer_store_dword v1, off, s[0:3], 0 offset:304
	;; [unrolled: 1-line block ×4, first 2 shown]
.LBB105_179:
	s_or_b32 exec_lo, exec_lo, s6
	v_mov_b32_e32 v4, s31
	v_cmp_lt_u32_e64 s4, 18, v0
	s_clause 0x3
	buffer_load_dword v1, v4, s[0:3], 0 offen
	buffer_load_dword v2, v4, s[0:3], 0 offen offset:4
	buffer_load_dword v3, v4, s[0:3], 0 offen offset:8
	;; [unrolled: 1-line block ×3, first 2 shown]
	s_waitcnt vmcnt(0)
	ds_write_b128 v90, v[1:4]
	s_waitcnt lgkmcnt(0)
	s_waitcnt_vscnt null, 0x0
	s_barrier
	buffer_gl0_inv
	s_and_saveexec_b32 s6, s4
	s_cbranch_execz .LBB105_187
; %bb.180:
	ds_read_b128 v[1:4], v90
	s_andn2_b32 vcc_lo, exec_lo, s50
	s_cbranch_vccnz .LBB105_182
; %bb.181:
	s_clause 0x3
	buffer_load_dword v91, v89, s[0:3], 0 offen offset:8
	buffer_load_dword v92, v89, s[0:3], 0 offen offset:12
	buffer_load_dword v93, v89, s[0:3], 0 offen
	buffer_load_dword v94, v89, s[0:3], 0 offen offset:4
	s_waitcnt vmcnt(2) lgkmcnt(0)
	v_mul_f64 v[96:97], v[3:4], v[91:92]
	v_mul_f64 v[91:92], v[1:2], v[91:92]
	s_waitcnt vmcnt(0)
	v_fma_f64 v[1:2], v[1:2], v[93:94], -v[96:97]
	v_fma_f64 v[3:4], v[3:4], v[93:94], v[91:92]
.LBB105_182:
	s_and_saveexec_b32 s8, s5
	s_cbranch_execz .LBB105_186
; %bb.183:
	v_subrev_nc_u32_e32 v91, 19, v0
	s_movk_i32 s51, 0x3d0
	s_mov_b32 s5, 0
	s_mov_b32 s52, s30
	.p2align	6
.LBB105_184:                            ; =>This Inner Loop Header: Depth=1
	v_mov_b32_e32 v94, s52
	v_add_nc_u32_e32 v91, -1, v91
	s_add_i32 s52, s52, 16
	s_clause 0x3
	buffer_load_dword v92, v94, s[0:3], 0 offen offset:8
	buffer_load_dword v93, v94, s[0:3], 0 offen offset:12
	buffer_load_dword v100, v94, s[0:3], 0 offen
	buffer_load_dword v101, v94, s[0:3], 0 offen offset:4
	v_mov_b32_e32 v94, s51
	v_cmp_eq_u32_e32 vcc_lo, 0, v91
	s_add_i32 s51, s51, 16
	ds_read_b128 v[96:99], v94
	s_or_b32 s5, vcc_lo, s5
	s_waitcnt vmcnt(2) lgkmcnt(0)
	v_mul_f64 v[102:103], v[98:99], v[92:93]
	v_mul_f64 v[92:93], v[96:97], v[92:93]
	s_waitcnt vmcnt(0)
	v_fma_f64 v[96:97], v[96:97], v[100:101], -v[102:103]
	v_fma_f64 v[92:93], v[98:99], v[100:101], v[92:93]
	v_add_f64 v[1:2], v[1:2], v[96:97]
	v_add_f64 v[3:4], v[3:4], v[92:93]
	s_andn2_b32 exec_lo, exec_lo, s5
	s_cbranch_execnz .LBB105_184
; %bb.185:
	s_or_b32 exec_lo, exec_lo, s5
.LBB105_186:
	s_or_b32 exec_lo, exec_lo, s8
	v_mov_b32_e32 v91, 0
	ds_read_b128 v[91:94], v91 offset:288
	s_waitcnt lgkmcnt(0)
	v_mul_f64 v[96:97], v[3:4], v[93:94]
	v_mul_f64 v[93:94], v[1:2], v[93:94]
	v_fma_f64 v[1:2], v[1:2], v[91:92], -v[96:97]
	v_fma_f64 v[3:4], v[3:4], v[91:92], v[93:94]
	buffer_store_dword v2, off, s[0:3], 0 offset:292
	buffer_store_dword v1, off, s[0:3], 0 offset:288
	buffer_store_dword v4, off, s[0:3], 0 offset:300
	buffer_store_dword v3, off, s[0:3], 0 offset:296
.LBB105_187:
	s_or_b32 exec_lo, exec_lo, s6
	v_mov_b32_e32 v4, s33
	v_cmp_lt_u32_e64 s5, 17, v0
	s_clause 0x3
	buffer_load_dword v1, v4, s[0:3], 0 offen
	buffer_load_dword v2, v4, s[0:3], 0 offen offset:4
	buffer_load_dword v3, v4, s[0:3], 0 offen offset:8
	;; [unrolled: 1-line block ×3, first 2 shown]
	s_waitcnt vmcnt(0)
	ds_write_b128 v90, v[1:4]
	s_waitcnt lgkmcnt(0)
	s_waitcnt_vscnt null, 0x0
	s_barrier
	buffer_gl0_inv
	s_and_saveexec_b32 s6, s5
	s_cbranch_execz .LBB105_195
; %bb.188:
	ds_read_b128 v[1:4], v90
	s_andn2_b32 vcc_lo, exec_lo, s50
	s_cbranch_vccnz .LBB105_190
; %bb.189:
	s_clause 0x3
	buffer_load_dword v91, v89, s[0:3], 0 offen offset:8
	buffer_load_dword v92, v89, s[0:3], 0 offen offset:12
	buffer_load_dword v93, v89, s[0:3], 0 offen
	buffer_load_dword v94, v89, s[0:3], 0 offen offset:4
	s_waitcnt vmcnt(2) lgkmcnt(0)
	v_mul_f64 v[96:97], v[3:4], v[91:92]
	v_mul_f64 v[91:92], v[1:2], v[91:92]
	s_waitcnt vmcnt(0)
	v_fma_f64 v[1:2], v[1:2], v[93:94], -v[96:97]
	v_fma_f64 v[3:4], v[3:4], v[93:94], v[91:92]
.LBB105_190:
	s_and_saveexec_b32 s8, s4
	s_cbranch_execz .LBB105_194
; %bb.191:
	v_subrev_nc_u32_e32 v91, 18, v0
	s_movk_i32 s51, 0x3c0
	s_mov_b32 s4, 0
	s_mov_b32 s52, s31
	.p2align	6
.LBB105_192:                            ; =>This Inner Loop Header: Depth=1
	v_mov_b32_e32 v94, s52
	v_add_nc_u32_e32 v91, -1, v91
	s_add_i32 s52, s52, 16
	s_clause 0x3
	buffer_load_dword v92, v94, s[0:3], 0 offen offset:8
	buffer_load_dword v93, v94, s[0:3], 0 offen offset:12
	buffer_load_dword v100, v94, s[0:3], 0 offen
	buffer_load_dword v101, v94, s[0:3], 0 offen offset:4
	v_mov_b32_e32 v94, s51
	v_cmp_eq_u32_e32 vcc_lo, 0, v91
	s_add_i32 s51, s51, 16
	ds_read_b128 v[96:99], v94
	s_or_b32 s4, vcc_lo, s4
	s_waitcnt vmcnt(2) lgkmcnt(0)
	v_mul_f64 v[102:103], v[98:99], v[92:93]
	v_mul_f64 v[92:93], v[96:97], v[92:93]
	s_waitcnt vmcnt(0)
	v_fma_f64 v[96:97], v[96:97], v[100:101], -v[102:103]
	v_fma_f64 v[92:93], v[98:99], v[100:101], v[92:93]
	v_add_f64 v[1:2], v[1:2], v[96:97]
	v_add_f64 v[3:4], v[3:4], v[92:93]
	s_andn2_b32 exec_lo, exec_lo, s4
	s_cbranch_execnz .LBB105_192
; %bb.193:
	s_or_b32 exec_lo, exec_lo, s4
.LBB105_194:
	s_or_b32 exec_lo, exec_lo, s8
	v_mov_b32_e32 v91, 0
	ds_read_b128 v[91:94], v91 offset:272
	s_waitcnt lgkmcnt(0)
	v_mul_f64 v[96:97], v[3:4], v[93:94]
	v_mul_f64 v[93:94], v[1:2], v[93:94]
	v_fma_f64 v[1:2], v[1:2], v[91:92], -v[96:97]
	v_fma_f64 v[3:4], v[3:4], v[91:92], v[93:94]
	buffer_store_dword v2, off, s[0:3], 0 offset:276
	buffer_store_dword v1, off, s[0:3], 0 offset:272
	;; [unrolled: 1-line block ×4, first 2 shown]
.LBB105_195:
	s_or_b32 exec_lo, exec_lo, s6
	v_mov_b32_e32 v4, s34
	v_cmp_lt_u32_e64 s4, 16, v0
	s_clause 0x3
	buffer_load_dword v1, v4, s[0:3], 0 offen
	buffer_load_dword v2, v4, s[0:3], 0 offen offset:4
	buffer_load_dword v3, v4, s[0:3], 0 offen offset:8
	;; [unrolled: 1-line block ×3, first 2 shown]
	s_waitcnt vmcnt(0)
	ds_write_b128 v90, v[1:4]
	s_waitcnt lgkmcnt(0)
	s_waitcnt_vscnt null, 0x0
	s_barrier
	buffer_gl0_inv
	s_and_saveexec_b32 s6, s4
	s_cbranch_execz .LBB105_203
; %bb.196:
	ds_read_b128 v[1:4], v90
	s_andn2_b32 vcc_lo, exec_lo, s50
	s_cbranch_vccnz .LBB105_198
; %bb.197:
	s_clause 0x3
	buffer_load_dword v91, v89, s[0:3], 0 offen offset:8
	buffer_load_dword v92, v89, s[0:3], 0 offen offset:12
	buffer_load_dword v93, v89, s[0:3], 0 offen
	buffer_load_dword v94, v89, s[0:3], 0 offen offset:4
	s_waitcnt vmcnt(2) lgkmcnt(0)
	v_mul_f64 v[96:97], v[3:4], v[91:92]
	v_mul_f64 v[91:92], v[1:2], v[91:92]
	s_waitcnt vmcnt(0)
	v_fma_f64 v[1:2], v[1:2], v[93:94], -v[96:97]
	v_fma_f64 v[3:4], v[3:4], v[93:94], v[91:92]
.LBB105_198:
	s_and_saveexec_b32 s8, s5
	s_cbranch_execz .LBB105_202
; %bb.199:
	v_subrev_nc_u32_e32 v91, 17, v0
	s_movk_i32 s51, 0x3b0
	s_mov_b32 s5, 0
	s_mov_b32 s52, s33
	.p2align	6
.LBB105_200:                            ; =>This Inner Loop Header: Depth=1
	v_mov_b32_e32 v94, s52
	v_add_nc_u32_e32 v91, -1, v91
	s_add_i32 s52, s52, 16
	s_clause 0x3
	buffer_load_dword v92, v94, s[0:3], 0 offen offset:8
	buffer_load_dword v93, v94, s[0:3], 0 offen offset:12
	buffer_load_dword v100, v94, s[0:3], 0 offen
	buffer_load_dword v101, v94, s[0:3], 0 offen offset:4
	v_mov_b32_e32 v94, s51
	v_cmp_eq_u32_e32 vcc_lo, 0, v91
	s_add_i32 s51, s51, 16
	ds_read_b128 v[96:99], v94
	s_or_b32 s5, vcc_lo, s5
	s_waitcnt vmcnt(2) lgkmcnt(0)
	v_mul_f64 v[102:103], v[98:99], v[92:93]
	v_mul_f64 v[92:93], v[96:97], v[92:93]
	s_waitcnt vmcnt(0)
	v_fma_f64 v[96:97], v[96:97], v[100:101], -v[102:103]
	v_fma_f64 v[92:93], v[98:99], v[100:101], v[92:93]
	v_add_f64 v[1:2], v[1:2], v[96:97]
	v_add_f64 v[3:4], v[3:4], v[92:93]
	s_andn2_b32 exec_lo, exec_lo, s5
	s_cbranch_execnz .LBB105_200
; %bb.201:
	s_or_b32 exec_lo, exec_lo, s5
.LBB105_202:
	s_or_b32 exec_lo, exec_lo, s8
	v_mov_b32_e32 v91, 0
	ds_read_b128 v[91:94], v91 offset:256
	s_waitcnt lgkmcnt(0)
	v_mul_f64 v[96:97], v[3:4], v[93:94]
	v_mul_f64 v[93:94], v[1:2], v[93:94]
	v_fma_f64 v[1:2], v[1:2], v[91:92], -v[96:97]
	v_fma_f64 v[3:4], v[3:4], v[91:92], v[93:94]
	buffer_store_dword v2, off, s[0:3], 0 offset:260
	buffer_store_dword v1, off, s[0:3], 0 offset:256
	;; [unrolled: 1-line block ×4, first 2 shown]
.LBB105_203:
	s_or_b32 exec_lo, exec_lo, s6
	v_mov_b32_e32 v4, s35
	v_cmp_lt_u32_e64 s5, 15, v0
	s_clause 0x3
	buffer_load_dword v1, v4, s[0:3], 0 offen
	buffer_load_dword v2, v4, s[0:3], 0 offen offset:4
	buffer_load_dword v3, v4, s[0:3], 0 offen offset:8
	;; [unrolled: 1-line block ×3, first 2 shown]
	s_waitcnt vmcnt(0)
	ds_write_b128 v90, v[1:4]
	s_waitcnt lgkmcnt(0)
	s_waitcnt_vscnt null, 0x0
	s_barrier
	buffer_gl0_inv
	s_and_saveexec_b32 s6, s5
	s_cbranch_execz .LBB105_211
; %bb.204:
	ds_read_b128 v[1:4], v90
	s_andn2_b32 vcc_lo, exec_lo, s50
	s_cbranch_vccnz .LBB105_206
; %bb.205:
	s_clause 0x3
	buffer_load_dword v91, v89, s[0:3], 0 offen offset:8
	buffer_load_dword v92, v89, s[0:3], 0 offen offset:12
	buffer_load_dword v93, v89, s[0:3], 0 offen
	buffer_load_dword v94, v89, s[0:3], 0 offen offset:4
	s_waitcnt vmcnt(2) lgkmcnt(0)
	v_mul_f64 v[96:97], v[3:4], v[91:92]
	v_mul_f64 v[91:92], v[1:2], v[91:92]
	s_waitcnt vmcnt(0)
	v_fma_f64 v[1:2], v[1:2], v[93:94], -v[96:97]
	v_fma_f64 v[3:4], v[3:4], v[93:94], v[91:92]
.LBB105_206:
	s_and_saveexec_b32 s8, s4
	s_cbranch_execz .LBB105_210
; %bb.207:
	v_add_nc_u32_e32 v91, -16, v0
	s_movk_i32 s51, 0x3a0
	s_mov_b32 s4, 0
	s_mov_b32 s52, s34
	.p2align	6
.LBB105_208:                            ; =>This Inner Loop Header: Depth=1
	v_mov_b32_e32 v94, s52
	v_add_nc_u32_e32 v91, -1, v91
	s_add_i32 s52, s52, 16
	s_clause 0x3
	buffer_load_dword v92, v94, s[0:3], 0 offen offset:8
	buffer_load_dword v93, v94, s[0:3], 0 offen offset:12
	buffer_load_dword v100, v94, s[0:3], 0 offen
	buffer_load_dword v101, v94, s[0:3], 0 offen offset:4
	v_mov_b32_e32 v94, s51
	v_cmp_eq_u32_e32 vcc_lo, 0, v91
	s_add_i32 s51, s51, 16
	ds_read_b128 v[96:99], v94
	s_or_b32 s4, vcc_lo, s4
	s_waitcnt vmcnt(2) lgkmcnt(0)
	v_mul_f64 v[102:103], v[98:99], v[92:93]
	v_mul_f64 v[92:93], v[96:97], v[92:93]
	s_waitcnt vmcnt(0)
	v_fma_f64 v[96:97], v[96:97], v[100:101], -v[102:103]
	v_fma_f64 v[92:93], v[98:99], v[100:101], v[92:93]
	v_add_f64 v[1:2], v[1:2], v[96:97]
	v_add_f64 v[3:4], v[3:4], v[92:93]
	s_andn2_b32 exec_lo, exec_lo, s4
	s_cbranch_execnz .LBB105_208
; %bb.209:
	s_or_b32 exec_lo, exec_lo, s4
.LBB105_210:
	s_or_b32 exec_lo, exec_lo, s8
	v_mov_b32_e32 v91, 0
	ds_read_b128 v[91:94], v91 offset:240
	s_waitcnt lgkmcnt(0)
	v_mul_f64 v[96:97], v[3:4], v[93:94]
	v_mul_f64 v[93:94], v[1:2], v[93:94]
	v_fma_f64 v[1:2], v[1:2], v[91:92], -v[96:97]
	v_fma_f64 v[3:4], v[3:4], v[91:92], v[93:94]
	buffer_store_dword v2, off, s[0:3], 0 offset:244
	buffer_store_dword v1, off, s[0:3], 0 offset:240
	buffer_store_dword v4, off, s[0:3], 0 offset:252
	buffer_store_dword v3, off, s[0:3], 0 offset:248
.LBB105_211:
	s_or_b32 exec_lo, exec_lo, s6
	v_mov_b32_e32 v4, s36
	v_cmp_lt_u32_e64 s4, 14, v0
	s_clause 0x3
	buffer_load_dword v1, v4, s[0:3], 0 offen
	buffer_load_dword v2, v4, s[0:3], 0 offen offset:4
	buffer_load_dword v3, v4, s[0:3], 0 offen offset:8
	;; [unrolled: 1-line block ×3, first 2 shown]
	s_waitcnt vmcnt(0)
	ds_write_b128 v90, v[1:4]
	s_waitcnt lgkmcnt(0)
	s_waitcnt_vscnt null, 0x0
	s_barrier
	buffer_gl0_inv
	s_and_saveexec_b32 s6, s4
	s_cbranch_execz .LBB105_219
; %bb.212:
	ds_read_b128 v[1:4], v90
	s_andn2_b32 vcc_lo, exec_lo, s50
	s_cbranch_vccnz .LBB105_214
; %bb.213:
	s_clause 0x3
	buffer_load_dword v91, v89, s[0:3], 0 offen offset:8
	buffer_load_dword v92, v89, s[0:3], 0 offen offset:12
	buffer_load_dword v93, v89, s[0:3], 0 offen
	buffer_load_dword v94, v89, s[0:3], 0 offen offset:4
	s_waitcnt vmcnt(2) lgkmcnt(0)
	v_mul_f64 v[96:97], v[3:4], v[91:92]
	v_mul_f64 v[91:92], v[1:2], v[91:92]
	s_waitcnt vmcnt(0)
	v_fma_f64 v[1:2], v[1:2], v[93:94], -v[96:97]
	v_fma_f64 v[3:4], v[3:4], v[93:94], v[91:92]
.LBB105_214:
	s_and_saveexec_b32 s8, s5
	s_cbranch_execz .LBB105_218
; %bb.215:
	v_add_nc_u32_e32 v91, -15, v0
	s_movk_i32 s51, 0x390
	s_mov_b32 s5, 0
	s_mov_b32 s52, s35
	.p2align	6
.LBB105_216:                            ; =>This Inner Loop Header: Depth=1
	v_mov_b32_e32 v94, s52
	v_add_nc_u32_e32 v91, -1, v91
	s_add_i32 s52, s52, 16
	s_clause 0x3
	buffer_load_dword v92, v94, s[0:3], 0 offen offset:8
	buffer_load_dword v93, v94, s[0:3], 0 offen offset:12
	buffer_load_dword v100, v94, s[0:3], 0 offen
	buffer_load_dword v101, v94, s[0:3], 0 offen offset:4
	v_mov_b32_e32 v94, s51
	v_cmp_eq_u32_e32 vcc_lo, 0, v91
	s_add_i32 s51, s51, 16
	ds_read_b128 v[96:99], v94
	s_or_b32 s5, vcc_lo, s5
	s_waitcnt vmcnt(2) lgkmcnt(0)
	v_mul_f64 v[102:103], v[98:99], v[92:93]
	v_mul_f64 v[92:93], v[96:97], v[92:93]
	s_waitcnt vmcnt(0)
	v_fma_f64 v[96:97], v[96:97], v[100:101], -v[102:103]
	v_fma_f64 v[92:93], v[98:99], v[100:101], v[92:93]
	v_add_f64 v[1:2], v[1:2], v[96:97]
	v_add_f64 v[3:4], v[3:4], v[92:93]
	s_andn2_b32 exec_lo, exec_lo, s5
	s_cbranch_execnz .LBB105_216
; %bb.217:
	s_or_b32 exec_lo, exec_lo, s5
.LBB105_218:
	s_or_b32 exec_lo, exec_lo, s8
	v_mov_b32_e32 v91, 0
	ds_read_b128 v[91:94], v91 offset:224
	s_waitcnt lgkmcnt(0)
	v_mul_f64 v[96:97], v[3:4], v[93:94]
	v_mul_f64 v[93:94], v[1:2], v[93:94]
	v_fma_f64 v[1:2], v[1:2], v[91:92], -v[96:97]
	v_fma_f64 v[3:4], v[3:4], v[91:92], v[93:94]
	buffer_store_dword v2, off, s[0:3], 0 offset:228
	buffer_store_dword v1, off, s[0:3], 0 offset:224
	;; [unrolled: 1-line block ×4, first 2 shown]
.LBB105_219:
	s_or_b32 exec_lo, exec_lo, s6
	v_mov_b32_e32 v4, s37
	v_cmp_lt_u32_e64 s5, 13, v0
	s_clause 0x3
	buffer_load_dword v1, v4, s[0:3], 0 offen
	buffer_load_dword v2, v4, s[0:3], 0 offen offset:4
	buffer_load_dword v3, v4, s[0:3], 0 offen offset:8
	;; [unrolled: 1-line block ×3, first 2 shown]
	s_waitcnt vmcnt(0)
	ds_write_b128 v90, v[1:4]
	s_waitcnt lgkmcnt(0)
	s_waitcnt_vscnt null, 0x0
	s_barrier
	buffer_gl0_inv
	s_and_saveexec_b32 s6, s5
	s_cbranch_execz .LBB105_227
; %bb.220:
	ds_read_b128 v[1:4], v90
	s_andn2_b32 vcc_lo, exec_lo, s50
	s_cbranch_vccnz .LBB105_222
; %bb.221:
	s_clause 0x3
	buffer_load_dword v91, v89, s[0:3], 0 offen offset:8
	buffer_load_dword v92, v89, s[0:3], 0 offen offset:12
	buffer_load_dword v93, v89, s[0:3], 0 offen
	buffer_load_dword v94, v89, s[0:3], 0 offen offset:4
	s_waitcnt vmcnt(2) lgkmcnt(0)
	v_mul_f64 v[96:97], v[3:4], v[91:92]
	v_mul_f64 v[91:92], v[1:2], v[91:92]
	s_waitcnt vmcnt(0)
	v_fma_f64 v[1:2], v[1:2], v[93:94], -v[96:97]
	v_fma_f64 v[3:4], v[3:4], v[93:94], v[91:92]
.LBB105_222:
	s_and_saveexec_b32 s8, s4
	s_cbranch_execz .LBB105_226
; %bb.223:
	v_add_nc_u32_e32 v91, -14, v0
	s_movk_i32 s51, 0x380
	s_mov_b32 s4, 0
	s_mov_b32 s52, s36
	.p2align	6
.LBB105_224:                            ; =>This Inner Loop Header: Depth=1
	v_mov_b32_e32 v94, s52
	v_add_nc_u32_e32 v91, -1, v91
	s_add_i32 s52, s52, 16
	s_clause 0x3
	buffer_load_dword v92, v94, s[0:3], 0 offen offset:8
	buffer_load_dword v93, v94, s[0:3], 0 offen offset:12
	buffer_load_dword v100, v94, s[0:3], 0 offen
	buffer_load_dword v101, v94, s[0:3], 0 offen offset:4
	v_mov_b32_e32 v94, s51
	v_cmp_eq_u32_e32 vcc_lo, 0, v91
	s_add_i32 s51, s51, 16
	ds_read_b128 v[96:99], v94
	s_or_b32 s4, vcc_lo, s4
	s_waitcnt vmcnt(2) lgkmcnt(0)
	v_mul_f64 v[102:103], v[98:99], v[92:93]
	v_mul_f64 v[92:93], v[96:97], v[92:93]
	s_waitcnt vmcnt(0)
	v_fma_f64 v[96:97], v[96:97], v[100:101], -v[102:103]
	v_fma_f64 v[92:93], v[98:99], v[100:101], v[92:93]
	v_add_f64 v[1:2], v[1:2], v[96:97]
	v_add_f64 v[3:4], v[3:4], v[92:93]
	s_andn2_b32 exec_lo, exec_lo, s4
	s_cbranch_execnz .LBB105_224
; %bb.225:
	s_or_b32 exec_lo, exec_lo, s4
.LBB105_226:
	s_or_b32 exec_lo, exec_lo, s8
	v_mov_b32_e32 v91, 0
	ds_read_b128 v[91:94], v91 offset:208
	s_waitcnt lgkmcnt(0)
	v_mul_f64 v[96:97], v[3:4], v[93:94]
	v_mul_f64 v[93:94], v[1:2], v[93:94]
	v_fma_f64 v[1:2], v[1:2], v[91:92], -v[96:97]
	v_fma_f64 v[3:4], v[3:4], v[91:92], v[93:94]
	buffer_store_dword v2, off, s[0:3], 0 offset:212
	buffer_store_dword v1, off, s[0:3], 0 offset:208
	;; [unrolled: 1-line block ×4, first 2 shown]
.LBB105_227:
	s_or_b32 exec_lo, exec_lo, s6
	v_mov_b32_e32 v4, s38
	v_cmp_lt_u32_e64 s4, 12, v0
	s_clause 0x3
	buffer_load_dword v1, v4, s[0:3], 0 offen
	buffer_load_dword v2, v4, s[0:3], 0 offen offset:4
	buffer_load_dword v3, v4, s[0:3], 0 offen offset:8
	;; [unrolled: 1-line block ×3, first 2 shown]
	s_waitcnt vmcnt(0)
	ds_write_b128 v90, v[1:4]
	s_waitcnt lgkmcnt(0)
	s_waitcnt_vscnt null, 0x0
	s_barrier
	buffer_gl0_inv
	s_and_saveexec_b32 s6, s4
	s_cbranch_execz .LBB105_235
; %bb.228:
	ds_read_b128 v[1:4], v90
	s_andn2_b32 vcc_lo, exec_lo, s50
	s_cbranch_vccnz .LBB105_230
; %bb.229:
	s_clause 0x3
	buffer_load_dword v91, v89, s[0:3], 0 offen offset:8
	buffer_load_dword v92, v89, s[0:3], 0 offen offset:12
	buffer_load_dword v93, v89, s[0:3], 0 offen
	buffer_load_dword v94, v89, s[0:3], 0 offen offset:4
	s_waitcnt vmcnt(2) lgkmcnt(0)
	v_mul_f64 v[96:97], v[3:4], v[91:92]
	v_mul_f64 v[91:92], v[1:2], v[91:92]
	s_waitcnt vmcnt(0)
	v_fma_f64 v[1:2], v[1:2], v[93:94], -v[96:97]
	v_fma_f64 v[3:4], v[3:4], v[93:94], v[91:92]
.LBB105_230:
	s_and_saveexec_b32 s8, s5
	s_cbranch_execz .LBB105_234
; %bb.231:
	v_add_nc_u32_e32 v91, -13, v0
	s_movk_i32 s51, 0x370
	s_mov_b32 s5, 0
	s_mov_b32 s52, s37
	.p2align	6
.LBB105_232:                            ; =>This Inner Loop Header: Depth=1
	v_mov_b32_e32 v94, s52
	v_add_nc_u32_e32 v91, -1, v91
	s_add_i32 s52, s52, 16
	s_clause 0x3
	buffer_load_dword v92, v94, s[0:3], 0 offen offset:8
	buffer_load_dword v93, v94, s[0:3], 0 offen offset:12
	buffer_load_dword v100, v94, s[0:3], 0 offen
	buffer_load_dword v101, v94, s[0:3], 0 offen offset:4
	v_mov_b32_e32 v94, s51
	v_cmp_eq_u32_e32 vcc_lo, 0, v91
	s_add_i32 s51, s51, 16
	ds_read_b128 v[96:99], v94
	s_or_b32 s5, vcc_lo, s5
	s_waitcnt vmcnt(2) lgkmcnt(0)
	v_mul_f64 v[102:103], v[98:99], v[92:93]
	v_mul_f64 v[92:93], v[96:97], v[92:93]
	s_waitcnt vmcnt(0)
	v_fma_f64 v[96:97], v[96:97], v[100:101], -v[102:103]
	v_fma_f64 v[92:93], v[98:99], v[100:101], v[92:93]
	v_add_f64 v[1:2], v[1:2], v[96:97]
	v_add_f64 v[3:4], v[3:4], v[92:93]
	s_andn2_b32 exec_lo, exec_lo, s5
	s_cbranch_execnz .LBB105_232
; %bb.233:
	s_or_b32 exec_lo, exec_lo, s5
.LBB105_234:
	s_or_b32 exec_lo, exec_lo, s8
	v_mov_b32_e32 v91, 0
	ds_read_b128 v[91:94], v91 offset:192
	s_waitcnt lgkmcnt(0)
	v_mul_f64 v[96:97], v[3:4], v[93:94]
	v_mul_f64 v[93:94], v[1:2], v[93:94]
	v_fma_f64 v[1:2], v[1:2], v[91:92], -v[96:97]
	v_fma_f64 v[3:4], v[3:4], v[91:92], v[93:94]
	buffer_store_dword v2, off, s[0:3], 0 offset:196
	buffer_store_dword v1, off, s[0:3], 0 offset:192
	buffer_store_dword v4, off, s[0:3], 0 offset:204
	buffer_store_dword v3, off, s[0:3], 0 offset:200
.LBB105_235:
	s_or_b32 exec_lo, exec_lo, s6
	v_mov_b32_e32 v4, s39
	v_cmp_lt_u32_e64 s5, 11, v0
	s_clause 0x3
	buffer_load_dword v1, v4, s[0:3], 0 offen
	buffer_load_dword v2, v4, s[0:3], 0 offen offset:4
	buffer_load_dword v3, v4, s[0:3], 0 offen offset:8
	;; [unrolled: 1-line block ×3, first 2 shown]
	s_waitcnt vmcnt(0)
	ds_write_b128 v90, v[1:4]
	s_waitcnt lgkmcnt(0)
	s_waitcnt_vscnt null, 0x0
	s_barrier
	buffer_gl0_inv
	s_and_saveexec_b32 s6, s5
	s_cbranch_execz .LBB105_243
; %bb.236:
	ds_read_b128 v[1:4], v90
	s_andn2_b32 vcc_lo, exec_lo, s50
	s_cbranch_vccnz .LBB105_238
; %bb.237:
	s_clause 0x3
	buffer_load_dword v91, v89, s[0:3], 0 offen offset:8
	buffer_load_dword v92, v89, s[0:3], 0 offen offset:12
	buffer_load_dword v93, v89, s[0:3], 0 offen
	buffer_load_dword v94, v89, s[0:3], 0 offen offset:4
	s_waitcnt vmcnt(2) lgkmcnt(0)
	v_mul_f64 v[96:97], v[3:4], v[91:92]
	v_mul_f64 v[91:92], v[1:2], v[91:92]
	s_waitcnt vmcnt(0)
	v_fma_f64 v[1:2], v[1:2], v[93:94], -v[96:97]
	v_fma_f64 v[3:4], v[3:4], v[93:94], v[91:92]
.LBB105_238:
	s_and_saveexec_b32 s8, s4
	s_cbranch_execz .LBB105_242
; %bb.239:
	v_add_nc_u32_e32 v91, -12, v0
	s_movk_i32 s51, 0x360
	s_mov_b32 s4, 0
	s_mov_b32 s52, s38
	.p2align	6
.LBB105_240:                            ; =>This Inner Loop Header: Depth=1
	v_mov_b32_e32 v94, s52
	v_add_nc_u32_e32 v91, -1, v91
	s_add_i32 s52, s52, 16
	s_clause 0x3
	buffer_load_dword v92, v94, s[0:3], 0 offen offset:8
	buffer_load_dword v93, v94, s[0:3], 0 offen offset:12
	buffer_load_dword v100, v94, s[0:3], 0 offen
	buffer_load_dword v101, v94, s[0:3], 0 offen offset:4
	v_mov_b32_e32 v94, s51
	v_cmp_eq_u32_e32 vcc_lo, 0, v91
	s_add_i32 s51, s51, 16
	ds_read_b128 v[96:99], v94
	s_or_b32 s4, vcc_lo, s4
	s_waitcnt vmcnt(2) lgkmcnt(0)
	v_mul_f64 v[102:103], v[98:99], v[92:93]
	v_mul_f64 v[92:93], v[96:97], v[92:93]
	s_waitcnt vmcnt(0)
	v_fma_f64 v[96:97], v[96:97], v[100:101], -v[102:103]
	v_fma_f64 v[92:93], v[98:99], v[100:101], v[92:93]
	v_add_f64 v[1:2], v[1:2], v[96:97]
	v_add_f64 v[3:4], v[3:4], v[92:93]
	s_andn2_b32 exec_lo, exec_lo, s4
	s_cbranch_execnz .LBB105_240
; %bb.241:
	s_or_b32 exec_lo, exec_lo, s4
.LBB105_242:
	s_or_b32 exec_lo, exec_lo, s8
	v_mov_b32_e32 v91, 0
	ds_read_b128 v[91:94], v91 offset:176
	s_waitcnt lgkmcnt(0)
	v_mul_f64 v[96:97], v[3:4], v[93:94]
	v_mul_f64 v[93:94], v[1:2], v[93:94]
	v_fma_f64 v[1:2], v[1:2], v[91:92], -v[96:97]
	v_fma_f64 v[3:4], v[3:4], v[91:92], v[93:94]
	buffer_store_dword v2, off, s[0:3], 0 offset:180
	buffer_store_dword v1, off, s[0:3], 0 offset:176
	;; [unrolled: 1-line block ×4, first 2 shown]
.LBB105_243:
	s_or_b32 exec_lo, exec_lo, s6
	v_mov_b32_e32 v4, s40
	v_cmp_lt_u32_e64 s4, 10, v0
	s_clause 0x3
	buffer_load_dword v1, v4, s[0:3], 0 offen
	buffer_load_dword v2, v4, s[0:3], 0 offen offset:4
	buffer_load_dword v3, v4, s[0:3], 0 offen offset:8
	;; [unrolled: 1-line block ×3, first 2 shown]
	s_waitcnt vmcnt(0)
	ds_write_b128 v90, v[1:4]
	s_waitcnt lgkmcnt(0)
	s_waitcnt_vscnt null, 0x0
	s_barrier
	buffer_gl0_inv
	s_and_saveexec_b32 s6, s4
	s_cbranch_execz .LBB105_251
; %bb.244:
	ds_read_b128 v[1:4], v90
	s_andn2_b32 vcc_lo, exec_lo, s50
	s_cbranch_vccnz .LBB105_246
; %bb.245:
	s_clause 0x3
	buffer_load_dword v91, v89, s[0:3], 0 offen offset:8
	buffer_load_dword v92, v89, s[0:3], 0 offen offset:12
	buffer_load_dword v93, v89, s[0:3], 0 offen
	buffer_load_dword v94, v89, s[0:3], 0 offen offset:4
	s_waitcnt vmcnt(2) lgkmcnt(0)
	v_mul_f64 v[96:97], v[3:4], v[91:92]
	v_mul_f64 v[91:92], v[1:2], v[91:92]
	s_waitcnt vmcnt(0)
	v_fma_f64 v[1:2], v[1:2], v[93:94], -v[96:97]
	v_fma_f64 v[3:4], v[3:4], v[93:94], v[91:92]
.LBB105_246:
	s_and_saveexec_b32 s8, s5
	s_cbranch_execz .LBB105_250
; %bb.247:
	v_add_nc_u32_e32 v91, -11, v0
	s_movk_i32 s51, 0x350
	s_mov_b32 s5, 0
	s_mov_b32 s52, s39
	.p2align	6
.LBB105_248:                            ; =>This Inner Loop Header: Depth=1
	v_mov_b32_e32 v94, s52
	v_add_nc_u32_e32 v91, -1, v91
	s_add_i32 s52, s52, 16
	s_clause 0x3
	buffer_load_dword v92, v94, s[0:3], 0 offen offset:8
	buffer_load_dword v93, v94, s[0:3], 0 offen offset:12
	buffer_load_dword v100, v94, s[0:3], 0 offen
	buffer_load_dword v101, v94, s[0:3], 0 offen offset:4
	v_mov_b32_e32 v94, s51
	v_cmp_eq_u32_e32 vcc_lo, 0, v91
	s_add_i32 s51, s51, 16
	ds_read_b128 v[96:99], v94
	s_or_b32 s5, vcc_lo, s5
	s_waitcnt vmcnt(2) lgkmcnt(0)
	v_mul_f64 v[102:103], v[98:99], v[92:93]
	v_mul_f64 v[92:93], v[96:97], v[92:93]
	s_waitcnt vmcnt(0)
	v_fma_f64 v[96:97], v[96:97], v[100:101], -v[102:103]
	v_fma_f64 v[92:93], v[98:99], v[100:101], v[92:93]
	v_add_f64 v[1:2], v[1:2], v[96:97]
	v_add_f64 v[3:4], v[3:4], v[92:93]
	s_andn2_b32 exec_lo, exec_lo, s5
	s_cbranch_execnz .LBB105_248
; %bb.249:
	s_or_b32 exec_lo, exec_lo, s5
.LBB105_250:
	s_or_b32 exec_lo, exec_lo, s8
	v_mov_b32_e32 v91, 0
	ds_read_b128 v[91:94], v91 offset:160
	s_waitcnt lgkmcnt(0)
	v_mul_f64 v[96:97], v[3:4], v[93:94]
	v_mul_f64 v[93:94], v[1:2], v[93:94]
	v_fma_f64 v[1:2], v[1:2], v[91:92], -v[96:97]
	v_fma_f64 v[3:4], v[3:4], v[91:92], v[93:94]
	buffer_store_dword v2, off, s[0:3], 0 offset:164
	buffer_store_dword v1, off, s[0:3], 0 offset:160
	;; [unrolled: 1-line block ×4, first 2 shown]
.LBB105_251:
	s_or_b32 exec_lo, exec_lo, s6
	v_mov_b32_e32 v4, s41
	v_cmp_lt_u32_e64 s5, 9, v0
	s_clause 0x3
	buffer_load_dword v1, v4, s[0:3], 0 offen
	buffer_load_dword v2, v4, s[0:3], 0 offen offset:4
	buffer_load_dword v3, v4, s[0:3], 0 offen offset:8
	buffer_load_dword v4, v4, s[0:3], 0 offen offset:12
	s_waitcnt vmcnt(0)
	ds_write_b128 v90, v[1:4]
	s_waitcnt lgkmcnt(0)
	s_waitcnt_vscnt null, 0x0
	s_barrier
	buffer_gl0_inv
	s_and_saveexec_b32 s6, s5
	s_cbranch_execz .LBB105_259
; %bb.252:
	ds_read_b128 v[1:4], v90
	s_andn2_b32 vcc_lo, exec_lo, s50
	s_cbranch_vccnz .LBB105_254
; %bb.253:
	s_clause 0x3
	buffer_load_dword v91, v89, s[0:3], 0 offen offset:8
	buffer_load_dword v92, v89, s[0:3], 0 offen offset:12
	buffer_load_dword v93, v89, s[0:3], 0 offen
	buffer_load_dword v94, v89, s[0:3], 0 offen offset:4
	s_waitcnt vmcnt(2) lgkmcnt(0)
	v_mul_f64 v[96:97], v[3:4], v[91:92]
	v_mul_f64 v[91:92], v[1:2], v[91:92]
	s_waitcnt vmcnt(0)
	v_fma_f64 v[1:2], v[1:2], v[93:94], -v[96:97]
	v_fma_f64 v[3:4], v[3:4], v[93:94], v[91:92]
.LBB105_254:
	s_and_saveexec_b32 s8, s4
	s_cbranch_execz .LBB105_258
; %bb.255:
	v_add_nc_u32_e32 v91, -10, v0
	s_movk_i32 s51, 0x340
	s_mov_b32 s4, 0
	s_mov_b32 s52, s40
	.p2align	6
.LBB105_256:                            ; =>This Inner Loop Header: Depth=1
	v_mov_b32_e32 v94, s52
	v_add_nc_u32_e32 v91, -1, v91
	s_add_i32 s52, s52, 16
	s_clause 0x3
	buffer_load_dword v92, v94, s[0:3], 0 offen offset:8
	buffer_load_dword v93, v94, s[0:3], 0 offen offset:12
	buffer_load_dword v100, v94, s[0:3], 0 offen
	buffer_load_dword v101, v94, s[0:3], 0 offen offset:4
	v_mov_b32_e32 v94, s51
	v_cmp_eq_u32_e32 vcc_lo, 0, v91
	s_add_i32 s51, s51, 16
	ds_read_b128 v[96:99], v94
	s_or_b32 s4, vcc_lo, s4
	s_waitcnt vmcnt(2) lgkmcnt(0)
	v_mul_f64 v[102:103], v[98:99], v[92:93]
	v_mul_f64 v[92:93], v[96:97], v[92:93]
	s_waitcnt vmcnt(0)
	v_fma_f64 v[96:97], v[96:97], v[100:101], -v[102:103]
	v_fma_f64 v[92:93], v[98:99], v[100:101], v[92:93]
	v_add_f64 v[1:2], v[1:2], v[96:97]
	v_add_f64 v[3:4], v[3:4], v[92:93]
	s_andn2_b32 exec_lo, exec_lo, s4
	s_cbranch_execnz .LBB105_256
; %bb.257:
	s_or_b32 exec_lo, exec_lo, s4
.LBB105_258:
	s_or_b32 exec_lo, exec_lo, s8
	v_mov_b32_e32 v91, 0
	ds_read_b128 v[91:94], v91 offset:144
	s_waitcnt lgkmcnt(0)
	v_mul_f64 v[96:97], v[3:4], v[93:94]
	v_mul_f64 v[93:94], v[1:2], v[93:94]
	v_fma_f64 v[1:2], v[1:2], v[91:92], -v[96:97]
	v_fma_f64 v[3:4], v[3:4], v[91:92], v[93:94]
	buffer_store_dword v2, off, s[0:3], 0 offset:148
	buffer_store_dword v1, off, s[0:3], 0 offset:144
	buffer_store_dword v4, off, s[0:3], 0 offset:156
	buffer_store_dword v3, off, s[0:3], 0 offset:152
.LBB105_259:
	s_or_b32 exec_lo, exec_lo, s6
	v_mov_b32_e32 v4, s42
	v_cmp_lt_u32_e64 s4, 8, v0
	s_clause 0x3
	buffer_load_dword v1, v4, s[0:3], 0 offen
	buffer_load_dword v2, v4, s[0:3], 0 offen offset:4
	buffer_load_dword v3, v4, s[0:3], 0 offen offset:8
	;; [unrolled: 1-line block ×3, first 2 shown]
	s_waitcnt vmcnt(0)
	ds_write_b128 v90, v[1:4]
	s_waitcnt lgkmcnt(0)
	s_waitcnt_vscnt null, 0x0
	s_barrier
	buffer_gl0_inv
	s_and_saveexec_b32 s6, s4
	s_cbranch_execz .LBB105_267
; %bb.260:
	ds_read_b128 v[1:4], v90
	s_andn2_b32 vcc_lo, exec_lo, s50
	s_cbranch_vccnz .LBB105_262
; %bb.261:
	s_clause 0x3
	buffer_load_dword v91, v89, s[0:3], 0 offen offset:8
	buffer_load_dword v92, v89, s[0:3], 0 offen offset:12
	buffer_load_dword v93, v89, s[0:3], 0 offen
	buffer_load_dword v94, v89, s[0:3], 0 offen offset:4
	s_waitcnt vmcnt(2) lgkmcnt(0)
	v_mul_f64 v[96:97], v[3:4], v[91:92]
	v_mul_f64 v[91:92], v[1:2], v[91:92]
	s_waitcnt vmcnt(0)
	v_fma_f64 v[1:2], v[1:2], v[93:94], -v[96:97]
	v_fma_f64 v[3:4], v[3:4], v[93:94], v[91:92]
.LBB105_262:
	s_and_saveexec_b32 s8, s5
	s_cbranch_execz .LBB105_266
; %bb.263:
	v_add_nc_u32_e32 v91, -9, v0
	s_movk_i32 s51, 0x330
	s_mov_b32 s5, 0
	s_mov_b32 s52, s41
	.p2align	6
.LBB105_264:                            ; =>This Inner Loop Header: Depth=1
	v_mov_b32_e32 v94, s52
	v_add_nc_u32_e32 v91, -1, v91
	s_add_i32 s52, s52, 16
	s_clause 0x3
	buffer_load_dword v92, v94, s[0:3], 0 offen offset:8
	buffer_load_dword v93, v94, s[0:3], 0 offen offset:12
	buffer_load_dword v100, v94, s[0:3], 0 offen
	buffer_load_dword v101, v94, s[0:3], 0 offen offset:4
	v_mov_b32_e32 v94, s51
	v_cmp_eq_u32_e32 vcc_lo, 0, v91
	s_add_i32 s51, s51, 16
	ds_read_b128 v[96:99], v94
	s_or_b32 s5, vcc_lo, s5
	s_waitcnt vmcnt(2) lgkmcnt(0)
	v_mul_f64 v[102:103], v[98:99], v[92:93]
	v_mul_f64 v[92:93], v[96:97], v[92:93]
	s_waitcnt vmcnt(0)
	v_fma_f64 v[96:97], v[96:97], v[100:101], -v[102:103]
	v_fma_f64 v[92:93], v[98:99], v[100:101], v[92:93]
	v_add_f64 v[1:2], v[1:2], v[96:97]
	v_add_f64 v[3:4], v[3:4], v[92:93]
	s_andn2_b32 exec_lo, exec_lo, s5
	s_cbranch_execnz .LBB105_264
; %bb.265:
	s_or_b32 exec_lo, exec_lo, s5
.LBB105_266:
	s_or_b32 exec_lo, exec_lo, s8
	v_mov_b32_e32 v91, 0
	ds_read_b128 v[91:94], v91 offset:128
	s_waitcnt lgkmcnt(0)
	v_mul_f64 v[96:97], v[3:4], v[93:94]
	v_mul_f64 v[93:94], v[1:2], v[93:94]
	v_fma_f64 v[1:2], v[1:2], v[91:92], -v[96:97]
	v_fma_f64 v[3:4], v[3:4], v[91:92], v[93:94]
	buffer_store_dword v2, off, s[0:3], 0 offset:132
	buffer_store_dword v1, off, s[0:3], 0 offset:128
	;; [unrolled: 1-line block ×4, first 2 shown]
.LBB105_267:
	s_or_b32 exec_lo, exec_lo, s6
	v_mov_b32_e32 v4, s43
	v_cmp_lt_u32_e64 s5, 7, v0
	s_clause 0x3
	buffer_load_dword v1, v4, s[0:3], 0 offen
	buffer_load_dword v2, v4, s[0:3], 0 offen offset:4
	buffer_load_dword v3, v4, s[0:3], 0 offen offset:8
	;; [unrolled: 1-line block ×3, first 2 shown]
	s_waitcnt vmcnt(0)
	ds_write_b128 v90, v[1:4]
	s_waitcnt lgkmcnt(0)
	s_waitcnt_vscnt null, 0x0
	s_barrier
	buffer_gl0_inv
	s_and_saveexec_b32 s6, s5
	s_cbranch_execz .LBB105_275
; %bb.268:
	ds_read_b128 v[1:4], v90
	s_andn2_b32 vcc_lo, exec_lo, s50
	s_cbranch_vccnz .LBB105_270
; %bb.269:
	s_clause 0x3
	buffer_load_dword v91, v89, s[0:3], 0 offen offset:8
	buffer_load_dword v92, v89, s[0:3], 0 offen offset:12
	buffer_load_dword v93, v89, s[0:3], 0 offen
	buffer_load_dword v94, v89, s[0:3], 0 offen offset:4
	s_waitcnt vmcnt(2) lgkmcnt(0)
	v_mul_f64 v[96:97], v[3:4], v[91:92]
	v_mul_f64 v[91:92], v[1:2], v[91:92]
	s_waitcnt vmcnt(0)
	v_fma_f64 v[1:2], v[1:2], v[93:94], -v[96:97]
	v_fma_f64 v[3:4], v[3:4], v[93:94], v[91:92]
.LBB105_270:
	s_and_saveexec_b32 s8, s4
	s_cbranch_execz .LBB105_274
; %bb.271:
	v_add_nc_u32_e32 v91, -8, v0
	s_movk_i32 s51, 0x320
	s_mov_b32 s4, 0
	s_mov_b32 s52, s42
	.p2align	6
.LBB105_272:                            ; =>This Inner Loop Header: Depth=1
	v_mov_b32_e32 v94, s52
	v_add_nc_u32_e32 v91, -1, v91
	s_add_i32 s52, s52, 16
	s_clause 0x3
	buffer_load_dword v92, v94, s[0:3], 0 offen offset:8
	buffer_load_dword v93, v94, s[0:3], 0 offen offset:12
	buffer_load_dword v100, v94, s[0:3], 0 offen
	buffer_load_dword v101, v94, s[0:3], 0 offen offset:4
	v_mov_b32_e32 v94, s51
	v_cmp_eq_u32_e32 vcc_lo, 0, v91
	s_add_i32 s51, s51, 16
	ds_read_b128 v[96:99], v94
	s_or_b32 s4, vcc_lo, s4
	s_waitcnt vmcnt(2) lgkmcnt(0)
	v_mul_f64 v[102:103], v[98:99], v[92:93]
	v_mul_f64 v[92:93], v[96:97], v[92:93]
	s_waitcnt vmcnt(0)
	v_fma_f64 v[96:97], v[96:97], v[100:101], -v[102:103]
	v_fma_f64 v[92:93], v[98:99], v[100:101], v[92:93]
	v_add_f64 v[1:2], v[1:2], v[96:97]
	v_add_f64 v[3:4], v[3:4], v[92:93]
	s_andn2_b32 exec_lo, exec_lo, s4
	s_cbranch_execnz .LBB105_272
; %bb.273:
	s_or_b32 exec_lo, exec_lo, s4
.LBB105_274:
	s_or_b32 exec_lo, exec_lo, s8
	v_mov_b32_e32 v91, 0
	ds_read_b128 v[91:94], v91 offset:112
	s_waitcnt lgkmcnt(0)
	v_mul_f64 v[96:97], v[3:4], v[93:94]
	v_mul_f64 v[93:94], v[1:2], v[93:94]
	v_fma_f64 v[1:2], v[1:2], v[91:92], -v[96:97]
	v_fma_f64 v[3:4], v[3:4], v[91:92], v[93:94]
	buffer_store_dword v2, off, s[0:3], 0 offset:116
	buffer_store_dword v1, off, s[0:3], 0 offset:112
	;; [unrolled: 1-line block ×4, first 2 shown]
.LBB105_275:
	s_or_b32 exec_lo, exec_lo, s6
	v_mov_b32_e32 v4, s44
	v_cmp_lt_u32_e64 s4, 6, v0
	s_clause 0x3
	buffer_load_dword v1, v4, s[0:3], 0 offen
	buffer_load_dword v2, v4, s[0:3], 0 offen offset:4
	buffer_load_dword v3, v4, s[0:3], 0 offen offset:8
	;; [unrolled: 1-line block ×3, first 2 shown]
	s_waitcnt vmcnt(0)
	ds_write_b128 v90, v[1:4]
	s_waitcnt lgkmcnt(0)
	s_waitcnt_vscnt null, 0x0
	s_barrier
	buffer_gl0_inv
	s_and_saveexec_b32 s6, s4
	s_cbranch_execz .LBB105_283
; %bb.276:
	ds_read_b128 v[1:4], v90
	s_andn2_b32 vcc_lo, exec_lo, s50
	s_cbranch_vccnz .LBB105_278
; %bb.277:
	s_clause 0x3
	buffer_load_dword v91, v89, s[0:3], 0 offen offset:8
	buffer_load_dword v92, v89, s[0:3], 0 offen offset:12
	buffer_load_dword v93, v89, s[0:3], 0 offen
	buffer_load_dword v94, v89, s[0:3], 0 offen offset:4
	s_waitcnt vmcnt(2) lgkmcnt(0)
	v_mul_f64 v[96:97], v[3:4], v[91:92]
	v_mul_f64 v[91:92], v[1:2], v[91:92]
	s_waitcnt vmcnt(0)
	v_fma_f64 v[1:2], v[1:2], v[93:94], -v[96:97]
	v_fma_f64 v[3:4], v[3:4], v[93:94], v[91:92]
.LBB105_278:
	s_and_saveexec_b32 s8, s5
	s_cbranch_execz .LBB105_282
; %bb.279:
	v_add_nc_u32_e32 v91, -7, v0
	s_movk_i32 s51, 0x310
	s_mov_b32 s5, 0
	s_mov_b32 s52, s43
	.p2align	6
.LBB105_280:                            ; =>This Inner Loop Header: Depth=1
	v_mov_b32_e32 v94, s52
	v_add_nc_u32_e32 v91, -1, v91
	s_add_i32 s52, s52, 16
	s_clause 0x3
	buffer_load_dword v92, v94, s[0:3], 0 offen offset:8
	buffer_load_dword v93, v94, s[0:3], 0 offen offset:12
	buffer_load_dword v100, v94, s[0:3], 0 offen
	buffer_load_dword v101, v94, s[0:3], 0 offen offset:4
	v_mov_b32_e32 v94, s51
	v_cmp_eq_u32_e32 vcc_lo, 0, v91
	s_add_i32 s51, s51, 16
	ds_read_b128 v[96:99], v94
	s_or_b32 s5, vcc_lo, s5
	s_waitcnt vmcnt(2) lgkmcnt(0)
	v_mul_f64 v[102:103], v[98:99], v[92:93]
	v_mul_f64 v[92:93], v[96:97], v[92:93]
	s_waitcnt vmcnt(0)
	v_fma_f64 v[96:97], v[96:97], v[100:101], -v[102:103]
	v_fma_f64 v[92:93], v[98:99], v[100:101], v[92:93]
	v_add_f64 v[1:2], v[1:2], v[96:97]
	v_add_f64 v[3:4], v[3:4], v[92:93]
	s_andn2_b32 exec_lo, exec_lo, s5
	s_cbranch_execnz .LBB105_280
; %bb.281:
	s_or_b32 exec_lo, exec_lo, s5
.LBB105_282:
	s_or_b32 exec_lo, exec_lo, s8
	v_mov_b32_e32 v91, 0
	ds_read_b128 v[91:94], v91 offset:96
	s_waitcnt lgkmcnt(0)
	v_mul_f64 v[96:97], v[3:4], v[93:94]
	v_mul_f64 v[93:94], v[1:2], v[93:94]
	v_fma_f64 v[1:2], v[1:2], v[91:92], -v[96:97]
	v_fma_f64 v[3:4], v[3:4], v[91:92], v[93:94]
	buffer_store_dword v2, off, s[0:3], 0 offset:100
	buffer_store_dword v1, off, s[0:3], 0 offset:96
	;; [unrolled: 1-line block ×4, first 2 shown]
.LBB105_283:
	s_or_b32 exec_lo, exec_lo, s6
	v_mov_b32_e32 v4, s45
	v_cmp_lt_u32_e64 s5, 5, v0
	s_clause 0x3
	buffer_load_dword v1, v4, s[0:3], 0 offen
	buffer_load_dword v2, v4, s[0:3], 0 offen offset:4
	buffer_load_dword v3, v4, s[0:3], 0 offen offset:8
	;; [unrolled: 1-line block ×3, first 2 shown]
	s_waitcnt vmcnt(0)
	ds_write_b128 v90, v[1:4]
	s_waitcnt lgkmcnt(0)
	s_waitcnt_vscnt null, 0x0
	s_barrier
	buffer_gl0_inv
	s_and_saveexec_b32 s6, s5
	s_cbranch_execz .LBB105_291
; %bb.284:
	ds_read_b128 v[1:4], v90
	s_andn2_b32 vcc_lo, exec_lo, s50
	s_cbranch_vccnz .LBB105_286
; %bb.285:
	s_clause 0x3
	buffer_load_dword v91, v89, s[0:3], 0 offen offset:8
	buffer_load_dword v92, v89, s[0:3], 0 offen offset:12
	buffer_load_dword v93, v89, s[0:3], 0 offen
	buffer_load_dword v94, v89, s[0:3], 0 offen offset:4
	s_waitcnt vmcnt(2) lgkmcnt(0)
	v_mul_f64 v[96:97], v[3:4], v[91:92]
	v_mul_f64 v[91:92], v[1:2], v[91:92]
	s_waitcnt vmcnt(0)
	v_fma_f64 v[1:2], v[1:2], v[93:94], -v[96:97]
	v_fma_f64 v[3:4], v[3:4], v[93:94], v[91:92]
.LBB105_286:
	s_and_saveexec_b32 s8, s4
	s_cbranch_execz .LBB105_290
; %bb.287:
	v_add_nc_u32_e32 v91, -6, v0
	s_movk_i32 s51, 0x300
	s_mov_b32 s4, 0
	s_mov_b32 s52, s44
	.p2align	6
.LBB105_288:                            ; =>This Inner Loop Header: Depth=1
	v_mov_b32_e32 v94, s52
	v_add_nc_u32_e32 v91, -1, v91
	s_add_i32 s52, s52, 16
	s_clause 0x3
	buffer_load_dword v92, v94, s[0:3], 0 offen offset:8
	buffer_load_dword v93, v94, s[0:3], 0 offen offset:12
	buffer_load_dword v100, v94, s[0:3], 0 offen
	buffer_load_dword v101, v94, s[0:3], 0 offen offset:4
	v_mov_b32_e32 v94, s51
	v_cmp_eq_u32_e32 vcc_lo, 0, v91
	s_add_i32 s51, s51, 16
	ds_read_b128 v[96:99], v94
	s_or_b32 s4, vcc_lo, s4
	s_waitcnt vmcnt(2) lgkmcnt(0)
	v_mul_f64 v[102:103], v[98:99], v[92:93]
	v_mul_f64 v[92:93], v[96:97], v[92:93]
	s_waitcnt vmcnt(0)
	v_fma_f64 v[96:97], v[96:97], v[100:101], -v[102:103]
	v_fma_f64 v[92:93], v[98:99], v[100:101], v[92:93]
	v_add_f64 v[1:2], v[1:2], v[96:97]
	v_add_f64 v[3:4], v[3:4], v[92:93]
	s_andn2_b32 exec_lo, exec_lo, s4
	s_cbranch_execnz .LBB105_288
; %bb.289:
	s_or_b32 exec_lo, exec_lo, s4
.LBB105_290:
	s_or_b32 exec_lo, exec_lo, s8
	v_mov_b32_e32 v91, 0
	ds_read_b128 v[91:94], v91 offset:80
	s_waitcnt lgkmcnt(0)
	v_mul_f64 v[96:97], v[3:4], v[93:94]
	v_mul_f64 v[93:94], v[1:2], v[93:94]
	v_fma_f64 v[1:2], v[1:2], v[91:92], -v[96:97]
	v_fma_f64 v[3:4], v[3:4], v[91:92], v[93:94]
	buffer_store_dword v2, off, s[0:3], 0 offset:84
	buffer_store_dword v1, off, s[0:3], 0 offset:80
	;; [unrolled: 1-line block ×4, first 2 shown]
.LBB105_291:
	s_or_b32 exec_lo, exec_lo, s6
	v_mov_b32_e32 v4, s46
	v_cmp_lt_u32_e64 s4, 4, v0
	s_clause 0x3
	buffer_load_dword v1, v4, s[0:3], 0 offen
	buffer_load_dword v2, v4, s[0:3], 0 offen offset:4
	buffer_load_dword v3, v4, s[0:3], 0 offen offset:8
	;; [unrolled: 1-line block ×3, first 2 shown]
	s_waitcnt vmcnt(0)
	ds_write_b128 v90, v[1:4]
	s_waitcnt lgkmcnt(0)
	s_waitcnt_vscnt null, 0x0
	s_barrier
	buffer_gl0_inv
	s_and_saveexec_b32 s6, s4
	s_cbranch_execz .LBB105_299
; %bb.292:
	ds_read_b128 v[1:4], v90
	s_andn2_b32 vcc_lo, exec_lo, s50
	s_cbranch_vccnz .LBB105_294
; %bb.293:
	s_clause 0x3
	buffer_load_dword v91, v89, s[0:3], 0 offen offset:8
	buffer_load_dword v92, v89, s[0:3], 0 offen offset:12
	buffer_load_dword v93, v89, s[0:3], 0 offen
	buffer_load_dword v94, v89, s[0:3], 0 offen offset:4
	s_waitcnt vmcnt(2) lgkmcnt(0)
	v_mul_f64 v[96:97], v[3:4], v[91:92]
	v_mul_f64 v[91:92], v[1:2], v[91:92]
	s_waitcnt vmcnt(0)
	v_fma_f64 v[1:2], v[1:2], v[93:94], -v[96:97]
	v_fma_f64 v[3:4], v[3:4], v[93:94], v[91:92]
.LBB105_294:
	s_and_saveexec_b32 s8, s5
	s_cbranch_execz .LBB105_298
; %bb.295:
	v_add_nc_u32_e32 v91, -5, v0
	s_movk_i32 s51, 0x2f0
	s_mov_b32 s5, 0
	s_mov_b32 s52, s45
	.p2align	6
.LBB105_296:                            ; =>This Inner Loop Header: Depth=1
	v_mov_b32_e32 v94, s52
	v_add_nc_u32_e32 v91, -1, v91
	s_add_i32 s52, s52, 16
	s_clause 0x3
	buffer_load_dword v92, v94, s[0:3], 0 offen offset:8
	buffer_load_dword v93, v94, s[0:3], 0 offen offset:12
	buffer_load_dword v100, v94, s[0:3], 0 offen
	buffer_load_dword v101, v94, s[0:3], 0 offen offset:4
	v_mov_b32_e32 v94, s51
	v_cmp_eq_u32_e32 vcc_lo, 0, v91
	s_add_i32 s51, s51, 16
	ds_read_b128 v[96:99], v94
	s_or_b32 s5, vcc_lo, s5
	s_waitcnt vmcnt(2) lgkmcnt(0)
	v_mul_f64 v[102:103], v[98:99], v[92:93]
	v_mul_f64 v[92:93], v[96:97], v[92:93]
	s_waitcnt vmcnt(0)
	v_fma_f64 v[96:97], v[96:97], v[100:101], -v[102:103]
	v_fma_f64 v[92:93], v[98:99], v[100:101], v[92:93]
	v_add_f64 v[1:2], v[1:2], v[96:97]
	v_add_f64 v[3:4], v[3:4], v[92:93]
	s_andn2_b32 exec_lo, exec_lo, s5
	s_cbranch_execnz .LBB105_296
; %bb.297:
	s_or_b32 exec_lo, exec_lo, s5
.LBB105_298:
	s_or_b32 exec_lo, exec_lo, s8
	v_mov_b32_e32 v91, 0
	ds_read_b128 v[91:94], v91 offset:64
	s_waitcnt lgkmcnt(0)
	v_mul_f64 v[96:97], v[3:4], v[93:94]
	v_mul_f64 v[93:94], v[1:2], v[93:94]
	v_fma_f64 v[1:2], v[1:2], v[91:92], -v[96:97]
	v_fma_f64 v[3:4], v[3:4], v[91:92], v[93:94]
	buffer_store_dword v2, off, s[0:3], 0 offset:68
	buffer_store_dword v1, off, s[0:3], 0 offset:64
	;; [unrolled: 1-line block ×4, first 2 shown]
.LBB105_299:
	s_or_b32 exec_lo, exec_lo, s6
	v_mov_b32_e32 v4, s47
	v_cmp_lt_u32_e64 s5, 3, v0
	s_clause 0x3
	buffer_load_dword v1, v4, s[0:3], 0 offen
	buffer_load_dword v2, v4, s[0:3], 0 offen offset:4
	buffer_load_dword v3, v4, s[0:3], 0 offen offset:8
	;; [unrolled: 1-line block ×3, first 2 shown]
	s_waitcnt vmcnt(0)
	ds_write_b128 v90, v[1:4]
	s_waitcnt lgkmcnt(0)
	s_waitcnt_vscnt null, 0x0
	s_barrier
	buffer_gl0_inv
	s_and_saveexec_b32 s6, s5
	s_cbranch_execz .LBB105_307
; %bb.300:
	ds_read_b128 v[1:4], v90
	s_andn2_b32 vcc_lo, exec_lo, s50
	s_cbranch_vccnz .LBB105_302
; %bb.301:
	s_clause 0x3
	buffer_load_dword v91, v89, s[0:3], 0 offen offset:8
	buffer_load_dword v92, v89, s[0:3], 0 offen offset:12
	buffer_load_dword v93, v89, s[0:3], 0 offen
	buffer_load_dword v94, v89, s[0:3], 0 offen offset:4
	s_waitcnt vmcnt(2) lgkmcnt(0)
	v_mul_f64 v[96:97], v[3:4], v[91:92]
	v_mul_f64 v[91:92], v[1:2], v[91:92]
	s_waitcnt vmcnt(0)
	v_fma_f64 v[1:2], v[1:2], v[93:94], -v[96:97]
	v_fma_f64 v[3:4], v[3:4], v[93:94], v[91:92]
.LBB105_302:
	s_and_saveexec_b32 s8, s4
	s_cbranch_execz .LBB105_306
; %bb.303:
	v_add_nc_u32_e32 v91, -4, v0
	s_movk_i32 s51, 0x2e0
	s_mov_b32 s4, 0
	s_mov_b32 s52, s46
	.p2align	6
.LBB105_304:                            ; =>This Inner Loop Header: Depth=1
	v_mov_b32_e32 v94, s52
	v_add_nc_u32_e32 v91, -1, v91
	s_add_i32 s52, s52, 16
	s_clause 0x3
	buffer_load_dword v92, v94, s[0:3], 0 offen offset:8
	buffer_load_dword v93, v94, s[0:3], 0 offen offset:12
	buffer_load_dword v100, v94, s[0:3], 0 offen
	buffer_load_dword v101, v94, s[0:3], 0 offen offset:4
	v_mov_b32_e32 v94, s51
	v_cmp_eq_u32_e32 vcc_lo, 0, v91
	s_add_i32 s51, s51, 16
	ds_read_b128 v[96:99], v94
	s_or_b32 s4, vcc_lo, s4
	s_waitcnt vmcnt(2) lgkmcnt(0)
	v_mul_f64 v[102:103], v[98:99], v[92:93]
	v_mul_f64 v[92:93], v[96:97], v[92:93]
	s_waitcnt vmcnt(0)
	v_fma_f64 v[96:97], v[96:97], v[100:101], -v[102:103]
	v_fma_f64 v[92:93], v[98:99], v[100:101], v[92:93]
	v_add_f64 v[1:2], v[1:2], v[96:97]
	v_add_f64 v[3:4], v[3:4], v[92:93]
	s_andn2_b32 exec_lo, exec_lo, s4
	s_cbranch_execnz .LBB105_304
; %bb.305:
	s_or_b32 exec_lo, exec_lo, s4
.LBB105_306:
	s_or_b32 exec_lo, exec_lo, s8
	v_mov_b32_e32 v91, 0
	ds_read_b128 v[91:94], v91 offset:48
	s_waitcnt lgkmcnt(0)
	v_mul_f64 v[96:97], v[3:4], v[93:94]
	v_mul_f64 v[93:94], v[1:2], v[93:94]
	v_fma_f64 v[1:2], v[1:2], v[91:92], -v[96:97]
	v_fma_f64 v[3:4], v[3:4], v[91:92], v[93:94]
	buffer_store_dword v2, off, s[0:3], 0 offset:52
	buffer_store_dword v1, off, s[0:3], 0 offset:48
	;; [unrolled: 1-line block ×4, first 2 shown]
.LBB105_307:
	s_or_b32 exec_lo, exec_lo, s6
	v_mov_b32_e32 v4, s48
	v_cmp_lt_u32_e64 s6, 2, v0
	s_clause 0x3
	buffer_load_dword v1, v4, s[0:3], 0 offen
	buffer_load_dword v2, v4, s[0:3], 0 offen offset:4
	buffer_load_dword v3, v4, s[0:3], 0 offen offset:8
	;; [unrolled: 1-line block ×3, first 2 shown]
	s_waitcnt vmcnt(0)
	ds_write_b128 v90, v[1:4]
	s_waitcnt lgkmcnt(0)
	s_waitcnt_vscnt null, 0x0
	s_barrier
	buffer_gl0_inv
	s_and_saveexec_b32 s4, s6
	s_cbranch_execz .LBB105_315
; %bb.308:
	ds_read_b128 v[1:4], v90
	s_andn2_b32 vcc_lo, exec_lo, s50
	s_cbranch_vccnz .LBB105_310
; %bb.309:
	s_clause 0x3
	buffer_load_dword v91, v89, s[0:3], 0 offen offset:8
	buffer_load_dword v92, v89, s[0:3], 0 offen offset:12
	buffer_load_dword v93, v89, s[0:3], 0 offen
	buffer_load_dword v94, v89, s[0:3], 0 offen offset:4
	s_waitcnt vmcnt(2) lgkmcnt(0)
	v_mul_f64 v[96:97], v[3:4], v[91:92]
	v_mul_f64 v[91:92], v[1:2], v[91:92]
	s_waitcnt vmcnt(0)
	v_fma_f64 v[1:2], v[1:2], v[93:94], -v[96:97]
	v_fma_f64 v[3:4], v[3:4], v[93:94], v[91:92]
.LBB105_310:
	s_and_saveexec_b32 s8, s5
	s_cbranch_execz .LBB105_314
; %bb.311:
	v_add_nc_u32_e32 v91, -3, v0
	s_movk_i32 s51, 0x2d0
	s_mov_b32 s5, 0
	s_mov_b32 s52, s47
	.p2align	6
.LBB105_312:                            ; =>This Inner Loop Header: Depth=1
	v_mov_b32_e32 v94, s52
	v_add_nc_u32_e32 v91, -1, v91
	s_add_i32 s52, s52, 16
	s_clause 0x3
	buffer_load_dword v92, v94, s[0:3], 0 offen offset:8
	buffer_load_dword v93, v94, s[0:3], 0 offen offset:12
	buffer_load_dword v100, v94, s[0:3], 0 offen
	buffer_load_dword v101, v94, s[0:3], 0 offen offset:4
	v_mov_b32_e32 v94, s51
	v_cmp_eq_u32_e32 vcc_lo, 0, v91
	s_add_i32 s51, s51, 16
	ds_read_b128 v[96:99], v94
	s_or_b32 s5, vcc_lo, s5
	s_waitcnt vmcnt(2) lgkmcnt(0)
	v_mul_f64 v[102:103], v[98:99], v[92:93]
	v_mul_f64 v[92:93], v[96:97], v[92:93]
	s_waitcnt vmcnt(0)
	v_fma_f64 v[96:97], v[96:97], v[100:101], -v[102:103]
	v_fma_f64 v[92:93], v[98:99], v[100:101], v[92:93]
	v_add_f64 v[1:2], v[1:2], v[96:97]
	v_add_f64 v[3:4], v[3:4], v[92:93]
	s_andn2_b32 exec_lo, exec_lo, s5
	s_cbranch_execnz .LBB105_312
; %bb.313:
	s_or_b32 exec_lo, exec_lo, s5
.LBB105_314:
	s_or_b32 exec_lo, exec_lo, s8
	v_mov_b32_e32 v91, 0
	ds_read_b128 v[91:94], v91 offset:32
	s_waitcnt lgkmcnt(0)
	v_mul_f64 v[96:97], v[3:4], v[93:94]
	v_mul_f64 v[93:94], v[1:2], v[93:94]
	v_fma_f64 v[1:2], v[1:2], v[91:92], -v[96:97]
	v_fma_f64 v[3:4], v[3:4], v[91:92], v[93:94]
	buffer_store_dword v2, off, s[0:3], 0 offset:36
	buffer_store_dword v1, off, s[0:3], 0 offset:32
	;; [unrolled: 1-line block ×4, first 2 shown]
.LBB105_315:
	s_or_b32 exec_lo, exec_lo, s4
	v_mov_b32_e32 v4, s49
	v_cmp_lt_u32_e64 s4, 1, v0
	s_clause 0x3
	buffer_load_dword v1, v4, s[0:3], 0 offen
	buffer_load_dword v2, v4, s[0:3], 0 offen offset:4
	buffer_load_dword v3, v4, s[0:3], 0 offen offset:8
	;; [unrolled: 1-line block ×3, first 2 shown]
	s_waitcnt vmcnt(0)
	ds_write_b128 v90, v[1:4]
	s_waitcnt lgkmcnt(0)
	s_waitcnt_vscnt null, 0x0
	s_barrier
	buffer_gl0_inv
	s_and_saveexec_b32 s5, s4
	s_cbranch_execz .LBB105_323
; %bb.316:
	ds_read_b128 v[1:4], v90
	s_andn2_b32 vcc_lo, exec_lo, s50
	s_cbranch_vccnz .LBB105_318
; %bb.317:
	s_clause 0x3
	buffer_load_dword v91, v89, s[0:3], 0 offen offset:8
	buffer_load_dword v92, v89, s[0:3], 0 offen offset:12
	buffer_load_dword v93, v89, s[0:3], 0 offen
	buffer_load_dword v94, v89, s[0:3], 0 offen offset:4
	s_waitcnt vmcnt(2) lgkmcnt(0)
	v_mul_f64 v[96:97], v[3:4], v[91:92]
	v_mul_f64 v[91:92], v[1:2], v[91:92]
	s_waitcnt vmcnt(0)
	v_fma_f64 v[1:2], v[1:2], v[93:94], -v[96:97]
	v_fma_f64 v[3:4], v[3:4], v[93:94], v[91:92]
.LBB105_318:
	s_and_saveexec_b32 s8, s6
	s_cbranch_execz .LBB105_322
; %bb.319:
	v_add_nc_u32_e32 v91, -2, v0
	s_movk_i32 s51, 0x2c0
	s_mov_b32 s6, 0
	s_mov_b32 s52, s48
	.p2align	6
.LBB105_320:                            ; =>This Inner Loop Header: Depth=1
	v_mov_b32_e32 v94, s52
	v_add_nc_u32_e32 v91, -1, v91
	s_add_i32 s52, s52, 16
	s_clause 0x3
	buffer_load_dword v92, v94, s[0:3], 0 offen offset:8
	buffer_load_dword v93, v94, s[0:3], 0 offen offset:12
	buffer_load_dword v100, v94, s[0:3], 0 offen
	buffer_load_dword v101, v94, s[0:3], 0 offen offset:4
	v_mov_b32_e32 v94, s51
	v_cmp_eq_u32_e32 vcc_lo, 0, v91
	s_add_i32 s51, s51, 16
	ds_read_b128 v[96:99], v94
	s_or_b32 s6, vcc_lo, s6
	s_waitcnt vmcnt(2) lgkmcnt(0)
	v_mul_f64 v[102:103], v[98:99], v[92:93]
	v_mul_f64 v[92:93], v[96:97], v[92:93]
	s_waitcnt vmcnt(0)
	v_fma_f64 v[96:97], v[96:97], v[100:101], -v[102:103]
	v_fma_f64 v[92:93], v[98:99], v[100:101], v[92:93]
	v_add_f64 v[1:2], v[1:2], v[96:97]
	v_add_f64 v[3:4], v[3:4], v[92:93]
	s_andn2_b32 exec_lo, exec_lo, s6
	s_cbranch_execnz .LBB105_320
; %bb.321:
	s_or_b32 exec_lo, exec_lo, s6
.LBB105_322:
	s_or_b32 exec_lo, exec_lo, s8
	v_mov_b32_e32 v91, 0
	ds_read_b128 v[91:94], v91 offset:16
	s_waitcnt lgkmcnt(0)
	v_mul_f64 v[96:97], v[3:4], v[93:94]
	v_mul_f64 v[93:94], v[1:2], v[93:94]
	v_fma_f64 v[1:2], v[1:2], v[91:92], -v[96:97]
	v_fma_f64 v[3:4], v[3:4], v[91:92], v[93:94]
	buffer_store_dword v2, off, s[0:3], 0 offset:20
	buffer_store_dword v1, off, s[0:3], 0 offset:16
	buffer_store_dword v4, off, s[0:3], 0 offset:28
	buffer_store_dword v3, off, s[0:3], 0 offset:24
.LBB105_323:
	s_or_b32 exec_lo, exec_lo, s5
	s_clause 0x3
	buffer_load_dword v1, off, s[0:3], 0
	buffer_load_dword v2, off, s[0:3], 0 offset:4
	buffer_load_dword v3, off, s[0:3], 0 offset:8
	;; [unrolled: 1-line block ×3, first 2 shown]
	s_mov_b32 s6, 0
	s_mov_b32 s5, 0
	s_mov_b32 s8, exec_lo
                                        ; implicit-def: $sgpr51
	s_waitcnt vmcnt(0)
	ds_write_b128 v90, v[1:4]
	s_waitcnt lgkmcnt(0)
	s_waitcnt_vscnt null, 0x0
	s_barrier
	buffer_gl0_inv
                                        ; implicit-def: $vgpr1_vgpr2
	v_cmpx_ne_u32_e32 0, v0
	s_cbranch_execz .LBB105_331
; %bb.324:
	ds_read_b128 v[1:4], v90
	s_andn2_b32 vcc_lo, exec_lo, s50
	s_cbranch_vccnz .LBB105_326
; %bb.325:
	s_clause 0x3
	buffer_load_dword v91, v89, s[0:3], 0 offen offset:8
	buffer_load_dword v92, v89, s[0:3], 0 offen offset:12
	buffer_load_dword v93, v89, s[0:3], 0 offen
	buffer_load_dword v94, v89, s[0:3], 0 offen offset:4
	s_waitcnt vmcnt(2) lgkmcnt(0)
	v_mul_f64 v[96:97], v[3:4], v[91:92]
	v_mul_f64 v[91:92], v[1:2], v[91:92]
	s_waitcnt vmcnt(0)
	v_fma_f64 v[1:2], v[1:2], v[93:94], -v[96:97]
	v_fma_f64 v[3:4], v[3:4], v[93:94], v[91:92]
.LBB105_326:
	s_and_saveexec_b32 s5, s4
	s_cbranch_execz .LBB105_330
; %bb.327:
	v_add_nc_u32_e32 v91, -1, v0
	s_movk_i32 s51, 0x2b0
	s_mov_b32 s4, 0
	s_mov_b32 s52, s49
	.p2align	6
.LBB105_328:                            ; =>This Inner Loop Header: Depth=1
	v_mov_b32_e32 v94, s52
	v_add_nc_u32_e32 v91, -1, v91
	s_add_i32 s52, s52, 16
	s_clause 0x3
	buffer_load_dword v92, v94, s[0:3], 0 offen offset:8
	buffer_load_dword v93, v94, s[0:3], 0 offen offset:12
	buffer_load_dword v100, v94, s[0:3], 0 offen
	buffer_load_dword v101, v94, s[0:3], 0 offen offset:4
	v_mov_b32_e32 v94, s51
	v_cmp_eq_u32_e32 vcc_lo, 0, v91
	s_add_i32 s51, s51, 16
	ds_read_b128 v[96:99], v94
	s_or_b32 s4, vcc_lo, s4
	s_waitcnt vmcnt(2) lgkmcnt(0)
	v_mul_f64 v[102:103], v[98:99], v[92:93]
	v_mul_f64 v[92:93], v[96:97], v[92:93]
	s_waitcnt vmcnt(0)
	v_fma_f64 v[96:97], v[96:97], v[100:101], -v[102:103]
	v_fma_f64 v[92:93], v[98:99], v[100:101], v[92:93]
	v_add_f64 v[1:2], v[1:2], v[96:97]
	v_add_f64 v[3:4], v[3:4], v[92:93]
	s_andn2_b32 exec_lo, exec_lo, s4
	s_cbranch_execnz .LBB105_328
; %bb.329:
	s_or_b32 exec_lo, exec_lo, s4
.LBB105_330:
	s_or_b32 exec_lo, exec_lo, s5
	v_mov_b32_e32 v91, 0
	s_mov_b32 s5, exec_lo
	s_or_b32 s51, 0, 8
	ds_read_b128 v[91:94], v91
	s_waitcnt lgkmcnt(0)
	v_mul_f64 v[96:97], v[3:4], v[93:94]
	v_mul_f64 v[93:94], v[1:2], v[93:94]
	v_fma_f64 v[96:97], v[1:2], v[91:92], -v[96:97]
	v_fma_f64 v[1:2], v[3:4], v[91:92], v[93:94]
	buffer_store_dword v97, off, s[0:3], 0 offset:4
	buffer_store_dword v96, off, s[0:3], 0
.LBB105_331:
	s_or_b32 exec_lo, exec_lo, s8
	s_and_b32 vcc_lo, exec_lo, s6
	s_cbranch_vccnz .LBB105_333
	s_branch .LBB105_656
.LBB105_332:
	s_mov_b32 s5, 0
                                        ; implicit-def: $vgpr1_vgpr2
                                        ; implicit-def: $sgpr51
	s_cbranch_execz .LBB105_656
.LBB105_333:
	v_mov_b32_e32 v4, s49
	v_cmp_eq_u32_e64 s4, 0, v0
	v_cndmask_b32_e64 v91, 0, 1, s50
	s_clause 0x3
	buffer_load_dword v1, v4, s[0:3], 0 offen
	buffer_load_dword v2, v4, s[0:3], 0 offen offset:4
	buffer_load_dword v3, v4, s[0:3], 0 offen offset:8
	;; [unrolled: 1-line block ×3, first 2 shown]
	s_waitcnt vmcnt(0)
	ds_write_b128 v90, v[1:4]
	s_waitcnt lgkmcnt(0)
	s_waitcnt_vscnt null, 0x0
	s_barrier
	buffer_gl0_inv
	s_and_saveexec_b32 s6, s4
	s_cbranch_execz .LBB105_337
; %bb.334:
	ds_read_b128 v[1:4], v90
	s_andn2_b32 vcc_lo, exec_lo, s50
	s_cbranch_vccnz .LBB105_336
; %bb.335:
	s_clause 0x3
	buffer_load_dword v92, v89, s[0:3], 0 offen offset:8
	buffer_load_dword v93, v89, s[0:3], 0 offen offset:12
	buffer_load_dword v96, v89, s[0:3], 0 offen
	buffer_load_dword v97, v89, s[0:3], 0 offen offset:4
	s_waitcnt vmcnt(2) lgkmcnt(0)
	v_mul_f64 v[98:99], v[3:4], v[92:93]
	v_mul_f64 v[92:93], v[1:2], v[92:93]
	s_waitcnt vmcnt(0)
	v_fma_f64 v[1:2], v[1:2], v[96:97], -v[98:99]
	v_fma_f64 v[3:4], v[3:4], v[96:97], v[92:93]
.LBB105_336:
	v_mov_b32_e32 v92, 0
	ds_read_b128 v[96:99], v92 offset:16
	s_waitcnt lgkmcnt(0)
	v_mul_f64 v[92:93], v[3:4], v[98:99]
	v_mul_f64 v[98:99], v[1:2], v[98:99]
	v_fma_f64 v[1:2], v[1:2], v[96:97], -v[92:93]
	v_fma_f64 v[3:4], v[3:4], v[96:97], v[98:99]
	buffer_store_dword v2, off, s[0:3], 0 offset:20
	buffer_store_dword v1, off, s[0:3], 0 offset:16
	;; [unrolled: 1-line block ×4, first 2 shown]
.LBB105_337:
	s_or_b32 exec_lo, exec_lo, s6
	v_mov_b32_e32 v4, s48
	s_mov_b32 s6, exec_lo
	s_clause 0x3
	buffer_load_dword v1, v4, s[0:3], 0 offen
	buffer_load_dword v2, v4, s[0:3], 0 offen offset:4
	buffer_load_dword v3, v4, s[0:3], 0 offen offset:8
	;; [unrolled: 1-line block ×3, first 2 shown]
	s_waitcnt vmcnt(0)
	ds_write_b128 v90, v[1:4]
	s_waitcnt lgkmcnt(0)
	s_waitcnt_vscnt null, 0x0
	s_barrier
	buffer_gl0_inv
	v_cmpx_gt_u32_e32 2, v0
	s_cbranch_execz .LBB105_343
; %bb.338:
	ds_read_b128 v[1:4], v90
	v_cmp_ne_u32_e32 vcc_lo, 1, v91
	s_cbranch_vccnz .LBB105_340
; %bb.339:
	s_clause 0x3
	buffer_load_dword v92, v89, s[0:3], 0 offen offset:8
	buffer_load_dword v93, v89, s[0:3], 0 offen offset:12
	buffer_load_dword v96, v89, s[0:3], 0 offen
	buffer_load_dword v97, v89, s[0:3], 0 offen offset:4
	s_waitcnt vmcnt(2) lgkmcnt(0)
	v_mul_f64 v[98:99], v[3:4], v[92:93]
	v_mul_f64 v[92:93], v[1:2], v[92:93]
	s_waitcnt vmcnt(0)
	v_fma_f64 v[1:2], v[1:2], v[96:97], -v[98:99]
	v_fma_f64 v[3:4], v[3:4], v[96:97], v[92:93]
.LBB105_340:
	s_and_saveexec_b32 s8, s4
	s_cbranch_execz .LBB105_342
; %bb.341:
	s_clause 0x3
	buffer_load_dword v92, off, s[0:3], 0 offset:24
	buffer_load_dword v93, off, s[0:3], 0 offset:28
	;; [unrolled: 1-line block ×4, first 2 shown]
	v_mov_b32_e32 v94, 0
	ds_read_b128 v[96:99], v94 offset:688
	s_waitcnt vmcnt(2) lgkmcnt(0)
	v_mul_f64 v[102:103], v[98:99], v[92:93]
	v_mul_f64 v[92:93], v[96:97], v[92:93]
	s_waitcnt vmcnt(0)
	v_fma_f64 v[96:97], v[96:97], v[100:101], -v[102:103]
	v_fma_f64 v[92:93], v[98:99], v[100:101], v[92:93]
	v_add_f64 v[1:2], v[1:2], v[96:97]
	v_add_f64 v[3:4], v[3:4], v[92:93]
.LBB105_342:
	s_or_b32 exec_lo, exec_lo, s8
	v_mov_b32_e32 v92, 0
	ds_read_b128 v[96:99], v92 offset:32
	s_waitcnt lgkmcnt(0)
	v_mul_f64 v[92:93], v[3:4], v[98:99]
	v_mul_f64 v[98:99], v[1:2], v[98:99]
	v_fma_f64 v[1:2], v[1:2], v[96:97], -v[92:93]
	v_fma_f64 v[3:4], v[3:4], v[96:97], v[98:99]
	buffer_store_dword v2, off, s[0:3], 0 offset:36
	buffer_store_dword v1, off, s[0:3], 0 offset:32
	;; [unrolled: 1-line block ×4, first 2 shown]
.LBB105_343:
	s_or_b32 exec_lo, exec_lo, s6
	v_mov_b32_e32 v4, s47
	s_mov_b32 s6, exec_lo
	s_clause 0x3
	buffer_load_dword v1, v4, s[0:3], 0 offen
	buffer_load_dword v2, v4, s[0:3], 0 offen offset:4
	buffer_load_dword v3, v4, s[0:3], 0 offen offset:8
	;; [unrolled: 1-line block ×3, first 2 shown]
	s_waitcnt vmcnt(0)
	ds_write_b128 v90, v[1:4]
	s_waitcnt lgkmcnt(0)
	s_waitcnt_vscnt null, 0x0
	s_barrier
	buffer_gl0_inv
	v_cmpx_gt_u32_e32 3, v0
	s_cbranch_execz .LBB105_351
; %bb.344:
	ds_read_b128 v[1:4], v90
	v_cmp_ne_u32_e32 vcc_lo, 1, v91
	s_cbranch_vccnz .LBB105_346
; %bb.345:
	s_clause 0x3
	buffer_load_dword v92, v89, s[0:3], 0 offen offset:8
	buffer_load_dword v93, v89, s[0:3], 0 offen offset:12
	buffer_load_dword v96, v89, s[0:3], 0 offen
	buffer_load_dword v97, v89, s[0:3], 0 offen offset:4
	s_waitcnt vmcnt(2) lgkmcnt(0)
	v_mul_f64 v[98:99], v[3:4], v[92:93]
	v_mul_f64 v[92:93], v[1:2], v[92:93]
	s_waitcnt vmcnt(0)
	v_fma_f64 v[1:2], v[1:2], v[96:97], -v[98:99]
	v_fma_f64 v[3:4], v[3:4], v[96:97], v[92:93]
.LBB105_346:
	s_mov_b32 s8, exec_lo
	v_cmpx_ne_u32_e32 2, v0
	s_cbranch_execz .LBB105_350
; %bb.347:
	s_clause 0x3
	buffer_load_dword v92, v89, s[0:3], 0 offen offset:24
	buffer_load_dword v93, v89, s[0:3], 0 offen offset:28
	buffer_load_dword v100, v89, s[0:3], 0 offen offset:16
	buffer_load_dword v101, v89, s[0:3], 0 offen offset:20
	ds_read_b128 v[96:99], v90 offset:16
	s_waitcnt vmcnt(2) lgkmcnt(0)
	v_mul_f64 v[102:103], v[98:99], v[92:93]
	v_mul_f64 v[92:93], v[96:97], v[92:93]
	s_waitcnt vmcnt(0)
	v_fma_f64 v[96:97], v[96:97], v[100:101], -v[102:103]
	v_fma_f64 v[92:93], v[98:99], v[100:101], v[92:93]
	v_add_f64 v[1:2], v[1:2], v[96:97]
	v_add_f64 v[3:4], v[3:4], v[92:93]
	s_and_saveexec_b32 s50, s4
	s_cbranch_execz .LBB105_349
; %bb.348:
	s_clause 0x3
	buffer_load_dword v92, off, s[0:3], 0 offset:40
	buffer_load_dword v93, off, s[0:3], 0 offset:44
	;; [unrolled: 1-line block ×4, first 2 shown]
	v_mov_b32_e32 v94, 0
	ds_read_b128 v[96:99], v94 offset:704
	s_waitcnt vmcnt(2) lgkmcnt(0)
	v_mul_f64 v[102:103], v[96:97], v[92:93]
	v_mul_f64 v[92:93], v[98:99], v[92:93]
	s_waitcnt vmcnt(0)
	v_fma_f64 v[98:99], v[98:99], v[100:101], v[102:103]
	v_fma_f64 v[92:93], v[96:97], v[100:101], -v[92:93]
	v_add_f64 v[3:4], v[3:4], v[98:99]
	v_add_f64 v[1:2], v[1:2], v[92:93]
.LBB105_349:
	s_or_b32 exec_lo, exec_lo, s50
.LBB105_350:
	s_or_b32 exec_lo, exec_lo, s8
	v_mov_b32_e32 v92, 0
	ds_read_b128 v[96:99], v92 offset:48
	s_waitcnt lgkmcnt(0)
	v_mul_f64 v[92:93], v[3:4], v[98:99]
	v_mul_f64 v[98:99], v[1:2], v[98:99]
	v_fma_f64 v[1:2], v[1:2], v[96:97], -v[92:93]
	v_fma_f64 v[3:4], v[3:4], v[96:97], v[98:99]
	buffer_store_dword v2, off, s[0:3], 0 offset:52
	buffer_store_dword v1, off, s[0:3], 0 offset:48
	;; [unrolled: 1-line block ×4, first 2 shown]
.LBB105_351:
	s_or_b32 exec_lo, exec_lo, s6
	v_mov_b32_e32 v4, s46
	s_mov_b32 s4, exec_lo
	s_clause 0x3
	buffer_load_dword v1, v4, s[0:3], 0 offen
	buffer_load_dword v2, v4, s[0:3], 0 offen offset:4
	buffer_load_dword v3, v4, s[0:3], 0 offen offset:8
	;; [unrolled: 1-line block ×3, first 2 shown]
	s_waitcnt vmcnt(0)
	ds_write_b128 v90, v[1:4]
	s_waitcnt lgkmcnt(0)
	s_waitcnt_vscnt null, 0x0
	s_barrier
	buffer_gl0_inv
	v_cmpx_gt_u32_e32 4, v0
	s_cbranch_execz .LBB105_359
; %bb.352:
	ds_read_b128 v[1:4], v90
	v_cmp_ne_u32_e32 vcc_lo, 1, v91
	s_cbranch_vccnz .LBB105_354
; %bb.353:
	s_clause 0x3
	buffer_load_dword v92, v89, s[0:3], 0 offen offset:8
	buffer_load_dword v93, v89, s[0:3], 0 offen offset:12
	buffer_load_dword v96, v89, s[0:3], 0 offen
	buffer_load_dword v97, v89, s[0:3], 0 offen offset:4
	s_waitcnt vmcnt(2) lgkmcnt(0)
	v_mul_f64 v[98:99], v[3:4], v[92:93]
	v_mul_f64 v[92:93], v[1:2], v[92:93]
	s_waitcnt vmcnt(0)
	v_fma_f64 v[1:2], v[1:2], v[96:97], -v[98:99]
	v_fma_f64 v[3:4], v[3:4], v[96:97], v[92:93]
.LBB105_354:
	s_mov_b32 s6, exec_lo
	v_cmpx_ne_u32_e32 3, v0
	s_cbranch_execz .LBB105_358
; %bb.355:
	v_add_nc_u32_e32 v92, 0x2b0, v95
	v_add3_u32 v93, 0, v95, 16
	v_mov_b32_e32 v94, v0
	s_mov_b32 s8, 0
	.p2align	6
.LBB105_356:                            ; =>This Inner Loop Header: Depth=1
	s_clause 0x3
	buffer_load_dword v100, v93, s[0:3], 0 offen offset:8
	buffer_load_dword v101, v93, s[0:3], 0 offen offset:12
	buffer_load_dword v102, v93, s[0:3], 0 offen
	buffer_load_dword v103, v93, s[0:3], 0 offen offset:4
	ds_read_b128 v[96:99], v92
	v_add_nc_u32_e32 v94, 1, v94
	v_add_nc_u32_e32 v92, 16, v92
	;; [unrolled: 1-line block ×3, first 2 shown]
	v_cmp_lt_u32_e32 vcc_lo, 2, v94
	s_or_b32 s8, vcc_lo, s8
	s_waitcnt vmcnt(2) lgkmcnt(0)
	v_mul_f64 v[104:105], v[98:99], v[100:101]
	v_mul_f64 v[100:101], v[96:97], v[100:101]
	s_waitcnt vmcnt(0)
	v_fma_f64 v[96:97], v[96:97], v[102:103], -v[104:105]
	v_fma_f64 v[98:99], v[98:99], v[102:103], v[100:101]
	v_add_f64 v[1:2], v[1:2], v[96:97]
	v_add_f64 v[3:4], v[3:4], v[98:99]
	s_andn2_b32 exec_lo, exec_lo, s8
	s_cbranch_execnz .LBB105_356
; %bb.357:
	s_or_b32 exec_lo, exec_lo, s8
.LBB105_358:
	s_or_b32 exec_lo, exec_lo, s6
	v_mov_b32_e32 v92, 0
	ds_read_b128 v[96:99], v92 offset:64
	s_waitcnt lgkmcnt(0)
	v_mul_f64 v[92:93], v[3:4], v[98:99]
	v_mul_f64 v[98:99], v[1:2], v[98:99]
	v_fma_f64 v[1:2], v[1:2], v[96:97], -v[92:93]
	v_fma_f64 v[3:4], v[3:4], v[96:97], v[98:99]
	buffer_store_dword v2, off, s[0:3], 0 offset:68
	buffer_store_dword v1, off, s[0:3], 0 offset:64
	;; [unrolled: 1-line block ×4, first 2 shown]
.LBB105_359:
	s_or_b32 exec_lo, exec_lo, s4
	v_mov_b32_e32 v4, s45
	s_mov_b32 s4, exec_lo
	s_clause 0x3
	buffer_load_dword v1, v4, s[0:3], 0 offen
	buffer_load_dword v2, v4, s[0:3], 0 offen offset:4
	buffer_load_dword v3, v4, s[0:3], 0 offen offset:8
	;; [unrolled: 1-line block ×3, first 2 shown]
	s_waitcnt vmcnt(0)
	ds_write_b128 v90, v[1:4]
	s_waitcnt lgkmcnt(0)
	s_waitcnt_vscnt null, 0x0
	s_barrier
	buffer_gl0_inv
	v_cmpx_gt_u32_e32 5, v0
	s_cbranch_execz .LBB105_367
; %bb.360:
	ds_read_b128 v[1:4], v90
	v_cmp_ne_u32_e32 vcc_lo, 1, v91
	s_cbranch_vccnz .LBB105_362
; %bb.361:
	s_clause 0x3
	buffer_load_dword v92, v89, s[0:3], 0 offen offset:8
	buffer_load_dword v93, v89, s[0:3], 0 offen offset:12
	buffer_load_dword v96, v89, s[0:3], 0 offen
	buffer_load_dword v97, v89, s[0:3], 0 offen offset:4
	s_waitcnt vmcnt(2) lgkmcnt(0)
	v_mul_f64 v[98:99], v[3:4], v[92:93]
	v_mul_f64 v[92:93], v[1:2], v[92:93]
	s_waitcnt vmcnt(0)
	v_fma_f64 v[1:2], v[1:2], v[96:97], -v[98:99]
	v_fma_f64 v[3:4], v[3:4], v[96:97], v[92:93]
.LBB105_362:
	s_mov_b32 s6, exec_lo
	v_cmpx_ne_u32_e32 4, v0
	s_cbranch_execz .LBB105_366
; %bb.363:
	v_add_nc_u32_e32 v92, 0x2b0, v95
	v_add3_u32 v93, 0, v95, 16
	v_mov_b32_e32 v94, v0
	s_mov_b32 s8, 0
	.p2align	6
.LBB105_364:                            ; =>This Inner Loop Header: Depth=1
	s_clause 0x3
	buffer_load_dword v100, v93, s[0:3], 0 offen offset:8
	buffer_load_dword v101, v93, s[0:3], 0 offen offset:12
	buffer_load_dword v102, v93, s[0:3], 0 offen
	buffer_load_dword v103, v93, s[0:3], 0 offen offset:4
	ds_read_b128 v[96:99], v92
	v_add_nc_u32_e32 v94, 1, v94
	v_add_nc_u32_e32 v92, 16, v92
	;; [unrolled: 1-line block ×3, first 2 shown]
	v_cmp_lt_u32_e32 vcc_lo, 3, v94
	s_or_b32 s8, vcc_lo, s8
	s_waitcnt vmcnt(2) lgkmcnt(0)
	v_mul_f64 v[104:105], v[98:99], v[100:101]
	v_mul_f64 v[100:101], v[96:97], v[100:101]
	s_waitcnt vmcnt(0)
	v_fma_f64 v[96:97], v[96:97], v[102:103], -v[104:105]
	v_fma_f64 v[98:99], v[98:99], v[102:103], v[100:101]
	v_add_f64 v[1:2], v[1:2], v[96:97]
	v_add_f64 v[3:4], v[3:4], v[98:99]
	s_andn2_b32 exec_lo, exec_lo, s8
	s_cbranch_execnz .LBB105_364
; %bb.365:
	s_or_b32 exec_lo, exec_lo, s8
.LBB105_366:
	s_or_b32 exec_lo, exec_lo, s6
	v_mov_b32_e32 v92, 0
	ds_read_b128 v[96:99], v92 offset:80
	s_waitcnt lgkmcnt(0)
	v_mul_f64 v[92:93], v[3:4], v[98:99]
	v_mul_f64 v[98:99], v[1:2], v[98:99]
	v_fma_f64 v[1:2], v[1:2], v[96:97], -v[92:93]
	v_fma_f64 v[3:4], v[3:4], v[96:97], v[98:99]
	buffer_store_dword v2, off, s[0:3], 0 offset:84
	buffer_store_dword v1, off, s[0:3], 0 offset:80
	;; [unrolled: 1-line block ×4, first 2 shown]
.LBB105_367:
	s_or_b32 exec_lo, exec_lo, s4
	v_mov_b32_e32 v4, s44
	s_mov_b32 s4, exec_lo
	s_clause 0x3
	buffer_load_dword v1, v4, s[0:3], 0 offen
	buffer_load_dword v2, v4, s[0:3], 0 offen offset:4
	buffer_load_dword v3, v4, s[0:3], 0 offen offset:8
	;; [unrolled: 1-line block ×3, first 2 shown]
	s_waitcnt vmcnt(0)
	ds_write_b128 v90, v[1:4]
	s_waitcnt lgkmcnt(0)
	s_waitcnt_vscnt null, 0x0
	s_barrier
	buffer_gl0_inv
	v_cmpx_gt_u32_e32 6, v0
	s_cbranch_execz .LBB105_375
; %bb.368:
	ds_read_b128 v[1:4], v90
	v_cmp_ne_u32_e32 vcc_lo, 1, v91
	s_cbranch_vccnz .LBB105_370
; %bb.369:
	s_clause 0x3
	buffer_load_dword v92, v89, s[0:3], 0 offen offset:8
	buffer_load_dword v93, v89, s[0:3], 0 offen offset:12
	buffer_load_dword v96, v89, s[0:3], 0 offen
	buffer_load_dword v97, v89, s[0:3], 0 offen offset:4
	s_waitcnt vmcnt(2) lgkmcnt(0)
	v_mul_f64 v[98:99], v[3:4], v[92:93]
	v_mul_f64 v[92:93], v[1:2], v[92:93]
	s_waitcnt vmcnt(0)
	v_fma_f64 v[1:2], v[1:2], v[96:97], -v[98:99]
	v_fma_f64 v[3:4], v[3:4], v[96:97], v[92:93]
.LBB105_370:
	s_mov_b32 s6, exec_lo
	v_cmpx_ne_u32_e32 5, v0
	s_cbranch_execz .LBB105_374
; %bb.371:
	v_add_nc_u32_e32 v92, 0x2b0, v95
	v_add3_u32 v93, 0, v95, 16
	v_mov_b32_e32 v94, v0
	s_mov_b32 s8, 0
	.p2align	6
.LBB105_372:                            ; =>This Inner Loop Header: Depth=1
	s_clause 0x3
	buffer_load_dword v100, v93, s[0:3], 0 offen offset:8
	buffer_load_dword v101, v93, s[0:3], 0 offen offset:12
	buffer_load_dword v102, v93, s[0:3], 0 offen
	buffer_load_dword v103, v93, s[0:3], 0 offen offset:4
	ds_read_b128 v[96:99], v92
	v_add_nc_u32_e32 v94, 1, v94
	v_add_nc_u32_e32 v92, 16, v92
	;; [unrolled: 1-line block ×3, first 2 shown]
	v_cmp_lt_u32_e32 vcc_lo, 4, v94
	s_or_b32 s8, vcc_lo, s8
	s_waitcnt vmcnt(2) lgkmcnt(0)
	v_mul_f64 v[104:105], v[98:99], v[100:101]
	v_mul_f64 v[100:101], v[96:97], v[100:101]
	s_waitcnt vmcnt(0)
	v_fma_f64 v[96:97], v[96:97], v[102:103], -v[104:105]
	v_fma_f64 v[98:99], v[98:99], v[102:103], v[100:101]
	v_add_f64 v[1:2], v[1:2], v[96:97]
	v_add_f64 v[3:4], v[3:4], v[98:99]
	s_andn2_b32 exec_lo, exec_lo, s8
	s_cbranch_execnz .LBB105_372
; %bb.373:
	s_or_b32 exec_lo, exec_lo, s8
.LBB105_374:
	s_or_b32 exec_lo, exec_lo, s6
	v_mov_b32_e32 v92, 0
	ds_read_b128 v[96:99], v92 offset:96
	s_waitcnt lgkmcnt(0)
	v_mul_f64 v[92:93], v[3:4], v[98:99]
	v_mul_f64 v[98:99], v[1:2], v[98:99]
	v_fma_f64 v[1:2], v[1:2], v[96:97], -v[92:93]
	v_fma_f64 v[3:4], v[3:4], v[96:97], v[98:99]
	buffer_store_dword v2, off, s[0:3], 0 offset:100
	buffer_store_dword v1, off, s[0:3], 0 offset:96
	;; [unrolled: 1-line block ×4, first 2 shown]
.LBB105_375:
	s_or_b32 exec_lo, exec_lo, s4
	v_mov_b32_e32 v4, s43
	s_mov_b32 s4, exec_lo
	s_clause 0x3
	buffer_load_dword v1, v4, s[0:3], 0 offen
	buffer_load_dword v2, v4, s[0:3], 0 offen offset:4
	buffer_load_dword v3, v4, s[0:3], 0 offen offset:8
	;; [unrolled: 1-line block ×3, first 2 shown]
	s_waitcnt vmcnt(0)
	ds_write_b128 v90, v[1:4]
	s_waitcnt lgkmcnt(0)
	s_waitcnt_vscnt null, 0x0
	s_barrier
	buffer_gl0_inv
	v_cmpx_gt_u32_e32 7, v0
	s_cbranch_execz .LBB105_383
; %bb.376:
	ds_read_b128 v[1:4], v90
	v_cmp_ne_u32_e32 vcc_lo, 1, v91
	s_cbranch_vccnz .LBB105_378
; %bb.377:
	s_clause 0x3
	buffer_load_dword v92, v89, s[0:3], 0 offen offset:8
	buffer_load_dword v93, v89, s[0:3], 0 offen offset:12
	buffer_load_dword v96, v89, s[0:3], 0 offen
	buffer_load_dword v97, v89, s[0:3], 0 offen offset:4
	s_waitcnt vmcnt(2) lgkmcnt(0)
	v_mul_f64 v[98:99], v[3:4], v[92:93]
	v_mul_f64 v[92:93], v[1:2], v[92:93]
	s_waitcnt vmcnt(0)
	v_fma_f64 v[1:2], v[1:2], v[96:97], -v[98:99]
	v_fma_f64 v[3:4], v[3:4], v[96:97], v[92:93]
.LBB105_378:
	s_mov_b32 s6, exec_lo
	v_cmpx_ne_u32_e32 6, v0
	s_cbranch_execz .LBB105_382
; %bb.379:
	v_add_nc_u32_e32 v92, 0x2b0, v95
	v_add3_u32 v93, 0, v95, 16
	v_mov_b32_e32 v94, v0
	s_mov_b32 s8, 0
	.p2align	6
.LBB105_380:                            ; =>This Inner Loop Header: Depth=1
	s_clause 0x3
	buffer_load_dword v100, v93, s[0:3], 0 offen offset:8
	buffer_load_dword v101, v93, s[0:3], 0 offen offset:12
	buffer_load_dword v102, v93, s[0:3], 0 offen
	buffer_load_dword v103, v93, s[0:3], 0 offen offset:4
	ds_read_b128 v[96:99], v92
	v_add_nc_u32_e32 v94, 1, v94
	v_add_nc_u32_e32 v92, 16, v92
	;; [unrolled: 1-line block ×3, first 2 shown]
	v_cmp_lt_u32_e32 vcc_lo, 5, v94
	s_or_b32 s8, vcc_lo, s8
	s_waitcnt vmcnt(2) lgkmcnt(0)
	v_mul_f64 v[104:105], v[98:99], v[100:101]
	v_mul_f64 v[100:101], v[96:97], v[100:101]
	s_waitcnt vmcnt(0)
	v_fma_f64 v[96:97], v[96:97], v[102:103], -v[104:105]
	v_fma_f64 v[98:99], v[98:99], v[102:103], v[100:101]
	v_add_f64 v[1:2], v[1:2], v[96:97]
	v_add_f64 v[3:4], v[3:4], v[98:99]
	s_andn2_b32 exec_lo, exec_lo, s8
	s_cbranch_execnz .LBB105_380
; %bb.381:
	s_or_b32 exec_lo, exec_lo, s8
.LBB105_382:
	s_or_b32 exec_lo, exec_lo, s6
	v_mov_b32_e32 v92, 0
	ds_read_b128 v[96:99], v92 offset:112
	s_waitcnt lgkmcnt(0)
	v_mul_f64 v[92:93], v[3:4], v[98:99]
	v_mul_f64 v[98:99], v[1:2], v[98:99]
	v_fma_f64 v[1:2], v[1:2], v[96:97], -v[92:93]
	v_fma_f64 v[3:4], v[3:4], v[96:97], v[98:99]
	buffer_store_dword v2, off, s[0:3], 0 offset:116
	buffer_store_dword v1, off, s[0:3], 0 offset:112
	;; [unrolled: 1-line block ×4, first 2 shown]
.LBB105_383:
	s_or_b32 exec_lo, exec_lo, s4
	v_mov_b32_e32 v4, s42
	s_mov_b32 s4, exec_lo
	s_clause 0x3
	buffer_load_dword v1, v4, s[0:3], 0 offen
	buffer_load_dword v2, v4, s[0:3], 0 offen offset:4
	buffer_load_dword v3, v4, s[0:3], 0 offen offset:8
	;; [unrolled: 1-line block ×3, first 2 shown]
	s_waitcnt vmcnt(0)
	ds_write_b128 v90, v[1:4]
	s_waitcnt lgkmcnt(0)
	s_waitcnt_vscnt null, 0x0
	s_barrier
	buffer_gl0_inv
	v_cmpx_gt_u32_e32 8, v0
	s_cbranch_execz .LBB105_391
; %bb.384:
	ds_read_b128 v[1:4], v90
	v_cmp_ne_u32_e32 vcc_lo, 1, v91
	s_cbranch_vccnz .LBB105_386
; %bb.385:
	s_clause 0x3
	buffer_load_dword v92, v89, s[0:3], 0 offen offset:8
	buffer_load_dword v93, v89, s[0:3], 0 offen offset:12
	buffer_load_dword v96, v89, s[0:3], 0 offen
	buffer_load_dword v97, v89, s[0:3], 0 offen offset:4
	s_waitcnt vmcnt(2) lgkmcnt(0)
	v_mul_f64 v[98:99], v[3:4], v[92:93]
	v_mul_f64 v[92:93], v[1:2], v[92:93]
	s_waitcnt vmcnt(0)
	v_fma_f64 v[1:2], v[1:2], v[96:97], -v[98:99]
	v_fma_f64 v[3:4], v[3:4], v[96:97], v[92:93]
.LBB105_386:
	s_mov_b32 s6, exec_lo
	v_cmpx_ne_u32_e32 7, v0
	s_cbranch_execz .LBB105_390
; %bb.387:
	v_add_nc_u32_e32 v92, 0x2b0, v95
	v_add3_u32 v93, 0, v95, 16
	v_mov_b32_e32 v94, v0
	s_mov_b32 s8, 0
	.p2align	6
.LBB105_388:                            ; =>This Inner Loop Header: Depth=1
	s_clause 0x3
	buffer_load_dword v100, v93, s[0:3], 0 offen offset:8
	buffer_load_dword v101, v93, s[0:3], 0 offen offset:12
	buffer_load_dword v102, v93, s[0:3], 0 offen
	buffer_load_dword v103, v93, s[0:3], 0 offen offset:4
	ds_read_b128 v[96:99], v92
	v_add_nc_u32_e32 v94, 1, v94
	v_add_nc_u32_e32 v92, 16, v92
	;; [unrolled: 1-line block ×3, first 2 shown]
	v_cmp_lt_u32_e32 vcc_lo, 6, v94
	s_or_b32 s8, vcc_lo, s8
	s_waitcnt vmcnt(2) lgkmcnt(0)
	v_mul_f64 v[104:105], v[98:99], v[100:101]
	v_mul_f64 v[100:101], v[96:97], v[100:101]
	s_waitcnt vmcnt(0)
	v_fma_f64 v[96:97], v[96:97], v[102:103], -v[104:105]
	v_fma_f64 v[98:99], v[98:99], v[102:103], v[100:101]
	v_add_f64 v[1:2], v[1:2], v[96:97]
	v_add_f64 v[3:4], v[3:4], v[98:99]
	s_andn2_b32 exec_lo, exec_lo, s8
	s_cbranch_execnz .LBB105_388
; %bb.389:
	s_or_b32 exec_lo, exec_lo, s8
.LBB105_390:
	s_or_b32 exec_lo, exec_lo, s6
	v_mov_b32_e32 v92, 0
	ds_read_b128 v[96:99], v92 offset:128
	s_waitcnt lgkmcnt(0)
	v_mul_f64 v[92:93], v[3:4], v[98:99]
	v_mul_f64 v[98:99], v[1:2], v[98:99]
	v_fma_f64 v[1:2], v[1:2], v[96:97], -v[92:93]
	v_fma_f64 v[3:4], v[3:4], v[96:97], v[98:99]
	buffer_store_dword v2, off, s[0:3], 0 offset:132
	buffer_store_dword v1, off, s[0:3], 0 offset:128
	;; [unrolled: 1-line block ×4, first 2 shown]
.LBB105_391:
	s_or_b32 exec_lo, exec_lo, s4
	v_mov_b32_e32 v4, s41
	s_mov_b32 s4, exec_lo
	s_clause 0x3
	buffer_load_dword v1, v4, s[0:3], 0 offen
	buffer_load_dword v2, v4, s[0:3], 0 offen offset:4
	buffer_load_dword v3, v4, s[0:3], 0 offen offset:8
	;; [unrolled: 1-line block ×3, first 2 shown]
	s_waitcnt vmcnt(0)
	ds_write_b128 v90, v[1:4]
	s_waitcnt lgkmcnt(0)
	s_waitcnt_vscnt null, 0x0
	s_barrier
	buffer_gl0_inv
	v_cmpx_gt_u32_e32 9, v0
	s_cbranch_execz .LBB105_399
; %bb.392:
	ds_read_b128 v[1:4], v90
	v_cmp_ne_u32_e32 vcc_lo, 1, v91
	s_cbranch_vccnz .LBB105_394
; %bb.393:
	s_clause 0x3
	buffer_load_dword v92, v89, s[0:3], 0 offen offset:8
	buffer_load_dword v93, v89, s[0:3], 0 offen offset:12
	buffer_load_dword v96, v89, s[0:3], 0 offen
	buffer_load_dword v97, v89, s[0:3], 0 offen offset:4
	s_waitcnt vmcnt(2) lgkmcnt(0)
	v_mul_f64 v[98:99], v[3:4], v[92:93]
	v_mul_f64 v[92:93], v[1:2], v[92:93]
	s_waitcnt vmcnt(0)
	v_fma_f64 v[1:2], v[1:2], v[96:97], -v[98:99]
	v_fma_f64 v[3:4], v[3:4], v[96:97], v[92:93]
.LBB105_394:
	s_mov_b32 s6, exec_lo
	v_cmpx_ne_u32_e32 8, v0
	s_cbranch_execz .LBB105_398
; %bb.395:
	v_add_nc_u32_e32 v92, 0x2b0, v95
	v_add3_u32 v93, 0, v95, 16
	v_mov_b32_e32 v94, v0
	s_mov_b32 s8, 0
	.p2align	6
.LBB105_396:                            ; =>This Inner Loop Header: Depth=1
	s_clause 0x3
	buffer_load_dword v100, v93, s[0:3], 0 offen offset:8
	buffer_load_dword v101, v93, s[0:3], 0 offen offset:12
	buffer_load_dword v102, v93, s[0:3], 0 offen
	buffer_load_dword v103, v93, s[0:3], 0 offen offset:4
	ds_read_b128 v[96:99], v92
	v_add_nc_u32_e32 v94, 1, v94
	v_add_nc_u32_e32 v92, 16, v92
	;; [unrolled: 1-line block ×3, first 2 shown]
	v_cmp_lt_u32_e32 vcc_lo, 7, v94
	s_or_b32 s8, vcc_lo, s8
	s_waitcnt vmcnt(2) lgkmcnt(0)
	v_mul_f64 v[104:105], v[98:99], v[100:101]
	v_mul_f64 v[100:101], v[96:97], v[100:101]
	s_waitcnt vmcnt(0)
	v_fma_f64 v[96:97], v[96:97], v[102:103], -v[104:105]
	v_fma_f64 v[98:99], v[98:99], v[102:103], v[100:101]
	v_add_f64 v[1:2], v[1:2], v[96:97]
	v_add_f64 v[3:4], v[3:4], v[98:99]
	s_andn2_b32 exec_lo, exec_lo, s8
	s_cbranch_execnz .LBB105_396
; %bb.397:
	s_or_b32 exec_lo, exec_lo, s8
.LBB105_398:
	s_or_b32 exec_lo, exec_lo, s6
	v_mov_b32_e32 v92, 0
	ds_read_b128 v[96:99], v92 offset:144
	s_waitcnt lgkmcnt(0)
	v_mul_f64 v[92:93], v[3:4], v[98:99]
	v_mul_f64 v[98:99], v[1:2], v[98:99]
	v_fma_f64 v[1:2], v[1:2], v[96:97], -v[92:93]
	v_fma_f64 v[3:4], v[3:4], v[96:97], v[98:99]
	buffer_store_dword v2, off, s[0:3], 0 offset:148
	buffer_store_dword v1, off, s[0:3], 0 offset:144
	;; [unrolled: 1-line block ×4, first 2 shown]
.LBB105_399:
	s_or_b32 exec_lo, exec_lo, s4
	v_mov_b32_e32 v4, s40
	s_mov_b32 s4, exec_lo
	s_clause 0x3
	buffer_load_dword v1, v4, s[0:3], 0 offen
	buffer_load_dword v2, v4, s[0:3], 0 offen offset:4
	buffer_load_dword v3, v4, s[0:3], 0 offen offset:8
	;; [unrolled: 1-line block ×3, first 2 shown]
	s_waitcnt vmcnt(0)
	ds_write_b128 v90, v[1:4]
	s_waitcnt lgkmcnt(0)
	s_waitcnt_vscnt null, 0x0
	s_barrier
	buffer_gl0_inv
	v_cmpx_gt_u32_e32 10, v0
	s_cbranch_execz .LBB105_407
; %bb.400:
	ds_read_b128 v[1:4], v90
	v_cmp_ne_u32_e32 vcc_lo, 1, v91
	s_cbranch_vccnz .LBB105_402
; %bb.401:
	s_clause 0x3
	buffer_load_dword v92, v89, s[0:3], 0 offen offset:8
	buffer_load_dword v93, v89, s[0:3], 0 offen offset:12
	buffer_load_dword v96, v89, s[0:3], 0 offen
	buffer_load_dword v97, v89, s[0:3], 0 offen offset:4
	s_waitcnt vmcnt(2) lgkmcnt(0)
	v_mul_f64 v[98:99], v[3:4], v[92:93]
	v_mul_f64 v[92:93], v[1:2], v[92:93]
	s_waitcnt vmcnt(0)
	v_fma_f64 v[1:2], v[1:2], v[96:97], -v[98:99]
	v_fma_f64 v[3:4], v[3:4], v[96:97], v[92:93]
.LBB105_402:
	s_mov_b32 s6, exec_lo
	v_cmpx_ne_u32_e32 9, v0
	s_cbranch_execz .LBB105_406
; %bb.403:
	v_add_nc_u32_e32 v92, 0x2b0, v95
	v_add3_u32 v93, 0, v95, 16
	v_mov_b32_e32 v94, v0
	s_mov_b32 s8, 0
	.p2align	6
.LBB105_404:                            ; =>This Inner Loop Header: Depth=1
	s_clause 0x3
	buffer_load_dword v100, v93, s[0:3], 0 offen offset:8
	buffer_load_dword v101, v93, s[0:3], 0 offen offset:12
	buffer_load_dword v102, v93, s[0:3], 0 offen
	buffer_load_dword v103, v93, s[0:3], 0 offen offset:4
	ds_read_b128 v[96:99], v92
	v_add_nc_u32_e32 v94, 1, v94
	v_add_nc_u32_e32 v92, 16, v92
	;; [unrolled: 1-line block ×3, first 2 shown]
	v_cmp_lt_u32_e32 vcc_lo, 8, v94
	s_or_b32 s8, vcc_lo, s8
	s_waitcnt vmcnt(2) lgkmcnt(0)
	v_mul_f64 v[104:105], v[98:99], v[100:101]
	v_mul_f64 v[100:101], v[96:97], v[100:101]
	s_waitcnt vmcnt(0)
	v_fma_f64 v[96:97], v[96:97], v[102:103], -v[104:105]
	v_fma_f64 v[98:99], v[98:99], v[102:103], v[100:101]
	v_add_f64 v[1:2], v[1:2], v[96:97]
	v_add_f64 v[3:4], v[3:4], v[98:99]
	s_andn2_b32 exec_lo, exec_lo, s8
	s_cbranch_execnz .LBB105_404
; %bb.405:
	s_or_b32 exec_lo, exec_lo, s8
.LBB105_406:
	s_or_b32 exec_lo, exec_lo, s6
	v_mov_b32_e32 v92, 0
	ds_read_b128 v[96:99], v92 offset:160
	s_waitcnt lgkmcnt(0)
	v_mul_f64 v[92:93], v[3:4], v[98:99]
	v_mul_f64 v[98:99], v[1:2], v[98:99]
	v_fma_f64 v[1:2], v[1:2], v[96:97], -v[92:93]
	v_fma_f64 v[3:4], v[3:4], v[96:97], v[98:99]
	buffer_store_dword v2, off, s[0:3], 0 offset:164
	buffer_store_dword v1, off, s[0:3], 0 offset:160
	;; [unrolled: 1-line block ×4, first 2 shown]
.LBB105_407:
	s_or_b32 exec_lo, exec_lo, s4
	v_mov_b32_e32 v4, s39
	s_mov_b32 s4, exec_lo
	s_clause 0x3
	buffer_load_dword v1, v4, s[0:3], 0 offen
	buffer_load_dword v2, v4, s[0:3], 0 offen offset:4
	buffer_load_dword v3, v4, s[0:3], 0 offen offset:8
	;; [unrolled: 1-line block ×3, first 2 shown]
	s_waitcnt vmcnt(0)
	ds_write_b128 v90, v[1:4]
	s_waitcnt lgkmcnt(0)
	s_waitcnt_vscnt null, 0x0
	s_barrier
	buffer_gl0_inv
	v_cmpx_gt_u32_e32 11, v0
	s_cbranch_execz .LBB105_415
; %bb.408:
	ds_read_b128 v[1:4], v90
	v_cmp_ne_u32_e32 vcc_lo, 1, v91
	s_cbranch_vccnz .LBB105_410
; %bb.409:
	s_clause 0x3
	buffer_load_dword v92, v89, s[0:3], 0 offen offset:8
	buffer_load_dword v93, v89, s[0:3], 0 offen offset:12
	buffer_load_dword v96, v89, s[0:3], 0 offen
	buffer_load_dword v97, v89, s[0:3], 0 offen offset:4
	s_waitcnt vmcnt(2) lgkmcnt(0)
	v_mul_f64 v[98:99], v[3:4], v[92:93]
	v_mul_f64 v[92:93], v[1:2], v[92:93]
	s_waitcnt vmcnt(0)
	v_fma_f64 v[1:2], v[1:2], v[96:97], -v[98:99]
	v_fma_f64 v[3:4], v[3:4], v[96:97], v[92:93]
.LBB105_410:
	s_mov_b32 s6, exec_lo
	v_cmpx_ne_u32_e32 10, v0
	s_cbranch_execz .LBB105_414
; %bb.411:
	v_add_nc_u32_e32 v92, 0x2b0, v95
	v_add3_u32 v93, 0, v95, 16
	v_mov_b32_e32 v94, v0
	s_mov_b32 s8, 0
	.p2align	6
.LBB105_412:                            ; =>This Inner Loop Header: Depth=1
	s_clause 0x3
	buffer_load_dword v100, v93, s[0:3], 0 offen offset:8
	buffer_load_dword v101, v93, s[0:3], 0 offen offset:12
	buffer_load_dword v102, v93, s[0:3], 0 offen
	buffer_load_dword v103, v93, s[0:3], 0 offen offset:4
	ds_read_b128 v[96:99], v92
	v_add_nc_u32_e32 v94, 1, v94
	v_add_nc_u32_e32 v92, 16, v92
	;; [unrolled: 1-line block ×3, first 2 shown]
	v_cmp_lt_u32_e32 vcc_lo, 9, v94
	s_or_b32 s8, vcc_lo, s8
	s_waitcnt vmcnt(2) lgkmcnt(0)
	v_mul_f64 v[104:105], v[98:99], v[100:101]
	v_mul_f64 v[100:101], v[96:97], v[100:101]
	s_waitcnt vmcnt(0)
	v_fma_f64 v[96:97], v[96:97], v[102:103], -v[104:105]
	v_fma_f64 v[98:99], v[98:99], v[102:103], v[100:101]
	v_add_f64 v[1:2], v[1:2], v[96:97]
	v_add_f64 v[3:4], v[3:4], v[98:99]
	s_andn2_b32 exec_lo, exec_lo, s8
	s_cbranch_execnz .LBB105_412
; %bb.413:
	s_or_b32 exec_lo, exec_lo, s8
.LBB105_414:
	s_or_b32 exec_lo, exec_lo, s6
	v_mov_b32_e32 v92, 0
	ds_read_b128 v[96:99], v92 offset:176
	s_waitcnt lgkmcnt(0)
	v_mul_f64 v[92:93], v[3:4], v[98:99]
	v_mul_f64 v[98:99], v[1:2], v[98:99]
	v_fma_f64 v[1:2], v[1:2], v[96:97], -v[92:93]
	v_fma_f64 v[3:4], v[3:4], v[96:97], v[98:99]
	buffer_store_dword v2, off, s[0:3], 0 offset:180
	buffer_store_dword v1, off, s[0:3], 0 offset:176
	buffer_store_dword v4, off, s[0:3], 0 offset:188
	buffer_store_dword v3, off, s[0:3], 0 offset:184
.LBB105_415:
	s_or_b32 exec_lo, exec_lo, s4
	v_mov_b32_e32 v4, s38
	s_mov_b32 s4, exec_lo
	s_clause 0x3
	buffer_load_dword v1, v4, s[0:3], 0 offen
	buffer_load_dword v2, v4, s[0:3], 0 offen offset:4
	buffer_load_dword v3, v4, s[0:3], 0 offen offset:8
	;; [unrolled: 1-line block ×3, first 2 shown]
	s_waitcnt vmcnt(0)
	ds_write_b128 v90, v[1:4]
	s_waitcnt lgkmcnt(0)
	s_waitcnt_vscnt null, 0x0
	s_barrier
	buffer_gl0_inv
	v_cmpx_gt_u32_e32 12, v0
	s_cbranch_execz .LBB105_423
; %bb.416:
	ds_read_b128 v[1:4], v90
	v_cmp_ne_u32_e32 vcc_lo, 1, v91
	s_cbranch_vccnz .LBB105_418
; %bb.417:
	s_clause 0x3
	buffer_load_dword v92, v89, s[0:3], 0 offen offset:8
	buffer_load_dword v93, v89, s[0:3], 0 offen offset:12
	buffer_load_dword v96, v89, s[0:3], 0 offen
	buffer_load_dword v97, v89, s[0:3], 0 offen offset:4
	s_waitcnt vmcnt(2) lgkmcnt(0)
	v_mul_f64 v[98:99], v[3:4], v[92:93]
	v_mul_f64 v[92:93], v[1:2], v[92:93]
	s_waitcnt vmcnt(0)
	v_fma_f64 v[1:2], v[1:2], v[96:97], -v[98:99]
	v_fma_f64 v[3:4], v[3:4], v[96:97], v[92:93]
.LBB105_418:
	s_mov_b32 s6, exec_lo
	v_cmpx_ne_u32_e32 11, v0
	s_cbranch_execz .LBB105_422
; %bb.419:
	v_add_nc_u32_e32 v92, 0x2b0, v95
	v_add3_u32 v93, 0, v95, 16
	v_mov_b32_e32 v94, v0
	s_mov_b32 s8, 0
	.p2align	6
.LBB105_420:                            ; =>This Inner Loop Header: Depth=1
	s_clause 0x3
	buffer_load_dword v100, v93, s[0:3], 0 offen offset:8
	buffer_load_dword v101, v93, s[0:3], 0 offen offset:12
	buffer_load_dword v102, v93, s[0:3], 0 offen
	buffer_load_dword v103, v93, s[0:3], 0 offen offset:4
	ds_read_b128 v[96:99], v92
	v_add_nc_u32_e32 v94, 1, v94
	v_add_nc_u32_e32 v92, 16, v92
	;; [unrolled: 1-line block ×3, first 2 shown]
	v_cmp_lt_u32_e32 vcc_lo, 10, v94
	s_or_b32 s8, vcc_lo, s8
	s_waitcnt vmcnt(2) lgkmcnt(0)
	v_mul_f64 v[104:105], v[98:99], v[100:101]
	v_mul_f64 v[100:101], v[96:97], v[100:101]
	s_waitcnt vmcnt(0)
	v_fma_f64 v[96:97], v[96:97], v[102:103], -v[104:105]
	v_fma_f64 v[98:99], v[98:99], v[102:103], v[100:101]
	v_add_f64 v[1:2], v[1:2], v[96:97]
	v_add_f64 v[3:4], v[3:4], v[98:99]
	s_andn2_b32 exec_lo, exec_lo, s8
	s_cbranch_execnz .LBB105_420
; %bb.421:
	s_or_b32 exec_lo, exec_lo, s8
.LBB105_422:
	s_or_b32 exec_lo, exec_lo, s6
	v_mov_b32_e32 v92, 0
	ds_read_b128 v[96:99], v92 offset:192
	s_waitcnt lgkmcnt(0)
	v_mul_f64 v[92:93], v[3:4], v[98:99]
	v_mul_f64 v[98:99], v[1:2], v[98:99]
	v_fma_f64 v[1:2], v[1:2], v[96:97], -v[92:93]
	v_fma_f64 v[3:4], v[3:4], v[96:97], v[98:99]
	buffer_store_dword v2, off, s[0:3], 0 offset:196
	buffer_store_dword v1, off, s[0:3], 0 offset:192
	;; [unrolled: 1-line block ×4, first 2 shown]
.LBB105_423:
	s_or_b32 exec_lo, exec_lo, s4
	v_mov_b32_e32 v4, s37
	s_mov_b32 s4, exec_lo
	s_clause 0x3
	buffer_load_dword v1, v4, s[0:3], 0 offen
	buffer_load_dword v2, v4, s[0:3], 0 offen offset:4
	buffer_load_dword v3, v4, s[0:3], 0 offen offset:8
	buffer_load_dword v4, v4, s[0:3], 0 offen offset:12
	s_waitcnt vmcnt(0)
	ds_write_b128 v90, v[1:4]
	s_waitcnt lgkmcnt(0)
	s_waitcnt_vscnt null, 0x0
	s_barrier
	buffer_gl0_inv
	v_cmpx_gt_u32_e32 13, v0
	s_cbranch_execz .LBB105_431
; %bb.424:
	ds_read_b128 v[1:4], v90
	v_cmp_ne_u32_e32 vcc_lo, 1, v91
	s_cbranch_vccnz .LBB105_426
; %bb.425:
	s_clause 0x3
	buffer_load_dword v92, v89, s[0:3], 0 offen offset:8
	buffer_load_dword v93, v89, s[0:3], 0 offen offset:12
	buffer_load_dword v96, v89, s[0:3], 0 offen
	buffer_load_dword v97, v89, s[0:3], 0 offen offset:4
	s_waitcnt vmcnt(2) lgkmcnt(0)
	v_mul_f64 v[98:99], v[3:4], v[92:93]
	v_mul_f64 v[92:93], v[1:2], v[92:93]
	s_waitcnt vmcnt(0)
	v_fma_f64 v[1:2], v[1:2], v[96:97], -v[98:99]
	v_fma_f64 v[3:4], v[3:4], v[96:97], v[92:93]
.LBB105_426:
	s_mov_b32 s6, exec_lo
	v_cmpx_ne_u32_e32 12, v0
	s_cbranch_execz .LBB105_430
; %bb.427:
	v_add_nc_u32_e32 v92, 0x2b0, v95
	v_add3_u32 v93, 0, v95, 16
	v_mov_b32_e32 v94, v0
	s_mov_b32 s8, 0
	.p2align	6
.LBB105_428:                            ; =>This Inner Loop Header: Depth=1
	s_clause 0x3
	buffer_load_dword v100, v93, s[0:3], 0 offen offset:8
	buffer_load_dword v101, v93, s[0:3], 0 offen offset:12
	buffer_load_dword v102, v93, s[0:3], 0 offen
	buffer_load_dword v103, v93, s[0:3], 0 offen offset:4
	ds_read_b128 v[96:99], v92
	v_add_nc_u32_e32 v94, 1, v94
	v_add_nc_u32_e32 v92, 16, v92
	;; [unrolled: 1-line block ×3, first 2 shown]
	v_cmp_lt_u32_e32 vcc_lo, 11, v94
	s_or_b32 s8, vcc_lo, s8
	s_waitcnt vmcnt(2) lgkmcnt(0)
	v_mul_f64 v[104:105], v[98:99], v[100:101]
	v_mul_f64 v[100:101], v[96:97], v[100:101]
	s_waitcnt vmcnt(0)
	v_fma_f64 v[96:97], v[96:97], v[102:103], -v[104:105]
	v_fma_f64 v[98:99], v[98:99], v[102:103], v[100:101]
	v_add_f64 v[1:2], v[1:2], v[96:97]
	v_add_f64 v[3:4], v[3:4], v[98:99]
	s_andn2_b32 exec_lo, exec_lo, s8
	s_cbranch_execnz .LBB105_428
; %bb.429:
	s_or_b32 exec_lo, exec_lo, s8
.LBB105_430:
	s_or_b32 exec_lo, exec_lo, s6
	v_mov_b32_e32 v92, 0
	ds_read_b128 v[96:99], v92 offset:208
	s_waitcnt lgkmcnt(0)
	v_mul_f64 v[92:93], v[3:4], v[98:99]
	v_mul_f64 v[98:99], v[1:2], v[98:99]
	v_fma_f64 v[1:2], v[1:2], v[96:97], -v[92:93]
	v_fma_f64 v[3:4], v[3:4], v[96:97], v[98:99]
	buffer_store_dword v2, off, s[0:3], 0 offset:212
	buffer_store_dword v1, off, s[0:3], 0 offset:208
	buffer_store_dword v4, off, s[0:3], 0 offset:220
	buffer_store_dword v3, off, s[0:3], 0 offset:216
.LBB105_431:
	s_or_b32 exec_lo, exec_lo, s4
	v_mov_b32_e32 v4, s36
	s_mov_b32 s4, exec_lo
	s_clause 0x3
	buffer_load_dword v1, v4, s[0:3], 0 offen
	buffer_load_dword v2, v4, s[0:3], 0 offen offset:4
	buffer_load_dword v3, v4, s[0:3], 0 offen offset:8
	;; [unrolled: 1-line block ×3, first 2 shown]
	s_waitcnt vmcnt(0)
	ds_write_b128 v90, v[1:4]
	s_waitcnt lgkmcnt(0)
	s_waitcnt_vscnt null, 0x0
	s_barrier
	buffer_gl0_inv
	v_cmpx_gt_u32_e32 14, v0
	s_cbranch_execz .LBB105_439
; %bb.432:
	ds_read_b128 v[1:4], v90
	v_cmp_ne_u32_e32 vcc_lo, 1, v91
	s_cbranch_vccnz .LBB105_434
; %bb.433:
	s_clause 0x3
	buffer_load_dword v92, v89, s[0:3], 0 offen offset:8
	buffer_load_dword v93, v89, s[0:3], 0 offen offset:12
	buffer_load_dword v96, v89, s[0:3], 0 offen
	buffer_load_dword v97, v89, s[0:3], 0 offen offset:4
	s_waitcnt vmcnt(2) lgkmcnt(0)
	v_mul_f64 v[98:99], v[3:4], v[92:93]
	v_mul_f64 v[92:93], v[1:2], v[92:93]
	s_waitcnt vmcnt(0)
	v_fma_f64 v[1:2], v[1:2], v[96:97], -v[98:99]
	v_fma_f64 v[3:4], v[3:4], v[96:97], v[92:93]
.LBB105_434:
	s_mov_b32 s6, exec_lo
	v_cmpx_ne_u32_e32 13, v0
	s_cbranch_execz .LBB105_438
; %bb.435:
	v_add_nc_u32_e32 v92, 0x2b0, v95
	v_add3_u32 v93, 0, v95, 16
	v_mov_b32_e32 v94, v0
	s_mov_b32 s8, 0
	.p2align	6
.LBB105_436:                            ; =>This Inner Loop Header: Depth=1
	s_clause 0x3
	buffer_load_dword v100, v93, s[0:3], 0 offen offset:8
	buffer_load_dword v101, v93, s[0:3], 0 offen offset:12
	buffer_load_dword v102, v93, s[0:3], 0 offen
	buffer_load_dword v103, v93, s[0:3], 0 offen offset:4
	ds_read_b128 v[96:99], v92
	v_add_nc_u32_e32 v94, 1, v94
	v_add_nc_u32_e32 v92, 16, v92
	;; [unrolled: 1-line block ×3, first 2 shown]
	v_cmp_lt_u32_e32 vcc_lo, 12, v94
	s_or_b32 s8, vcc_lo, s8
	s_waitcnt vmcnt(2) lgkmcnt(0)
	v_mul_f64 v[104:105], v[98:99], v[100:101]
	v_mul_f64 v[100:101], v[96:97], v[100:101]
	s_waitcnt vmcnt(0)
	v_fma_f64 v[96:97], v[96:97], v[102:103], -v[104:105]
	v_fma_f64 v[98:99], v[98:99], v[102:103], v[100:101]
	v_add_f64 v[1:2], v[1:2], v[96:97]
	v_add_f64 v[3:4], v[3:4], v[98:99]
	s_andn2_b32 exec_lo, exec_lo, s8
	s_cbranch_execnz .LBB105_436
; %bb.437:
	s_or_b32 exec_lo, exec_lo, s8
.LBB105_438:
	s_or_b32 exec_lo, exec_lo, s6
	v_mov_b32_e32 v92, 0
	ds_read_b128 v[96:99], v92 offset:224
	s_waitcnt lgkmcnt(0)
	v_mul_f64 v[92:93], v[3:4], v[98:99]
	v_mul_f64 v[98:99], v[1:2], v[98:99]
	v_fma_f64 v[1:2], v[1:2], v[96:97], -v[92:93]
	v_fma_f64 v[3:4], v[3:4], v[96:97], v[98:99]
	buffer_store_dword v2, off, s[0:3], 0 offset:228
	buffer_store_dword v1, off, s[0:3], 0 offset:224
	;; [unrolled: 1-line block ×4, first 2 shown]
.LBB105_439:
	s_or_b32 exec_lo, exec_lo, s4
	v_mov_b32_e32 v4, s35
	s_mov_b32 s4, exec_lo
	s_clause 0x3
	buffer_load_dword v1, v4, s[0:3], 0 offen
	buffer_load_dword v2, v4, s[0:3], 0 offen offset:4
	buffer_load_dword v3, v4, s[0:3], 0 offen offset:8
	;; [unrolled: 1-line block ×3, first 2 shown]
	s_waitcnt vmcnt(0)
	ds_write_b128 v90, v[1:4]
	s_waitcnt lgkmcnt(0)
	s_waitcnt_vscnt null, 0x0
	s_barrier
	buffer_gl0_inv
	v_cmpx_gt_u32_e32 15, v0
	s_cbranch_execz .LBB105_447
; %bb.440:
	ds_read_b128 v[1:4], v90
	v_cmp_ne_u32_e32 vcc_lo, 1, v91
	s_cbranch_vccnz .LBB105_442
; %bb.441:
	s_clause 0x3
	buffer_load_dword v92, v89, s[0:3], 0 offen offset:8
	buffer_load_dword v93, v89, s[0:3], 0 offen offset:12
	buffer_load_dword v96, v89, s[0:3], 0 offen
	buffer_load_dword v97, v89, s[0:3], 0 offen offset:4
	s_waitcnt vmcnt(2) lgkmcnt(0)
	v_mul_f64 v[98:99], v[3:4], v[92:93]
	v_mul_f64 v[92:93], v[1:2], v[92:93]
	s_waitcnt vmcnt(0)
	v_fma_f64 v[1:2], v[1:2], v[96:97], -v[98:99]
	v_fma_f64 v[3:4], v[3:4], v[96:97], v[92:93]
.LBB105_442:
	s_mov_b32 s6, exec_lo
	v_cmpx_ne_u32_e32 14, v0
	s_cbranch_execz .LBB105_446
; %bb.443:
	v_add_nc_u32_e32 v92, 0x2b0, v95
	v_add3_u32 v93, 0, v95, 16
	v_mov_b32_e32 v94, v0
	s_mov_b32 s8, 0
	.p2align	6
.LBB105_444:                            ; =>This Inner Loop Header: Depth=1
	s_clause 0x3
	buffer_load_dword v100, v93, s[0:3], 0 offen offset:8
	buffer_load_dword v101, v93, s[0:3], 0 offen offset:12
	buffer_load_dword v102, v93, s[0:3], 0 offen
	buffer_load_dword v103, v93, s[0:3], 0 offen offset:4
	ds_read_b128 v[96:99], v92
	v_add_nc_u32_e32 v94, 1, v94
	v_add_nc_u32_e32 v92, 16, v92
	;; [unrolled: 1-line block ×3, first 2 shown]
	v_cmp_lt_u32_e32 vcc_lo, 13, v94
	s_or_b32 s8, vcc_lo, s8
	s_waitcnt vmcnt(2) lgkmcnt(0)
	v_mul_f64 v[104:105], v[98:99], v[100:101]
	v_mul_f64 v[100:101], v[96:97], v[100:101]
	s_waitcnt vmcnt(0)
	v_fma_f64 v[96:97], v[96:97], v[102:103], -v[104:105]
	v_fma_f64 v[98:99], v[98:99], v[102:103], v[100:101]
	v_add_f64 v[1:2], v[1:2], v[96:97]
	v_add_f64 v[3:4], v[3:4], v[98:99]
	s_andn2_b32 exec_lo, exec_lo, s8
	s_cbranch_execnz .LBB105_444
; %bb.445:
	s_or_b32 exec_lo, exec_lo, s8
.LBB105_446:
	s_or_b32 exec_lo, exec_lo, s6
	v_mov_b32_e32 v92, 0
	ds_read_b128 v[96:99], v92 offset:240
	s_waitcnt lgkmcnt(0)
	v_mul_f64 v[92:93], v[3:4], v[98:99]
	v_mul_f64 v[98:99], v[1:2], v[98:99]
	v_fma_f64 v[1:2], v[1:2], v[96:97], -v[92:93]
	v_fma_f64 v[3:4], v[3:4], v[96:97], v[98:99]
	buffer_store_dword v2, off, s[0:3], 0 offset:244
	buffer_store_dword v1, off, s[0:3], 0 offset:240
	;; [unrolled: 1-line block ×4, first 2 shown]
.LBB105_447:
	s_or_b32 exec_lo, exec_lo, s4
	v_mov_b32_e32 v4, s34
	s_mov_b32 s4, exec_lo
	s_clause 0x3
	buffer_load_dword v1, v4, s[0:3], 0 offen
	buffer_load_dword v2, v4, s[0:3], 0 offen offset:4
	buffer_load_dword v3, v4, s[0:3], 0 offen offset:8
	;; [unrolled: 1-line block ×3, first 2 shown]
	s_waitcnt vmcnt(0)
	ds_write_b128 v90, v[1:4]
	s_waitcnt lgkmcnt(0)
	s_waitcnt_vscnt null, 0x0
	s_barrier
	buffer_gl0_inv
	v_cmpx_gt_u32_e32 16, v0
	s_cbranch_execz .LBB105_455
; %bb.448:
	ds_read_b128 v[1:4], v90
	v_cmp_ne_u32_e32 vcc_lo, 1, v91
	s_cbranch_vccnz .LBB105_450
; %bb.449:
	s_clause 0x3
	buffer_load_dword v92, v89, s[0:3], 0 offen offset:8
	buffer_load_dword v93, v89, s[0:3], 0 offen offset:12
	buffer_load_dword v96, v89, s[0:3], 0 offen
	buffer_load_dword v97, v89, s[0:3], 0 offen offset:4
	s_waitcnt vmcnt(2) lgkmcnt(0)
	v_mul_f64 v[98:99], v[3:4], v[92:93]
	v_mul_f64 v[92:93], v[1:2], v[92:93]
	s_waitcnt vmcnt(0)
	v_fma_f64 v[1:2], v[1:2], v[96:97], -v[98:99]
	v_fma_f64 v[3:4], v[3:4], v[96:97], v[92:93]
.LBB105_450:
	s_mov_b32 s6, exec_lo
	v_cmpx_ne_u32_e32 15, v0
	s_cbranch_execz .LBB105_454
; %bb.451:
	v_add_nc_u32_e32 v92, 0x2b0, v95
	v_add3_u32 v93, 0, v95, 16
	v_mov_b32_e32 v94, v0
	s_mov_b32 s8, 0
	.p2align	6
.LBB105_452:                            ; =>This Inner Loop Header: Depth=1
	s_clause 0x3
	buffer_load_dword v100, v93, s[0:3], 0 offen offset:8
	buffer_load_dword v101, v93, s[0:3], 0 offen offset:12
	buffer_load_dword v102, v93, s[0:3], 0 offen
	buffer_load_dword v103, v93, s[0:3], 0 offen offset:4
	ds_read_b128 v[96:99], v92
	v_add_nc_u32_e32 v94, 1, v94
	v_add_nc_u32_e32 v92, 16, v92
	v_add_nc_u32_e32 v93, 16, v93
	v_cmp_lt_u32_e32 vcc_lo, 14, v94
	s_or_b32 s8, vcc_lo, s8
	s_waitcnt vmcnt(2) lgkmcnt(0)
	v_mul_f64 v[104:105], v[98:99], v[100:101]
	v_mul_f64 v[100:101], v[96:97], v[100:101]
	s_waitcnt vmcnt(0)
	v_fma_f64 v[96:97], v[96:97], v[102:103], -v[104:105]
	v_fma_f64 v[98:99], v[98:99], v[102:103], v[100:101]
	v_add_f64 v[1:2], v[1:2], v[96:97]
	v_add_f64 v[3:4], v[3:4], v[98:99]
	s_andn2_b32 exec_lo, exec_lo, s8
	s_cbranch_execnz .LBB105_452
; %bb.453:
	s_or_b32 exec_lo, exec_lo, s8
.LBB105_454:
	s_or_b32 exec_lo, exec_lo, s6
	v_mov_b32_e32 v92, 0
	ds_read_b128 v[96:99], v92 offset:256
	s_waitcnt lgkmcnt(0)
	v_mul_f64 v[92:93], v[3:4], v[98:99]
	v_mul_f64 v[98:99], v[1:2], v[98:99]
	v_fma_f64 v[1:2], v[1:2], v[96:97], -v[92:93]
	v_fma_f64 v[3:4], v[3:4], v[96:97], v[98:99]
	buffer_store_dword v2, off, s[0:3], 0 offset:260
	buffer_store_dword v1, off, s[0:3], 0 offset:256
	;; [unrolled: 1-line block ×4, first 2 shown]
.LBB105_455:
	s_or_b32 exec_lo, exec_lo, s4
	v_mov_b32_e32 v4, s33
	s_mov_b32 s4, exec_lo
	s_clause 0x3
	buffer_load_dword v1, v4, s[0:3], 0 offen
	buffer_load_dword v2, v4, s[0:3], 0 offen offset:4
	buffer_load_dword v3, v4, s[0:3], 0 offen offset:8
	;; [unrolled: 1-line block ×3, first 2 shown]
	s_waitcnt vmcnt(0)
	ds_write_b128 v90, v[1:4]
	s_waitcnt lgkmcnt(0)
	s_waitcnt_vscnt null, 0x0
	s_barrier
	buffer_gl0_inv
	v_cmpx_gt_u32_e32 17, v0
	s_cbranch_execz .LBB105_463
; %bb.456:
	ds_read_b128 v[1:4], v90
	v_cmp_ne_u32_e32 vcc_lo, 1, v91
	s_cbranch_vccnz .LBB105_458
; %bb.457:
	s_clause 0x3
	buffer_load_dword v92, v89, s[0:3], 0 offen offset:8
	buffer_load_dword v93, v89, s[0:3], 0 offen offset:12
	buffer_load_dword v96, v89, s[0:3], 0 offen
	buffer_load_dword v97, v89, s[0:3], 0 offen offset:4
	s_waitcnt vmcnt(2) lgkmcnt(0)
	v_mul_f64 v[98:99], v[3:4], v[92:93]
	v_mul_f64 v[92:93], v[1:2], v[92:93]
	s_waitcnt vmcnt(0)
	v_fma_f64 v[1:2], v[1:2], v[96:97], -v[98:99]
	v_fma_f64 v[3:4], v[3:4], v[96:97], v[92:93]
.LBB105_458:
	s_mov_b32 s6, exec_lo
	v_cmpx_ne_u32_e32 16, v0
	s_cbranch_execz .LBB105_462
; %bb.459:
	v_add_nc_u32_e32 v92, 0x2b0, v95
	v_add3_u32 v93, 0, v95, 16
	v_mov_b32_e32 v94, v0
	s_mov_b32 s8, 0
	.p2align	6
.LBB105_460:                            ; =>This Inner Loop Header: Depth=1
	s_clause 0x3
	buffer_load_dword v100, v93, s[0:3], 0 offen offset:8
	buffer_load_dword v101, v93, s[0:3], 0 offen offset:12
	buffer_load_dword v102, v93, s[0:3], 0 offen
	buffer_load_dword v103, v93, s[0:3], 0 offen offset:4
	ds_read_b128 v[96:99], v92
	v_add_nc_u32_e32 v94, 1, v94
	v_add_nc_u32_e32 v92, 16, v92
	v_add_nc_u32_e32 v93, 16, v93
	v_cmp_lt_u32_e32 vcc_lo, 15, v94
	s_or_b32 s8, vcc_lo, s8
	s_waitcnt vmcnt(2) lgkmcnt(0)
	v_mul_f64 v[104:105], v[98:99], v[100:101]
	v_mul_f64 v[100:101], v[96:97], v[100:101]
	s_waitcnt vmcnt(0)
	v_fma_f64 v[96:97], v[96:97], v[102:103], -v[104:105]
	v_fma_f64 v[98:99], v[98:99], v[102:103], v[100:101]
	v_add_f64 v[1:2], v[1:2], v[96:97]
	v_add_f64 v[3:4], v[3:4], v[98:99]
	s_andn2_b32 exec_lo, exec_lo, s8
	s_cbranch_execnz .LBB105_460
; %bb.461:
	s_or_b32 exec_lo, exec_lo, s8
.LBB105_462:
	s_or_b32 exec_lo, exec_lo, s6
	v_mov_b32_e32 v92, 0
	ds_read_b128 v[96:99], v92 offset:272
	s_waitcnt lgkmcnt(0)
	v_mul_f64 v[92:93], v[3:4], v[98:99]
	v_mul_f64 v[98:99], v[1:2], v[98:99]
	v_fma_f64 v[1:2], v[1:2], v[96:97], -v[92:93]
	v_fma_f64 v[3:4], v[3:4], v[96:97], v[98:99]
	buffer_store_dword v2, off, s[0:3], 0 offset:276
	buffer_store_dword v1, off, s[0:3], 0 offset:272
	;; [unrolled: 1-line block ×4, first 2 shown]
.LBB105_463:
	s_or_b32 exec_lo, exec_lo, s4
	v_mov_b32_e32 v4, s31
	s_mov_b32 s4, exec_lo
	s_clause 0x3
	buffer_load_dword v1, v4, s[0:3], 0 offen
	buffer_load_dword v2, v4, s[0:3], 0 offen offset:4
	buffer_load_dword v3, v4, s[0:3], 0 offen offset:8
	;; [unrolled: 1-line block ×3, first 2 shown]
	s_waitcnt vmcnt(0)
	ds_write_b128 v90, v[1:4]
	s_waitcnt lgkmcnt(0)
	s_waitcnt_vscnt null, 0x0
	s_barrier
	buffer_gl0_inv
	v_cmpx_gt_u32_e32 18, v0
	s_cbranch_execz .LBB105_471
; %bb.464:
	ds_read_b128 v[1:4], v90
	v_cmp_ne_u32_e32 vcc_lo, 1, v91
	s_cbranch_vccnz .LBB105_466
; %bb.465:
	s_clause 0x3
	buffer_load_dword v92, v89, s[0:3], 0 offen offset:8
	buffer_load_dword v93, v89, s[0:3], 0 offen offset:12
	buffer_load_dword v96, v89, s[0:3], 0 offen
	buffer_load_dword v97, v89, s[0:3], 0 offen offset:4
	s_waitcnt vmcnt(2) lgkmcnt(0)
	v_mul_f64 v[98:99], v[3:4], v[92:93]
	v_mul_f64 v[92:93], v[1:2], v[92:93]
	s_waitcnt vmcnt(0)
	v_fma_f64 v[1:2], v[1:2], v[96:97], -v[98:99]
	v_fma_f64 v[3:4], v[3:4], v[96:97], v[92:93]
.LBB105_466:
	s_mov_b32 s6, exec_lo
	v_cmpx_ne_u32_e32 17, v0
	s_cbranch_execz .LBB105_470
; %bb.467:
	v_add_nc_u32_e32 v92, 0x2b0, v95
	v_add3_u32 v93, 0, v95, 16
	v_mov_b32_e32 v94, v0
	s_mov_b32 s8, 0
	.p2align	6
.LBB105_468:                            ; =>This Inner Loop Header: Depth=1
	s_clause 0x3
	buffer_load_dword v100, v93, s[0:3], 0 offen offset:8
	buffer_load_dword v101, v93, s[0:3], 0 offen offset:12
	buffer_load_dword v102, v93, s[0:3], 0 offen
	buffer_load_dword v103, v93, s[0:3], 0 offen offset:4
	ds_read_b128 v[96:99], v92
	v_add_nc_u32_e32 v94, 1, v94
	v_add_nc_u32_e32 v92, 16, v92
	;; [unrolled: 1-line block ×3, first 2 shown]
	v_cmp_lt_u32_e32 vcc_lo, 16, v94
	s_or_b32 s8, vcc_lo, s8
	s_waitcnt vmcnt(2) lgkmcnt(0)
	v_mul_f64 v[104:105], v[98:99], v[100:101]
	v_mul_f64 v[100:101], v[96:97], v[100:101]
	s_waitcnt vmcnt(0)
	v_fma_f64 v[96:97], v[96:97], v[102:103], -v[104:105]
	v_fma_f64 v[98:99], v[98:99], v[102:103], v[100:101]
	v_add_f64 v[1:2], v[1:2], v[96:97]
	v_add_f64 v[3:4], v[3:4], v[98:99]
	s_andn2_b32 exec_lo, exec_lo, s8
	s_cbranch_execnz .LBB105_468
; %bb.469:
	s_or_b32 exec_lo, exec_lo, s8
.LBB105_470:
	s_or_b32 exec_lo, exec_lo, s6
	v_mov_b32_e32 v92, 0
	ds_read_b128 v[96:99], v92 offset:288
	s_waitcnt lgkmcnt(0)
	v_mul_f64 v[92:93], v[3:4], v[98:99]
	v_mul_f64 v[98:99], v[1:2], v[98:99]
	v_fma_f64 v[1:2], v[1:2], v[96:97], -v[92:93]
	v_fma_f64 v[3:4], v[3:4], v[96:97], v[98:99]
	buffer_store_dword v2, off, s[0:3], 0 offset:292
	buffer_store_dword v1, off, s[0:3], 0 offset:288
	;; [unrolled: 1-line block ×4, first 2 shown]
.LBB105_471:
	s_or_b32 exec_lo, exec_lo, s4
	v_mov_b32_e32 v4, s30
	s_mov_b32 s4, exec_lo
	s_clause 0x3
	buffer_load_dword v1, v4, s[0:3], 0 offen
	buffer_load_dword v2, v4, s[0:3], 0 offen offset:4
	buffer_load_dword v3, v4, s[0:3], 0 offen offset:8
	;; [unrolled: 1-line block ×3, first 2 shown]
	s_waitcnt vmcnt(0)
	ds_write_b128 v90, v[1:4]
	s_waitcnt lgkmcnt(0)
	s_waitcnt_vscnt null, 0x0
	s_barrier
	buffer_gl0_inv
	v_cmpx_gt_u32_e32 19, v0
	s_cbranch_execz .LBB105_479
; %bb.472:
	ds_read_b128 v[1:4], v90
	v_cmp_ne_u32_e32 vcc_lo, 1, v91
	s_cbranch_vccnz .LBB105_474
; %bb.473:
	s_clause 0x3
	buffer_load_dword v92, v89, s[0:3], 0 offen offset:8
	buffer_load_dword v93, v89, s[0:3], 0 offen offset:12
	buffer_load_dword v96, v89, s[0:3], 0 offen
	buffer_load_dword v97, v89, s[0:3], 0 offen offset:4
	s_waitcnt vmcnt(2) lgkmcnt(0)
	v_mul_f64 v[98:99], v[3:4], v[92:93]
	v_mul_f64 v[92:93], v[1:2], v[92:93]
	s_waitcnt vmcnt(0)
	v_fma_f64 v[1:2], v[1:2], v[96:97], -v[98:99]
	v_fma_f64 v[3:4], v[3:4], v[96:97], v[92:93]
.LBB105_474:
	s_mov_b32 s6, exec_lo
	v_cmpx_ne_u32_e32 18, v0
	s_cbranch_execz .LBB105_478
; %bb.475:
	v_add_nc_u32_e32 v92, 0x2b0, v95
	v_add3_u32 v93, 0, v95, 16
	v_mov_b32_e32 v94, v0
	s_mov_b32 s8, 0
	.p2align	6
.LBB105_476:                            ; =>This Inner Loop Header: Depth=1
	s_clause 0x3
	buffer_load_dword v100, v93, s[0:3], 0 offen offset:8
	buffer_load_dword v101, v93, s[0:3], 0 offen offset:12
	buffer_load_dword v102, v93, s[0:3], 0 offen
	buffer_load_dword v103, v93, s[0:3], 0 offen offset:4
	ds_read_b128 v[96:99], v92
	v_add_nc_u32_e32 v94, 1, v94
	v_add_nc_u32_e32 v92, 16, v92
	;; [unrolled: 1-line block ×3, first 2 shown]
	v_cmp_lt_u32_e32 vcc_lo, 17, v94
	s_or_b32 s8, vcc_lo, s8
	s_waitcnt vmcnt(2) lgkmcnt(0)
	v_mul_f64 v[104:105], v[98:99], v[100:101]
	v_mul_f64 v[100:101], v[96:97], v[100:101]
	s_waitcnt vmcnt(0)
	v_fma_f64 v[96:97], v[96:97], v[102:103], -v[104:105]
	v_fma_f64 v[98:99], v[98:99], v[102:103], v[100:101]
	v_add_f64 v[1:2], v[1:2], v[96:97]
	v_add_f64 v[3:4], v[3:4], v[98:99]
	s_andn2_b32 exec_lo, exec_lo, s8
	s_cbranch_execnz .LBB105_476
; %bb.477:
	s_or_b32 exec_lo, exec_lo, s8
.LBB105_478:
	s_or_b32 exec_lo, exec_lo, s6
	v_mov_b32_e32 v92, 0
	ds_read_b128 v[96:99], v92 offset:304
	s_waitcnt lgkmcnt(0)
	v_mul_f64 v[92:93], v[3:4], v[98:99]
	v_mul_f64 v[98:99], v[1:2], v[98:99]
	v_fma_f64 v[1:2], v[1:2], v[96:97], -v[92:93]
	v_fma_f64 v[3:4], v[3:4], v[96:97], v[98:99]
	buffer_store_dword v2, off, s[0:3], 0 offset:308
	buffer_store_dword v1, off, s[0:3], 0 offset:304
	;; [unrolled: 1-line block ×4, first 2 shown]
.LBB105_479:
	s_or_b32 exec_lo, exec_lo, s4
	v_mov_b32_e32 v4, s29
	s_mov_b32 s4, exec_lo
	s_clause 0x3
	buffer_load_dword v1, v4, s[0:3], 0 offen
	buffer_load_dword v2, v4, s[0:3], 0 offen offset:4
	buffer_load_dword v3, v4, s[0:3], 0 offen offset:8
	;; [unrolled: 1-line block ×3, first 2 shown]
	s_waitcnt vmcnt(0)
	ds_write_b128 v90, v[1:4]
	s_waitcnt lgkmcnt(0)
	s_waitcnt_vscnt null, 0x0
	s_barrier
	buffer_gl0_inv
	v_cmpx_gt_u32_e32 20, v0
	s_cbranch_execz .LBB105_487
; %bb.480:
	ds_read_b128 v[1:4], v90
	v_cmp_ne_u32_e32 vcc_lo, 1, v91
	s_cbranch_vccnz .LBB105_482
; %bb.481:
	s_clause 0x3
	buffer_load_dword v92, v89, s[0:3], 0 offen offset:8
	buffer_load_dword v93, v89, s[0:3], 0 offen offset:12
	buffer_load_dword v96, v89, s[0:3], 0 offen
	buffer_load_dword v97, v89, s[0:3], 0 offen offset:4
	s_waitcnt vmcnt(2) lgkmcnt(0)
	v_mul_f64 v[98:99], v[3:4], v[92:93]
	v_mul_f64 v[92:93], v[1:2], v[92:93]
	s_waitcnt vmcnt(0)
	v_fma_f64 v[1:2], v[1:2], v[96:97], -v[98:99]
	v_fma_f64 v[3:4], v[3:4], v[96:97], v[92:93]
.LBB105_482:
	s_mov_b32 s6, exec_lo
	v_cmpx_ne_u32_e32 19, v0
	s_cbranch_execz .LBB105_486
; %bb.483:
	v_add_nc_u32_e32 v92, 0x2b0, v95
	v_add3_u32 v93, 0, v95, 16
	v_mov_b32_e32 v94, v0
	s_mov_b32 s8, 0
	.p2align	6
.LBB105_484:                            ; =>This Inner Loop Header: Depth=1
	s_clause 0x3
	buffer_load_dword v100, v93, s[0:3], 0 offen offset:8
	buffer_load_dword v101, v93, s[0:3], 0 offen offset:12
	buffer_load_dword v102, v93, s[0:3], 0 offen
	buffer_load_dword v103, v93, s[0:3], 0 offen offset:4
	ds_read_b128 v[96:99], v92
	v_add_nc_u32_e32 v94, 1, v94
	v_add_nc_u32_e32 v92, 16, v92
	v_add_nc_u32_e32 v93, 16, v93
	v_cmp_lt_u32_e32 vcc_lo, 18, v94
	s_or_b32 s8, vcc_lo, s8
	s_waitcnt vmcnt(2) lgkmcnt(0)
	v_mul_f64 v[104:105], v[98:99], v[100:101]
	v_mul_f64 v[100:101], v[96:97], v[100:101]
	s_waitcnt vmcnt(0)
	v_fma_f64 v[96:97], v[96:97], v[102:103], -v[104:105]
	v_fma_f64 v[98:99], v[98:99], v[102:103], v[100:101]
	v_add_f64 v[1:2], v[1:2], v[96:97]
	v_add_f64 v[3:4], v[3:4], v[98:99]
	s_andn2_b32 exec_lo, exec_lo, s8
	s_cbranch_execnz .LBB105_484
; %bb.485:
	s_or_b32 exec_lo, exec_lo, s8
.LBB105_486:
	s_or_b32 exec_lo, exec_lo, s6
	v_mov_b32_e32 v92, 0
	ds_read_b128 v[96:99], v92 offset:320
	s_waitcnt lgkmcnt(0)
	v_mul_f64 v[92:93], v[3:4], v[98:99]
	v_mul_f64 v[98:99], v[1:2], v[98:99]
	v_fma_f64 v[1:2], v[1:2], v[96:97], -v[92:93]
	v_fma_f64 v[3:4], v[3:4], v[96:97], v[98:99]
	buffer_store_dword v2, off, s[0:3], 0 offset:324
	buffer_store_dword v1, off, s[0:3], 0 offset:320
	;; [unrolled: 1-line block ×4, first 2 shown]
.LBB105_487:
	s_or_b32 exec_lo, exec_lo, s4
	v_mov_b32_e32 v4, s28
	s_mov_b32 s4, exec_lo
	s_clause 0x3
	buffer_load_dword v1, v4, s[0:3], 0 offen
	buffer_load_dword v2, v4, s[0:3], 0 offen offset:4
	buffer_load_dword v3, v4, s[0:3], 0 offen offset:8
	;; [unrolled: 1-line block ×3, first 2 shown]
	s_waitcnt vmcnt(0)
	ds_write_b128 v90, v[1:4]
	s_waitcnt lgkmcnt(0)
	s_waitcnt_vscnt null, 0x0
	s_barrier
	buffer_gl0_inv
	v_cmpx_gt_u32_e32 21, v0
	s_cbranch_execz .LBB105_495
; %bb.488:
	ds_read_b128 v[1:4], v90
	v_cmp_ne_u32_e32 vcc_lo, 1, v91
	s_cbranch_vccnz .LBB105_490
; %bb.489:
	s_clause 0x3
	buffer_load_dword v92, v89, s[0:3], 0 offen offset:8
	buffer_load_dword v93, v89, s[0:3], 0 offen offset:12
	buffer_load_dword v96, v89, s[0:3], 0 offen
	buffer_load_dword v97, v89, s[0:3], 0 offen offset:4
	s_waitcnt vmcnt(2) lgkmcnt(0)
	v_mul_f64 v[98:99], v[3:4], v[92:93]
	v_mul_f64 v[92:93], v[1:2], v[92:93]
	s_waitcnt vmcnt(0)
	v_fma_f64 v[1:2], v[1:2], v[96:97], -v[98:99]
	v_fma_f64 v[3:4], v[3:4], v[96:97], v[92:93]
.LBB105_490:
	s_mov_b32 s6, exec_lo
	v_cmpx_ne_u32_e32 20, v0
	s_cbranch_execz .LBB105_494
; %bb.491:
	v_add_nc_u32_e32 v92, 0x2b0, v95
	v_add3_u32 v93, 0, v95, 16
	v_mov_b32_e32 v94, v0
	s_mov_b32 s8, 0
	.p2align	6
.LBB105_492:                            ; =>This Inner Loop Header: Depth=1
	s_clause 0x3
	buffer_load_dword v100, v93, s[0:3], 0 offen offset:8
	buffer_load_dword v101, v93, s[0:3], 0 offen offset:12
	buffer_load_dword v102, v93, s[0:3], 0 offen
	buffer_load_dword v103, v93, s[0:3], 0 offen offset:4
	ds_read_b128 v[96:99], v92
	v_add_nc_u32_e32 v94, 1, v94
	v_add_nc_u32_e32 v92, 16, v92
	;; [unrolled: 1-line block ×3, first 2 shown]
	v_cmp_lt_u32_e32 vcc_lo, 19, v94
	s_or_b32 s8, vcc_lo, s8
	s_waitcnt vmcnt(2) lgkmcnt(0)
	v_mul_f64 v[104:105], v[98:99], v[100:101]
	v_mul_f64 v[100:101], v[96:97], v[100:101]
	s_waitcnt vmcnt(0)
	v_fma_f64 v[96:97], v[96:97], v[102:103], -v[104:105]
	v_fma_f64 v[98:99], v[98:99], v[102:103], v[100:101]
	v_add_f64 v[1:2], v[1:2], v[96:97]
	v_add_f64 v[3:4], v[3:4], v[98:99]
	s_andn2_b32 exec_lo, exec_lo, s8
	s_cbranch_execnz .LBB105_492
; %bb.493:
	s_or_b32 exec_lo, exec_lo, s8
.LBB105_494:
	s_or_b32 exec_lo, exec_lo, s6
	v_mov_b32_e32 v92, 0
	ds_read_b128 v[96:99], v92 offset:336
	s_waitcnt lgkmcnt(0)
	v_mul_f64 v[92:93], v[3:4], v[98:99]
	v_mul_f64 v[98:99], v[1:2], v[98:99]
	v_fma_f64 v[1:2], v[1:2], v[96:97], -v[92:93]
	v_fma_f64 v[3:4], v[3:4], v[96:97], v[98:99]
	buffer_store_dword v2, off, s[0:3], 0 offset:340
	buffer_store_dword v1, off, s[0:3], 0 offset:336
	;; [unrolled: 1-line block ×4, first 2 shown]
.LBB105_495:
	s_or_b32 exec_lo, exec_lo, s4
	v_mov_b32_e32 v4, s27
	s_mov_b32 s4, exec_lo
	s_clause 0x3
	buffer_load_dword v1, v4, s[0:3], 0 offen
	buffer_load_dword v2, v4, s[0:3], 0 offen offset:4
	buffer_load_dword v3, v4, s[0:3], 0 offen offset:8
	buffer_load_dword v4, v4, s[0:3], 0 offen offset:12
	s_waitcnt vmcnt(0)
	ds_write_b128 v90, v[1:4]
	s_waitcnt lgkmcnt(0)
	s_waitcnt_vscnt null, 0x0
	s_barrier
	buffer_gl0_inv
	v_cmpx_gt_u32_e32 22, v0
	s_cbranch_execz .LBB105_503
; %bb.496:
	ds_read_b128 v[1:4], v90
	v_cmp_ne_u32_e32 vcc_lo, 1, v91
	s_cbranch_vccnz .LBB105_498
; %bb.497:
	s_clause 0x3
	buffer_load_dword v92, v89, s[0:3], 0 offen offset:8
	buffer_load_dword v93, v89, s[0:3], 0 offen offset:12
	buffer_load_dword v96, v89, s[0:3], 0 offen
	buffer_load_dword v97, v89, s[0:3], 0 offen offset:4
	s_waitcnt vmcnt(2) lgkmcnt(0)
	v_mul_f64 v[98:99], v[3:4], v[92:93]
	v_mul_f64 v[92:93], v[1:2], v[92:93]
	s_waitcnt vmcnt(0)
	v_fma_f64 v[1:2], v[1:2], v[96:97], -v[98:99]
	v_fma_f64 v[3:4], v[3:4], v[96:97], v[92:93]
.LBB105_498:
	s_mov_b32 s6, exec_lo
	v_cmpx_ne_u32_e32 21, v0
	s_cbranch_execz .LBB105_502
; %bb.499:
	v_add_nc_u32_e32 v92, 0x2b0, v95
	v_add3_u32 v93, 0, v95, 16
	v_mov_b32_e32 v94, v0
	s_mov_b32 s8, 0
	.p2align	6
.LBB105_500:                            ; =>This Inner Loop Header: Depth=1
	s_clause 0x3
	buffer_load_dword v100, v93, s[0:3], 0 offen offset:8
	buffer_load_dword v101, v93, s[0:3], 0 offen offset:12
	buffer_load_dword v102, v93, s[0:3], 0 offen
	buffer_load_dword v103, v93, s[0:3], 0 offen offset:4
	ds_read_b128 v[96:99], v92
	v_add_nc_u32_e32 v94, 1, v94
	v_add_nc_u32_e32 v92, 16, v92
	;; [unrolled: 1-line block ×3, first 2 shown]
	v_cmp_lt_u32_e32 vcc_lo, 20, v94
	s_or_b32 s8, vcc_lo, s8
	s_waitcnt vmcnt(2) lgkmcnt(0)
	v_mul_f64 v[104:105], v[98:99], v[100:101]
	v_mul_f64 v[100:101], v[96:97], v[100:101]
	s_waitcnt vmcnt(0)
	v_fma_f64 v[96:97], v[96:97], v[102:103], -v[104:105]
	v_fma_f64 v[98:99], v[98:99], v[102:103], v[100:101]
	v_add_f64 v[1:2], v[1:2], v[96:97]
	v_add_f64 v[3:4], v[3:4], v[98:99]
	s_andn2_b32 exec_lo, exec_lo, s8
	s_cbranch_execnz .LBB105_500
; %bb.501:
	s_or_b32 exec_lo, exec_lo, s8
.LBB105_502:
	s_or_b32 exec_lo, exec_lo, s6
	v_mov_b32_e32 v92, 0
	ds_read_b128 v[96:99], v92 offset:352
	s_waitcnt lgkmcnt(0)
	v_mul_f64 v[92:93], v[3:4], v[98:99]
	v_mul_f64 v[98:99], v[1:2], v[98:99]
	v_fma_f64 v[1:2], v[1:2], v[96:97], -v[92:93]
	v_fma_f64 v[3:4], v[3:4], v[96:97], v[98:99]
	buffer_store_dword v2, off, s[0:3], 0 offset:356
	buffer_store_dword v1, off, s[0:3], 0 offset:352
	;; [unrolled: 1-line block ×4, first 2 shown]
.LBB105_503:
	s_or_b32 exec_lo, exec_lo, s4
	v_mov_b32_e32 v4, s26
	s_mov_b32 s4, exec_lo
	s_clause 0x3
	buffer_load_dword v1, v4, s[0:3], 0 offen
	buffer_load_dword v2, v4, s[0:3], 0 offen offset:4
	buffer_load_dword v3, v4, s[0:3], 0 offen offset:8
	;; [unrolled: 1-line block ×3, first 2 shown]
	s_waitcnt vmcnt(0)
	ds_write_b128 v90, v[1:4]
	s_waitcnt lgkmcnt(0)
	s_waitcnt_vscnt null, 0x0
	s_barrier
	buffer_gl0_inv
	v_cmpx_gt_u32_e32 23, v0
	s_cbranch_execz .LBB105_511
; %bb.504:
	ds_read_b128 v[1:4], v90
	v_cmp_ne_u32_e32 vcc_lo, 1, v91
	s_cbranch_vccnz .LBB105_506
; %bb.505:
	s_clause 0x3
	buffer_load_dword v92, v89, s[0:3], 0 offen offset:8
	buffer_load_dword v93, v89, s[0:3], 0 offen offset:12
	buffer_load_dword v96, v89, s[0:3], 0 offen
	buffer_load_dword v97, v89, s[0:3], 0 offen offset:4
	s_waitcnt vmcnt(2) lgkmcnt(0)
	v_mul_f64 v[98:99], v[3:4], v[92:93]
	v_mul_f64 v[92:93], v[1:2], v[92:93]
	s_waitcnt vmcnt(0)
	v_fma_f64 v[1:2], v[1:2], v[96:97], -v[98:99]
	v_fma_f64 v[3:4], v[3:4], v[96:97], v[92:93]
.LBB105_506:
	s_mov_b32 s6, exec_lo
	v_cmpx_ne_u32_e32 22, v0
	s_cbranch_execz .LBB105_510
; %bb.507:
	v_add_nc_u32_e32 v92, 0x2b0, v95
	v_add3_u32 v93, 0, v95, 16
	v_mov_b32_e32 v94, v0
	s_mov_b32 s8, 0
	.p2align	6
.LBB105_508:                            ; =>This Inner Loop Header: Depth=1
	s_clause 0x3
	buffer_load_dword v100, v93, s[0:3], 0 offen offset:8
	buffer_load_dword v101, v93, s[0:3], 0 offen offset:12
	buffer_load_dword v102, v93, s[0:3], 0 offen
	buffer_load_dword v103, v93, s[0:3], 0 offen offset:4
	ds_read_b128 v[96:99], v92
	v_add_nc_u32_e32 v94, 1, v94
	v_add_nc_u32_e32 v92, 16, v92
	;; [unrolled: 1-line block ×3, first 2 shown]
	v_cmp_lt_u32_e32 vcc_lo, 21, v94
	s_or_b32 s8, vcc_lo, s8
	s_waitcnt vmcnt(2) lgkmcnt(0)
	v_mul_f64 v[104:105], v[98:99], v[100:101]
	v_mul_f64 v[100:101], v[96:97], v[100:101]
	s_waitcnt vmcnt(0)
	v_fma_f64 v[96:97], v[96:97], v[102:103], -v[104:105]
	v_fma_f64 v[98:99], v[98:99], v[102:103], v[100:101]
	v_add_f64 v[1:2], v[1:2], v[96:97]
	v_add_f64 v[3:4], v[3:4], v[98:99]
	s_andn2_b32 exec_lo, exec_lo, s8
	s_cbranch_execnz .LBB105_508
; %bb.509:
	s_or_b32 exec_lo, exec_lo, s8
.LBB105_510:
	s_or_b32 exec_lo, exec_lo, s6
	v_mov_b32_e32 v92, 0
	ds_read_b128 v[96:99], v92 offset:368
	s_waitcnt lgkmcnt(0)
	v_mul_f64 v[92:93], v[3:4], v[98:99]
	v_mul_f64 v[98:99], v[1:2], v[98:99]
	v_fma_f64 v[1:2], v[1:2], v[96:97], -v[92:93]
	v_fma_f64 v[3:4], v[3:4], v[96:97], v[98:99]
	buffer_store_dword v2, off, s[0:3], 0 offset:372
	buffer_store_dword v1, off, s[0:3], 0 offset:368
	;; [unrolled: 1-line block ×4, first 2 shown]
.LBB105_511:
	s_or_b32 exec_lo, exec_lo, s4
	v_mov_b32_e32 v4, s25
	s_mov_b32 s4, exec_lo
	s_clause 0x3
	buffer_load_dword v1, v4, s[0:3], 0 offen
	buffer_load_dword v2, v4, s[0:3], 0 offen offset:4
	buffer_load_dword v3, v4, s[0:3], 0 offen offset:8
	;; [unrolled: 1-line block ×3, first 2 shown]
	s_waitcnt vmcnt(0)
	ds_write_b128 v90, v[1:4]
	s_waitcnt lgkmcnt(0)
	s_waitcnt_vscnt null, 0x0
	s_barrier
	buffer_gl0_inv
	v_cmpx_gt_u32_e32 24, v0
	s_cbranch_execz .LBB105_519
; %bb.512:
	ds_read_b128 v[1:4], v90
	v_cmp_ne_u32_e32 vcc_lo, 1, v91
	s_cbranch_vccnz .LBB105_514
; %bb.513:
	s_clause 0x3
	buffer_load_dword v92, v89, s[0:3], 0 offen offset:8
	buffer_load_dword v93, v89, s[0:3], 0 offen offset:12
	buffer_load_dword v96, v89, s[0:3], 0 offen
	buffer_load_dword v97, v89, s[0:3], 0 offen offset:4
	s_waitcnt vmcnt(2) lgkmcnt(0)
	v_mul_f64 v[98:99], v[3:4], v[92:93]
	v_mul_f64 v[92:93], v[1:2], v[92:93]
	s_waitcnt vmcnt(0)
	v_fma_f64 v[1:2], v[1:2], v[96:97], -v[98:99]
	v_fma_f64 v[3:4], v[3:4], v[96:97], v[92:93]
.LBB105_514:
	s_mov_b32 s6, exec_lo
	v_cmpx_ne_u32_e32 23, v0
	s_cbranch_execz .LBB105_518
; %bb.515:
	v_add_nc_u32_e32 v92, 0x2b0, v95
	v_add3_u32 v93, 0, v95, 16
	v_mov_b32_e32 v94, v0
	s_mov_b32 s8, 0
	.p2align	6
.LBB105_516:                            ; =>This Inner Loop Header: Depth=1
	s_clause 0x3
	buffer_load_dword v100, v93, s[0:3], 0 offen offset:8
	buffer_load_dword v101, v93, s[0:3], 0 offen offset:12
	buffer_load_dword v102, v93, s[0:3], 0 offen
	buffer_load_dword v103, v93, s[0:3], 0 offen offset:4
	ds_read_b128 v[96:99], v92
	v_add_nc_u32_e32 v94, 1, v94
	v_add_nc_u32_e32 v92, 16, v92
	;; [unrolled: 1-line block ×3, first 2 shown]
	v_cmp_lt_u32_e32 vcc_lo, 22, v94
	s_or_b32 s8, vcc_lo, s8
	s_waitcnt vmcnt(2) lgkmcnt(0)
	v_mul_f64 v[104:105], v[98:99], v[100:101]
	v_mul_f64 v[100:101], v[96:97], v[100:101]
	s_waitcnt vmcnt(0)
	v_fma_f64 v[96:97], v[96:97], v[102:103], -v[104:105]
	v_fma_f64 v[98:99], v[98:99], v[102:103], v[100:101]
	v_add_f64 v[1:2], v[1:2], v[96:97]
	v_add_f64 v[3:4], v[3:4], v[98:99]
	s_andn2_b32 exec_lo, exec_lo, s8
	s_cbranch_execnz .LBB105_516
; %bb.517:
	s_or_b32 exec_lo, exec_lo, s8
.LBB105_518:
	s_or_b32 exec_lo, exec_lo, s6
	v_mov_b32_e32 v92, 0
	ds_read_b128 v[96:99], v92 offset:384
	s_waitcnt lgkmcnt(0)
	v_mul_f64 v[92:93], v[3:4], v[98:99]
	v_mul_f64 v[98:99], v[1:2], v[98:99]
	v_fma_f64 v[1:2], v[1:2], v[96:97], -v[92:93]
	v_fma_f64 v[3:4], v[3:4], v[96:97], v[98:99]
	buffer_store_dword v2, off, s[0:3], 0 offset:388
	buffer_store_dword v1, off, s[0:3], 0 offset:384
	;; [unrolled: 1-line block ×4, first 2 shown]
.LBB105_519:
	s_or_b32 exec_lo, exec_lo, s4
	v_mov_b32_e32 v4, s24
	s_mov_b32 s4, exec_lo
	s_clause 0x3
	buffer_load_dword v1, v4, s[0:3], 0 offen
	buffer_load_dword v2, v4, s[0:3], 0 offen offset:4
	buffer_load_dword v3, v4, s[0:3], 0 offen offset:8
	buffer_load_dword v4, v4, s[0:3], 0 offen offset:12
	s_waitcnt vmcnt(0)
	ds_write_b128 v90, v[1:4]
	s_waitcnt lgkmcnt(0)
	s_waitcnt_vscnt null, 0x0
	s_barrier
	buffer_gl0_inv
	v_cmpx_gt_u32_e32 25, v0
	s_cbranch_execz .LBB105_527
; %bb.520:
	ds_read_b128 v[1:4], v90
	v_cmp_ne_u32_e32 vcc_lo, 1, v91
	s_cbranch_vccnz .LBB105_522
; %bb.521:
	s_clause 0x3
	buffer_load_dword v92, v89, s[0:3], 0 offen offset:8
	buffer_load_dword v93, v89, s[0:3], 0 offen offset:12
	buffer_load_dword v96, v89, s[0:3], 0 offen
	buffer_load_dword v97, v89, s[0:3], 0 offen offset:4
	s_waitcnt vmcnt(2) lgkmcnt(0)
	v_mul_f64 v[98:99], v[3:4], v[92:93]
	v_mul_f64 v[92:93], v[1:2], v[92:93]
	s_waitcnt vmcnt(0)
	v_fma_f64 v[1:2], v[1:2], v[96:97], -v[98:99]
	v_fma_f64 v[3:4], v[3:4], v[96:97], v[92:93]
.LBB105_522:
	s_mov_b32 s6, exec_lo
	v_cmpx_ne_u32_e32 24, v0
	s_cbranch_execz .LBB105_526
; %bb.523:
	v_add_nc_u32_e32 v92, 0x2b0, v95
	v_add3_u32 v93, 0, v95, 16
	v_mov_b32_e32 v94, v0
	s_mov_b32 s8, 0
	.p2align	6
.LBB105_524:                            ; =>This Inner Loop Header: Depth=1
	s_clause 0x3
	buffer_load_dword v100, v93, s[0:3], 0 offen offset:8
	buffer_load_dword v101, v93, s[0:3], 0 offen offset:12
	buffer_load_dword v102, v93, s[0:3], 0 offen
	buffer_load_dword v103, v93, s[0:3], 0 offen offset:4
	ds_read_b128 v[96:99], v92
	v_add_nc_u32_e32 v94, 1, v94
	v_add_nc_u32_e32 v92, 16, v92
	;; [unrolled: 1-line block ×3, first 2 shown]
	v_cmp_lt_u32_e32 vcc_lo, 23, v94
	s_or_b32 s8, vcc_lo, s8
	s_waitcnt vmcnt(2) lgkmcnt(0)
	v_mul_f64 v[104:105], v[98:99], v[100:101]
	v_mul_f64 v[100:101], v[96:97], v[100:101]
	s_waitcnt vmcnt(0)
	v_fma_f64 v[96:97], v[96:97], v[102:103], -v[104:105]
	v_fma_f64 v[98:99], v[98:99], v[102:103], v[100:101]
	v_add_f64 v[1:2], v[1:2], v[96:97]
	v_add_f64 v[3:4], v[3:4], v[98:99]
	s_andn2_b32 exec_lo, exec_lo, s8
	s_cbranch_execnz .LBB105_524
; %bb.525:
	s_or_b32 exec_lo, exec_lo, s8
.LBB105_526:
	s_or_b32 exec_lo, exec_lo, s6
	v_mov_b32_e32 v92, 0
	ds_read_b128 v[96:99], v92 offset:400
	s_waitcnt lgkmcnt(0)
	v_mul_f64 v[92:93], v[3:4], v[98:99]
	v_mul_f64 v[98:99], v[1:2], v[98:99]
	v_fma_f64 v[1:2], v[1:2], v[96:97], -v[92:93]
	v_fma_f64 v[3:4], v[3:4], v[96:97], v[98:99]
	buffer_store_dword v2, off, s[0:3], 0 offset:404
	buffer_store_dword v1, off, s[0:3], 0 offset:400
	;; [unrolled: 1-line block ×4, first 2 shown]
.LBB105_527:
	s_or_b32 exec_lo, exec_lo, s4
	v_mov_b32_e32 v4, s23
	s_mov_b32 s4, exec_lo
	s_clause 0x3
	buffer_load_dword v1, v4, s[0:3], 0 offen
	buffer_load_dword v2, v4, s[0:3], 0 offen offset:4
	buffer_load_dword v3, v4, s[0:3], 0 offen offset:8
	;; [unrolled: 1-line block ×3, first 2 shown]
	s_waitcnt vmcnt(0)
	ds_write_b128 v90, v[1:4]
	s_waitcnt lgkmcnt(0)
	s_waitcnt_vscnt null, 0x0
	s_barrier
	buffer_gl0_inv
	v_cmpx_gt_u32_e32 26, v0
	s_cbranch_execz .LBB105_535
; %bb.528:
	ds_read_b128 v[1:4], v90
	v_cmp_ne_u32_e32 vcc_lo, 1, v91
	s_cbranch_vccnz .LBB105_530
; %bb.529:
	s_clause 0x3
	buffer_load_dword v92, v89, s[0:3], 0 offen offset:8
	buffer_load_dword v93, v89, s[0:3], 0 offen offset:12
	buffer_load_dword v96, v89, s[0:3], 0 offen
	buffer_load_dword v97, v89, s[0:3], 0 offen offset:4
	s_waitcnt vmcnt(2) lgkmcnt(0)
	v_mul_f64 v[98:99], v[3:4], v[92:93]
	v_mul_f64 v[92:93], v[1:2], v[92:93]
	s_waitcnt vmcnt(0)
	v_fma_f64 v[1:2], v[1:2], v[96:97], -v[98:99]
	v_fma_f64 v[3:4], v[3:4], v[96:97], v[92:93]
.LBB105_530:
	s_mov_b32 s6, exec_lo
	v_cmpx_ne_u32_e32 25, v0
	s_cbranch_execz .LBB105_534
; %bb.531:
	v_add_nc_u32_e32 v92, 0x2b0, v95
	v_add3_u32 v93, 0, v95, 16
	v_mov_b32_e32 v94, v0
	s_mov_b32 s8, 0
	.p2align	6
.LBB105_532:                            ; =>This Inner Loop Header: Depth=1
	s_clause 0x3
	buffer_load_dword v100, v93, s[0:3], 0 offen offset:8
	buffer_load_dword v101, v93, s[0:3], 0 offen offset:12
	buffer_load_dword v102, v93, s[0:3], 0 offen
	buffer_load_dword v103, v93, s[0:3], 0 offen offset:4
	ds_read_b128 v[96:99], v92
	v_add_nc_u32_e32 v94, 1, v94
	v_add_nc_u32_e32 v92, 16, v92
	;; [unrolled: 1-line block ×3, first 2 shown]
	v_cmp_lt_u32_e32 vcc_lo, 24, v94
	s_or_b32 s8, vcc_lo, s8
	s_waitcnt vmcnt(2) lgkmcnt(0)
	v_mul_f64 v[104:105], v[98:99], v[100:101]
	v_mul_f64 v[100:101], v[96:97], v[100:101]
	s_waitcnt vmcnt(0)
	v_fma_f64 v[96:97], v[96:97], v[102:103], -v[104:105]
	v_fma_f64 v[98:99], v[98:99], v[102:103], v[100:101]
	v_add_f64 v[1:2], v[1:2], v[96:97]
	v_add_f64 v[3:4], v[3:4], v[98:99]
	s_andn2_b32 exec_lo, exec_lo, s8
	s_cbranch_execnz .LBB105_532
; %bb.533:
	s_or_b32 exec_lo, exec_lo, s8
.LBB105_534:
	s_or_b32 exec_lo, exec_lo, s6
	v_mov_b32_e32 v92, 0
	ds_read_b128 v[96:99], v92 offset:416
	s_waitcnt lgkmcnt(0)
	v_mul_f64 v[92:93], v[3:4], v[98:99]
	v_mul_f64 v[98:99], v[1:2], v[98:99]
	v_fma_f64 v[1:2], v[1:2], v[96:97], -v[92:93]
	v_fma_f64 v[3:4], v[3:4], v[96:97], v[98:99]
	buffer_store_dword v2, off, s[0:3], 0 offset:420
	buffer_store_dword v1, off, s[0:3], 0 offset:416
	;; [unrolled: 1-line block ×4, first 2 shown]
.LBB105_535:
	s_or_b32 exec_lo, exec_lo, s4
	v_mov_b32_e32 v4, s22
	s_mov_b32 s4, exec_lo
	s_clause 0x3
	buffer_load_dword v1, v4, s[0:3], 0 offen
	buffer_load_dword v2, v4, s[0:3], 0 offen offset:4
	buffer_load_dword v3, v4, s[0:3], 0 offen offset:8
	;; [unrolled: 1-line block ×3, first 2 shown]
	s_waitcnt vmcnt(0)
	ds_write_b128 v90, v[1:4]
	s_waitcnt lgkmcnt(0)
	s_waitcnt_vscnt null, 0x0
	s_barrier
	buffer_gl0_inv
	v_cmpx_gt_u32_e32 27, v0
	s_cbranch_execz .LBB105_543
; %bb.536:
	ds_read_b128 v[1:4], v90
	v_cmp_ne_u32_e32 vcc_lo, 1, v91
	s_cbranch_vccnz .LBB105_538
; %bb.537:
	s_clause 0x3
	buffer_load_dword v92, v89, s[0:3], 0 offen offset:8
	buffer_load_dword v93, v89, s[0:3], 0 offen offset:12
	buffer_load_dword v96, v89, s[0:3], 0 offen
	buffer_load_dword v97, v89, s[0:3], 0 offen offset:4
	s_waitcnt vmcnt(2) lgkmcnt(0)
	v_mul_f64 v[98:99], v[3:4], v[92:93]
	v_mul_f64 v[92:93], v[1:2], v[92:93]
	s_waitcnt vmcnt(0)
	v_fma_f64 v[1:2], v[1:2], v[96:97], -v[98:99]
	v_fma_f64 v[3:4], v[3:4], v[96:97], v[92:93]
.LBB105_538:
	s_mov_b32 s6, exec_lo
	v_cmpx_ne_u32_e32 26, v0
	s_cbranch_execz .LBB105_542
; %bb.539:
	v_add_nc_u32_e32 v92, 0x2b0, v95
	v_add3_u32 v93, 0, v95, 16
	v_mov_b32_e32 v94, v0
	s_mov_b32 s8, 0
	.p2align	6
.LBB105_540:                            ; =>This Inner Loop Header: Depth=1
	s_clause 0x3
	buffer_load_dword v100, v93, s[0:3], 0 offen offset:8
	buffer_load_dword v101, v93, s[0:3], 0 offen offset:12
	buffer_load_dword v102, v93, s[0:3], 0 offen
	buffer_load_dword v103, v93, s[0:3], 0 offen offset:4
	ds_read_b128 v[96:99], v92
	v_add_nc_u32_e32 v94, 1, v94
	v_add_nc_u32_e32 v92, 16, v92
	;; [unrolled: 1-line block ×3, first 2 shown]
	v_cmp_lt_u32_e32 vcc_lo, 25, v94
	s_or_b32 s8, vcc_lo, s8
	s_waitcnt vmcnt(2) lgkmcnt(0)
	v_mul_f64 v[104:105], v[98:99], v[100:101]
	v_mul_f64 v[100:101], v[96:97], v[100:101]
	s_waitcnt vmcnt(0)
	v_fma_f64 v[96:97], v[96:97], v[102:103], -v[104:105]
	v_fma_f64 v[98:99], v[98:99], v[102:103], v[100:101]
	v_add_f64 v[1:2], v[1:2], v[96:97]
	v_add_f64 v[3:4], v[3:4], v[98:99]
	s_andn2_b32 exec_lo, exec_lo, s8
	s_cbranch_execnz .LBB105_540
; %bb.541:
	s_or_b32 exec_lo, exec_lo, s8
.LBB105_542:
	s_or_b32 exec_lo, exec_lo, s6
	v_mov_b32_e32 v92, 0
	ds_read_b128 v[96:99], v92 offset:432
	s_waitcnt lgkmcnt(0)
	v_mul_f64 v[92:93], v[3:4], v[98:99]
	v_mul_f64 v[98:99], v[1:2], v[98:99]
	v_fma_f64 v[1:2], v[1:2], v[96:97], -v[92:93]
	v_fma_f64 v[3:4], v[3:4], v[96:97], v[98:99]
	buffer_store_dword v2, off, s[0:3], 0 offset:436
	buffer_store_dword v1, off, s[0:3], 0 offset:432
	;; [unrolled: 1-line block ×4, first 2 shown]
.LBB105_543:
	s_or_b32 exec_lo, exec_lo, s4
	v_mov_b32_e32 v4, s21
	s_mov_b32 s4, exec_lo
	s_clause 0x3
	buffer_load_dword v1, v4, s[0:3], 0 offen
	buffer_load_dword v2, v4, s[0:3], 0 offen offset:4
	buffer_load_dword v3, v4, s[0:3], 0 offen offset:8
	;; [unrolled: 1-line block ×3, first 2 shown]
	s_waitcnt vmcnt(0)
	ds_write_b128 v90, v[1:4]
	s_waitcnt lgkmcnt(0)
	s_waitcnt_vscnt null, 0x0
	s_barrier
	buffer_gl0_inv
	v_cmpx_gt_u32_e32 28, v0
	s_cbranch_execz .LBB105_551
; %bb.544:
	ds_read_b128 v[1:4], v90
	v_cmp_ne_u32_e32 vcc_lo, 1, v91
	s_cbranch_vccnz .LBB105_546
; %bb.545:
	s_clause 0x3
	buffer_load_dword v92, v89, s[0:3], 0 offen offset:8
	buffer_load_dword v93, v89, s[0:3], 0 offen offset:12
	buffer_load_dword v96, v89, s[0:3], 0 offen
	buffer_load_dword v97, v89, s[0:3], 0 offen offset:4
	s_waitcnt vmcnt(2) lgkmcnt(0)
	v_mul_f64 v[98:99], v[3:4], v[92:93]
	v_mul_f64 v[92:93], v[1:2], v[92:93]
	s_waitcnt vmcnt(0)
	v_fma_f64 v[1:2], v[1:2], v[96:97], -v[98:99]
	v_fma_f64 v[3:4], v[3:4], v[96:97], v[92:93]
.LBB105_546:
	s_mov_b32 s6, exec_lo
	v_cmpx_ne_u32_e32 27, v0
	s_cbranch_execz .LBB105_550
; %bb.547:
	v_add_nc_u32_e32 v92, 0x2b0, v95
	v_add3_u32 v93, 0, v95, 16
	v_mov_b32_e32 v94, v0
	s_mov_b32 s8, 0
	.p2align	6
.LBB105_548:                            ; =>This Inner Loop Header: Depth=1
	s_clause 0x3
	buffer_load_dword v100, v93, s[0:3], 0 offen offset:8
	buffer_load_dword v101, v93, s[0:3], 0 offen offset:12
	buffer_load_dword v102, v93, s[0:3], 0 offen
	buffer_load_dword v103, v93, s[0:3], 0 offen offset:4
	ds_read_b128 v[96:99], v92
	v_add_nc_u32_e32 v94, 1, v94
	v_add_nc_u32_e32 v92, 16, v92
	;; [unrolled: 1-line block ×3, first 2 shown]
	v_cmp_lt_u32_e32 vcc_lo, 26, v94
	s_or_b32 s8, vcc_lo, s8
	s_waitcnt vmcnt(2) lgkmcnt(0)
	v_mul_f64 v[104:105], v[98:99], v[100:101]
	v_mul_f64 v[100:101], v[96:97], v[100:101]
	s_waitcnt vmcnt(0)
	v_fma_f64 v[96:97], v[96:97], v[102:103], -v[104:105]
	v_fma_f64 v[98:99], v[98:99], v[102:103], v[100:101]
	v_add_f64 v[1:2], v[1:2], v[96:97]
	v_add_f64 v[3:4], v[3:4], v[98:99]
	s_andn2_b32 exec_lo, exec_lo, s8
	s_cbranch_execnz .LBB105_548
; %bb.549:
	s_or_b32 exec_lo, exec_lo, s8
.LBB105_550:
	s_or_b32 exec_lo, exec_lo, s6
	v_mov_b32_e32 v92, 0
	ds_read_b128 v[96:99], v92 offset:448
	s_waitcnt lgkmcnt(0)
	v_mul_f64 v[92:93], v[3:4], v[98:99]
	v_mul_f64 v[98:99], v[1:2], v[98:99]
	v_fma_f64 v[1:2], v[1:2], v[96:97], -v[92:93]
	v_fma_f64 v[3:4], v[3:4], v[96:97], v[98:99]
	buffer_store_dword v2, off, s[0:3], 0 offset:452
	buffer_store_dword v1, off, s[0:3], 0 offset:448
	;; [unrolled: 1-line block ×4, first 2 shown]
.LBB105_551:
	s_or_b32 exec_lo, exec_lo, s4
	v_mov_b32_e32 v4, s20
	s_mov_b32 s4, exec_lo
	s_clause 0x3
	buffer_load_dword v1, v4, s[0:3], 0 offen
	buffer_load_dword v2, v4, s[0:3], 0 offen offset:4
	buffer_load_dword v3, v4, s[0:3], 0 offen offset:8
	;; [unrolled: 1-line block ×3, first 2 shown]
	s_waitcnt vmcnt(0)
	ds_write_b128 v90, v[1:4]
	s_waitcnt lgkmcnt(0)
	s_waitcnt_vscnt null, 0x0
	s_barrier
	buffer_gl0_inv
	v_cmpx_gt_u32_e32 29, v0
	s_cbranch_execz .LBB105_559
; %bb.552:
	ds_read_b128 v[1:4], v90
	v_cmp_ne_u32_e32 vcc_lo, 1, v91
	s_cbranch_vccnz .LBB105_554
; %bb.553:
	s_clause 0x3
	buffer_load_dword v92, v89, s[0:3], 0 offen offset:8
	buffer_load_dword v93, v89, s[0:3], 0 offen offset:12
	buffer_load_dword v96, v89, s[0:3], 0 offen
	buffer_load_dword v97, v89, s[0:3], 0 offen offset:4
	s_waitcnt vmcnt(2) lgkmcnt(0)
	v_mul_f64 v[98:99], v[3:4], v[92:93]
	v_mul_f64 v[92:93], v[1:2], v[92:93]
	s_waitcnt vmcnt(0)
	v_fma_f64 v[1:2], v[1:2], v[96:97], -v[98:99]
	v_fma_f64 v[3:4], v[3:4], v[96:97], v[92:93]
.LBB105_554:
	s_mov_b32 s6, exec_lo
	v_cmpx_ne_u32_e32 28, v0
	s_cbranch_execz .LBB105_558
; %bb.555:
	v_add_nc_u32_e32 v92, 0x2b0, v95
	v_add3_u32 v93, 0, v95, 16
	v_mov_b32_e32 v94, v0
	s_mov_b32 s8, 0
	.p2align	6
.LBB105_556:                            ; =>This Inner Loop Header: Depth=1
	s_clause 0x3
	buffer_load_dword v100, v93, s[0:3], 0 offen offset:8
	buffer_load_dword v101, v93, s[0:3], 0 offen offset:12
	buffer_load_dword v102, v93, s[0:3], 0 offen
	buffer_load_dword v103, v93, s[0:3], 0 offen offset:4
	ds_read_b128 v[96:99], v92
	v_add_nc_u32_e32 v94, 1, v94
	v_add_nc_u32_e32 v92, 16, v92
	;; [unrolled: 1-line block ×3, first 2 shown]
	v_cmp_lt_u32_e32 vcc_lo, 27, v94
	s_or_b32 s8, vcc_lo, s8
	s_waitcnt vmcnt(2) lgkmcnt(0)
	v_mul_f64 v[104:105], v[98:99], v[100:101]
	v_mul_f64 v[100:101], v[96:97], v[100:101]
	s_waitcnt vmcnt(0)
	v_fma_f64 v[96:97], v[96:97], v[102:103], -v[104:105]
	v_fma_f64 v[98:99], v[98:99], v[102:103], v[100:101]
	v_add_f64 v[1:2], v[1:2], v[96:97]
	v_add_f64 v[3:4], v[3:4], v[98:99]
	s_andn2_b32 exec_lo, exec_lo, s8
	s_cbranch_execnz .LBB105_556
; %bb.557:
	s_or_b32 exec_lo, exec_lo, s8
.LBB105_558:
	s_or_b32 exec_lo, exec_lo, s6
	v_mov_b32_e32 v92, 0
	ds_read_b128 v[96:99], v92 offset:464
	s_waitcnt lgkmcnt(0)
	v_mul_f64 v[92:93], v[3:4], v[98:99]
	v_mul_f64 v[98:99], v[1:2], v[98:99]
	v_fma_f64 v[1:2], v[1:2], v[96:97], -v[92:93]
	v_fma_f64 v[3:4], v[3:4], v[96:97], v[98:99]
	buffer_store_dword v2, off, s[0:3], 0 offset:468
	buffer_store_dword v1, off, s[0:3], 0 offset:464
	;; [unrolled: 1-line block ×4, first 2 shown]
.LBB105_559:
	s_or_b32 exec_lo, exec_lo, s4
	v_mov_b32_e32 v4, s19
	s_mov_b32 s4, exec_lo
	s_clause 0x3
	buffer_load_dword v1, v4, s[0:3], 0 offen
	buffer_load_dword v2, v4, s[0:3], 0 offen offset:4
	buffer_load_dword v3, v4, s[0:3], 0 offen offset:8
	;; [unrolled: 1-line block ×3, first 2 shown]
	s_waitcnt vmcnt(0)
	ds_write_b128 v90, v[1:4]
	s_waitcnt lgkmcnt(0)
	s_waitcnt_vscnt null, 0x0
	s_barrier
	buffer_gl0_inv
	v_cmpx_gt_u32_e32 30, v0
	s_cbranch_execz .LBB105_567
; %bb.560:
	ds_read_b128 v[1:4], v90
	v_cmp_ne_u32_e32 vcc_lo, 1, v91
	s_cbranch_vccnz .LBB105_562
; %bb.561:
	s_clause 0x3
	buffer_load_dword v92, v89, s[0:3], 0 offen offset:8
	buffer_load_dword v93, v89, s[0:3], 0 offen offset:12
	buffer_load_dword v96, v89, s[0:3], 0 offen
	buffer_load_dword v97, v89, s[0:3], 0 offen offset:4
	s_waitcnt vmcnt(2) lgkmcnt(0)
	v_mul_f64 v[98:99], v[3:4], v[92:93]
	v_mul_f64 v[92:93], v[1:2], v[92:93]
	s_waitcnt vmcnt(0)
	v_fma_f64 v[1:2], v[1:2], v[96:97], -v[98:99]
	v_fma_f64 v[3:4], v[3:4], v[96:97], v[92:93]
.LBB105_562:
	s_mov_b32 s6, exec_lo
	v_cmpx_ne_u32_e32 29, v0
	s_cbranch_execz .LBB105_566
; %bb.563:
	v_add_nc_u32_e32 v92, 0x2b0, v95
	v_add3_u32 v93, 0, v95, 16
	v_mov_b32_e32 v94, v0
	s_mov_b32 s8, 0
	.p2align	6
.LBB105_564:                            ; =>This Inner Loop Header: Depth=1
	s_clause 0x3
	buffer_load_dword v100, v93, s[0:3], 0 offen offset:8
	buffer_load_dword v101, v93, s[0:3], 0 offen offset:12
	buffer_load_dword v102, v93, s[0:3], 0 offen
	buffer_load_dword v103, v93, s[0:3], 0 offen offset:4
	ds_read_b128 v[96:99], v92
	v_add_nc_u32_e32 v94, 1, v94
	v_add_nc_u32_e32 v92, 16, v92
	;; [unrolled: 1-line block ×3, first 2 shown]
	v_cmp_lt_u32_e32 vcc_lo, 28, v94
	s_or_b32 s8, vcc_lo, s8
	s_waitcnt vmcnt(2) lgkmcnt(0)
	v_mul_f64 v[104:105], v[98:99], v[100:101]
	v_mul_f64 v[100:101], v[96:97], v[100:101]
	s_waitcnt vmcnt(0)
	v_fma_f64 v[96:97], v[96:97], v[102:103], -v[104:105]
	v_fma_f64 v[98:99], v[98:99], v[102:103], v[100:101]
	v_add_f64 v[1:2], v[1:2], v[96:97]
	v_add_f64 v[3:4], v[3:4], v[98:99]
	s_andn2_b32 exec_lo, exec_lo, s8
	s_cbranch_execnz .LBB105_564
; %bb.565:
	s_or_b32 exec_lo, exec_lo, s8
.LBB105_566:
	s_or_b32 exec_lo, exec_lo, s6
	v_mov_b32_e32 v92, 0
	ds_read_b128 v[96:99], v92 offset:480
	s_waitcnt lgkmcnt(0)
	v_mul_f64 v[92:93], v[3:4], v[98:99]
	v_mul_f64 v[98:99], v[1:2], v[98:99]
	v_fma_f64 v[1:2], v[1:2], v[96:97], -v[92:93]
	v_fma_f64 v[3:4], v[3:4], v[96:97], v[98:99]
	buffer_store_dword v2, off, s[0:3], 0 offset:484
	buffer_store_dword v1, off, s[0:3], 0 offset:480
	;; [unrolled: 1-line block ×4, first 2 shown]
.LBB105_567:
	s_or_b32 exec_lo, exec_lo, s4
	v_mov_b32_e32 v4, s18
	s_mov_b32 s4, exec_lo
	s_clause 0x3
	buffer_load_dword v1, v4, s[0:3], 0 offen
	buffer_load_dword v2, v4, s[0:3], 0 offen offset:4
	buffer_load_dword v3, v4, s[0:3], 0 offen offset:8
	;; [unrolled: 1-line block ×3, first 2 shown]
	s_waitcnt vmcnt(0)
	ds_write_b128 v90, v[1:4]
	s_waitcnt lgkmcnt(0)
	s_waitcnt_vscnt null, 0x0
	s_barrier
	buffer_gl0_inv
	v_cmpx_gt_u32_e32 31, v0
	s_cbranch_execz .LBB105_575
; %bb.568:
	ds_read_b128 v[1:4], v90
	v_cmp_ne_u32_e32 vcc_lo, 1, v91
	s_cbranch_vccnz .LBB105_570
; %bb.569:
	s_clause 0x3
	buffer_load_dword v92, v89, s[0:3], 0 offen offset:8
	buffer_load_dword v93, v89, s[0:3], 0 offen offset:12
	buffer_load_dword v96, v89, s[0:3], 0 offen
	buffer_load_dword v97, v89, s[0:3], 0 offen offset:4
	s_waitcnt vmcnt(2) lgkmcnt(0)
	v_mul_f64 v[98:99], v[3:4], v[92:93]
	v_mul_f64 v[92:93], v[1:2], v[92:93]
	s_waitcnt vmcnt(0)
	v_fma_f64 v[1:2], v[1:2], v[96:97], -v[98:99]
	v_fma_f64 v[3:4], v[3:4], v[96:97], v[92:93]
.LBB105_570:
	s_mov_b32 s6, exec_lo
	v_cmpx_ne_u32_e32 30, v0
	s_cbranch_execz .LBB105_574
; %bb.571:
	v_add_nc_u32_e32 v92, 0x2b0, v95
	v_add3_u32 v93, 0, v95, 16
	v_mov_b32_e32 v94, v0
	s_mov_b32 s8, 0
	.p2align	6
.LBB105_572:                            ; =>This Inner Loop Header: Depth=1
	s_clause 0x3
	buffer_load_dword v100, v93, s[0:3], 0 offen offset:8
	buffer_load_dword v101, v93, s[0:3], 0 offen offset:12
	buffer_load_dword v102, v93, s[0:3], 0 offen
	buffer_load_dword v103, v93, s[0:3], 0 offen offset:4
	ds_read_b128 v[96:99], v92
	v_add_nc_u32_e32 v94, 1, v94
	v_add_nc_u32_e32 v92, 16, v92
	v_add_nc_u32_e32 v93, 16, v93
	v_cmp_lt_u32_e32 vcc_lo, 29, v94
	s_or_b32 s8, vcc_lo, s8
	s_waitcnt vmcnt(2) lgkmcnt(0)
	v_mul_f64 v[104:105], v[98:99], v[100:101]
	v_mul_f64 v[100:101], v[96:97], v[100:101]
	s_waitcnt vmcnt(0)
	v_fma_f64 v[96:97], v[96:97], v[102:103], -v[104:105]
	v_fma_f64 v[98:99], v[98:99], v[102:103], v[100:101]
	v_add_f64 v[1:2], v[1:2], v[96:97]
	v_add_f64 v[3:4], v[3:4], v[98:99]
	s_andn2_b32 exec_lo, exec_lo, s8
	s_cbranch_execnz .LBB105_572
; %bb.573:
	s_or_b32 exec_lo, exec_lo, s8
.LBB105_574:
	s_or_b32 exec_lo, exec_lo, s6
	v_mov_b32_e32 v92, 0
	ds_read_b128 v[96:99], v92 offset:496
	s_waitcnt lgkmcnt(0)
	v_mul_f64 v[92:93], v[3:4], v[98:99]
	v_mul_f64 v[98:99], v[1:2], v[98:99]
	v_fma_f64 v[1:2], v[1:2], v[96:97], -v[92:93]
	v_fma_f64 v[3:4], v[3:4], v[96:97], v[98:99]
	buffer_store_dword v2, off, s[0:3], 0 offset:500
	buffer_store_dword v1, off, s[0:3], 0 offset:496
	;; [unrolled: 1-line block ×4, first 2 shown]
.LBB105_575:
	s_or_b32 exec_lo, exec_lo, s4
	v_mov_b32_e32 v4, s17
	s_mov_b32 s4, exec_lo
	s_clause 0x3
	buffer_load_dword v1, v4, s[0:3], 0 offen
	buffer_load_dword v2, v4, s[0:3], 0 offen offset:4
	buffer_load_dword v3, v4, s[0:3], 0 offen offset:8
	;; [unrolled: 1-line block ×3, first 2 shown]
	s_waitcnt vmcnt(0)
	ds_write_b128 v90, v[1:4]
	s_waitcnt lgkmcnt(0)
	s_waitcnt_vscnt null, 0x0
	s_barrier
	buffer_gl0_inv
	v_cmpx_gt_u32_e32 32, v0
	s_cbranch_execz .LBB105_583
; %bb.576:
	ds_read_b128 v[1:4], v90
	v_cmp_ne_u32_e32 vcc_lo, 1, v91
	s_cbranch_vccnz .LBB105_578
; %bb.577:
	s_clause 0x3
	buffer_load_dword v92, v89, s[0:3], 0 offen offset:8
	buffer_load_dword v93, v89, s[0:3], 0 offen offset:12
	buffer_load_dword v96, v89, s[0:3], 0 offen
	buffer_load_dword v97, v89, s[0:3], 0 offen offset:4
	s_waitcnt vmcnt(2) lgkmcnt(0)
	v_mul_f64 v[98:99], v[3:4], v[92:93]
	v_mul_f64 v[92:93], v[1:2], v[92:93]
	s_waitcnt vmcnt(0)
	v_fma_f64 v[1:2], v[1:2], v[96:97], -v[98:99]
	v_fma_f64 v[3:4], v[3:4], v[96:97], v[92:93]
.LBB105_578:
	s_mov_b32 s6, exec_lo
	v_cmpx_ne_u32_e32 31, v0
	s_cbranch_execz .LBB105_582
; %bb.579:
	v_add_nc_u32_e32 v92, 0x2b0, v95
	v_add3_u32 v93, 0, v95, 16
	v_mov_b32_e32 v94, v0
	s_mov_b32 s8, 0
	.p2align	6
.LBB105_580:                            ; =>This Inner Loop Header: Depth=1
	s_clause 0x3
	buffer_load_dword v100, v93, s[0:3], 0 offen offset:8
	buffer_load_dword v101, v93, s[0:3], 0 offen offset:12
	buffer_load_dword v102, v93, s[0:3], 0 offen
	buffer_load_dword v103, v93, s[0:3], 0 offen offset:4
	ds_read_b128 v[96:99], v92
	v_add_nc_u32_e32 v94, 1, v94
	v_add_nc_u32_e32 v92, 16, v92
	;; [unrolled: 1-line block ×3, first 2 shown]
	v_cmp_lt_u32_e32 vcc_lo, 30, v94
	s_or_b32 s8, vcc_lo, s8
	s_waitcnt vmcnt(2) lgkmcnt(0)
	v_mul_f64 v[104:105], v[98:99], v[100:101]
	v_mul_f64 v[100:101], v[96:97], v[100:101]
	s_waitcnt vmcnt(0)
	v_fma_f64 v[96:97], v[96:97], v[102:103], -v[104:105]
	v_fma_f64 v[98:99], v[98:99], v[102:103], v[100:101]
	v_add_f64 v[1:2], v[1:2], v[96:97]
	v_add_f64 v[3:4], v[3:4], v[98:99]
	s_andn2_b32 exec_lo, exec_lo, s8
	s_cbranch_execnz .LBB105_580
; %bb.581:
	s_or_b32 exec_lo, exec_lo, s8
.LBB105_582:
	s_or_b32 exec_lo, exec_lo, s6
	v_mov_b32_e32 v92, 0
	ds_read_b128 v[96:99], v92 offset:512
	s_waitcnt lgkmcnt(0)
	v_mul_f64 v[92:93], v[3:4], v[98:99]
	v_mul_f64 v[98:99], v[1:2], v[98:99]
	v_fma_f64 v[1:2], v[1:2], v[96:97], -v[92:93]
	v_fma_f64 v[3:4], v[3:4], v[96:97], v[98:99]
	buffer_store_dword v2, off, s[0:3], 0 offset:516
	buffer_store_dword v1, off, s[0:3], 0 offset:512
	buffer_store_dword v4, off, s[0:3], 0 offset:524
	buffer_store_dword v3, off, s[0:3], 0 offset:520
.LBB105_583:
	s_or_b32 exec_lo, exec_lo, s4
	v_mov_b32_e32 v4, s16
	s_mov_b32 s4, exec_lo
	s_clause 0x3
	buffer_load_dword v1, v4, s[0:3], 0 offen
	buffer_load_dword v2, v4, s[0:3], 0 offen offset:4
	buffer_load_dword v3, v4, s[0:3], 0 offen offset:8
	;; [unrolled: 1-line block ×3, first 2 shown]
	s_waitcnt vmcnt(0)
	ds_write_b128 v90, v[1:4]
	s_waitcnt lgkmcnt(0)
	s_waitcnt_vscnt null, 0x0
	s_barrier
	buffer_gl0_inv
	v_cmpx_gt_u32_e32 33, v0
	s_cbranch_execz .LBB105_591
; %bb.584:
	ds_read_b128 v[1:4], v90
	v_cmp_ne_u32_e32 vcc_lo, 1, v91
	s_cbranch_vccnz .LBB105_586
; %bb.585:
	s_clause 0x3
	buffer_load_dword v92, v89, s[0:3], 0 offen offset:8
	buffer_load_dword v93, v89, s[0:3], 0 offen offset:12
	buffer_load_dword v96, v89, s[0:3], 0 offen
	buffer_load_dword v97, v89, s[0:3], 0 offen offset:4
	s_waitcnt vmcnt(2) lgkmcnt(0)
	v_mul_f64 v[98:99], v[3:4], v[92:93]
	v_mul_f64 v[92:93], v[1:2], v[92:93]
	s_waitcnt vmcnt(0)
	v_fma_f64 v[1:2], v[1:2], v[96:97], -v[98:99]
	v_fma_f64 v[3:4], v[3:4], v[96:97], v[92:93]
.LBB105_586:
	s_mov_b32 s6, exec_lo
	v_cmpx_ne_u32_e32 32, v0
	s_cbranch_execz .LBB105_590
; %bb.587:
	v_add_nc_u32_e32 v92, 0x2b0, v95
	v_add3_u32 v93, 0, v95, 16
	v_mov_b32_e32 v94, v0
	s_mov_b32 s8, 0
	.p2align	6
.LBB105_588:                            ; =>This Inner Loop Header: Depth=1
	s_clause 0x3
	buffer_load_dword v100, v93, s[0:3], 0 offen offset:8
	buffer_load_dword v101, v93, s[0:3], 0 offen offset:12
	buffer_load_dword v102, v93, s[0:3], 0 offen
	buffer_load_dword v103, v93, s[0:3], 0 offen offset:4
	ds_read_b128 v[96:99], v92
	v_add_nc_u32_e32 v94, 1, v94
	v_add_nc_u32_e32 v92, 16, v92
	;; [unrolled: 1-line block ×3, first 2 shown]
	v_cmp_lt_u32_e32 vcc_lo, 31, v94
	s_or_b32 s8, vcc_lo, s8
	s_waitcnt vmcnt(2) lgkmcnt(0)
	v_mul_f64 v[104:105], v[98:99], v[100:101]
	v_mul_f64 v[100:101], v[96:97], v[100:101]
	s_waitcnt vmcnt(0)
	v_fma_f64 v[96:97], v[96:97], v[102:103], -v[104:105]
	v_fma_f64 v[98:99], v[98:99], v[102:103], v[100:101]
	v_add_f64 v[1:2], v[1:2], v[96:97]
	v_add_f64 v[3:4], v[3:4], v[98:99]
	s_andn2_b32 exec_lo, exec_lo, s8
	s_cbranch_execnz .LBB105_588
; %bb.589:
	s_or_b32 exec_lo, exec_lo, s8
.LBB105_590:
	s_or_b32 exec_lo, exec_lo, s6
	v_mov_b32_e32 v92, 0
	ds_read_b128 v[96:99], v92 offset:528
	s_waitcnt lgkmcnt(0)
	v_mul_f64 v[92:93], v[3:4], v[98:99]
	v_mul_f64 v[98:99], v[1:2], v[98:99]
	v_fma_f64 v[1:2], v[1:2], v[96:97], -v[92:93]
	v_fma_f64 v[3:4], v[3:4], v[96:97], v[98:99]
	buffer_store_dword v2, off, s[0:3], 0 offset:532
	buffer_store_dword v1, off, s[0:3], 0 offset:528
	;; [unrolled: 1-line block ×4, first 2 shown]
.LBB105_591:
	s_or_b32 exec_lo, exec_lo, s4
	v_mov_b32_e32 v4, s15
	s_mov_b32 s4, exec_lo
	s_clause 0x3
	buffer_load_dword v1, v4, s[0:3], 0 offen
	buffer_load_dword v2, v4, s[0:3], 0 offen offset:4
	buffer_load_dword v3, v4, s[0:3], 0 offen offset:8
	;; [unrolled: 1-line block ×3, first 2 shown]
	s_waitcnt vmcnt(0)
	ds_write_b128 v90, v[1:4]
	s_waitcnt lgkmcnt(0)
	s_waitcnt_vscnt null, 0x0
	s_barrier
	buffer_gl0_inv
	v_cmpx_gt_u32_e32 34, v0
	s_cbranch_execz .LBB105_599
; %bb.592:
	ds_read_b128 v[1:4], v90
	v_cmp_ne_u32_e32 vcc_lo, 1, v91
	s_cbranch_vccnz .LBB105_594
; %bb.593:
	s_clause 0x3
	buffer_load_dword v92, v89, s[0:3], 0 offen offset:8
	buffer_load_dword v93, v89, s[0:3], 0 offen offset:12
	buffer_load_dword v96, v89, s[0:3], 0 offen
	buffer_load_dword v97, v89, s[0:3], 0 offen offset:4
	s_waitcnt vmcnt(2) lgkmcnt(0)
	v_mul_f64 v[98:99], v[3:4], v[92:93]
	v_mul_f64 v[92:93], v[1:2], v[92:93]
	s_waitcnt vmcnt(0)
	v_fma_f64 v[1:2], v[1:2], v[96:97], -v[98:99]
	v_fma_f64 v[3:4], v[3:4], v[96:97], v[92:93]
.LBB105_594:
	s_mov_b32 s6, exec_lo
	v_cmpx_ne_u32_e32 33, v0
	s_cbranch_execz .LBB105_598
; %bb.595:
	v_add_nc_u32_e32 v92, 0x2b0, v95
	v_add3_u32 v93, 0, v95, 16
	v_mov_b32_e32 v94, v0
	s_mov_b32 s8, 0
	.p2align	6
.LBB105_596:                            ; =>This Inner Loop Header: Depth=1
	s_clause 0x3
	buffer_load_dword v100, v93, s[0:3], 0 offen offset:8
	buffer_load_dword v101, v93, s[0:3], 0 offen offset:12
	buffer_load_dword v102, v93, s[0:3], 0 offen
	buffer_load_dword v103, v93, s[0:3], 0 offen offset:4
	ds_read_b128 v[96:99], v92
	v_add_nc_u32_e32 v94, 1, v94
	v_add_nc_u32_e32 v92, 16, v92
	;; [unrolled: 1-line block ×3, first 2 shown]
	v_cmp_lt_u32_e32 vcc_lo, 32, v94
	s_or_b32 s8, vcc_lo, s8
	s_waitcnt vmcnt(2) lgkmcnt(0)
	v_mul_f64 v[104:105], v[98:99], v[100:101]
	v_mul_f64 v[100:101], v[96:97], v[100:101]
	s_waitcnt vmcnt(0)
	v_fma_f64 v[96:97], v[96:97], v[102:103], -v[104:105]
	v_fma_f64 v[98:99], v[98:99], v[102:103], v[100:101]
	v_add_f64 v[1:2], v[1:2], v[96:97]
	v_add_f64 v[3:4], v[3:4], v[98:99]
	s_andn2_b32 exec_lo, exec_lo, s8
	s_cbranch_execnz .LBB105_596
; %bb.597:
	s_or_b32 exec_lo, exec_lo, s8
.LBB105_598:
	s_or_b32 exec_lo, exec_lo, s6
	v_mov_b32_e32 v92, 0
	ds_read_b128 v[96:99], v92 offset:544
	s_waitcnt lgkmcnt(0)
	v_mul_f64 v[92:93], v[3:4], v[98:99]
	v_mul_f64 v[98:99], v[1:2], v[98:99]
	v_fma_f64 v[1:2], v[1:2], v[96:97], -v[92:93]
	v_fma_f64 v[3:4], v[3:4], v[96:97], v[98:99]
	buffer_store_dword v2, off, s[0:3], 0 offset:548
	buffer_store_dword v1, off, s[0:3], 0 offset:544
	;; [unrolled: 1-line block ×4, first 2 shown]
.LBB105_599:
	s_or_b32 exec_lo, exec_lo, s4
	v_mov_b32_e32 v4, s14
	s_mov_b32 s4, exec_lo
	s_clause 0x3
	buffer_load_dword v1, v4, s[0:3], 0 offen
	buffer_load_dword v2, v4, s[0:3], 0 offen offset:4
	buffer_load_dword v3, v4, s[0:3], 0 offen offset:8
	;; [unrolled: 1-line block ×3, first 2 shown]
	s_waitcnt vmcnt(0)
	ds_write_b128 v90, v[1:4]
	s_waitcnt lgkmcnt(0)
	s_waitcnt_vscnt null, 0x0
	s_barrier
	buffer_gl0_inv
	v_cmpx_gt_u32_e32 35, v0
	s_cbranch_execz .LBB105_607
; %bb.600:
	ds_read_b128 v[1:4], v90
	v_cmp_ne_u32_e32 vcc_lo, 1, v91
	s_cbranch_vccnz .LBB105_602
; %bb.601:
	s_clause 0x3
	buffer_load_dword v92, v89, s[0:3], 0 offen offset:8
	buffer_load_dword v93, v89, s[0:3], 0 offen offset:12
	buffer_load_dword v96, v89, s[0:3], 0 offen
	buffer_load_dword v97, v89, s[0:3], 0 offen offset:4
	s_waitcnt vmcnt(2) lgkmcnt(0)
	v_mul_f64 v[98:99], v[3:4], v[92:93]
	v_mul_f64 v[92:93], v[1:2], v[92:93]
	s_waitcnt vmcnt(0)
	v_fma_f64 v[1:2], v[1:2], v[96:97], -v[98:99]
	v_fma_f64 v[3:4], v[3:4], v[96:97], v[92:93]
.LBB105_602:
	s_mov_b32 s6, exec_lo
	v_cmpx_ne_u32_e32 34, v0
	s_cbranch_execz .LBB105_606
; %bb.603:
	v_add_nc_u32_e32 v92, 0x2b0, v95
	v_add3_u32 v93, 0, v95, 16
	v_mov_b32_e32 v94, v0
	s_mov_b32 s8, 0
	.p2align	6
.LBB105_604:                            ; =>This Inner Loop Header: Depth=1
	s_clause 0x3
	buffer_load_dword v100, v93, s[0:3], 0 offen offset:8
	buffer_load_dword v101, v93, s[0:3], 0 offen offset:12
	buffer_load_dword v102, v93, s[0:3], 0 offen
	buffer_load_dword v103, v93, s[0:3], 0 offen offset:4
	ds_read_b128 v[96:99], v92
	v_add_nc_u32_e32 v94, 1, v94
	v_add_nc_u32_e32 v92, 16, v92
	;; [unrolled: 1-line block ×3, first 2 shown]
	v_cmp_lt_u32_e32 vcc_lo, 33, v94
	s_or_b32 s8, vcc_lo, s8
	s_waitcnt vmcnt(2) lgkmcnt(0)
	v_mul_f64 v[104:105], v[98:99], v[100:101]
	v_mul_f64 v[100:101], v[96:97], v[100:101]
	s_waitcnt vmcnt(0)
	v_fma_f64 v[96:97], v[96:97], v[102:103], -v[104:105]
	v_fma_f64 v[98:99], v[98:99], v[102:103], v[100:101]
	v_add_f64 v[1:2], v[1:2], v[96:97]
	v_add_f64 v[3:4], v[3:4], v[98:99]
	s_andn2_b32 exec_lo, exec_lo, s8
	s_cbranch_execnz .LBB105_604
; %bb.605:
	s_or_b32 exec_lo, exec_lo, s8
.LBB105_606:
	s_or_b32 exec_lo, exec_lo, s6
	v_mov_b32_e32 v92, 0
	ds_read_b128 v[96:99], v92 offset:560
	s_waitcnt lgkmcnt(0)
	v_mul_f64 v[92:93], v[3:4], v[98:99]
	v_mul_f64 v[98:99], v[1:2], v[98:99]
	v_fma_f64 v[1:2], v[1:2], v[96:97], -v[92:93]
	v_fma_f64 v[3:4], v[3:4], v[96:97], v[98:99]
	buffer_store_dword v2, off, s[0:3], 0 offset:564
	buffer_store_dword v1, off, s[0:3], 0 offset:560
	;; [unrolled: 1-line block ×4, first 2 shown]
.LBB105_607:
	s_or_b32 exec_lo, exec_lo, s4
	v_mov_b32_e32 v4, s13
	s_mov_b32 s4, exec_lo
	s_clause 0x3
	buffer_load_dword v1, v4, s[0:3], 0 offen
	buffer_load_dword v2, v4, s[0:3], 0 offen offset:4
	buffer_load_dword v3, v4, s[0:3], 0 offen offset:8
	;; [unrolled: 1-line block ×3, first 2 shown]
	s_waitcnt vmcnt(0)
	ds_write_b128 v90, v[1:4]
	s_waitcnt lgkmcnt(0)
	s_waitcnt_vscnt null, 0x0
	s_barrier
	buffer_gl0_inv
	v_cmpx_gt_u32_e32 36, v0
	s_cbranch_execz .LBB105_615
; %bb.608:
	ds_read_b128 v[1:4], v90
	v_cmp_ne_u32_e32 vcc_lo, 1, v91
	s_cbranch_vccnz .LBB105_610
; %bb.609:
	s_clause 0x3
	buffer_load_dword v92, v89, s[0:3], 0 offen offset:8
	buffer_load_dword v93, v89, s[0:3], 0 offen offset:12
	buffer_load_dword v96, v89, s[0:3], 0 offen
	buffer_load_dword v97, v89, s[0:3], 0 offen offset:4
	s_waitcnt vmcnt(2) lgkmcnt(0)
	v_mul_f64 v[98:99], v[3:4], v[92:93]
	v_mul_f64 v[92:93], v[1:2], v[92:93]
	s_waitcnt vmcnt(0)
	v_fma_f64 v[1:2], v[1:2], v[96:97], -v[98:99]
	v_fma_f64 v[3:4], v[3:4], v[96:97], v[92:93]
.LBB105_610:
	s_mov_b32 s6, exec_lo
	v_cmpx_ne_u32_e32 35, v0
	s_cbranch_execz .LBB105_614
; %bb.611:
	v_add_nc_u32_e32 v92, 0x2b0, v95
	v_add3_u32 v93, 0, v95, 16
	v_mov_b32_e32 v94, v0
	s_mov_b32 s8, 0
	.p2align	6
.LBB105_612:                            ; =>This Inner Loop Header: Depth=1
	s_clause 0x3
	buffer_load_dword v100, v93, s[0:3], 0 offen offset:8
	buffer_load_dword v101, v93, s[0:3], 0 offen offset:12
	buffer_load_dword v102, v93, s[0:3], 0 offen
	buffer_load_dword v103, v93, s[0:3], 0 offen offset:4
	ds_read_b128 v[96:99], v92
	v_add_nc_u32_e32 v94, 1, v94
	v_add_nc_u32_e32 v92, 16, v92
	;; [unrolled: 1-line block ×3, first 2 shown]
	v_cmp_lt_u32_e32 vcc_lo, 34, v94
	s_or_b32 s8, vcc_lo, s8
	s_waitcnt vmcnt(2) lgkmcnt(0)
	v_mul_f64 v[104:105], v[98:99], v[100:101]
	v_mul_f64 v[100:101], v[96:97], v[100:101]
	s_waitcnt vmcnt(0)
	v_fma_f64 v[96:97], v[96:97], v[102:103], -v[104:105]
	v_fma_f64 v[98:99], v[98:99], v[102:103], v[100:101]
	v_add_f64 v[1:2], v[1:2], v[96:97]
	v_add_f64 v[3:4], v[3:4], v[98:99]
	s_andn2_b32 exec_lo, exec_lo, s8
	s_cbranch_execnz .LBB105_612
; %bb.613:
	s_or_b32 exec_lo, exec_lo, s8
.LBB105_614:
	s_or_b32 exec_lo, exec_lo, s6
	v_mov_b32_e32 v92, 0
	ds_read_b128 v[96:99], v92 offset:576
	s_waitcnt lgkmcnt(0)
	v_mul_f64 v[92:93], v[3:4], v[98:99]
	v_mul_f64 v[98:99], v[1:2], v[98:99]
	v_fma_f64 v[1:2], v[1:2], v[96:97], -v[92:93]
	v_fma_f64 v[3:4], v[3:4], v[96:97], v[98:99]
	buffer_store_dword v2, off, s[0:3], 0 offset:580
	buffer_store_dword v1, off, s[0:3], 0 offset:576
	;; [unrolled: 1-line block ×4, first 2 shown]
.LBB105_615:
	s_or_b32 exec_lo, exec_lo, s4
	v_mov_b32_e32 v4, s12
	s_mov_b32 s4, exec_lo
	s_clause 0x3
	buffer_load_dword v1, v4, s[0:3], 0 offen
	buffer_load_dword v2, v4, s[0:3], 0 offen offset:4
	buffer_load_dword v3, v4, s[0:3], 0 offen offset:8
	;; [unrolled: 1-line block ×3, first 2 shown]
	s_waitcnt vmcnt(0)
	ds_write_b128 v90, v[1:4]
	s_waitcnt lgkmcnt(0)
	s_waitcnt_vscnt null, 0x0
	s_barrier
	buffer_gl0_inv
	v_cmpx_gt_u32_e32 37, v0
	s_cbranch_execz .LBB105_623
; %bb.616:
	ds_read_b128 v[1:4], v90
	v_cmp_ne_u32_e32 vcc_lo, 1, v91
	s_cbranch_vccnz .LBB105_618
; %bb.617:
	s_clause 0x3
	buffer_load_dword v92, v89, s[0:3], 0 offen offset:8
	buffer_load_dword v93, v89, s[0:3], 0 offen offset:12
	buffer_load_dword v96, v89, s[0:3], 0 offen
	buffer_load_dword v97, v89, s[0:3], 0 offen offset:4
	s_waitcnt vmcnt(2) lgkmcnt(0)
	v_mul_f64 v[98:99], v[3:4], v[92:93]
	v_mul_f64 v[92:93], v[1:2], v[92:93]
	s_waitcnt vmcnt(0)
	v_fma_f64 v[1:2], v[1:2], v[96:97], -v[98:99]
	v_fma_f64 v[3:4], v[3:4], v[96:97], v[92:93]
.LBB105_618:
	s_mov_b32 s6, exec_lo
	v_cmpx_ne_u32_e32 36, v0
	s_cbranch_execz .LBB105_622
; %bb.619:
	v_add_nc_u32_e32 v92, 0x2b0, v95
	v_add3_u32 v93, 0, v95, 16
	v_mov_b32_e32 v94, v0
	s_mov_b32 s8, 0
	.p2align	6
.LBB105_620:                            ; =>This Inner Loop Header: Depth=1
	s_clause 0x3
	buffer_load_dword v100, v93, s[0:3], 0 offen offset:8
	buffer_load_dword v101, v93, s[0:3], 0 offen offset:12
	buffer_load_dword v102, v93, s[0:3], 0 offen
	buffer_load_dword v103, v93, s[0:3], 0 offen offset:4
	ds_read_b128 v[96:99], v92
	v_add_nc_u32_e32 v94, 1, v94
	v_add_nc_u32_e32 v92, 16, v92
	;; [unrolled: 1-line block ×3, first 2 shown]
	v_cmp_lt_u32_e32 vcc_lo, 35, v94
	s_or_b32 s8, vcc_lo, s8
	s_waitcnt vmcnt(2) lgkmcnt(0)
	v_mul_f64 v[104:105], v[98:99], v[100:101]
	v_mul_f64 v[100:101], v[96:97], v[100:101]
	s_waitcnt vmcnt(0)
	v_fma_f64 v[96:97], v[96:97], v[102:103], -v[104:105]
	v_fma_f64 v[98:99], v[98:99], v[102:103], v[100:101]
	v_add_f64 v[1:2], v[1:2], v[96:97]
	v_add_f64 v[3:4], v[3:4], v[98:99]
	s_andn2_b32 exec_lo, exec_lo, s8
	s_cbranch_execnz .LBB105_620
; %bb.621:
	s_or_b32 exec_lo, exec_lo, s8
.LBB105_622:
	s_or_b32 exec_lo, exec_lo, s6
	v_mov_b32_e32 v92, 0
	ds_read_b128 v[96:99], v92 offset:592
	s_waitcnt lgkmcnt(0)
	v_mul_f64 v[92:93], v[3:4], v[98:99]
	v_mul_f64 v[98:99], v[1:2], v[98:99]
	v_fma_f64 v[1:2], v[1:2], v[96:97], -v[92:93]
	v_fma_f64 v[3:4], v[3:4], v[96:97], v[98:99]
	buffer_store_dword v2, off, s[0:3], 0 offset:596
	buffer_store_dword v1, off, s[0:3], 0 offset:592
	;; [unrolled: 1-line block ×4, first 2 shown]
.LBB105_623:
	s_or_b32 exec_lo, exec_lo, s4
	v_mov_b32_e32 v4, s11
	s_mov_b32 s4, exec_lo
	s_clause 0x3
	buffer_load_dword v1, v4, s[0:3], 0 offen
	buffer_load_dword v2, v4, s[0:3], 0 offen offset:4
	buffer_load_dword v3, v4, s[0:3], 0 offen offset:8
	;; [unrolled: 1-line block ×3, first 2 shown]
	s_waitcnt vmcnt(0)
	ds_write_b128 v90, v[1:4]
	s_waitcnt lgkmcnt(0)
	s_waitcnt_vscnt null, 0x0
	s_barrier
	buffer_gl0_inv
	v_cmpx_gt_u32_e32 38, v0
	s_cbranch_execz .LBB105_631
; %bb.624:
	ds_read_b128 v[1:4], v90
	v_cmp_ne_u32_e32 vcc_lo, 1, v91
	s_cbranch_vccnz .LBB105_626
; %bb.625:
	s_clause 0x3
	buffer_load_dword v92, v89, s[0:3], 0 offen offset:8
	buffer_load_dword v93, v89, s[0:3], 0 offen offset:12
	buffer_load_dword v96, v89, s[0:3], 0 offen
	buffer_load_dword v97, v89, s[0:3], 0 offen offset:4
	s_waitcnt vmcnt(2) lgkmcnt(0)
	v_mul_f64 v[98:99], v[3:4], v[92:93]
	v_mul_f64 v[92:93], v[1:2], v[92:93]
	s_waitcnt vmcnt(0)
	v_fma_f64 v[1:2], v[1:2], v[96:97], -v[98:99]
	v_fma_f64 v[3:4], v[3:4], v[96:97], v[92:93]
.LBB105_626:
	s_mov_b32 s6, exec_lo
	v_cmpx_ne_u32_e32 37, v0
	s_cbranch_execz .LBB105_630
; %bb.627:
	v_add_nc_u32_e32 v92, 0x2b0, v95
	v_add3_u32 v93, 0, v95, 16
	v_mov_b32_e32 v94, v0
	s_mov_b32 s8, 0
	.p2align	6
.LBB105_628:                            ; =>This Inner Loop Header: Depth=1
	s_clause 0x3
	buffer_load_dword v100, v93, s[0:3], 0 offen offset:8
	buffer_load_dword v101, v93, s[0:3], 0 offen offset:12
	buffer_load_dword v102, v93, s[0:3], 0 offen
	buffer_load_dword v103, v93, s[0:3], 0 offen offset:4
	ds_read_b128 v[96:99], v92
	v_add_nc_u32_e32 v94, 1, v94
	v_add_nc_u32_e32 v92, 16, v92
	;; [unrolled: 1-line block ×3, first 2 shown]
	v_cmp_lt_u32_e32 vcc_lo, 36, v94
	s_or_b32 s8, vcc_lo, s8
	s_waitcnt vmcnt(2) lgkmcnt(0)
	v_mul_f64 v[104:105], v[98:99], v[100:101]
	v_mul_f64 v[100:101], v[96:97], v[100:101]
	s_waitcnt vmcnt(0)
	v_fma_f64 v[96:97], v[96:97], v[102:103], -v[104:105]
	v_fma_f64 v[98:99], v[98:99], v[102:103], v[100:101]
	v_add_f64 v[1:2], v[1:2], v[96:97]
	v_add_f64 v[3:4], v[3:4], v[98:99]
	s_andn2_b32 exec_lo, exec_lo, s8
	s_cbranch_execnz .LBB105_628
; %bb.629:
	s_or_b32 exec_lo, exec_lo, s8
.LBB105_630:
	s_or_b32 exec_lo, exec_lo, s6
	v_mov_b32_e32 v92, 0
	ds_read_b128 v[96:99], v92 offset:608
	s_waitcnt lgkmcnt(0)
	v_mul_f64 v[92:93], v[3:4], v[98:99]
	v_mul_f64 v[98:99], v[1:2], v[98:99]
	v_fma_f64 v[1:2], v[1:2], v[96:97], -v[92:93]
	v_fma_f64 v[3:4], v[3:4], v[96:97], v[98:99]
	buffer_store_dword v2, off, s[0:3], 0 offset:612
	buffer_store_dword v1, off, s[0:3], 0 offset:608
	;; [unrolled: 1-line block ×4, first 2 shown]
.LBB105_631:
	s_or_b32 exec_lo, exec_lo, s4
	v_mov_b32_e32 v4, s10
	s_mov_b32 s4, exec_lo
	s_clause 0x3
	buffer_load_dword v1, v4, s[0:3], 0 offen
	buffer_load_dword v2, v4, s[0:3], 0 offen offset:4
	buffer_load_dword v3, v4, s[0:3], 0 offen offset:8
	;; [unrolled: 1-line block ×3, first 2 shown]
	s_waitcnt vmcnt(0)
	ds_write_b128 v90, v[1:4]
	s_waitcnt lgkmcnt(0)
	s_waitcnt_vscnt null, 0x0
	s_barrier
	buffer_gl0_inv
	v_cmpx_gt_u32_e32 39, v0
	s_cbranch_execz .LBB105_639
; %bb.632:
	ds_read_b128 v[1:4], v90
	v_cmp_ne_u32_e32 vcc_lo, 1, v91
	s_cbranch_vccnz .LBB105_634
; %bb.633:
	s_clause 0x3
	buffer_load_dword v92, v89, s[0:3], 0 offen offset:8
	buffer_load_dword v93, v89, s[0:3], 0 offen offset:12
	buffer_load_dword v96, v89, s[0:3], 0 offen
	buffer_load_dword v97, v89, s[0:3], 0 offen offset:4
	s_waitcnt vmcnt(2) lgkmcnt(0)
	v_mul_f64 v[98:99], v[3:4], v[92:93]
	v_mul_f64 v[92:93], v[1:2], v[92:93]
	s_waitcnt vmcnt(0)
	v_fma_f64 v[1:2], v[1:2], v[96:97], -v[98:99]
	v_fma_f64 v[3:4], v[3:4], v[96:97], v[92:93]
.LBB105_634:
	s_mov_b32 s6, exec_lo
	v_cmpx_ne_u32_e32 38, v0
	s_cbranch_execz .LBB105_638
; %bb.635:
	v_add_nc_u32_e32 v92, 0x2b0, v95
	v_add3_u32 v93, 0, v95, 16
	v_mov_b32_e32 v94, v0
	s_mov_b32 s8, 0
	.p2align	6
.LBB105_636:                            ; =>This Inner Loop Header: Depth=1
	s_clause 0x3
	buffer_load_dword v100, v93, s[0:3], 0 offen offset:8
	buffer_load_dword v101, v93, s[0:3], 0 offen offset:12
	buffer_load_dword v102, v93, s[0:3], 0 offen
	buffer_load_dword v103, v93, s[0:3], 0 offen offset:4
	ds_read_b128 v[96:99], v92
	v_add_nc_u32_e32 v94, 1, v94
	v_add_nc_u32_e32 v92, 16, v92
	;; [unrolled: 1-line block ×3, first 2 shown]
	v_cmp_lt_u32_e32 vcc_lo, 37, v94
	s_or_b32 s8, vcc_lo, s8
	s_waitcnt vmcnt(2) lgkmcnt(0)
	v_mul_f64 v[104:105], v[98:99], v[100:101]
	v_mul_f64 v[100:101], v[96:97], v[100:101]
	s_waitcnt vmcnt(0)
	v_fma_f64 v[96:97], v[96:97], v[102:103], -v[104:105]
	v_fma_f64 v[98:99], v[98:99], v[102:103], v[100:101]
	v_add_f64 v[1:2], v[1:2], v[96:97]
	v_add_f64 v[3:4], v[3:4], v[98:99]
	s_andn2_b32 exec_lo, exec_lo, s8
	s_cbranch_execnz .LBB105_636
; %bb.637:
	s_or_b32 exec_lo, exec_lo, s8
.LBB105_638:
	s_or_b32 exec_lo, exec_lo, s6
	v_mov_b32_e32 v92, 0
	ds_read_b128 v[96:99], v92 offset:624
	s_waitcnt lgkmcnt(0)
	v_mul_f64 v[92:93], v[3:4], v[98:99]
	v_mul_f64 v[98:99], v[1:2], v[98:99]
	v_fma_f64 v[1:2], v[1:2], v[96:97], -v[92:93]
	v_fma_f64 v[3:4], v[3:4], v[96:97], v[98:99]
	buffer_store_dword v2, off, s[0:3], 0 offset:628
	buffer_store_dword v1, off, s[0:3], 0 offset:624
	;; [unrolled: 1-line block ×4, first 2 shown]
.LBB105_639:
	s_or_b32 exec_lo, exec_lo, s4
	v_mov_b32_e32 v4, s9
	v_cmp_gt_u32_e64 s4, 40, v0
	s_clause 0x3
	buffer_load_dword v1, v4, s[0:3], 0 offen
	buffer_load_dword v2, v4, s[0:3], 0 offen offset:4
	buffer_load_dword v3, v4, s[0:3], 0 offen offset:8
	;; [unrolled: 1-line block ×3, first 2 shown]
	s_waitcnt vmcnt(0)
	ds_write_b128 v90, v[1:4]
	s_waitcnt lgkmcnt(0)
	s_waitcnt_vscnt null, 0x0
	s_barrier
	buffer_gl0_inv
	s_and_saveexec_b32 s6, s4
	s_cbranch_execz .LBB105_647
; %bb.640:
	ds_read_b128 v[1:4], v90
	v_cmp_ne_u32_e32 vcc_lo, 1, v91
	s_cbranch_vccnz .LBB105_642
; %bb.641:
	s_clause 0x3
	buffer_load_dword v92, v89, s[0:3], 0 offen offset:8
	buffer_load_dword v93, v89, s[0:3], 0 offen offset:12
	buffer_load_dword v96, v89, s[0:3], 0 offen
	buffer_load_dword v97, v89, s[0:3], 0 offen offset:4
	s_waitcnt vmcnt(2) lgkmcnt(0)
	v_mul_f64 v[98:99], v[3:4], v[92:93]
	v_mul_f64 v[92:93], v[1:2], v[92:93]
	s_waitcnt vmcnt(0)
	v_fma_f64 v[1:2], v[1:2], v[96:97], -v[98:99]
	v_fma_f64 v[3:4], v[3:4], v[96:97], v[92:93]
.LBB105_642:
	s_mov_b32 s8, exec_lo
	v_cmpx_ne_u32_e32 39, v0
	s_cbranch_execz .LBB105_646
; %bb.643:
	v_add_nc_u32_e32 v92, 0x2b0, v95
	v_add3_u32 v93, 0, v95, 16
	v_mov_b32_e32 v94, v0
	s_mov_b32 s50, 0
	.p2align	6
.LBB105_644:                            ; =>This Inner Loop Header: Depth=1
	s_clause 0x3
	buffer_load_dword v100, v93, s[0:3], 0 offen offset:8
	buffer_load_dword v101, v93, s[0:3], 0 offen offset:12
	buffer_load_dword v102, v93, s[0:3], 0 offen
	buffer_load_dword v103, v93, s[0:3], 0 offen offset:4
	ds_read_b128 v[96:99], v92
	v_add_nc_u32_e32 v94, 1, v94
	v_add_nc_u32_e32 v92, 16, v92
	;; [unrolled: 1-line block ×3, first 2 shown]
	v_cmp_lt_u32_e32 vcc_lo, 38, v94
	s_or_b32 s50, vcc_lo, s50
	s_waitcnt vmcnt(2) lgkmcnt(0)
	v_mul_f64 v[104:105], v[98:99], v[100:101]
	v_mul_f64 v[100:101], v[96:97], v[100:101]
	s_waitcnt vmcnt(0)
	v_fma_f64 v[96:97], v[96:97], v[102:103], -v[104:105]
	v_fma_f64 v[98:99], v[98:99], v[102:103], v[100:101]
	v_add_f64 v[1:2], v[1:2], v[96:97]
	v_add_f64 v[3:4], v[3:4], v[98:99]
	s_andn2_b32 exec_lo, exec_lo, s50
	s_cbranch_execnz .LBB105_644
; %bb.645:
	s_or_b32 exec_lo, exec_lo, s50
.LBB105_646:
	s_or_b32 exec_lo, exec_lo, s8
	v_mov_b32_e32 v92, 0
	ds_read_b128 v[96:99], v92 offset:640
	s_waitcnt lgkmcnt(0)
	v_mul_f64 v[92:93], v[3:4], v[98:99]
	v_mul_f64 v[98:99], v[1:2], v[98:99]
	v_fma_f64 v[1:2], v[1:2], v[96:97], -v[92:93]
	v_fma_f64 v[3:4], v[3:4], v[96:97], v[98:99]
	buffer_store_dword v2, off, s[0:3], 0 offset:644
	buffer_store_dword v1, off, s[0:3], 0 offset:640
	;; [unrolled: 1-line block ×4, first 2 shown]
.LBB105_647:
	s_or_b32 exec_lo, exec_lo, s6
	v_mov_b32_e32 v4, s7
	s_mov_b32 s6, exec_lo
                                        ; implicit-def: $sgpr51
	s_clause 0x3
	buffer_load_dword v1, v4, s[0:3], 0 offen
	buffer_load_dword v2, v4, s[0:3], 0 offen offset:4
	buffer_load_dword v3, v4, s[0:3], 0 offen offset:8
	;; [unrolled: 1-line block ×3, first 2 shown]
	s_waitcnt vmcnt(0)
	ds_write_b128 v90, v[1:4]
	s_waitcnt lgkmcnt(0)
	s_waitcnt_vscnt null, 0x0
	s_barrier
	buffer_gl0_inv
                                        ; implicit-def: $vgpr1_vgpr2
	v_cmpx_ne_u32_e32 41, v0
	s_cbranch_execz .LBB105_655
; %bb.648:
	ds_read_b128 v[1:4], v90
	v_cmp_ne_u32_e32 vcc_lo, 1, v91
	s_cbranch_vccnz .LBB105_650
; %bb.649:
	s_clause 0x3
	buffer_load_dword v90, v89, s[0:3], 0 offen offset:8
	buffer_load_dword v91, v89, s[0:3], 0 offen offset:12
	buffer_load_dword v92, v89, s[0:3], 0 offen
	buffer_load_dword v93, v89, s[0:3], 0 offen offset:4
	s_waitcnt vmcnt(2) lgkmcnt(0)
	v_mul_f64 v[96:97], v[3:4], v[90:91]
	v_mul_f64 v[89:90], v[1:2], v[90:91]
	s_waitcnt vmcnt(0)
	v_fma_f64 v[1:2], v[1:2], v[92:93], -v[96:97]
	v_fma_f64 v[3:4], v[3:4], v[92:93], v[89:90]
.LBB105_650:
	s_and_saveexec_b32 s8, s4
	s_cbranch_execz .LBB105_654
; %bb.651:
	v_add_nc_u32_e32 v89, 0x2b0, v95
	v_add3_u32 v90, 0, v95, 16
	s_mov_b32 s4, 0
	.p2align	6
.LBB105_652:                            ; =>This Inner Loop Header: Depth=1
	s_clause 0x3
	buffer_load_dword v95, v90, s[0:3], 0 offen offset:8
	buffer_load_dword v96, v90, s[0:3], 0 offen offset:12
	buffer_load_dword v97, v90, s[0:3], 0 offen
	buffer_load_dword v98, v90, s[0:3], 0 offen offset:4
	ds_read_b128 v[91:94], v89
	v_add_nc_u32_e32 v0, 1, v0
	v_add_nc_u32_e32 v89, 16, v89
	;; [unrolled: 1-line block ×3, first 2 shown]
	v_cmp_lt_u32_e32 vcc_lo, 39, v0
	s_or_b32 s4, vcc_lo, s4
	s_waitcnt vmcnt(2) lgkmcnt(0)
	v_mul_f64 v[99:100], v[93:94], v[95:96]
	v_mul_f64 v[95:96], v[91:92], v[95:96]
	s_waitcnt vmcnt(0)
	v_fma_f64 v[91:92], v[91:92], v[97:98], -v[99:100]
	v_fma_f64 v[93:94], v[93:94], v[97:98], v[95:96]
	v_add_f64 v[1:2], v[1:2], v[91:92]
	v_add_f64 v[3:4], v[3:4], v[93:94]
	s_andn2_b32 exec_lo, exec_lo, s4
	s_cbranch_execnz .LBB105_652
; %bb.653:
	s_or_b32 exec_lo, exec_lo, s4
.LBB105_654:
	s_or_b32 exec_lo, exec_lo, s8
	v_mov_b32_e32 v0, 0
	s_movk_i32 s51, 0x298
	s_or_b32 s5, s5, exec_lo
	ds_read_b128 v[89:92], v0 offset:656
	s_waitcnt lgkmcnt(0)
	v_mul_f64 v[93:94], v[3:4], v[91:92]
	v_mul_f64 v[91:92], v[1:2], v[91:92]
	v_fma_f64 v[93:94], v[1:2], v[89:90], -v[93:94]
	v_fma_f64 v[1:2], v[3:4], v[89:90], v[91:92]
	buffer_store_dword v94, off, s[0:3], 0 offset:660
	buffer_store_dword v93, off, s[0:3], 0 offset:656
.LBB105_655:
	s_or_b32 exec_lo, exec_lo, s6
.LBB105_656:
	s_and_saveexec_b32 s4, s5
	s_cbranch_execz .LBB105_658
; %bb.657:
	v_mov_b32_e32 v0, s51
	buffer_store_dword v2, v0, s[0:3], 0 offen offset:4
	buffer_store_dword v1, v0, s[0:3], 0 offen
.LBB105_658:
	s_or_b32 exec_lo, exec_lo, s4
	s_clause 0x3
	buffer_load_dword v0, off, s[0:3], 0
	buffer_load_dword v1, off, s[0:3], 0 offset:4
	buffer_load_dword v2, off, s[0:3], 0 offset:8
	;; [unrolled: 1-line block ×3, first 2 shown]
	v_mov_b32_e32 v4, s49
	s_waitcnt vmcnt(0)
	flat_store_dwordx4 v[5:6], v[0:3]
	s_clause 0x3
	buffer_load_dword v0, v4, s[0:3], 0 offen
	buffer_load_dword v1, v4, s[0:3], 0 offen offset:4
	buffer_load_dword v2, v4, s[0:3], 0 offen offset:8
	buffer_load_dword v3, v4, s[0:3], 0 offen offset:12
	v_mov_b32_e32 v4, s48
	s_waitcnt vmcnt(0)
	flat_store_dwordx4 v[59:60], v[0:3]
	s_clause 0x3
	buffer_load_dword v0, v4, s[0:3], 0 offen
	buffer_load_dword v1, v4, s[0:3], 0 offen offset:4
	buffer_load_dword v2, v4, s[0:3], 0 offen offset:8
	buffer_load_dword v3, v4, s[0:3], 0 offen offset:12
	;; [unrolled: 8-line block ×41, first 2 shown]
	s_waitcnt vmcnt(0)
	flat_store_dwordx4 v[87:88], v[0:3]
.LBB105_659:
	s_endpgm
	.section	.rodata,"a",@progbits
	.p2align	6, 0x0
	.amdhsa_kernel _ZN9rocsolver6v33100L18trti2_kernel_smallILi42E19rocblas_complex_numIdEPKPS3_EEv13rocblas_fill_17rocblas_diagonal_T1_iil
		.amdhsa_group_segment_fixed_size 1344
		.amdhsa_private_segment_fixed_size 688
		.amdhsa_kernarg_size 32
		.amdhsa_user_sgpr_count 6
		.amdhsa_user_sgpr_private_segment_buffer 1
		.amdhsa_user_sgpr_dispatch_ptr 0
		.amdhsa_user_sgpr_queue_ptr 0
		.amdhsa_user_sgpr_kernarg_segment_ptr 1
		.amdhsa_user_sgpr_dispatch_id 0
		.amdhsa_user_sgpr_flat_scratch_init 0
		.amdhsa_user_sgpr_private_segment_size 0
		.amdhsa_wavefront_size32 1
		.amdhsa_uses_dynamic_stack 0
		.amdhsa_system_sgpr_private_segment_wavefront_offset 1
		.amdhsa_system_sgpr_workgroup_id_x 1
		.amdhsa_system_sgpr_workgroup_id_y 0
		.amdhsa_system_sgpr_workgroup_id_z 0
		.amdhsa_system_sgpr_workgroup_info 0
		.amdhsa_system_vgpr_workitem_id 0
		.amdhsa_next_free_vgpr 106
		.amdhsa_next_free_sgpr 68
		.amdhsa_reserve_vcc 1
		.amdhsa_reserve_flat_scratch 0
		.amdhsa_float_round_mode_32 0
		.amdhsa_float_round_mode_16_64 0
		.amdhsa_float_denorm_mode_32 3
		.amdhsa_float_denorm_mode_16_64 3
		.amdhsa_dx10_clamp 1
		.amdhsa_ieee_mode 1
		.amdhsa_fp16_overflow 0
		.amdhsa_workgroup_processor_mode 1
		.amdhsa_memory_ordered 1
		.amdhsa_forward_progress 1
		.amdhsa_shared_vgpr_count 0
		.amdhsa_exception_fp_ieee_invalid_op 0
		.amdhsa_exception_fp_denorm_src 0
		.amdhsa_exception_fp_ieee_div_zero 0
		.amdhsa_exception_fp_ieee_overflow 0
		.amdhsa_exception_fp_ieee_underflow 0
		.amdhsa_exception_fp_ieee_inexact 0
		.amdhsa_exception_int_div_zero 0
	.end_amdhsa_kernel
	.section	.text._ZN9rocsolver6v33100L18trti2_kernel_smallILi42E19rocblas_complex_numIdEPKPS3_EEv13rocblas_fill_17rocblas_diagonal_T1_iil,"axG",@progbits,_ZN9rocsolver6v33100L18trti2_kernel_smallILi42E19rocblas_complex_numIdEPKPS3_EEv13rocblas_fill_17rocblas_diagonal_T1_iil,comdat
.Lfunc_end105:
	.size	_ZN9rocsolver6v33100L18trti2_kernel_smallILi42E19rocblas_complex_numIdEPKPS3_EEv13rocblas_fill_17rocblas_diagonal_T1_iil, .Lfunc_end105-_ZN9rocsolver6v33100L18trti2_kernel_smallILi42E19rocblas_complex_numIdEPKPS3_EEv13rocblas_fill_17rocblas_diagonal_T1_iil
                                        ; -- End function
	.set _ZN9rocsolver6v33100L18trti2_kernel_smallILi42E19rocblas_complex_numIdEPKPS3_EEv13rocblas_fill_17rocblas_diagonal_T1_iil.num_vgpr, 106
	.set _ZN9rocsolver6v33100L18trti2_kernel_smallILi42E19rocblas_complex_numIdEPKPS3_EEv13rocblas_fill_17rocblas_diagonal_T1_iil.num_agpr, 0
	.set _ZN9rocsolver6v33100L18trti2_kernel_smallILi42E19rocblas_complex_numIdEPKPS3_EEv13rocblas_fill_17rocblas_diagonal_T1_iil.numbered_sgpr, 68
	.set _ZN9rocsolver6v33100L18trti2_kernel_smallILi42E19rocblas_complex_numIdEPKPS3_EEv13rocblas_fill_17rocblas_diagonal_T1_iil.num_named_barrier, 0
	.set _ZN9rocsolver6v33100L18trti2_kernel_smallILi42E19rocblas_complex_numIdEPKPS3_EEv13rocblas_fill_17rocblas_diagonal_T1_iil.private_seg_size, 688
	.set _ZN9rocsolver6v33100L18trti2_kernel_smallILi42E19rocblas_complex_numIdEPKPS3_EEv13rocblas_fill_17rocblas_diagonal_T1_iil.uses_vcc, 1
	.set _ZN9rocsolver6v33100L18trti2_kernel_smallILi42E19rocblas_complex_numIdEPKPS3_EEv13rocblas_fill_17rocblas_diagonal_T1_iil.uses_flat_scratch, 0
	.set _ZN9rocsolver6v33100L18trti2_kernel_smallILi42E19rocblas_complex_numIdEPKPS3_EEv13rocblas_fill_17rocblas_diagonal_T1_iil.has_dyn_sized_stack, 0
	.set _ZN9rocsolver6v33100L18trti2_kernel_smallILi42E19rocblas_complex_numIdEPKPS3_EEv13rocblas_fill_17rocblas_diagonal_T1_iil.has_recursion, 0
	.set _ZN9rocsolver6v33100L18trti2_kernel_smallILi42E19rocblas_complex_numIdEPKPS3_EEv13rocblas_fill_17rocblas_diagonal_T1_iil.has_indirect_call, 0
	.section	.AMDGPU.csdata,"",@progbits
; Kernel info:
; codeLenInByte = 42684
; TotalNumSgprs: 70
; NumVgprs: 106
; ScratchSize: 688
; MemoryBound: 0
; FloatMode: 240
; IeeeMode: 1
; LDSByteSize: 1344 bytes/workgroup (compile time only)
; SGPRBlocks: 0
; VGPRBlocks: 13
; NumSGPRsForWavesPerEU: 70
; NumVGPRsForWavesPerEU: 106
; Occupancy: 9
; WaveLimiterHint : 1
; COMPUTE_PGM_RSRC2:SCRATCH_EN: 1
; COMPUTE_PGM_RSRC2:USER_SGPR: 6
; COMPUTE_PGM_RSRC2:TRAP_HANDLER: 0
; COMPUTE_PGM_RSRC2:TGID_X_EN: 1
; COMPUTE_PGM_RSRC2:TGID_Y_EN: 0
; COMPUTE_PGM_RSRC2:TGID_Z_EN: 0
; COMPUTE_PGM_RSRC2:TIDIG_COMP_CNT: 0
	.section	.text._ZN9rocsolver6v33100L18trti2_kernel_smallILi43E19rocblas_complex_numIdEPKPS3_EEv13rocblas_fill_17rocblas_diagonal_T1_iil,"axG",@progbits,_ZN9rocsolver6v33100L18trti2_kernel_smallILi43E19rocblas_complex_numIdEPKPS3_EEv13rocblas_fill_17rocblas_diagonal_T1_iil,comdat
	.globl	_ZN9rocsolver6v33100L18trti2_kernel_smallILi43E19rocblas_complex_numIdEPKPS3_EEv13rocblas_fill_17rocblas_diagonal_T1_iil ; -- Begin function _ZN9rocsolver6v33100L18trti2_kernel_smallILi43E19rocblas_complex_numIdEPKPS3_EEv13rocblas_fill_17rocblas_diagonal_T1_iil
	.p2align	8
	.type	_ZN9rocsolver6v33100L18trti2_kernel_smallILi43E19rocblas_complex_numIdEPKPS3_EEv13rocblas_fill_17rocblas_diagonal_T1_iil,@function
_ZN9rocsolver6v33100L18trti2_kernel_smallILi43E19rocblas_complex_numIdEPKPS3_EEv13rocblas_fill_17rocblas_diagonal_T1_iil: ; @_ZN9rocsolver6v33100L18trti2_kernel_smallILi43E19rocblas_complex_numIdEPKPS3_EEv13rocblas_fill_17rocblas_diagonal_T1_iil
; %bb.0:
	s_add_u32 s0, s0, s7
	s_addc_u32 s1, s1, 0
	s_mov_b32 s7, exec_lo
	v_cmpx_gt_u32_e32 43, v0
	s_cbranch_execz .LBB106_675
; %bb.1:
	s_clause 0x1
	s_load_dwordx2 s[12:13], s[4:5], 0x10
	s_load_dwordx4 s[8:11], s[4:5], 0x0
	s_ashr_i32 s7, s6, 31
	v_lshlrev_b32_e32 v97, 4, v0
	s_lshl_b64 s[4:5], s[6:7], 3
	s_movk_i32 s14, 0xd0
	s_movk_i32 s15, 0xe0
	;; [unrolled: 1-line block ×15, first 2 shown]
	s_waitcnt lgkmcnt(0)
	s_ashr_i32 s7, s12, 31
	s_add_u32 s4, s10, s4
	s_addc_u32 s5, s11, s5
	s_mov_b32 s6, s12
	s_load_dwordx2 s[4:5], s[4:5], 0x0
	s_lshl_b64 s[6:7], s[6:7], 4
	v_add3_u32 v7, s13, s13, v0
	s_movk_i32 s10, 0x90
	s_movk_i32 s11, 0xa0
	;; [unrolled: 1-line block ×4, first 2 shown]
	v_ashrrev_i32_e32 v8, 31, v7
	s_movk_i32 s55, 0x1d0
	s_movk_i32 s56, 0x1e0
	;; [unrolled: 1-line block ×4, first 2 shown]
	v_lshlrev_b64 v[8:9], 4, v[7:8]
	v_add_nc_u32_e32 v7, s13, v7
	s_movk_i32 s59, 0x210
	s_movk_i32 s60, 0x220
	s_movk_i32 s61, 0x230
	s_movk_i32 s62, 0x240
	s_movk_i32 s63, 0x250
	s_movk_i32 s64, 0x260
	s_waitcnt lgkmcnt(0)
	s_add_u32 s6, s4, s6
	s_addc_u32 s7, s5, s7
	v_add_co_u32 v5, s4, s6, v97
	v_add_co_ci_u32_e64 v6, null, s7, 0, s4
	s_mov_b32 s4, s13
	s_ashr_i32 s5, s13, 31
	s_movk_i32 s65, 0x270
	flat_load_dwordx4 v[1:4], v[5:6]
	s_lshl_b64 s[4:5], s[4:5], 4
	s_cmpk_lg_i32 s9, 0x84
	v_add_co_u32 v59, vcc_lo, v5, s4
	v_add_co_ci_u32_e64 v60, null, s5, v6, vcc_lo
	v_add_co_u32 v57, vcc_lo, s6, v8
	v_add_co_ci_u32_e64 v58, null, s7, v9, vcc_lo
	v_ashrrev_i32_e32 v8, 31, v7
	s_movk_i32 s4, 0x50
	s_movk_i32 s5, 0x60
	;; [unrolled: 1-line block ×4, first 2 shown]
	v_lshlrev_b64 v[8:9], 4, v[7:8]
	v_add_nc_u32_e32 v7, s13, v7
	s_movk_i32 s68, 0x2a0
	s_cselect_b32 s50, -1, 0
	s_cmpk_eq_i32 s9, 0x84
	s_waitcnt vmcnt(0) lgkmcnt(0)
	buffer_store_dword v4, off, s[0:3], 0 offset:12
	buffer_store_dword v3, off, s[0:3], 0 offset:8
	;; [unrolled: 1-line block ×3, first 2 shown]
	buffer_store_dword v1, off, s[0:3], 0
	flat_load_dwordx4 v[1:4], v[59:60]
	v_add_co_u32 v55, vcc_lo, s6, v8
	v_add_co_ci_u32_e64 v56, null, s7, v9, vcc_lo
	v_ashrrev_i32_e32 v8, 31, v7
	s_waitcnt vmcnt(0) lgkmcnt(0)
	buffer_store_dword v4, off, s[0:3], 0 offset:28
	buffer_store_dword v3, off, s[0:3], 0 offset:24
	;; [unrolled: 1-line block ×4, first 2 shown]
	flat_load_dwordx4 v[1:4], v[57:58]
	v_lshlrev_b64 v[8:9], 4, v[7:8]
	v_add_nc_u32_e32 v7, s13, v7
	s_waitcnt vmcnt(0) lgkmcnt(0)
	buffer_store_dword v4, off, s[0:3], 0 offset:44
	buffer_store_dword v3, off, s[0:3], 0 offset:40
	;; [unrolled: 1-line block ×4, first 2 shown]
	flat_load_dwordx4 v[1:4], v[55:56]
	v_add_co_u32 v53, vcc_lo, s6, v8
	v_add_co_ci_u32_e64 v54, null, s7, v9, vcc_lo
	v_ashrrev_i32_e32 v8, 31, v7
	s_waitcnt vmcnt(0) lgkmcnt(0)
	buffer_store_dword v4, off, s[0:3], 0 offset:60
	buffer_store_dword v3, off, s[0:3], 0 offset:56
	;; [unrolled: 1-line block ×4, first 2 shown]
	flat_load_dwordx4 v[1:4], v[53:54]
	v_lshlrev_b64 v[8:9], 4, v[7:8]
	v_add_nc_u32_e32 v7, s13, v7
	s_waitcnt vmcnt(0) lgkmcnt(0)
	buffer_store_dword v4, off, s[0:3], 0 offset:76
	buffer_store_dword v3, off, s[0:3], 0 offset:72
	;; [unrolled: 1-line block ×4, first 2 shown]
	v_add_co_u32 v49, vcc_lo, s6, v8
	v_add_co_ci_u32_e64 v50, null, s7, v9, vcc_lo
	v_ashrrev_i32_e32 v8, 31, v7
	flat_load_dwordx4 v[1:4], v[49:50]
	s_waitcnt vmcnt(0) lgkmcnt(0)
	buffer_store_dword v4, off, s[0:3], 0 offset:92
	buffer_store_dword v3, off, s[0:3], 0 offset:88
	buffer_store_dword v2, off, s[0:3], 0 offset:84
	buffer_store_dword v1, off, s[0:3], 0 offset:80
	v_lshlrev_b64 v[8:9], 4, v[7:8]
	v_add_nc_u32_e32 v7, s13, v7
	v_add_co_u32 v47, vcc_lo, s6, v8
	v_add_co_ci_u32_e64 v48, null, s7, v9, vcc_lo
	v_ashrrev_i32_e32 v8, 31, v7
	flat_load_dwordx4 v[1:4], v[47:48]
	s_waitcnt vmcnt(0) lgkmcnt(0)
	buffer_store_dword v4, off, s[0:3], 0 offset:108
	buffer_store_dword v3, off, s[0:3], 0 offset:104
	buffer_store_dword v2, off, s[0:3], 0 offset:100
	buffer_store_dword v1, off, s[0:3], 0 offset:96
	v_lshlrev_b64 v[8:9], 4, v[7:8]
	v_add_nc_u32_e32 v7, s13, v7
	v_add_co_u32 v45, vcc_lo, s6, v8
	v_add_co_ci_u32_e64 v46, null, s7, v9, vcc_lo
	v_ashrrev_i32_e32 v8, 31, v7
	flat_load_dwordx4 v[1:4], v[45:46]
	s_waitcnt vmcnt(0) lgkmcnt(0)
	buffer_store_dword v4, off, s[0:3], 0 offset:124
	buffer_store_dword v3, off, s[0:3], 0 offset:120
	buffer_store_dword v2, off, s[0:3], 0 offset:116
	buffer_store_dword v1, off, s[0:3], 0 offset:112
	v_lshlrev_b64 v[8:9], 4, v[7:8]
	v_add_nc_u32_e32 v7, s13, v7
	v_add_co_u32 v43, vcc_lo, s6, v8
	v_add_co_ci_u32_e64 v44, null, s7, v9, vcc_lo
	v_ashrrev_i32_e32 v8, 31, v7
	flat_load_dwordx4 v[1:4], v[43:44]
	s_waitcnt vmcnt(0) lgkmcnt(0)
	buffer_store_dword v4, off, s[0:3], 0 offset:140
	buffer_store_dword v3, off, s[0:3], 0 offset:136
	buffer_store_dword v2, off, s[0:3], 0 offset:132
	buffer_store_dword v1, off, s[0:3], 0 offset:128
	v_lshlrev_b64 v[8:9], 4, v[7:8]
	v_add_nc_u32_e32 v7, s13, v7
	v_add_co_u32 v41, vcc_lo, s6, v8
	v_add_co_ci_u32_e64 v42, null, s7, v9, vcc_lo
	v_ashrrev_i32_e32 v8, 31, v7
	flat_load_dwordx4 v[1:4], v[41:42]
	s_waitcnt vmcnt(0) lgkmcnt(0)
	buffer_store_dword v4, off, s[0:3], 0 offset:156
	buffer_store_dword v3, off, s[0:3], 0 offset:152
	buffer_store_dword v2, off, s[0:3], 0 offset:148
	buffer_store_dword v1, off, s[0:3], 0 offset:144
	v_lshlrev_b64 v[8:9], 4, v[7:8]
	v_add_nc_u32_e32 v7, s13, v7
	v_add_co_u32 v39, vcc_lo, s6, v8
	v_add_co_ci_u32_e64 v40, null, s7, v9, vcc_lo
	v_ashrrev_i32_e32 v8, 31, v7
	flat_load_dwordx4 v[1:4], v[39:40]
	s_waitcnt vmcnt(0) lgkmcnt(0)
	buffer_store_dword v4, off, s[0:3], 0 offset:172
	buffer_store_dword v3, off, s[0:3], 0 offset:168
	buffer_store_dword v2, off, s[0:3], 0 offset:164
	buffer_store_dword v1, off, s[0:3], 0 offset:160
	v_lshlrev_b64 v[8:9], 4, v[7:8]
	v_add_nc_u32_e32 v7, s13, v7
	v_add_co_u32 v37, vcc_lo, s6, v8
	v_add_co_ci_u32_e64 v38, null, s7, v9, vcc_lo
	v_ashrrev_i32_e32 v8, 31, v7
	flat_load_dwordx4 v[1:4], v[37:38]
	s_waitcnt vmcnt(0) lgkmcnt(0)
	buffer_store_dword v4, off, s[0:3], 0 offset:188
	buffer_store_dword v3, off, s[0:3], 0 offset:184
	buffer_store_dword v2, off, s[0:3], 0 offset:180
	buffer_store_dword v1, off, s[0:3], 0 offset:176
	v_lshlrev_b64 v[8:9], 4, v[7:8]
	v_add_nc_u32_e32 v7, s13, v7
	v_add_co_u32 v35, vcc_lo, s6, v8
	v_add_co_ci_u32_e64 v36, null, s7, v9, vcc_lo
	v_ashrrev_i32_e32 v8, 31, v7
	flat_load_dwordx4 v[1:4], v[35:36]
	s_waitcnt vmcnt(0) lgkmcnt(0)
	buffer_store_dword v4, off, s[0:3], 0 offset:204
	buffer_store_dword v3, off, s[0:3], 0 offset:200
	buffer_store_dword v2, off, s[0:3], 0 offset:196
	buffer_store_dword v1, off, s[0:3], 0 offset:192
	v_lshlrev_b64 v[8:9], 4, v[7:8]
	v_add_nc_u32_e32 v7, s13, v7
	v_add_co_u32 v31, vcc_lo, s6, v8
	v_add_co_ci_u32_e64 v32, null, s7, v9, vcc_lo
	v_ashrrev_i32_e32 v8, 31, v7
	flat_load_dwordx4 v[1:4], v[31:32]
	s_waitcnt vmcnt(0) lgkmcnt(0)
	buffer_store_dword v4, off, s[0:3], 0 offset:220
	buffer_store_dword v3, off, s[0:3], 0 offset:216
	buffer_store_dword v2, off, s[0:3], 0 offset:212
	buffer_store_dword v1, off, s[0:3], 0 offset:208
	v_lshlrev_b64 v[8:9], 4, v[7:8]
	v_add_nc_u32_e32 v7, s13, v7
	v_add_co_u32 v29, vcc_lo, s6, v8
	v_add_co_ci_u32_e64 v30, null, s7, v9, vcc_lo
	v_ashrrev_i32_e32 v8, 31, v7
	flat_load_dwordx4 v[1:4], v[29:30]
	s_waitcnt vmcnt(0) lgkmcnt(0)
	buffer_store_dword v4, off, s[0:3], 0 offset:236
	buffer_store_dword v3, off, s[0:3], 0 offset:232
	buffer_store_dword v2, off, s[0:3], 0 offset:228
	buffer_store_dword v1, off, s[0:3], 0 offset:224
	v_lshlrev_b64 v[8:9], 4, v[7:8]
	v_add_nc_u32_e32 v7, s13, v7
	v_add_co_u32 v27, vcc_lo, s6, v8
	v_add_co_ci_u32_e64 v28, null, s7, v9, vcc_lo
	v_ashrrev_i32_e32 v8, 31, v7
	flat_load_dwordx4 v[1:4], v[27:28]
	s_waitcnt vmcnt(0) lgkmcnt(0)
	buffer_store_dword v4, off, s[0:3], 0 offset:252
	buffer_store_dword v3, off, s[0:3], 0 offset:248
	buffer_store_dword v2, off, s[0:3], 0 offset:244
	buffer_store_dword v1, off, s[0:3], 0 offset:240
	v_lshlrev_b64 v[8:9], 4, v[7:8]
	v_add_nc_u32_e32 v7, s13, v7
	v_add_co_u32 v25, vcc_lo, s6, v8
	v_add_co_ci_u32_e64 v26, null, s7, v9, vcc_lo
	v_ashrrev_i32_e32 v8, 31, v7
	flat_load_dwordx4 v[1:4], v[25:26]
	s_waitcnt vmcnt(0) lgkmcnt(0)
	buffer_store_dword v4, off, s[0:3], 0 offset:268
	buffer_store_dword v3, off, s[0:3], 0 offset:264
	buffer_store_dword v2, off, s[0:3], 0 offset:260
	buffer_store_dword v1, off, s[0:3], 0 offset:256
	v_lshlrev_b64 v[8:9], 4, v[7:8]
	v_add_nc_u32_e32 v7, s13, v7
	v_add_co_u32 v23, vcc_lo, s6, v8
	v_add_co_ci_u32_e64 v24, null, s7, v9, vcc_lo
	v_ashrrev_i32_e32 v8, 31, v7
	flat_load_dwordx4 v[1:4], v[23:24]
	s_waitcnt vmcnt(0) lgkmcnt(0)
	buffer_store_dword v4, off, s[0:3], 0 offset:284
	buffer_store_dword v3, off, s[0:3], 0 offset:280
	buffer_store_dword v2, off, s[0:3], 0 offset:276
	buffer_store_dword v1, off, s[0:3], 0 offset:272
	v_lshlrev_b64 v[8:9], 4, v[7:8]
	v_add_nc_u32_e32 v7, s13, v7
	v_add_co_u32 v21, vcc_lo, s6, v8
	v_add_co_ci_u32_e64 v22, null, s7, v9, vcc_lo
	v_ashrrev_i32_e32 v8, 31, v7
	flat_load_dwordx4 v[1:4], v[21:22]
	s_waitcnt vmcnt(0) lgkmcnt(0)
	buffer_store_dword v4, off, s[0:3], 0 offset:300
	buffer_store_dword v3, off, s[0:3], 0 offset:296
	buffer_store_dword v2, off, s[0:3], 0 offset:292
	buffer_store_dword v1, off, s[0:3], 0 offset:288
	v_lshlrev_b64 v[8:9], 4, v[7:8]
	v_add_nc_u32_e32 v7, s13, v7
	v_add_co_u32 v19, vcc_lo, s6, v8
	v_add_co_ci_u32_e64 v20, null, s7, v9, vcc_lo
	v_ashrrev_i32_e32 v8, 31, v7
	flat_load_dwordx4 v[1:4], v[19:20]
	s_waitcnt vmcnt(0) lgkmcnt(0)
	buffer_store_dword v4, off, s[0:3], 0 offset:316
	buffer_store_dword v3, off, s[0:3], 0 offset:312
	buffer_store_dword v2, off, s[0:3], 0 offset:308
	buffer_store_dword v1, off, s[0:3], 0 offset:304
	v_lshlrev_b64 v[8:9], 4, v[7:8]
	v_add_nc_u32_e32 v7, s13, v7
	v_add_co_u32 v17, vcc_lo, s6, v8
	v_add_co_ci_u32_e64 v18, null, s7, v9, vcc_lo
	v_ashrrev_i32_e32 v8, 31, v7
	flat_load_dwordx4 v[1:4], v[17:18]
	s_waitcnt vmcnt(0) lgkmcnt(0)
	buffer_store_dword v4, off, s[0:3], 0 offset:332
	buffer_store_dword v3, off, s[0:3], 0 offset:328
	buffer_store_dword v2, off, s[0:3], 0 offset:324
	buffer_store_dword v1, off, s[0:3], 0 offset:320
	v_lshlrev_b64 v[8:9], 4, v[7:8]
	v_add_nc_u32_e32 v7, s13, v7
	v_add_co_u32 v15, vcc_lo, s6, v8
	v_add_co_ci_u32_e64 v16, null, s7, v9, vcc_lo
	v_ashrrev_i32_e32 v8, 31, v7
	flat_load_dwordx4 v[1:4], v[15:16]
	s_waitcnt vmcnt(0) lgkmcnt(0)
	buffer_store_dword v4, off, s[0:3], 0 offset:348
	buffer_store_dword v3, off, s[0:3], 0 offset:344
	buffer_store_dword v2, off, s[0:3], 0 offset:340
	buffer_store_dword v1, off, s[0:3], 0 offset:336
	v_lshlrev_b64 v[8:9], 4, v[7:8]
	v_add_nc_u32_e32 v7, s13, v7
	v_add_co_u32 v13, vcc_lo, s6, v8
	v_add_co_ci_u32_e64 v14, null, s7, v9, vcc_lo
	v_ashrrev_i32_e32 v8, 31, v7
	flat_load_dwordx4 v[1:4], v[13:14]
	s_waitcnt vmcnt(0) lgkmcnt(0)
	buffer_store_dword v4, off, s[0:3], 0 offset:364
	buffer_store_dword v3, off, s[0:3], 0 offset:360
	buffer_store_dword v2, off, s[0:3], 0 offset:356
	buffer_store_dword v1, off, s[0:3], 0 offset:352
	v_lshlrev_b64 v[8:9], 4, v[7:8]
	v_add_nc_u32_e32 v7, s13, v7
	v_add_co_u32 v11, vcc_lo, s6, v8
	v_add_co_ci_u32_e64 v12, null, s7, v9, vcc_lo
	v_ashrrev_i32_e32 v8, 31, v7
	v_add_nc_u32_e32 v33, s13, v7
	flat_load_dwordx4 v[1:4], v[11:12]
	s_waitcnt vmcnt(0) lgkmcnt(0)
	buffer_store_dword v4, off, s[0:3], 0 offset:380
	buffer_store_dword v3, off, s[0:3], 0 offset:376
	;; [unrolled: 1-line block ×4, first 2 shown]
	v_lshlrev_b64 v[9:10], 4, v[7:8]
	v_ashrrev_i32_e32 v34, 31, v33
	v_add_nc_u32_e32 v51, s13, v33
	v_add_co_u32 v9, vcc_lo, s6, v9
	v_add_co_ci_u32_e64 v10, null, s7, v10, vcc_lo
	v_lshlrev_b64 v[7:8], 4, v[33:34]
	v_ashrrev_i32_e32 v52, 31, v51
	v_add_nc_u32_e32 v61, s13, v51
	flat_load_dwordx4 v[1:4], v[9:10]
	s_waitcnt vmcnt(0) lgkmcnt(0)
	buffer_store_dword v4, off, s[0:3], 0 offset:396
	buffer_store_dword v3, off, s[0:3], 0 offset:392
	buffer_store_dword v2, off, s[0:3], 0 offset:388
	buffer_store_dword v1, off, s[0:3], 0 offset:384
	v_add_co_u32 v7, vcc_lo, s6, v7
	v_add_co_ci_u32_e64 v8, null, s7, v8, vcc_lo
	v_lshlrev_b64 v[33:34], 4, v[51:52]
	v_ashrrev_i32_e32 v62, 31, v61
	v_add_nc_u32_e32 v63, s13, v61
	flat_load_dwordx4 v[1:4], v[7:8]
	s_waitcnt vmcnt(0) lgkmcnt(0)
	buffer_store_dword v4, off, s[0:3], 0 offset:412
	buffer_store_dword v3, off, s[0:3], 0 offset:408
	buffer_store_dword v2, off, s[0:3], 0 offset:404
	buffer_store_dword v1, off, s[0:3], 0 offset:400
	;; [unrolled: 11-line block ×15, first 2 shown]
	v_add_co_u32 v83, vcc_lo, s6, v83
	v_add_co_ci_u32_e64 v84, null, s7, v84, vcc_lo
	v_lshlrev_b64 v[85:86], 4, v[87:88]
	v_ashrrev_i32_e32 v90, 31, v89
	flat_load_dwordx4 v[1:4], v[83:84]
	s_waitcnt vmcnt(0) lgkmcnt(0)
	buffer_store_dword v4, off, s[0:3], 0 offset:636
	buffer_store_dword v3, off, s[0:3], 0 offset:632
	;; [unrolled: 1-line block ×4, first 2 shown]
	v_add_co_u32 v85, vcc_lo, s6, v85
	v_add_co_ci_u32_e64 v86, null, s7, v86, vcc_lo
	v_lshlrev_b64 v[87:88], 4, v[89:90]
	v_add_nc_u32_e32 v89, s13, v89
	s_movk_i32 s13, 0xc0
	flat_load_dwordx4 v[1:4], v[85:86]
	s_waitcnt vmcnt(0) lgkmcnt(0)
	buffer_store_dword v4, off, s[0:3], 0 offset:652
	buffer_store_dword v3, off, s[0:3], 0 offset:648
	;; [unrolled: 1-line block ×4, first 2 shown]
	v_add_co_u32 v87, vcc_lo, s6, v87
	v_add_co_ci_u32_e64 v88, null, s7, v88, vcc_lo
	v_ashrrev_i32_e32 v90, 31, v89
	flat_load_dwordx4 v[1:4], v[87:88]
	s_waitcnt vmcnt(0) lgkmcnt(0)
	buffer_store_dword v4, off, s[0:3], 0 offset:668
	buffer_store_dword v3, off, s[0:3], 0 offset:664
	;; [unrolled: 1-line block ×4, first 2 shown]
	v_lshlrev_b64 v[89:90], 4, v[89:90]
	v_add_co_u32 v89, vcc_lo, s6, v89
	v_add_co_ci_u32_e64 v90, null, s7, v90, vcc_lo
	s_movk_i32 s6, 0x70
	s_movk_i32 s7, 0x80
	flat_load_dwordx4 v[1:4], v[89:90]
	s_waitcnt vmcnt(0) lgkmcnt(0)
	buffer_store_dword v4, off, s[0:3], 0 offset:684
	buffer_store_dword v3, off, s[0:3], 0 offset:680
	;; [unrolled: 1-line block ×4, first 2 shown]
	s_cbranch_scc1 .LBB106_7
; %bb.2:
	v_lshl_add_u32 v98, v0, 4, 0
                                        ; implicit-def: $vgpr93_vgpr94
                                        ; implicit-def: $vgpr3_vgpr4
	s_clause 0x3
	buffer_load_dword v91, v98, s[0:3], 0 offen
	buffer_load_dword v92, v98, s[0:3], 0 offen offset:4
	buffer_load_dword v95, v98, s[0:3], 0 offen offset:8
	;; [unrolled: 1-line block ×3, first 2 shown]
	s_waitcnt vmcnt(0)
	v_cmp_ngt_f64_e64 s9, |v[91:92]|, |v[95:96]|
	s_and_saveexec_b32 s26, s9
	s_xor_b32 s9, exec_lo, s26
	s_cbranch_execz .LBB106_4
; %bb.3:
	v_div_scale_f64 v[1:2], null, v[95:96], v[95:96], v[91:92]
	v_div_scale_f64 v[99:100], vcc_lo, v[91:92], v[95:96], v[91:92]
	v_rcp_f64_e32 v[3:4], v[1:2]
	v_fma_f64 v[93:94], -v[1:2], v[3:4], 1.0
	v_fma_f64 v[3:4], v[3:4], v[93:94], v[3:4]
	v_fma_f64 v[93:94], -v[1:2], v[3:4], 1.0
	v_fma_f64 v[3:4], v[3:4], v[93:94], v[3:4]
	v_mul_f64 v[93:94], v[99:100], v[3:4]
	v_fma_f64 v[1:2], -v[1:2], v[93:94], v[99:100]
	v_div_fmas_f64 v[1:2], v[1:2], v[3:4], v[93:94]
	v_div_fixup_f64 v[1:2], v[1:2], v[95:96], v[91:92]
	v_fma_f64 v[3:4], v[91:92], v[1:2], v[95:96]
	v_div_scale_f64 v[91:92], null, v[3:4], v[3:4], 1.0
	v_div_scale_f64 v[99:100], vcc_lo, 1.0, v[3:4], 1.0
	v_rcp_f64_e32 v[93:94], v[91:92]
	v_fma_f64 v[95:96], -v[91:92], v[93:94], 1.0
	v_fma_f64 v[93:94], v[93:94], v[95:96], v[93:94]
	v_fma_f64 v[95:96], -v[91:92], v[93:94], 1.0
	v_fma_f64 v[93:94], v[93:94], v[95:96], v[93:94]
	v_mul_f64 v[95:96], v[99:100], v[93:94]
	v_fma_f64 v[91:92], -v[91:92], v[95:96], v[99:100]
	v_div_fmas_f64 v[91:92], v[91:92], v[93:94], v[95:96]
                                        ; implicit-def: $vgpr95_vgpr96
	v_div_fixup_f64 v[3:4], v[91:92], v[3:4], 1.0
                                        ; implicit-def: $vgpr91_vgpr92
	v_mul_f64 v[93:94], v[1:2], v[3:4]
	v_xor_b32_e32 v4, 0x80000000, v4
	v_xor_b32_e32 v2, 0x80000000, v94
	v_mov_b32_e32 v1, v93
.LBB106_4:
	s_andn2_saveexec_b32 s9, s9
	s_cbranch_execz .LBB106_6
; %bb.5:
	v_div_scale_f64 v[1:2], null, v[91:92], v[91:92], v[95:96]
	v_div_scale_f64 v[99:100], vcc_lo, v[95:96], v[91:92], v[95:96]
	v_rcp_f64_e32 v[3:4], v[1:2]
	v_fma_f64 v[93:94], -v[1:2], v[3:4], 1.0
	v_fma_f64 v[3:4], v[3:4], v[93:94], v[3:4]
	v_fma_f64 v[93:94], -v[1:2], v[3:4], 1.0
	v_fma_f64 v[3:4], v[3:4], v[93:94], v[3:4]
	v_mul_f64 v[93:94], v[99:100], v[3:4]
	v_fma_f64 v[1:2], -v[1:2], v[93:94], v[99:100]
	v_div_fmas_f64 v[1:2], v[1:2], v[3:4], v[93:94]
	v_div_fixup_f64 v[1:2], v[1:2], v[91:92], v[95:96]
	v_fma_f64 v[3:4], v[95:96], v[1:2], v[91:92]
	v_div_scale_f64 v[91:92], null, v[3:4], v[3:4], 1.0
	v_rcp_f64_e32 v[93:94], v[91:92]
	v_fma_f64 v[95:96], -v[91:92], v[93:94], 1.0
	v_fma_f64 v[93:94], v[93:94], v[95:96], v[93:94]
	v_fma_f64 v[95:96], -v[91:92], v[93:94], 1.0
	v_fma_f64 v[93:94], v[93:94], v[95:96], v[93:94]
	v_div_scale_f64 v[95:96], vcc_lo, 1.0, v[3:4], 1.0
	v_mul_f64 v[99:100], v[95:96], v[93:94]
	v_fma_f64 v[91:92], -v[91:92], v[99:100], v[95:96]
	v_div_fmas_f64 v[91:92], v[91:92], v[93:94], v[99:100]
	v_div_fixup_f64 v[93:94], v[91:92], v[3:4], 1.0
	v_mul_f64 v[3:4], v[1:2], -v[93:94]
	v_xor_b32_e32 v2, 0x80000000, v94
	v_mov_b32_e32 v1, v93
.LBB106_6:
	s_or_b32 exec_lo, exec_lo, s9
	buffer_store_dword v4, v98, s[0:3], 0 offen offset:12
	v_xor_b32_e32 v4, 0x80000000, v4
	buffer_store_dword v94, v98, s[0:3], 0 offen offset:4
	buffer_store_dword v93, v98, s[0:3], 0 offen
	buffer_store_dword v3, v98, s[0:3], 0 offen offset:8
	s_branch .LBB106_8
.LBB106_7:
	v_mov_b32_e32 v1, 0
	v_mov_b32_e32 v3, 0
	;; [unrolled: 1-line block ×4, first 2 shown]
.LBB106_8:
	v_add_nc_u32_e32 v92, 0x2b0, v97
	v_mov_b32_e32 v91, v97
	s_mov_b32 s49, 16
	s_mov_b32 s48, 32
	;; [unrolled: 1-line block ×41, first 2 shown]
	s_cmpk_eq_i32 s8, 0x79
	ds_write_b128 v97, v[1:4]
	s_cbranch_scc1 .LBB106_340
; %bb.9:
	v_mov_b32_e32 v4, s7
	v_cmp_eq_u32_e64 s4, 42, v0
	s_clause 0x3
	buffer_load_dword v1, v4, s[0:3], 0 offen
	buffer_load_dword v2, v4, s[0:3], 0 offen offset:4
	buffer_load_dword v3, v4, s[0:3], 0 offen offset:8
	;; [unrolled: 1-line block ×3, first 2 shown]
	s_waitcnt vmcnt(0)
	ds_write_b128 v92, v[1:4]
	s_waitcnt lgkmcnt(0)
	s_waitcnt_vscnt null, 0x0
	s_barrier
	buffer_gl0_inv
	s_and_saveexec_b32 s5, s4
	s_cbranch_execz .LBB106_13
; %bb.10:
	ds_read_b128 v[1:4], v92
	s_andn2_b32 vcc_lo, exec_lo, s50
	s_cbranch_vccnz .LBB106_12
; %bb.11:
	s_clause 0x3
	buffer_load_dword v93, v91, s[0:3], 0 offen offset:8
	buffer_load_dword v94, v91, s[0:3], 0 offen offset:12
	buffer_load_dword v95, v91, s[0:3], 0 offen
	buffer_load_dword v96, v91, s[0:3], 0 offen offset:4
	s_waitcnt vmcnt(2) lgkmcnt(0)
	v_mul_f64 v[98:99], v[3:4], v[93:94]
	v_mul_f64 v[93:94], v[1:2], v[93:94]
	s_waitcnt vmcnt(0)
	v_fma_f64 v[1:2], v[1:2], v[95:96], -v[98:99]
	v_fma_f64 v[3:4], v[3:4], v[95:96], v[93:94]
.LBB106_12:
	v_mov_b32_e32 v93, 0
	ds_read_b128 v[93:96], v93 offset:656
	s_waitcnt lgkmcnt(0)
	v_mul_f64 v[98:99], v[3:4], v[95:96]
	v_mul_f64 v[95:96], v[1:2], v[95:96]
	v_fma_f64 v[1:2], v[1:2], v[93:94], -v[98:99]
	v_fma_f64 v[3:4], v[3:4], v[93:94], v[95:96]
	buffer_store_dword v2, off, s[0:3], 0 offset:660
	buffer_store_dword v1, off, s[0:3], 0 offset:656
	;; [unrolled: 1-line block ×4, first 2 shown]
.LBB106_13:
	s_or_b32 exec_lo, exec_lo, s5
	v_mov_b32_e32 v4, s9
	v_cmp_lt_u32_e64 s5, 40, v0
	s_clause 0x3
	buffer_load_dword v1, v4, s[0:3], 0 offen
	buffer_load_dword v2, v4, s[0:3], 0 offen offset:4
	buffer_load_dword v3, v4, s[0:3], 0 offen offset:8
	buffer_load_dword v4, v4, s[0:3], 0 offen offset:12
	s_waitcnt vmcnt(0)
	ds_write_b128 v92, v[1:4]
	s_waitcnt lgkmcnt(0)
	s_waitcnt_vscnt null, 0x0
	s_barrier
	buffer_gl0_inv
	s_and_saveexec_b32 s8, s5
	s_cbranch_execz .LBB106_19
; %bb.14:
	ds_read_b128 v[1:4], v92
	s_andn2_b32 vcc_lo, exec_lo, s50
	s_cbranch_vccnz .LBB106_16
; %bb.15:
	s_clause 0x3
	buffer_load_dword v93, v91, s[0:3], 0 offen offset:8
	buffer_load_dword v94, v91, s[0:3], 0 offen offset:12
	buffer_load_dword v95, v91, s[0:3], 0 offen
	buffer_load_dword v96, v91, s[0:3], 0 offen offset:4
	s_waitcnt vmcnt(2) lgkmcnt(0)
	v_mul_f64 v[98:99], v[3:4], v[93:94]
	v_mul_f64 v[93:94], v[1:2], v[93:94]
	s_waitcnt vmcnt(0)
	v_fma_f64 v[1:2], v[1:2], v[95:96], -v[98:99]
	v_fma_f64 v[3:4], v[3:4], v[95:96], v[93:94]
.LBB106_16:
	s_and_saveexec_b32 s51, s4
	s_cbranch_execz .LBB106_18
; %bb.17:
	s_clause 0x3
	buffer_load_dword v98, off, s[0:3], 0 offset:664
	buffer_load_dword v99, off, s[0:3], 0 offset:668
	;; [unrolled: 1-line block ×4, first 2 shown]
	v_mov_b32_e32 v93, 0
	ds_read_b128 v[93:96], v93 offset:1344
	s_waitcnt vmcnt(2) lgkmcnt(0)
	v_mul_f64 v[102:103], v[93:94], v[98:99]
	v_mul_f64 v[98:99], v[95:96], v[98:99]
	s_waitcnt vmcnt(0)
	v_fma_f64 v[95:96], v[95:96], v[100:101], v[102:103]
	v_fma_f64 v[93:94], v[93:94], v[100:101], -v[98:99]
	v_add_f64 v[3:4], v[3:4], v[95:96]
	v_add_f64 v[1:2], v[1:2], v[93:94]
.LBB106_18:
	s_or_b32 exec_lo, exec_lo, s51
	v_mov_b32_e32 v93, 0
	ds_read_b128 v[93:96], v93 offset:640
	s_waitcnt lgkmcnt(0)
	v_mul_f64 v[98:99], v[3:4], v[95:96]
	v_mul_f64 v[95:96], v[1:2], v[95:96]
	v_fma_f64 v[1:2], v[1:2], v[93:94], -v[98:99]
	v_fma_f64 v[3:4], v[3:4], v[93:94], v[95:96]
	buffer_store_dword v2, off, s[0:3], 0 offset:644
	buffer_store_dword v1, off, s[0:3], 0 offset:640
	buffer_store_dword v4, off, s[0:3], 0 offset:652
	buffer_store_dword v3, off, s[0:3], 0 offset:648
.LBB106_19:
	s_or_b32 exec_lo, exec_lo, s8
	v_mov_b32_e32 v4, s10
	v_cmp_lt_u32_e64 s4, 39, v0
	s_clause 0x3
	buffer_load_dword v1, v4, s[0:3], 0 offen
	buffer_load_dword v2, v4, s[0:3], 0 offen offset:4
	buffer_load_dword v3, v4, s[0:3], 0 offen offset:8
	;; [unrolled: 1-line block ×3, first 2 shown]
	s_waitcnt vmcnt(0)
	ds_write_b128 v92, v[1:4]
	s_waitcnt lgkmcnt(0)
	s_waitcnt_vscnt null, 0x0
	s_barrier
	buffer_gl0_inv
	s_and_saveexec_b32 s8, s4
	s_cbranch_execz .LBB106_27
; %bb.20:
	ds_read_b128 v[1:4], v92
	s_andn2_b32 vcc_lo, exec_lo, s50
	s_cbranch_vccnz .LBB106_22
; %bb.21:
	s_clause 0x3
	buffer_load_dword v93, v91, s[0:3], 0 offen offset:8
	buffer_load_dword v94, v91, s[0:3], 0 offen offset:12
	buffer_load_dword v95, v91, s[0:3], 0 offen
	buffer_load_dword v96, v91, s[0:3], 0 offen offset:4
	s_waitcnt vmcnt(2) lgkmcnt(0)
	v_mul_f64 v[98:99], v[3:4], v[93:94]
	v_mul_f64 v[93:94], v[1:2], v[93:94]
	s_waitcnt vmcnt(0)
	v_fma_f64 v[1:2], v[1:2], v[95:96], -v[98:99]
	v_fma_f64 v[3:4], v[3:4], v[95:96], v[93:94]
.LBB106_22:
	s_and_saveexec_b32 s51, s5
	s_cbranch_execz .LBB106_26
; %bb.23:
	v_subrev_nc_u32_e32 v93, 40, v0
	s_movk_i32 s52, 0x530
	s_mov_b32 s5, 0
	s_mov_b32 s53, s9
	.p2align	6
.LBB106_24:                             ; =>This Inner Loop Header: Depth=1
	v_mov_b32_e32 v96, s53
	v_add_nc_u32_e32 v93, -1, v93
	s_add_i32 s53, s53, 16
	s_clause 0x3
	buffer_load_dword v94, v96, s[0:3], 0 offen offset:8
	buffer_load_dword v95, v96, s[0:3], 0 offen offset:12
	buffer_load_dword v102, v96, s[0:3], 0 offen
	buffer_load_dword v103, v96, s[0:3], 0 offen offset:4
	v_mov_b32_e32 v96, s52
	v_cmp_eq_u32_e32 vcc_lo, 0, v93
	s_add_i32 s52, s52, 16
	ds_read_b128 v[98:101], v96
	s_or_b32 s5, vcc_lo, s5
	s_waitcnt vmcnt(2) lgkmcnt(0)
	v_mul_f64 v[104:105], v[100:101], v[94:95]
	v_mul_f64 v[94:95], v[98:99], v[94:95]
	s_waitcnt vmcnt(0)
	v_fma_f64 v[98:99], v[98:99], v[102:103], -v[104:105]
	v_fma_f64 v[94:95], v[100:101], v[102:103], v[94:95]
	v_add_f64 v[1:2], v[1:2], v[98:99]
	v_add_f64 v[3:4], v[3:4], v[94:95]
	s_andn2_b32 exec_lo, exec_lo, s5
	s_cbranch_execnz .LBB106_24
; %bb.25:
	s_or_b32 exec_lo, exec_lo, s5
.LBB106_26:
	s_or_b32 exec_lo, exec_lo, s51
	v_mov_b32_e32 v93, 0
	ds_read_b128 v[93:96], v93 offset:624
	s_waitcnt lgkmcnt(0)
	v_mul_f64 v[98:99], v[3:4], v[95:96]
	v_mul_f64 v[95:96], v[1:2], v[95:96]
	v_fma_f64 v[1:2], v[1:2], v[93:94], -v[98:99]
	v_fma_f64 v[3:4], v[3:4], v[93:94], v[95:96]
	buffer_store_dword v2, off, s[0:3], 0 offset:628
	buffer_store_dword v1, off, s[0:3], 0 offset:624
	;; [unrolled: 1-line block ×4, first 2 shown]
.LBB106_27:
	s_or_b32 exec_lo, exec_lo, s8
	v_mov_b32_e32 v4, s11
	v_cmp_lt_u32_e64 s5, 38, v0
	s_clause 0x3
	buffer_load_dword v1, v4, s[0:3], 0 offen
	buffer_load_dword v2, v4, s[0:3], 0 offen offset:4
	buffer_load_dword v3, v4, s[0:3], 0 offen offset:8
	;; [unrolled: 1-line block ×3, first 2 shown]
	s_waitcnt vmcnt(0)
	ds_write_b128 v92, v[1:4]
	s_waitcnt lgkmcnt(0)
	s_waitcnt_vscnt null, 0x0
	s_barrier
	buffer_gl0_inv
	s_and_saveexec_b32 s8, s5
	s_cbranch_execz .LBB106_35
; %bb.28:
	ds_read_b128 v[1:4], v92
	s_andn2_b32 vcc_lo, exec_lo, s50
	s_cbranch_vccnz .LBB106_30
; %bb.29:
	s_clause 0x3
	buffer_load_dword v93, v91, s[0:3], 0 offen offset:8
	buffer_load_dword v94, v91, s[0:3], 0 offen offset:12
	buffer_load_dword v95, v91, s[0:3], 0 offen
	buffer_load_dword v96, v91, s[0:3], 0 offen offset:4
	s_waitcnt vmcnt(2) lgkmcnt(0)
	v_mul_f64 v[98:99], v[3:4], v[93:94]
	v_mul_f64 v[93:94], v[1:2], v[93:94]
	s_waitcnt vmcnt(0)
	v_fma_f64 v[1:2], v[1:2], v[95:96], -v[98:99]
	v_fma_f64 v[3:4], v[3:4], v[95:96], v[93:94]
.LBB106_30:
	s_and_saveexec_b32 s51, s4
	s_cbranch_execz .LBB106_34
; %bb.31:
	v_subrev_nc_u32_e32 v93, 39, v0
	s_movk_i32 s52, 0x520
	s_mov_b32 s4, 0
	s_mov_b32 s53, s10
	.p2align	6
.LBB106_32:                             ; =>This Inner Loop Header: Depth=1
	v_mov_b32_e32 v96, s53
	v_add_nc_u32_e32 v93, -1, v93
	s_add_i32 s53, s53, 16
	s_clause 0x3
	buffer_load_dword v94, v96, s[0:3], 0 offen offset:8
	buffer_load_dword v95, v96, s[0:3], 0 offen offset:12
	buffer_load_dword v102, v96, s[0:3], 0 offen
	buffer_load_dword v103, v96, s[0:3], 0 offen offset:4
	v_mov_b32_e32 v96, s52
	v_cmp_eq_u32_e32 vcc_lo, 0, v93
	s_add_i32 s52, s52, 16
	ds_read_b128 v[98:101], v96
	s_or_b32 s4, vcc_lo, s4
	s_waitcnt vmcnt(2) lgkmcnt(0)
	v_mul_f64 v[104:105], v[100:101], v[94:95]
	v_mul_f64 v[94:95], v[98:99], v[94:95]
	s_waitcnt vmcnt(0)
	v_fma_f64 v[98:99], v[98:99], v[102:103], -v[104:105]
	v_fma_f64 v[94:95], v[100:101], v[102:103], v[94:95]
	v_add_f64 v[1:2], v[1:2], v[98:99]
	v_add_f64 v[3:4], v[3:4], v[94:95]
	s_andn2_b32 exec_lo, exec_lo, s4
	s_cbranch_execnz .LBB106_32
; %bb.33:
	s_or_b32 exec_lo, exec_lo, s4
.LBB106_34:
	s_or_b32 exec_lo, exec_lo, s51
	v_mov_b32_e32 v93, 0
	ds_read_b128 v[93:96], v93 offset:608
	s_waitcnt lgkmcnt(0)
	v_mul_f64 v[98:99], v[3:4], v[95:96]
	v_mul_f64 v[95:96], v[1:2], v[95:96]
	v_fma_f64 v[1:2], v[1:2], v[93:94], -v[98:99]
	v_fma_f64 v[3:4], v[3:4], v[93:94], v[95:96]
	buffer_store_dword v2, off, s[0:3], 0 offset:612
	buffer_store_dword v1, off, s[0:3], 0 offset:608
	;; [unrolled: 1-line block ×4, first 2 shown]
.LBB106_35:
	s_or_b32 exec_lo, exec_lo, s8
	v_mov_b32_e32 v4, s12
	v_cmp_lt_u32_e64 s4, 37, v0
	s_clause 0x3
	buffer_load_dword v1, v4, s[0:3], 0 offen
	buffer_load_dword v2, v4, s[0:3], 0 offen offset:4
	buffer_load_dword v3, v4, s[0:3], 0 offen offset:8
	;; [unrolled: 1-line block ×3, first 2 shown]
	s_waitcnt vmcnt(0)
	ds_write_b128 v92, v[1:4]
	s_waitcnt lgkmcnt(0)
	s_waitcnt_vscnt null, 0x0
	s_barrier
	buffer_gl0_inv
	s_and_saveexec_b32 s8, s4
	s_cbranch_execz .LBB106_43
; %bb.36:
	ds_read_b128 v[1:4], v92
	s_andn2_b32 vcc_lo, exec_lo, s50
	s_cbranch_vccnz .LBB106_38
; %bb.37:
	s_clause 0x3
	buffer_load_dword v93, v91, s[0:3], 0 offen offset:8
	buffer_load_dword v94, v91, s[0:3], 0 offen offset:12
	buffer_load_dword v95, v91, s[0:3], 0 offen
	buffer_load_dword v96, v91, s[0:3], 0 offen offset:4
	s_waitcnt vmcnt(2) lgkmcnt(0)
	v_mul_f64 v[98:99], v[3:4], v[93:94]
	v_mul_f64 v[93:94], v[1:2], v[93:94]
	s_waitcnt vmcnt(0)
	v_fma_f64 v[1:2], v[1:2], v[95:96], -v[98:99]
	v_fma_f64 v[3:4], v[3:4], v[95:96], v[93:94]
.LBB106_38:
	s_and_saveexec_b32 s51, s5
	s_cbranch_execz .LBB106_42
; %bb.39:
	v_subrev_nc_u32_e32 v93, 38, v0
	s_movk_i32 s52, 0x510
	s_mov_b32 s5, 0
	s_mov_b32 s53, s11
	.p2align	6
.LBB106_40:                             ; =>This Inner Loop Header: Depth=1
	v_mov_b32_e32 v96, s53
	v_add_nc_u32_e32 v93, -1, v93
	s_add_i32 s53, s53, 16
	s_clause 0x3
	buffer_load_dword v94, v96, s[0:3], 0 offen offset:8
	buffer_load_dword v95, v96, s[0:3], 0 offen offset:12
	buffer_load_dword v102, v96, s[0:3], 0 offen
	buffer_load_dword v103, v96, s[0:3], 0 offen offset:4
	v_mov_b32_e32 v96, s52
	v_cmp_eq_u32_e32 vcc_lo, 0, v93
	s_add_i32 s52, s52, 16
	ds_read_b128 v[98:101], v96
	s_or_b32 s5, vcc_lo, s5
	s_waitcnt vmcnt(2) lgkmcnt(0)
	v_mul_f64 v[104:105], v[100:101], v[94:95]
	v_mul_f64 v[94:95], v[98:99], v[94:95]
	s_waitcnt vmcnt(0)
	v_fma_f64 v[98:99], v[98:99], v[102:103], -v[104:105]
	v_fma_f64 v[94:95], v[100:101], v[102:103], v[94:95]
	v_add_f64 v[1:2], v[1:2], v[98:99]
	v_add_f64 v[3:4], v[3:4], v[94:95]
	s_andn2_b32 exec_lo, exec_lo, s5
	s_cbranch_execnz .LBB106_40
; %bb.41:
	s_or_b32 exec_lo, exec_lo, s5
.LBB106_42:
	s_or_b32 exec_lo, exec_lo, s51
	v_mov_b32_e32 v93, 0
	ds_read_b128 v[93:96], v93 offset:592
	s_waitcnt lgkmcnt(0)
	v_mul_f64 v[98:99], v[3:4], v[95:96]
	v_mul_f64 v[95:96], v[1:2], v[95:96]
	v_fma_f64 v[1:2], v[1:2], v[93:94], -v[98:99]
	v_fma_f64 v[3:4], v[3:4], v[93:94], v[95:96]
	buffer_store_dword v2, off, s[0:3], 0 offset:596
	buffer_store_dword v1, off, s[0:3], 0 offset:592
	;; [unrolled: 1-line block ×4, first 2 shown]
.LBB106_43:
	s_or_b32 exec_lo, exec_lo, s8
	v_mov_b32_e32 v4, s13
	v_cmp_lt_u32_e64 s5, 36, v0
	s_clause 0x3
	buffer_load_dword v1, v4, s[0:3], 0 offen
	buffer_load_dword v2, v4, s[0:3], 0 offen offset:4
	buffer_load_dword v3, v4, s[0:3], 0 offen offset:8
	;; [unrolled: 1-line block ×3, first 2 shown]
	s_waitcnt vmcnt(0)
	ds_write_b128 v92, v[1:4]
	s_waitcnt lgkmcnt(0)
	s_waitcnt_vscnt null, 0x0
	s_barrier
	buffer_gl0_inv
	s_and_saveexec_b32 s8, s5
	s_cbranch_execz .LBB106_51
; %bb.44:
	ds_read_b128 v[1:4], v92
	s_andn2_b32 vcc_lo, exec_lo, s50
	s_cbranch_vccnz .LBB106_46
; %bb.45:
	s_clause 0x3
	buffer_load_dword v93, v91, s[0:3], 0 offen offset:8
	buffer_load_dword v94, v91, s[0:3], 0 offen offset:12
	buffer_load_dword v95, v91, s[0:3], 0 offen
	buffer_load_dword v96, v91, s[0:3], 0 offen offset:4
	s_waitcnt vmcnt(2) lgkmcnt(0)
	v_mul_f64 v[98:99], v[3:4], v[93:94]
	v_mul_f64 v[93:94], v[1:2], v[93:94]
	s_waitcnt vmcnt(0)
	v_fma_f64 v[1:2], v[1:2], v[95:96], -v[98:99]
	v_fma_f64 v[3:4], v[3:4], v[95:96], v[93:94]
.LBB106_46:
	s_and_saveexec_b32 s51, s4
	s_cbranch_execz .LBB106_50
; %bb.47:
	v_subrev_nc_u32_e32 v93, 37, v0
	s_movk_i32 s52, 0x500
	s_mov_b32 s4, 0
	s_mov_b32 s53, s12
	.p2align	6
.LBB106_48:                             ; =>This Inner Loop Header: Depth=1
	v_mov_b32_e32 v96, s53
	v_add_nc_u32_e32 v93, -1, v93
	s_add_i32 s53, s53, 16
	s_clause 0x3
	buffer_load_dword v94, v96, s[0:3], 0 offen offset:8
	buffer_load_dword v95, v96, s[0:3], 0 offen offset:12
	buffer_load_dword v102, v96, s[0:3], 0 offen
	buffer_load_dword v103, v96, s[0:3], 0 offen offset:4
	v_mov_b32_e32 v96, s52
	v_cmp_eq_u32_e32 vcc_lo, 0, v93
	s_add_i32 s52, s52, 16
	ds_read_b128 v[98:101], v96
	s_or_b32 s4, vcc_lo, s4
	s_waitcnt vmcnt(2) lgkmcnt(0)
	v_mul_f64 v[104:105], v[100:101], v[94:95]
	v_mul_f64 v[94:95], v[98:99], v[94:95]
	s_waitcnt vmcnt(0)
	v_fma_f64 v[98:99], v[98:99], v[102:103], -v[104:105]
	v_fma_f64 v[94:95], v[100:101], v[102:103], v[94:95]
	v_add_f64 v[1:2], v[1:2], v[98:99]
	v_add_f64 v[3:4], v[3:4], v[94:95]
	s_andn2_b32 exec_lo, exec_lo, s4
	s_cbranch_execnz .LBB106_48
; %bb.49:
	s_or_b32 exec_lo, exec_lo, s4
.LBB106_50:
	s_or_b32 exec_lo, exec_lo, s51
	v_mov_b32_e32 v93, 0
	ds_read_b128 v[93:96], v93 offset:576
	s_waitcnt lgkmcnt(0)
	v_mul_f64 v[98:99], v[3:4], v[95:96]
	v_mul_f64 v[95:96], v[1:2], v[95:96]
	v_fma_f64 v[1:2], v[1:2], v[93:94], -v[98:99]
	v_fma_f64 v[3:4], v[3:4], v[93:94], v[95:96]
	buffer_store_dword v2, off, s[0:3], 0 offset:580
	buffer_store_dword v1, off, s[0:3], 0 offset:576
	;; [unrolled: 1-line block ×4, first 2 shown]
.LBB106_51:
	s_or_b32 exec_lo, exec_lo, s8
	v_mov_b32_e32 v4, s14
	v_cmp_lt_u32_e64 s4, 35, v0
	s_clause 0x3
	buffer_load_dword v1, v4, s[0:3], 0 offen
	buffer_load_dword v2, v4, s[0:3], 0 offen offset:4
	buffer_load_dword v3, v4, s[0:3], 0 offen offset:8
	;; [unrolled: 1-line block ×3, first 2 shown]
	s_waitcnt vmcnt(0)
	ds_write_b128 v92, v[1:4]
	s_waitcnt lgkmcnt(0)
	s_waitcnt_vscnt null, 0x0
	s_barrier
	buffer_gl0_inv
	s_and_saveexec_b32 s8, s4
	s_cbranch_execz .LBB106_59
; %bb.52:
	ds_read_b128 v[1:4], v92
	s_andn2_b32 vcc_lo, exec_lo, s50
	s_cbranch_vccnz .LBB106_54
; %bb.53:
	s_clause 0x3
	buffer_load_dword v93, v91, s[0:3], 0 offen offset:8
	buffer_load_dword v94, v91, s[0:3], 0 offen offset:12
	buffer_load_dword v95, v91, s[0:3], 0 offen
	buffer_load_dword v96, v91, s[0:3], 0 offen offset:4
	s_waitcnt vmcnt(2) lgkmcnt(0)
	v_mul_f64 v[98:99], v[3:4], v[93:94]
	v_mul_f64 v[93:94], v[1:2], v[93:94]
	s_waitcnt vmcnt(0)
	v_fma_f64 v[1:2], v[1:2], v[95:96], -v[98:99]
	v_fma_f64 v[3:4], v[3:4], v[95:96], v[93:94]
.LBB106_54:
	s_and_saveexec_b32 s51, s5
	s_cbranch_execz .LBB106_58
; %bb.55:
	v_subrev_nc_u32_e32 v93, 36, v0
	s_movk_i32 s52, 0x4f0
	s_mov_b32 s5, 0
	s_mov_b32 s53, s13
	.p2align	6
.LBB106_56:                             ; =>This Inner Loop Header: Depth=1
	v_mov_b32_e32 v96, s53
	v_add_nc_u32_e32 v93, -1, v93
	s_add_i32 s53, s53, 16
	s_clause 0x3
	buffer_load_dword v94, v96, s[0:3], 0 offen offset:8
	buffer_load_dword v95, v96, s[0:3], 0 offen offset:12
	buffer_load_dword v102, v96, s[0:3], 0 offen
	buffer_load_dword v103, v96, s[0:3], 0 offen offset:4
	v_mov_b32_e32 v96, s52
	v_cmp_eq_u32_e32 vcc_lo, 0, v93
	s_add_i32 s52, s52, 16
	ds_read_b128 v[98:101], v96
	s_or_b32 s5, vcc_lo, s5
	s_waitcnt vmcnt(2) lgkmcnt(0)
	v_mul_f64 v[104:105], v[100:101], v[94:95]
	v_mul_f64 v[94:95], v[98:99], v[94:95]
	s_waitcnt vmcnt(0)
	v_fma_f64 v[98:99], v[98:99], v[102:103], -v[104:105]
	v_fma_f64 v[94:95], v[100:101], v[102:103], v[94:95]
	v_add_f64 v[1:2], v[1:2], v[98:99]
	v_add_f64 v[3:4], v[3:4], v[94:95]
	s_andn2_b32 exec_lo, exec_lo, s5
	s_cbranch_execnz .LBB106_56
; %bb.57:
	s_or_b32 exec_lo, exec_lo, s5
.LBB106_58:
	s_or_b32 exec_lo, exec_lo, s51
	v_mov_b32_e32 v93, 0
	ds_read_b128 v[93:96], v93 offset:560
	s_waitcnt lgkmcnt(0)
	v_mul_f64 v[98:99], v[3:4], v[95:96]
	v_mul_f64 v[95:96], v[1:2], v[95:96]
	v_fma_f64 v[1:2], v[1:2], v[93:94], -v[98:99]
	v_fma_f64 v[3:4], v[3:4], v[93:94], v[95:96]
	buffer_store_dword v2, off, s[0:3], 0 offset:564
	buffer_store_dword v1, off, s[0:3], 0 offset:560
	;; [unrolled: 1-line block ×4, first 2 shown]
.LBB106_59:
	s_or_b32 exec_lo, exec_lo, s8
	v_mov_b32_e32 v4, s15
	v_cmp_lt_u32_e64 s5, 34, v0
	s_clause 0x3
	buffer_load_dword v1, v4, s[0:3], 0 offen
	buffer_load_dword v2, v4, s[0:3], 0 offen offset:4
	buffer_load_dword v3, v4, s[0:3], 0 offen offset:8
	;; [unrolled: 1-line block ×3, first 2 shown]
	s_waitcnt vmcnt(0)
	ds_write_b128 v92, v[1:4]
	s_waitcnt lgkmcnt(0)
	s_waitcnt_vscnt null, 0x0
	s_barrier
	buffer_gl0_inv
	s_and_saveexec_b32 s8, s5
	s_cbranch_execz .LBB106_67
; %bb.60:
	ds_read_b128 v[1:4], v92
	s_andn2_b32 vcc_lo, exec_lo, s50
	s_cbranch_vccnz .LBB106_62
; %bb.61:
	s_clause 0x3
	buffer_load_dword v93, v91, s[0:3], 0 offen offset:8
	buffer_load_dword v94, v91, s[0:3], 0 offen offset:12
	buffer_load_dword v95, v91, s[0:3], 0 offen
	buffer_load_dword v96, v91, s[0:3], 0 offen offset:4
	s_waitcnt vmcnt(2) lgkmcnt(0)
	v_mul_f64 v[98:99], v[3:4], v[93:94]
	v_mul_f64 v[93:94], v[1:2], v[93:94]
	s_waitcnt vmcnt(0)
	v_fma_f64 v[1:2], v[1:2], v[95:96], -v[98:99]
	v_fma_f64 v[3:4], v[3:4], v[95:96], v[93:94]
.LBB106_62:
	s_and_saveexec_b32 s51, s4
	s_cbranch_execz .LBB106_66
; %bb.63:
	v_subrev_nc_u32_e32 v93, 35, v0
	s_movk_i32 s52, 0x4e0
	s_mov_b32 s4, 0
	s_mov_b32 s53, s14
	.p2align	6
.LBB106_64:                             ; =>This Inner Loop Header: Depth=1
	v_mov_b32_e32 v96, s53
	v_add_nc_u32_e32 v93, -1, v93
	s_add_i32 s53, s53, 16
	s_clause 0x3
	buffer_load_dword v94, v96, s[0:3], 0 offen offset:8
	buffer_load_dword v95, v96, s[0:3], 0 offen offset:12
	buffer_load_dword v102, v96, s[0:3], 0 offen
	buffer_load_dword v103, v96, s[0:3], 0 offen offset:4
	v_mov_b32_e32 v96, s52
	v_cmp_eq_u32_e32 vcc_lo, 0, v93
	s_add_i32 s52, s52, 16
	ds_read_b128 v[98:101], v96
	s_or_b32 s4, vcc_lo, s4
	s_waitcnt vmcnt(2) lgkmcnt(0)
	v_mul_f64 v[104:105], v[100:101], v[94:95]
	v_mul_f64 v[94:95], v[98:99], v[94:95]
	s_waitcnt vmcnt(0)
	v_fma_f64 v[98:99], v[98:99], v[102:103], -v[104:105]
	v_fma_f64 v[94:95], v[100:101], v[102:103], v[94:95]
	v_add_f64 v[1:2], v[1:2], v[98:99]
	v_add_f64 v[3:4], v[3:4], v[94:95]
	s_andn2_b32 exec_lo, exec_lo, s4
	s_cbranch_execnz .LBB106_64
; %bb.65:
	s_or_b32 exec_lo, exec_lo, s4
.LBB106_66:
	s_or_b32 exec_lo, exec_lo, s51
	v_mov_b32_e32 v93, 0
	ds_read_b128 v[93:96], v93 offset:544
	s_waitcnt lgkmcnt(0)
	v_mul_f64 v[98:99], v[3:4], v[95:96]
	v_mul_f64 v[95:96], v[1:2], v[95:96]
	v_fma_f64 v[1:2], v[1:2], v[93:94], -v[98:99]
	v_fma_f64 v[3:4], v[3:4], v[93:94], v[95:96]
	buffer_store_dword v2, off, s[0:3], 0 offset:548
	buffer_store_dword v1, off, s[0:3], 0 offset:544
	;; [unrolled: 1-line block ×4, first 2 shown]
.LBB106_67:
	s_or_b32 exec_lo, exec_lo, s8
	v_mov_b32_e32 v4, s16
	v_cmp_lt_u32_e64 s4, 33, v0
	s_clause 0x3
	buffer_load_dword v1, v4, s[0:3], 0 offen
	buffer_load_dword v2, v4, s[0:3], 0 offen offset:4
	buffer_load_dword v3, v4, s[0:3], 0 offen offset:8
	;; [unrolled: 1-line block ×3, first 2 shown]
	s_waitcnt vmcnt(0)
	ds_write_b128 v92, v[1:4]
	s_waitcnt lgkmcnt(0)
	s_waitcnt_vscnt null, 0x0
	s_barrier
	buffer_gl0_inv
	s_and_saveexec_b32 s8, s4
	s_cbranch_execz .LBB106_75
; %bb.68:
	ds_read_b128 v[1:4], v92
	s_andn2_b32 vcc_lo, exec_lo, s50
	s_cbranch_vccnz .LBB106_70
; %bb.69:
	s_clause 0x3
	buffer_load_dword v93, v91, s[0:3], 0 offen offset:8
	buffer_load_dword v94, v91, s[0:3], 0 offen offset:12
	buffer_load_dword v95, v91, s[0:3], 0 offen
	buffer_load_dword v96, v91, s[0:3], 0 offen offset:4
	s_waitcnt vmcnt(2) lgkmcnt(0)
	v_mul_f64 v[98:99], v[3:4], v[93:94]
	v_mul_f64 v[93:94], v[1:2], v[93:94]
	s_waitcnt vmcnt(0)
	v_fma_f64 v[1:2], v[1:2], v[95:96], -v[98:99]
	v_fma_f64 v[3:4], v[3:4], v[95:96], v[93:94]
.LBB106_70:
	s_and_saveexec_b32 s51, s5
	s_cbranch_execz .LBB106_74
; %bb.71:
	v_subrev_nc_u32_e32 v93, 34, v0
	s_movk_i32 s52, 0x4d0
	s_mov_b32 s5, 0
	s_mov_b32 s53, s15
	.p2align	6
.LBB106_72:                             ; =>This Inner Loop Header: Depth=1
	v_mov_b32_e32 v96, s53
	v_add_nc_u32_e32 v93, -1, v93
	s_add_i32 s53, s53, 16
	s_clause 0x3
	buffer_load_dword v94, v96, s[0:3], 0 offen offset:8
	buffer_load_dword v95, v96, s[0:3], 0 offen offset:12
	buffer_load_dword v102, v96, s[0:3], 0 offen
	buffer_load_dword v103, v96, s[0:3], 0 offen offset:4
	v_mov_b32_e32 v96, s52
	v_cmp_eq_u32_e32 vcc_lo, 0, v93
	s_add_i32 s52, s52, 16
	ds_read_b128 v[98:101], v96
	s_or_b32 s5, vcc_lo, s5
	s_waitcnt vmcnt(2) lgkmcnt(0)
	v_mul_f64 v[104:105], v[100:101], v[94:95]
	v_mul_f64 v[94:95], v[98:99], v[94:95]
	s_waitcnt vmcnt(0)
	v_fma_f64 v[98:99], v[98:99], v[102:103], -v[104:105]
	v_fma_f64 v[94:95], v[100:101], v[102:103], v[94:95]
	v_add_f64 v[1:2], v[1:2], v[98:99]
	v_add_f64 v[3:4], v[3:4], v[94:95]
	s_andn2_b32 exec_lo, exec_lo, s5
	s_cbranch_execnz .LBB106_72
; %bb.73:
	s_or_b32 exec_lo, exec_lo, s5
.LBB106_74:
	s_or_b32 exec_lo, exec_lo, s51
	v_mov_b32_e32 v93, 0
	ds_read_b128 v[93:96], v93 offset:528
	s_waitcnt lgkmcnt(0)
	v_mul_f64 v[98:99], v[3:4], v[95:96]
	v_mul_f64 v[95:96], v[1:2], v[95:96]
	v_fma_f64 v[1:2], v[1:2], v[93:94], -v[98:99]
	v_fma_f64 v[3:4], v[3:4], v[93:94], v[95:96]
	buffer_store_dword v2, off, s[0:3], 0 offset:532
	buffer_store_dword v1, off, s[0:3], 0 offset:528
	;; [unrolled: 1-line block ×4, first 2 shown]
.LBB106_75:
	s_or_b32 exec_lo, exec_lo, s8
	v_mov_b32_e32 v4, s17
	v_cmp_lt_u32_e64 s5, 32, v0
	s_clause 0x3
	buffer_load_dword v1, v4, s[0:3], 0 offen
	buffer_load_dword v2, v4, s[0:3], 0 offen offset:4
	buffer_load_dword v3, v4, s[0:3], 0 offen offset:8
	buffer_load_dword v4, v4, s[0:3], 0 offen offset:12
	s_waitcnt vmcnt(0)
	ds_write_b128 v92, v[1:4]
	s_waitcnt lgkmcnt(0)
	s_waitcnt_vscnt null, 0x0
	s_barrier
	buffer_gl0_inv
	s_and_saveexec_b32 s8, s5
	s_cbranch_execz .LBB106_83
; %bb.76:
	ds_read_b128 v[1:4], v92
	s_andn2_b32 vcc_lo, exec_lo, s50
	s_cbranch_vccnz .LBB106_78
; %bb.77:
	s_clause 0x3
	buffer_load_dword v93, v91, s[0:3], 0 offen offset:8
	buffer_load_dword v94, v91, s[0:3], 0 offen offset:12
	buffer_load_dword v95, v91, s[0:3], 0 offen
	buffer_load_dword v96, v91, s[0:3], 0 offen offset:4
	s_waitcnt vmcnt(2) lgkmcnt(0)
	v_mul_f64 v[98:99], v[3:4], v[93:94]
	v_mul_f64 v[93:94], v[1:2], v[93:94]
	s_waitcnt vmcnt(0)
	v_fma_f64 v[1:2], v[1:2], v[95:96], -v[98:99]
	v_fma_f64 v[3:4], v[3:4], v[95:96], v[93:94]
.LBB106_78:
	s_and_saveexec_b32 s51, s4
	s_cbranch_execz .LBB106_82
; %bb.79:
	v_subrev_nc_u32_e32 v93, 33, v0
	s_movk_i32 s52, 0x4c0
	s_mov_b32 s4, 0
	s_mov_b32 s53, s16
	.p2align	6
.LBB106_80:                             ; =>This Inner Loop Header: Depth=1
	v_mov_b32_e32 v96, s53
	v_add_nc_u32_e32 v93, -1, v93
	s_add_i32 s53, s53, 16
	s_clause 0x3
	buffer_load_dword v94, v96, s[0:3], 0 offen offset:8
	buffer_load_dword v95, v96, s[0:3], 0 offen offset:12
	buffer_load_dword v102, v96, s[0:3], 0 offen
	buffer_load_dword v103, v96, s[0:3], 0 offen offset:4
	v_mov_b32_e32 v96, s52
	v_cmp_eq_u32_e32 vcc_lo, 0, v93
	s_add_i32 s52, s52, 16
	ds_read_b128 v[98:101], v96
	s_or_b32 s4, vcc_lo, s4
	s_waitcnt vmcnt(2) lgkmcnt(0)
	v_mul_f64 v[104:105], v[100:101], v[94:95]
	v_mul_f64 v[94:95], v[98:99], v[94:95]
	s_waitcnt vmcnt(0)
	v_fma_f64 v[98:99], v[98:99], v[102:103], -v[104:105]
	v_fma_f64 v[94:95], v[100:101], v[102:103], v[94:95]
	v_add_f64 v[1:2], v[1:2], v[98:99]
	v_add_f64 v[3:4], v[3:4], v[94:95]
	s_andn2_b32 exec_lo, exec_lo, s4
	s_cbranch_execnz .LBB106_80
; %bb.81:
	s_or_b32 exec_lo, exec_lo, s4
.LBB106_82:
	s_or_b32 exec_lo, exec_lo, s51
	v_mov_b32_e32 v93, 0
	ds_read_b128 v[93:96], v93 offset:512
	s_waitcnt lgkmcnt(0)
	v_mul_f64 v[98:99], v[3:4], v[95:96]
	v_mul_f64 v[95:96], v[1:2], v[95:96]
	v_fma_f64 v[1:2], v[1:2], v[93:94], -v[98:99]
	v_fma_f64 v[3:4], v[3:4], v[93:94], v[95:96]
	buffer_store_dword v2, off, s[0:3], 0 offset:516
	buffer_store_dword v1, off, s[0:3], 0 offset:512
	;; [unrolled: 1-line block ×4, first 2 shown]
.LBB106_83:
	s_or_b32 exec_lo, exec_lo, s8
	v_mov_b32_e32 v4, s18
	v_cmp_lt_u32_e64 s4, 31, v0
	s_clause 0x3
	buffer_load_dword v1, v4, s[0:3], 0 offen
	buffer_load_dword v2, v4, s[0:3], 0 offen offset:4
	buffer_load_dword v3, v4, s[0:3], 0 offen offset:8
	;; [unrolled: 1-line block ×3, first 2 shown]
	s_waitcnt vmcnt(0)
	ds_write_b128 v92, v[1:4]
	s_waitcnt lgkmcnt(0)
	s_waitcnt_vscnt null, 0x0
	s_barrier
	buffer_gl0_inv
	s_and_saveexec_b32 s8, s4
	s_cbranch_execz .LBB106_91
; %bb.84:
	ds_read_b128 v[1:4], v92
	s_andn2_b32 vcc_lo, exec_lo, s50
	s_cbranch_vccnz .LBB106_86
; %bb.85:
	s_clause 0x3
	buffer_load_dword v93, v91, s[0:3], 0 offen offset:8
	buffer_load_dword v94, v91, s[0:3], 0 offen offset:12
	buffer_load_dword v95, v91, s[0:3], 0 offen
	buffer_load_dword v96, v91, s[0:3], 0 offen offset:4
	s_waitcnt vmcnt(2) lgkmcnt(0)
	v_mul_f64 v[98:99], v[3:4], v[93:94]
	v_mul_f64 v[93:94], v[1:2], v[93:94]
	s_waitcnt vmcnt(0)
	v_fma_f64 v[1:2], v[1:2], v[95:96], -v[98:99]
	v_fma_f64 v[3:4], v[3:4], v[95:96], v[93:94]
.LBB106_86:
	s_and_saveexec_b32 s51, s5
	s_cbranch_execz .LBB106_90
; %bb.87:
	v_subrev_nc_u32_e32 v93, 32, v0
	s_movk_i32 s52, 0x4b0
	s_mov_b32 s5, 0
	s_mov_b32 s53, s17
	.p2align	6
.LBB106_88:                             ; =>This Inner Loop Header: Depth=1
	v_mov_b32_e32 v96, s53
	v_add_nc_u32_e32 v93, -1, v93
	s_add_i32 s53, s53, 16
	s_clause 0x3
	buffer_load_dword v94, v96, s[0:3], 0 offen offset:8
	buffer_load_dword v95, v96, s[0:3], 0 offen offset:12
	buffer_load_dword v102, v96, s[0:3], 0 offen
	buffer_load_dword v103, v96, s[0:3], 0 offen offset:4
	v_mov_b32_e32 v96, s52
	v_cmp_eq_u32_e32 vcc_lo, 0, v93
	s_add_i32 s52, s52, 16
	ds_read_b128 v[98:101], v96
	s_or_b32 s5, vcc_lo, s5
	s_waitcnt vmcnt(2) lgkmcnt(0)
	v_mul_f64 v[104:105], v[100:101], v[94:95]
	v_mul_f64 v[94:95], v[98:99], v[94:95]
	s_waitcnt vmcnt(0)
	v_fma_f64 v[98:99], v[98:99], v[102:103], -v[104:105]
	v_fma_f64 v[94:95], v[100:101], v[102:103], v[94:95]
	v_add_f64 v[1:2], v[1:2], v[98:99]
	v_add_f64 v[3:4], v[3:4], v[94:95]
	s_andn2_b32 exec_lo, exec_lo, s5
	s_cbranch_execnz .LBB106_88
; %bb.89:
	s_or_b32 exec_lo, exec_lo, s5
.LBB106_90:
	s_or_b32 exec_lo, exec_lo, s51
	v_mov_b32_e32 v93, 0
	ds_read_b128 v[93:96], v93 offset:496
	s_waitcnt lgkmcnt(0)
	v_mul_f64 v[98:99], v[3:4], v[95:96]
	v_mul_f64 v[95:96], v[1:2], v[95:96]
	v_fma_f64 v[1:2], v[1:2], v[93:94], -v[98:99]
	v_fma_f64 v[3:4], v[3:4], v[93:94], v[95:96]
	buffer_store_dword v2, off, s[0:3], 0 offset:500
	buffer_store_dword v1, off, s[0:3], 0 offset:496
	;; [unrolled: 1-line block ×4, first 2 shown]
.LBB106_91:
	s_or_b32 exec_lo, exec_lo, s8
	v_mov_b32_e32 v4, s19
	v_cmp_lt_u32_e64 s5, 30, v0
	s_clause 0x3
	buffer_load_dword v1, v4, s[0:3], 0 offen
	buffer_load_dword v2, v4, s[0:3], 0 offen offset:4
	buffer_load_dword v3, v4, s[0:3], 0 offen offset:8
	;; [unrolled: 1-line block ×3, first 2 shown]
	s_waitcnt vmcnt(0)
	ds_write_b128 v92, v[1:4]
	s_waitcnt lgkmcnt(0)
	s_waitcnt_vscnt null, 0x0
	s_barrier
	buffer_gl0_inv
	s_and_saveexec_b32 s8, s5
	s_cbranch_execz .LBB106_99
; %bb.92:
	ds_read_b128 v[1:4], v92
	s_andn2_b32 vcc_lo, exec_lo, s50
	s_cbranch_vccnz .LBB106_94
; %bb.93:
	s_clause 0x3
	buffer_load_dword v93, v91, s[0:3], 0 offen offset:8
	buffer_load_dword v94, v91, s[0:3], 0 offen offset:12
	buffer_load_dword v95, v91, s[0:3], 0 offen
	buffer_load_dword v96, v91, s[0:3], 0 offen offset:4
	s_waitcnt vmcnt(2) lgkmcnt(0)
	v_mul_f64 v[98:99], v[3:4], v[93:94]
	v_mul_f64 v[93:94], v[1:2], v[93:94]
	s_waitcnt vmcnt(0)
	v_fma_f64 v[1:2], v[1:2], v[95:96], -v[98:99]
	v_fma_f64 v[3:4], v[3:4], v[95:96], v[93:94]
.LBB106_94:
	s_and_saveexec_b32 s51, s4
	s_cbranch_execz .LBB106_98
; %bb.95:
	v_subrev_nc_u32_e32 v93, 31, v0
	s_movk_i32 s52, 0x4a0
	s_mov_b32 s4, 0
	s_mov_b32 s53, s18
	.p2align	6
.LBB106_96:                             ; =>This Inner Loop Header: Depth=1
	v_mov_b32_e32 v96, s53
	v_add_nc_u32_e32 v93, -1, v93
	s_add_i32 s53, s53, 16
	s_clause 0x3
	buffer_load_dword v94, v96, s[0:3], 0 offen offset:8
	buffer_load_dword v95, v96, s[0:3], 0 offen offset:12
	buffer_load_dword v102, v96, s[0:3], 0 offen
	buffer_load_dword v103, v96, s[0:3], 0 offen offset:4
	v_mov_b32_e32 v96, s52
	v_cmp_eq_u32_e32 vcc_lo, 0, v93
	s_add_i32 s52, s52, 16
	ds_read_b128 v[98:101], v96
	s_or_b32 s4, vcc_lo, s4
	s_waitcnt vmcnt(2) lgkmcnt(0)
	v_mul_f64 v[104:105], v[100:101], v[94:95]
	v_mul_f64 v[94:95], v[98:99], v[94:95]
	s_waitcnt vmcnt(0)
	v_fma_f64 v[98:99], v[98:99], v[102:103], -v[104:105]
	v_fma_f64 v[94:95], v[100:101], v[102:103], v[94:95]
	v_add_f64 v[1:2], v[1:2], v[98:99]
	v_add_f64 v[3:4], v[3:4], v[94:95]
	s_andn2_b32 exec_lo, exec_lo, s4
	s_cbranch_execnz .LBB106_96
; %bb.97:
	s_or_b32 exec_lo, exec_lo, s4
.LBB106_98:
	s_or_b32 exec_lo, exec_lo, s51
	v_mov_b32_e32 v93, 0
	ds_read_b128 v[93:96], v93 offset:480
	s_waitcnt lgkmcnt(0)
	v_mul_f64 v[98:99], v[3:4], v[95:96]
	v_mul_f64 v[95:96], v[1:2], v[95:96]
	v_fma_f64 v[1:2], v[1:2], v[93:94], -v[98:99]
	v_fma_f64 v[3:4], v[3:4], v[93:94], v[95:96]
	buffer_store_dword v2, off, s[0:3], 0 offset:484
	buffer_store_dword v1, off, s[0:3], 0 offset:480
	;; [unrolled: 1-line block ×4, first 2 shown]
.LBB106_99:
	s_or_b32 exec_lo, exec_lo, s8
	v_mov_b32_e32 v4, s20
	v_cmp_lt_u32_e64 s4, 29, v0
	s_clause 0x3
	buffer_load_dword v1, v4, s[0:3], 0 offen
	buffer_load_dword v2, v4, s[0:3], 0 offen offset:4
	buffer_load_dword v3, v4, s[0:3], 0 offen offset:8
	;; [unrolled: 1-line block ×3, first 2 shown]
	s_waitcnt vmcnt(0)
	ds_write_b128 v92, v[1:4]
	s_waitcnt lgkmcnt(0)
	s_waitcnt_vscnt null, 0x0
	s_barrier
	buffer_gl0_inv
	s_and_saveexec_b32 s8, s4
	s_cbranch_execz .LBB106_107
; %bb.100:
	ds_read_b128 v[1:4], v92
	s_andn2_b32 vcc_lo, exec_lo, s50
	s_cbranch_vccnz .LBB106_102
; %bb.101:
	s_clause 0x3
	buffer_load_dword v93, v91, s[0:3], 0 offen offset:8
	buffer_load_dword v94, v91, s[0:3], 0 offen offset:12
	buffer_load_dword v95, v91, s[0:3], 0 offen
	buffer_load_dword v96, v91, s[0:3], 0 offen offset:4
	s_waitcnt vmcnt(2) lgkmcnt(0)
	v_mul_f64 v[98:99], v[3:4], v[93:94]
	v_mul_f64 v[93:94], v[1:2], v[93:94]
	s_waitcnt vmcnt(0)
	v_fma_f64 v[1:2], v[1:2], v[95:96], -v[98:99]
	v_fma_f64 v[3:4], v[3:4], v[95:96], v[93:94]
.LBB106_102:
	s_and_saveexec_b32 s51, s5
	s_cbranch_execz .LBB106_106
; %bb.103:
	v_subrev_nc_u32_e32 v93, 30, v0
	s_movk_i32 s52, 0x490
	s_mov_b32 s5, 0
	s_mov_b32 s53, s19
	.p2align	6
.LBB106_104:                            ; =>This Inner Loop Header: Depth=1
	v_mov_b32_e32 v96, s53
	v_add_nc_u32_e32 v93, -1, v93
	s_add_i32 s53, s53, 16
	s_clause 0x3
	buffer_load_dword v94, v96, s[0:3], 0 offen offset:8
	buffer_load_dword v95, v96, s[0:3], 0 offen offset:12
	buffer_load_dword v102, v96, s[0:3], 0 offen
	buffer_load_dword v103, v96, s[0:3], 0 offen offset:4
	v_mov_b32_e32 v96, s52
	v_cmp_eq_u32_e32 vcc_lo, 0, v93
	s_add_i32 s52, s52, 16
	ds_read_b128 v[98:101], v96
	s_or_b32 s5, vcc_lo, s5
	s_waitcnt vmcnt(2) lgkmcnt(0)
	v_mul_f64 v[104:105], v[100:101], v[94:95]
	v_mul_f64 v[94:95], v[98:99], v[94:95]
	s_waitcnt vmcnt(0)
	v_fma_f64 v[98:99], v[98:99], v[102:103], -v[104:105]
	v_fma_f64 v[94:95], v[100:101], v[102:103], v[94:95]
	v_add_f64 v[1:2], v[1:2], v[98:99]
	v_add_f64 v[3:4], v[3:4], v[94:95]
	s_andn2_b32 exec_lo, exec_lo, s5
	s_cbranch_execnz .LBB106_104
; %bb.105:
	s_or_b32 exec_lo, exec_lo, s5
.LBB106_106:
	s_or_b32 exec_lo, exec_lo, s51
	v_mov_b32_e32 v93, 0
	ds_read_b128 v[93:96], v93 offset:464
	s_waitcnt lgkmcnt(0)
	v_mul_f64 v[98:99], v[3:4], v[95:96]
	v_mul_f64 v[95:96], v[1:2], v[95:96]
	v_fma_f64 v[1:2], v[1:2], v[93:94], -v[98:99]
	v_fma_f64 v[3:4], v[3:4], v[93:94], v[95:96]
	buffer_store_dword v2, off, s[0:3], 0 offset:468
	buffer_store_dword v1, off, s[0:3], 0 offset:464
	;; [unrolled: 1-line block ×4, first 2 shown]
.LBB106_107:
	s_or_b32 exec_lo, exec_lo, s8
	v_mov_b32_e32 v4, s21
	v_cmp_lt_u32_e64 s5, 28, v0
	s_clause 0x3
	buffer_load_dword v1, v4, s[0:3], 0 offen
	buffer_load_dword v2, v4, s[0:3], 0 offen offset:4
	buffer_load_dword v3, v4, s[0:3], 0 offen offset:8
	;; [unrolled: 1-line block ×3, first 2 shown]
	s_waitcnt vmcnt(0)
	ds_write_b128 v92, v[1:4]
	s_waitcnt lgkmcnt(0)
	s_waitcnt_vscnt null, 0x0
	s_barrier
	buffer_gl0_inv
	s_and_saveexec_b32 s8, s5
	s_cbranch_execz .LBB106_115
; %bb.108:
	ds_read_b128 v[1:4], v92
	s_andn2_b32 vcc_lo, exec_lo, s50
	s_cbranch_vccnz .LBB106_110
; %bb.109:
	s_clause 0x3
	buffer_load_dword v93, v91, s[0:3], 0 offen offset:8
	buffer_load_dword v94, v91, s[0:3], 0 offen offset:12
	buffer_load_dword v95, v91, s[0:3], 0 offen
	buffer_load_dword v96, v91, s[0:3], 0 offen offset:4
	s_waitcnt vmcnt(2) lgkmcnt(0)
	v_mul_f64 v[98:99], v[3:4], v[93:94]
	v_mul_f64 v[93:94], v[1:2], v[93:94]
	s_waitcnt vmcnt(0)
	v_fma_f64 v[1:2], v[1:2], v[95:96], -v[98:99]
	v_fma_f64 v[3:4], v[3:4], v[95:96], v[93:94]
.LBB106_110:
	s_and_saveexec_b32 s51, s4
	s_cbranch_execz .LBB106_114
; %bb.111:
	v_subrev_nc_u32_e32 v93, 29, v0
	s_movk_i32 s52, 0x480
	s_mov_b32 s4, 0
	s_mov_b32 s53, s20
	.p2align	6
.LBB106_112:                            ; =>This Inner Loop Header: Depth=1
	v_mov_b32_e32 v96, s53
	v_add_nc_u32_e32 v93, -1, v93
	s_add_i32 s53, s53, 16
	s_clause 0x3
	buffer_load_dword v94, v96, s[0:3], 0 offen offset:8
	buffer_load_dword v95, v96, s[0:3], 0 offen offset:12
	buffer_load_dword v102, v96, s[0:3], 0 offen
	buffer_load_dword v103, v96, s[0:3], 0 offen offset:4
	v_mov_b32_e32 v96, s52
	v_cmp_eq_u32_e32 vcc_lo, 0, v93
	s_add_i32 s52, s52, 16
	ds_read_b128 v[98:101], v96
	s_or_b32 s4, vcc_lo, s4
	s_waitcnt vmcnt(2) lgkmcnt(0)
	v_mul_f64 v[104:105], v[100:101], v[94:95]
	v_mul_f64 v[94:95], v[98:99], v[94:95]
	s_waitcnt vmcnt(0)
	v_fma_f64 v[98:99], v[98:99], v[102:103], -v[104:105]
	v_fma_f64 v[94:95], v[100:101], v[102:103], v[94:95]
	v_add_f64 v[1:2], v[1:2], v[98:99]
	v_add_f64 v[3:4], v[3:4], v[94:95]
	s_andn2_b32 exec_lo, exec_lo, s4
	s_cbranch_execnz .LBB106_112
; %bb.113:
	s_or_b32 exec_lo, exec_lo, s4
.LBB106_114:
	s_or_b32 exec_lo, exec_lo, s51
	v_mov_b32_e32 v93, 0
	ds_read_b128 v[93:96], v93 offset:448
	s_waitcnt lgkmcnt(0)
	v_mul_f64 v[98:99], v[3:4], v[95:96]
	v_mul_f64 v[95:96], v[1:2], v[95:96]
	v_fma_f64 v[1:2], v[1:2], v[93:94], -v[98:99]
	v_fma_f64 v[3:4], v[3:4], v[93:94], v[95:96]
	buffer_store_dword v2, off, s[0:3], 0 offset:452
	buffer_store_dword v1, off, s[0:3], 0 offset:448
	;; [unrolled: 1-line block ×4, first 2 shown]
.LBB106_115:
	s_or_b32 exec_lo, exec_lo, s8
	v_mov_b32_e32 v4, s22
	v_cmp_lt_u32_e64 s4, 27, v0
	s_clause 0x3
	buffer_load_dword v1, v4, s[0:3], 0 offen
	buffer_load_dword v2, v4, s[0:3], 0 offen offset:4
	buffer_load_dword v3, v4, s[0:3], 0 offen offset:8
	;; [unrolled: 1-line block ×3, first 2 shown]
	s_waitcnt vmcnt(0)
	ds_write_b128 v92, v[1:4]
	s_waitcnt lgkmcnt(0)
	s_waitcnt_vscnt null, 0x0
	s_barrier
	buffer_gl0_inv
	s_and_saveexec_b32 s8, s4
	s_cbranch_execz .LBB106_123
; %bb.116:
	ds_read_b128 v[1:4], v92
	s_andn2_b32 vcc_lo, exec_lo, s50
	s_cbranch_vccnz .LBB106_118
; %bb.117:
	s_clause 0x3
	buffer_load_dword v93, v91, s[0:3], 0 offen offset:8
	buffer_load_dword v94, v91, s[0:3], 0 offen offset:12
	buffer_load_dword v95, v91, s[0:3], 0 offen
	buffer_load_dword v96, v91, s[0:3], 0 offen offset:4
	s_waitcnt vmcnt(2) lgkmcnt(0)
	v_mul_f64 v[98:99], v[3:4], v[93:94]
	v_mul_f64 v[93:94], v[1:2], v[93:94]
	s_waitcnt vmcnt(0)
	v_fma_f64 v[1:2], v[1:2], v[95:96], -v[98:99]
	v_fma_f64 v[3:4], v[3:4], v[95:96], v[93:94]
.LBB106_118:
	s_and_saveexec_b32 s51, s5
	s_cbranch_execz .LBB106_122
; %bb.119:
	v_subrev_nc_u32_e32 v93, 28, v0
	s_movk_i32 s52, 0x470
	s_mov_b32 s5, 0
	s_mov_b32 s53, s21
	.p2align	6
.LBB106_120:                            ; =>This Inner Loop Header: Depth=1
	v_mov_b32_e32 v96, s53
	v_add_nc_u32_e32 v93, -1, v93
	s_add_i32 s53, s53, 16
	s_clause 0x3
	buffer_load_dword v94, v96, s[0:3], 0 offen offset:8
	buffer_load_dword v95, v96, s[0:3], 0 offen offset:12
	buffer_load_dword v102, v96, s[0:3], 0 offen
	buffer_load_dword v103, v96, s[0:3], 0 offen offset:4
	v_mov_b32_e32 v96, s52
	v_cmp_eq_u32_e32 vcc_lo, 0, v93
	s_add_i32 s52, s52, 16
	ds_read_b128 v[98:101], v96
	s_or_b32 s5, vcc_lo, s5
	s_waitcnt vmcnt(2) lgkmcnt(0)
	v_mul_f64 v[104:105], v[100:101], v[94:95]
	v_mul_f64 v[94:95], v[98:99], v[94:95]
	s_waitcnt vmcnt(0)
	v_fma_f64 v[98:99], v[98:99], v[102:103], -v[104:105]
	v_fma_f64 v[94:95], v[100:101], v[102:103], v[94:95]
	v_add_f64 v[1:2], v[1:2], v[98:99]
	v_add_f64 v[3:4], v[3:4], v[94:95]
	s_andn2_b32 exec_lo, exec_lo, s5
	s_cbranch_execnz .LBB106_120
; %bb.121:
	s_or_b32 exec_lo, exec_lo, s5
.LBB106_122:
	s_or_b32 exec_lo, exec_lo, s51
	v_mov_b32_e32 v93, 0
	ds_read_b128 v[93:96], v93 offset:432
	s_waitcnt lgkmcnt(0)
	v_mul_f64 v[98:99], v[3:4], v[95:96]
	v_mul_f64 v[95:96], v[1:2], v[95:96]
	v_fma_f64 v[1:2], v[1:2], v[93:94], -v[98:99]
	v_fma_f64 v[3:4], v[3:4], v[93:94], v[95:96]
	buffer_store_dword v2, off, s[0:3], 0 offset:436
	buffer_store_dword v1, off, s[0:3], 0 offset:432
	;; [unrolled: 1-line block ×4, first 2 shown]
.LBB106_123:
	s_or_b32 exec_lo, exec_lo, s8
	v_mov_b32_e32 v4, s23
	v_cmp_lt_u32_e64 s5, 26, v0
	s_clause 0x3
	buffer_load_dword v1, v4, s[0:3], 0 offen
	buffer_load_dword v2, v4, s[0:3], 0 offen offset:4
	buffer_load_dword v3, v4, s[0:3], 0 offen offset:8
	;; [unrolled: 1-line block ×3, first 2 shown]
	s_waitcnt vmcnt(0)
	ds_write_b128 v92, v[1:4]
	s_waitcnt lgkmcnt(0)
	s_waitcnt_vscnt null, 0x0
	s_barrier
	buffer_gl0_inv
	s_and_saveexec_b32 s8, s5
	s_cbranch_execz .LBB106_131
; %bb.124:
	ds_read_b128 v[1:4], v92
	s_andn2_b32 vcc_lo, exec_lo, s50
	s_cbranch_vccnz .LBB106_126
; %bb.125:
	s_clause 0x3
	buffer_load_dword v93, v91, s[0:3], 0 offen offset:8
	buffer_load_dword v94, v91, s[0:3], 0 offen offset:12
	buffer_load_dword v95, v91, s[0:3], 0 offen
	buffer_load_dword v96, v91, s[0:3], 0 offen offset:4
	s_waitcnt vmcnt(2) lgkmcnt(0)
	v_mul_f64 v[98:99], v[3:4], v[93:94]
	v_mul_f64 v[93:94], v[1:2], v[93:94]
	s_waitcnt vmcnt(0)
	v_fma_f64 v[1:2], v[1:2], v[95:96], -v[98:99]
	v_fma_f64 v[3:4], v[3:4], v[95:96], v[93:94]
.LBB106_126:
	s_and_saveexec_b32 s51, s4
	s_cbranch_execz .LBB106_130
; %bb.127:
	v_subrev_nc_u32_e32 v93, 27, v0
	s_movk_i32 s52, 0x460
	s_mov_b32 s4, 0
	s_mov_b32 s53, s22
	.p2align	6
.LBB106_128:                            ; =>This Inner Loop Header: Depth=1
	v_mov_b32_e32 v96, s53
	v_add_nc_u32_e32 v93, -1, v93
	s_add_i32 s53, s53, 16
	s_clause 0x3
	buffer_load_dword v94, v96, s[0:3], 0 offen offset:8
	buffer_load_dword v95, v96, s[0:3], 0 offen offset:12
	buffer_load_dword v102, v96, s[0:3], 0 offen
	buffer_load_dword v103, v96, s[0:3], 0 offen offset:4
	v_mov_b32_e32 v96, s52
	v_cmp_eq_u32_e32 vcc_lo, 0, v93
	s_add_i32 s52, s52, 16
	ds_read_b128 v[98:101], v96
	s_or_b32 s4, vcc_lo, s4
	s_waitcnt vmcnt(2) lgkmcnt(0)
	v_mul_f64 v[104:105], v[100:101], v[94:95]
	v_mul_f64 v[94:95], v[98:99], v[94:95]
	s_waitcnt vmcnt(0)
	v_fma_f64 v[98:99], v[98:99], v[102:103], -v[104:105]
	v_fma_f64 v[94:95], v[100:101], v[102:103], v[94:95]
	v_add_f64 v[1:2], v[1:2], v[98:99]
	v_add_f64 v[3:4], v[3:4], v[94:95]
	s_andn2_b32 exec_lo, exec_lo, s4
	s_cbranch_execnz .LBB106_128
; %bb.129:
	s_or_b32 exec_lo, exec_lo, s4
.LBB106_130:
	s_or_b32 exec_lo, exec_lo, s51
	v_mov_b32_e32 v93, 0
	ds_read_b128 v[93:96], v93 offset:416
	s_waitcnt lgkmcnt(0)
	v_mul_f64 v[98:99], v[3:4], v[95:96]
	v_mul_f64 v[95:96], v[1:2], v[95:96]
	v_fma_f64 v[1:2], v[1:2], v[93:94], -v[98:99]
	v_fma_f64 v[3:4], v[3:4], v[93:94], v[95:96]
	buffer_store_dword v2, off, s[0:3], 0 offset:420
	buffer_store_dword v1, off, s[0:3], 0 offset:416
	;; [unrolled: 1-line block ×4, first 2 shown]
.LBB106_131:
	s_or_b32 exec_lo, exec_lo, s8
	v_mov_b32_e32 v4, s24
	v_cmp_lt_u32_e64 s4, 25, v0
	s_clause 0x3
	buffer_load_dword v1, v4, s[0:3], 0 offen
	buffer_load_dword v2, v4, s[0:3], 0 offen offset:4
	buffer_load_dword v3, v4, s[0:3], 0 offen offset:8
	;; [unrolled: 1-line block ×3, first 2 shown]
	s_waitcnt vmcnt(0)
	ds_write_b128 v92, v[1:4]
	s_waitcnt lgkmcnt(0)
	s_waitcnt_vscnt null, 0x0
	s_barrier
	buffer_gl0_inv
	s_and_saveexec_b32 s8, s4
	s_cbranch_execz .LBB106_139
; %bb.132:
	ds_read_b128 v[1:4], v92
	s_andn2_b32 vcc_lo, exec_lo, s50
	s_cbranch_vccnz .LBB106_134
; %bb.133:
	s_clause 0x3
	buffer_load_dword v93, v91, s[0:3], 0 offen offset:8
	buffer_load_dword v94, v91, s[0:3], 0 offen offset:12
	buffer_load_dword v95, v91, s[0:3], 0 offen
	buffer_load_dword v96, v91, s[0:3], 0 offen offset:4
	s_waitcnt vmcnt(2) lgkmcnt(0)
	v_mul_f64 v[98:99], v[3:4], v[93:94]
	v_mul_f64 v[93:94], v[1:2], v[93:94]
	s_waitcnt vmcnt(0)
	v_fma_f64 v[1:2], v[1:2], v[95:96], -v[98:99]
	v_fma_f64 v[3:4], v[3:4], v[95:96], v[93:94]
.LBB106_134:
	s_and_saveexec_b32 s51, s5
	s_cbranch_execz .LBB106_138
; %bb.135:
	v_subrev_nc_u32_e32 v93, 26, v0
	s_movk_i32 s52, 0x450
	s_mov_b32 s5, 0
	s_mov_b32 s53, s23
	.p2align	6
.LBB106_136:                            ; =>This Inner Loop Header: Depth=1
	v_mov_b32_e32 v96, s53
	v_add_nc_u32_e32 v93, -1, v93
	s_add_i32 s53, s53, 16
	s_clause 0x3
	buffer_load_dword v94, v96, s[0:3], 0 offen offset:8
	buffer_load_dword v95, v96, s[0:3], 0 offen offset:12
	buffer_load_dword v102, v96, s[0:3], 0 offen
	buffer_load_dword v103, v96, s[0:3], 0 offen offset:4
	v_mov_b32_e32 v96, s52
	v_cmp_eq_u32_e32 vcc_lo, 0, v93
	s_add_i32 s52, s52, 16
	ds_read_b128 v[98:101], v96
	s_or_b32 s5, vcc_lo, s5
	s_waitcnt vmcnt(2) lgkmcnt(0)
	v_mul_f64 v[104:105], v[100:101], v[94:95]
	v_mul_f64 v[94:95], v[98:99], v[94:95]
	s_waitcnt vmcnt(0)
	v_fma_f64 v[98:99], v[98:99], v[102:103], -v[104:105]
	v_fma_f64 v[94:95], v[100:101], v[102:103], v[94:95]
	v_add_f64 v[1:2], v[1:2], v[98:99]
	v_add_f64 v[3:4], v[3:4], v[94:95]
	s_andn2_b32 exec_lo, exec_lo, s5
	s_cbranch_execnz .LBB106_136
; %bb.137:
	s_or_b32 exec_lo, exec_lo, s5
.LBB106_138:
	s_or_b32 exec_lo, exec_lo, s51
	v_mov_b32_e32 v93, 0
	ds_read_b128 v[93:96], v93 offset:400
	s_waitcnt lgkmcnt(0)
	v_mul_f64 v[98:99], v[3:4], v[95:96]
	v_mul_f64 v[95:96], v[1:2], v[95:96]
	v_fma_f64 v[1:2], v[1:2], v[93:94], -v[98:99]
	v_fma_f64 v[3:4], v[3:4], v[93:94], v[95:96]
	buffer_store_dword v2, off, s[0:3], 0 offset:404
	buffer_store_dword v1, off, s[0:3], 0 offset:400
	;; [unrolled: 1-line block ×4, first 2 shown]
.LBB106_139:
	s_or_b32 exec_lo, exec_lo, s8
	v_mov_b32_e32 v4, s25
	v_cmp_lt_u32_e64 s5, 24, v0
	s_clause 0x3
	buffer_load_dword v1, v4, s[0:3], 0 offen
	buffer_load_dword v2, v4, s[0:3], 0 offen offset:4
	buffer_load_dword v3, v4, s[0:3], 0 offen offset:8
	;; [unrolled: 1-line block ×3, first 2 shown]
	s_waitcnt vmcnt(0)
	ds_write_b128 v92, v[1:4]
	s_waitcnt lgkmcnt(0)
	s_waitcnt_vscnt null, 0x0
	s_barrier
	buffer_gl0_inv
	s_and_saveexec_b32 s8, s5
	s_cbranch_execz .LBB106_147
; %bb.140:
	ds_read_b128 v[1:4], v92
	s_andn2_b32 vcc_lo, exec_lo, s50
	s_cbranch_vccnz .LBB106_142
; %bb.141:
	s_clause 0x3
	buffer_load_dword v93, v91, s[0:3], 0 offen offset:8
	buffer_load_dword v94, v91, s[0:3], 0 offen offset:12
	buffer_load_dword v95, v91, s[0:3], 0 offen
	buffer_load_dword v96, v91, s[0:3], 0 offen offset:4
	s_waitcnt vmcnt(2) lgkmcnt(0)
	v_mul_f64 v[98:99], v[3:4], v[93:94]
	v_mul_f64 v[93:94], v[1:2], v[93:94]
	s_waitcnt vmcnt(0)
	v_fma_f64 v[1:2], v[1:2], v[95:96], -v[98:99]
	v_fma_f64 v[3:4], v[3:4], v[95:96], v[93:94]
.LBB106_142:
	s_and_saveexec_b32 s51, s4
	s_cbranch_execz .LBB106_146
; %bb.143:
	v_subrev_nc_u32_e32 v93, 25, v0
	s_movk_i32 s52, 0x440
	s_mov_b32 s4, 0
	s_mov_b32 s53, s24
	.p2align	6
.LBB106_144:                            ; =>This Inner Loop Header: Depth=1
	v_mov_b32_e32 v96, s53
	v_add_nc_u32_e32 v93, -1, v93
	s_add_i32 s53, s53, 16
	s_clause 0x3
	buffer_load_dword v94, v96, s[0:3], 0 offen offset:8
	buffer_load_dword v95, v96, s[0:3], 0 offen offset:12
	buffer_load_dword v102, v96, s[0:3], 0 offen
	buffer_load_dword v103, v96, s[0:3], 0 offen offset:4
	v_mov_b32_e32 v96, s52
	v_cmp_eq_u32_e32 vcc_lo, 0, v93
	s_add_i32 s52, s52, 16
	ds_read_b128 v[98:101], v96
	s_or_b32 s4, vcc_lo, s4
	s_waitcnt vmcnt(2) lgkmcnt(0)
	v_mul_f64 v[104:105], v[100:101], v[94:95]
	v_mul_f64 v[94:95], v[98:99], v[94:95]
	s_waitcnt vmcnt(0)
	v_fma_f64 v[98:99], v[98:99], v[102:103], -v[104:105]
	v_fma_f64 v[94:95], v[100:101], v[102:103], v[94:95]
	v_add_f64 v[1:2], v[1:2], v[98:99]
	v_add_f64 v[3:4], v[3:4], v[94:95]
	s_andn2_b32 exec_lo, exec_lo, s4
	s_cbranch_execnz .LBB106_144
; %bb.145:
	s_or_b32 exec_lo, exec_lo, s4
.LBB106_146:
	s_or_b32 exec_lo, exec_lo, s51
	v_mov_b32_e32 v93, 0
	ds_read_b128 v[93:96], v93 offset:384
	s_waitcnt lgkmcnt(0)
	v_mul_f64 v[98:99], v[3:4], v[95:96]
	v_mul_f64 v[95:96], v[1:2], v[95:96]
	v_fma_f64 v[1:2], v[1:2], v[93:94], -v[98:99]
	v_fma_f64 v[3:4], v[3:4], v[93:94], v[95:96]
	buffer_store_dword v2, off, s[0:3], 0 offset:388
	buffer_store_dword v1, off, s[0:3], 0 offset:384
	buffer_store_dword v4, off, s[0:3], 0 offset:396
	buffer_store_dword v3, off, s[0:3], 0 offset:392
.LBB106_147:
	s_or_b32 exec_lo, exec_lo, s8
	v_mov_b32_e32 v4, s26
	v_cmp_lt_u32_e64 s4, 23, v0
	s_clause 0x3
	buffer_load_dword v1, v4, s[0:3], 0 offen
	buffer_load_dword v2, v4, s[0:3], 0 offen offset:4
	buffer_load_dword v3, v4, s[0:3], 0 offen offset:8
	;; [unrolled: 1-line block ×3, first 2 shown]
	s_waitcnt vmcnt(0)
	ds_write_b128 v92, v[1:4]
	s_waitcnt lgkmcnt(0)
	s_waitcnt_vscnt null, 0x0
	s_barrier
	buffer_gl0_inv
	s_and_saveexec_b32 s8, s4
	s_cbranch_execz .LBB106_155
; %bb.148:
	ds_read_b128 v[1:4], v92
	s_andn2_b32 vcc_lo, exec_lo, s50
	s_cbranch_vccnz .LBB106_150
; %bb.149:
	s_clause 0x3
	buffer_load_dword v93, v91, s[0:3], 0 offen offset:8
	buffer_load_dword v94, v91, s[0:3], 0 offen offset:12
	buffer_load_dword v95, v91, s[0:3], 0 offen
	buffer_load_dword v96, v91, s[0:3], 0 offen offset:4
	s_waitcnt vmcnt(2) lgkmcnt(0)
	v_mul_f64 v[98:99], v[3:4], v[93:94]
	v_mul_f64 v[93:94], v[1:2], v[93:94]
	s_waitcnt vmcnt(0)
	v_fma_f64 v[1:2], v[1:2], v[95:96], -v[98:99]
	v_fma_f64 v[3:4], v[3:4], v[95:96], v[93:94]
.LBB106_150:
	s_and_saveexec_b32 s51, s5
	s_cbranch_execz .LBB106_154
; %bb.151:
	v_subrev_nc_u32_e32 v93, 24, v0
	s_movk_i32 s52, 0x430
	s_mov_b32 s5, 0
	s_mov_b32 s53, s25
	.p2align	6
.LBB106_152:                            ; =>This Inner Loop Header: Depth=1
	v_mov_b32_e32 v96, s53
	v_add_nc_u32_e32 v93, -1, v93
	s_add_i32 s53, s53, 16
	s_clause 0x3
	buffer_load_dword v94, v96, s[0:3], 0 offen offset:8
	buffer_load_dword v95, v96, s[0:3], 0 offen offset:12
	buffer_load_dword v102, v96, s[0:3], 0 offen
	buffer_load_dword v103, v96, s[0:3], 0 offen offset:4
	v_mov_b32_e32 v96, s52
	v_cmp_eq_u32_e32 vcc_lo, 0, v93
	s_add_i32 s52, s52, 16
	ds_read_b128 v[98:101], v96
	s_or_b32 s5, vcc_lo, s5
	s_waitcnt vmcnt(2) lgkmcnt(0)
	v_mul_f64 v[104:105], v[100:101], v[94:95]
	v_mul_f64 v[94:95], v[98:99], v[94:95]
	s_waitcnt vmcnt(0)
	v_fma_f64 v[98:99], v[98:99], v[102:103], -v[104:105]
	v_fma_f64 v[94:95], v[100:101], v[102:103], v[94:95]
	v_add_f64 v[1:2], v[1:2], v[98:99]
	v_add_f64 v[3:4], v[3:4], v[94:95]
	s_andn2_b32 exec_lo, exec_lo, s5
	s_cbranch_execnz .LBB106_152
; %bb.153:
	s_or_b32 exec_lo, exec_lo, s5
.LBB106_154:
	s_or_b32 exec_lo, exec_lo, s51
	v_mov_b32_e32 v93, 0
	ds_read_b128 v[93:96], v93 offset:368
	s_waitcnt lgkmcnt(0)
	v_mul_f64 v[98:99], v[3:4], v[95:96]
	v_mul_f64 v[95:96], v[1:2], v[95:96]
	v_fma_f64 v[1:2], v[1:2], v[93:94], -v[98:99]
	v_fma_f64 v[3:4], v[3:4], v[93:94], v[95:96]
	buffer_store_dword v2, off, s[0:3], 0 offset:372
	buffer_store_dword v1, off, s[0:3], 0 offset:368
	buffer_store_dword v4, off, s[0:3], 0 offset:380
	buffer_store_dword v3, off, s[0:3], 0 offset:376
.LBB106_155:
	s_or_b32 exec_lo, exec_lo, s8
	v_mov_b32_e32 v4, s27
	v_cmp_lt_u32_e64 s5, 22, v0
	s_clause 0x3
	buffer_load_dword v1, v4, s[0:3], 0 offen
	buffer_load_dword v2, v4, s[0:3], 0 offen offset:4
	buffer_load_dword v3, v4, s[0:3], 0 offen offset:8
	;; [unrolled: 1-line block ×3, first 2 shown]
	s_waitcnt vmcnt(0)
	ds_write_b128 v92, v[1:4]
	s_waitcnt lgkmcnt(0)
	s_waitcnt_vscnt null, 0x0
	s_barrier
	buffer_gl0_inv
	s_and_saveexec_b32 s8, s5
	s_cbranch_execz .LBB106_163
; %bb.156:
	ds_read_b128 v[1:4], v92
	s_andn2_b32 vcc_lo, exec_lo, s50
	s_cbranch_vccnz .LBB106_158
; %bb.157:
	s_clause 0x3
	buffer_load_dword v93, v91, s[0:3], 0 offen offset:8
	buffer_load_dword v94, v91, s[0:3], 0 offen offset:12
	buffer_load_dword v95, v91, s[0:3], 0 offen
	buffer_load_dword v96, v91, s[0:3], 0 offen offset:4
	s_waitcnt vmcnt(2) lgkmcnt(0)
	v_mul_f64 v[98:99], v[3:4], v[93:94]
	v_mul_f64 v[93:94], v[1:2], v[93:94]
	s_waitcnt vmcnt(0)
	v_fma_f64 v[1:2], v[1:2], v[95:96], -v[98:99]
	v_fma_f64 v[3:4], v[3:4], v[95:96], v[93:94]
.LBB106_158:
	s_and_saveexec_b32 s51, s4
	s_cbranch_execz .LBB106_162
; %bb.159:
	v_subrev_nc_u32_e32 v93, 23, v0
	s_movk_i32 s52, 0x420
	s_mov_b32 s4, 0
	s_mov_b32 s53, s26
	.p2align	6
.LBB106_160:                            ; =>This Inner Loop Header: Depth=1
	v_mov_b32_e32 v96, s53
	v_add_nc_u32_e32 v93, -1, v93
	s_add_i32 s53, s53, 16
	s_clause 0x3
	buffer_load_dword v94, v96, s[0:3], 0 offen offset:8
	buffer_load_dword v95, v96, s[0:3], 0 offen offset:12
	buffer_load_dword v102, v96, s[0:3], 0 offen
	buffer_load_dword v103, v96, s[0:3], 0 offen offset:4
	v_mov_b32_e32 v96, s52
	v_cmp_eq_u32_e32 vcc_lo, 0, v93
	s_add_i32 s52, s52, 16
	ds_read_b128 v[98:101], v96
	s_or_b32 s4, vcc_lo, s4
	s_waitcnt vmcnt(2) lgkmcnt(0)
	v_mul_f64 v[104:105], v[100:101], v[94:95]
	v_mul_f64 v[94:95], v[98:99], v[94:95]
	s_waitcnt vmcnt(0)
	v_fma_f64 v[98:99], v[98:99], v[102:103], -v[104:105]
	v_fma_f64 v[94:95], v[100:101], v[102:103], v[94:95]
	v_add_f64 v[1:2], v[1:2], v[98:99]
	v_add_f64 v[3:4], v[3:4], v[94:95]
	s_andn2_b32 exec_lo, exec_lo, s4
	s_cbranch_execnz .LBB106_160
; %bb.161:
	s_or_b32 exec_lo, exec_lo, s4
.LBB106_162:
	s_or_b32 exec_lo, exec_lo, s51
	v_mov_b32_e32 v93, 0
	ds_read_b128 v[93:96], v93 offset:352
	s_waitcnt lgkmcnt(0)
	v_mul_f64 v[98:99], v[3:4], v[95:96]
	v_mul_f64 v[95:96], v[1:2], v[95:96]
	v_fma_f64 v[1:2], v[1:2], v[93:94], -v[98:99]
	v_fma_f64 v[3:4], v[3:4], v[93:94], v[95:96]
	buffer_store_dword v2, off, s[0:3], 0 offset:356
	buffer_store_dword v1, off, s[0:3], 0 offset:352
	;; [unrolled: 1-line block ×4, first 2 shown]
.LBB106_163:
	s_or_b32 exec_lo, exec_lo, s8
	v_mov_b32_e32 v4, s28
	v_cmp_lt_u32_e64 s4, 21, v0
	s_clause 0x3
	buffer_load_dword v1, v4, s[0:3], 0 offen
	buffer_load_dword v2, v4, s[0:3], 0 offen offset:4
	buffer_load_dword v3, v4, s[0:3], 0 offen offset:8
	;; [unrolled: 1-line block ×3, first 2 shown]
	s_waitcnt vmcnt(0)
	ds_write_b128 v92, v[1:4]
	s_waitcnt lgkmcnt(0)
	s_waitcnt_vscnt null, 0x0
	s_barrier
	buffer_gl0_inv
	s_and_saveexec_b32 s8, s4
	s_cbranch_execz .LBB106_171
; %bb.164:
	ds_read_b128 v[1:4], v92
	s_andn2_b32 vcc_lo, exec_lo, s50
	s_cbranch_vccnz .LBB106_166
; %bb.165:
	s_clause 0x3
	buffer_load_dword v93, v91, s[0:3], 0 offen offset:8
	buffer_load_dword v94, v91, s[0:3], 0 offen offset:12
	buffer_load_dword v95, v91, s[0:3], 0 offen
	buffer_load_dword v96, v91, s[0:3], 0 offen offset:4
	s_waitcnt vmcnt(2) lgkmcnt(0)
	v_mul_f64 v[98:99], v[3:4], v[93:94]
	v_mul_f64 v[93:94], v[1:2], v[93:94]
	s_waitcnt vmcnt(0)
	v_fma_f64 v[1:2], v[1:2], v[95:96], -v[98:99]
	v_fma_f64 v[3:4], v[3:4], v[95:96], v[93:94]
.LBB106_166:
	s_and_saveexec_b32 s51, s5
	s_cbranch_execz .LBB106_170
; %bb.167:
	v_subrev_nc_u32_e32 v93, 22, v0
	s_movk_i32 s52, 0x410
	s_mov_b32 s5, 0
	s_mov_b32 s53, s27
	.p2align	6
.LBB106_168:                            ; =>This Inner Loop Header: Depth=1
	v_mov_b32_e32 v96, s53
	v_add_nc_u32_e32 v93, -1, v93
	s_add_i32 s53, s53, 16
	s_clause 0x3
	buffer_load_dword v94, v96, s[0:3], 0 offen offset:8
	buffer_load_dword v95, v96, s[0:3], 0 offen offset:12
	buffer_load_dword v102, v96, s[0:3], 0 offen
	buffer_load_dword v103, v96, s[0:3], 0 offen offset:4
	v_mov_b32_e32 v96, s52
	v_cmp_eq_u32_e32 vcc_lo, 0, v93
	s_add_i32 s52, s52, 16
	ds_read_b128 v[98:101], v96
	s_or_b32 s5, vcc_lo, s5
	s_waitcnt vmcnt(2) lgkmcnt(0)
	v_mul_f64 v[104:105], v[100:101], v[94:95]
	v_mul_f64 v[94:95], v[98:99], v[94:95]
	s_waitcnt vmcnt(0)
	v_fma_f64 v[98:99], v[98:99], v[102:103], -v[104:105]
	v_fma_f64 v[94:95], v[100:101], v[102:103], v[94:95]
	v_add_f64 v[1:2], v[1:2], v[98:99]
	v_add_f64 v[3:4], v[3:4], v[94:95]
	s_andn2_b32 exec_lo, exec_lo, s5
	s_cbranch_execnz .LBB106_168
; %bb.169:
	s_or_b32 exec_lo, exec_lo, s5
.LBB106_170:
	s_or_b32 exec_lo, exec_lo, s51
	v_mov_b32_e32 v93, 0
	ds_read_b128 v[93:96], v93 offset:336
	s_waitcnt lgkmcnt(0)
	v_mul_f64 v[98:99], v[3:4], v[95:96]
	v_mul_f64 v[95:96], v[1:2], v[95:96]
	v_fma_f64 v[1:2], v[1:2], v[93:94], -v[98:99]
	v_fma_f64 v[3:4], v[3:4], v[93:94], v[95:96]
	buffer_store_dword v2, off, s[0:3], 0 offset:340
	buffer_store_dword v1, off, s[0:3], 0 offset:336
	buffer_store_dword v4, off, s[0:3], 0 offset:348
	buffer_store_dword v3, off, s[0:3], 0 offset:344
.LBB106_171:
	s_or_b32 exec_lo, exec_lo, s8
	v_mov_b32_e32 v4, s29
	v_cmp_lt_u32_e64 s5, 20, v0
	s_clause 0x3
	buffer_load_dword v1, v4, s[0:3], 0 offen
	buffer_load_dword v2, v4, s[0:3], 0 offen offset:4
	buffer_load_dword v3, v4, s[0:3], 0 offen offset:8
	;; [unrolled: 1-line block ×3, first 2 shown]
	s_waitcnt vmcnt(0)
	ds_write_b128 v92, v[1:4]
	s_waitcnt lgkmcnt(0)
	s_waitcnt_vscnt null, 0x0
	s_barrier
	buffer_gl0_inv
	s_and_saveexec_b32 s8, s5
	s_cbranch_execz .LBB106_179
; %bb.172:
	ds_read_b128 v[1:4], v92
	s_andn2_b32 vcc_lo, exec_lo, s50
	s_cbranch_vccnz .LBB106_174
; %bb.173:
	s_clause 0x3
	buffer_load_dword v93, v91, s[0:3], 0 offen offset:8
	buffer_load_dword v94, v91, s[0:3], 0 offen offset:12
	buffer_load_dword v95, v91, s[0:3], 0 offen
	buffer_load_dword v96, v91, s[0:3], 0 offen offset:4
	s_waitcnt vmcnt(2) lgkmcnt(0)
	v_mul_f64 v[98:99], v[3:4], v[93:94]
	v_mul_f64 v[93:94], v[1:2], v[93:94]
	s_waitcnt vmcnt(0)
	v_fma_f64 v[1:2], v[1:2], v[95:96], -v[98:99]
	v_fma_f64 v[3:4], v[3:4], v[95:96], v[93:94]
.LBB106_174:
	s_and_saveexec_b32 s51, s4
	s_cbranch_execz .LBB106_178
; %bb.175:
	v_subrev_nc_u32_e32 v93, 21, v0
	s_movk_i32 s52, 0x400
	s_mov_b32 s4, 0
	s_mov_b32 s53, s28
	.p2align	6
.LBB106_176:                            ; =>This Inner Loop Header: Depth=1
	v_mov_b32_e32 v96, s53
	v_add_nc_u32_e32 v93, -1, v93
	s_add_i32 s53, s53, 16
	s_clause 0x3
	buffer_load_dword v94, v96, s[0:3], 0 offen offset:8
	buffer_load_dword v95, v96, s[0:3], 0 offen offset:12
	buffer_load_dword v102, v96, s[0:3], 0 offen
	buffer_load_dword v103, v96, s[0:3], 0 offen offset:4
	v_mov_b32_e32 v96, s52
	v_cmp_eq_u32_e32 vcc_lo, 0, v93
	s_add_i32 s52, s52, 16
	ds_read_b128 v[98:101], v96
	s_or_b32 s4, vcc_lo, s4
	s_waitcnt vmcnt(2) lgkmcnt(0)
	v_mul_f64 v[104:105], v[100:101], v[94:95]
	v_mul_f64 v[94:95], v[98:99], v[94:95]
	s_waitcnt vmcnt(0)
	v_fma_f64 v[98:99], v[98:99], v[102:103], -v[104:105]
	v_fma_f64 v[94:95], v[100:101], v[102:103], v[94:95]
	v_add_f64 v[1:2], v[1:2], v[98:99]
	v_add_f64 v[3:4], v[3:4], v[94:95]
	s_andn2_b32 exec_lo, exec_lo, s4
	s_cbranch_execnz .LBB106_176
; %bb.177:
	s_or_b32 exec_lo, exec_lo, s4
.LBB106_178:
	s_or_b32 exec_lo, exec_lo, s51
	v_mov_b32_e32 v93, 0
	ds_read_b128 v[93:96], v93 offset:320
	s_waitcnt lgkmcnt(0)
	v_mul_f64 v[98:99], v[3:4], v[95:96]
	v_mul_f64 v[95:96], v[1:2], v[95:96]
	v_fma_f64 v[1:2], v[1:2], v[93:94], -v[98:99]
	v_fma_f64 v[3:4], v[3:4], v[93:94], v[95:96]
	buffer_store_dword v2, off, s[0:3], 0 offset:324
	buffer_store_dword v1, off, s[0:3], 0 offset:320
	;; [unrolled: 1-line block ×4, first 2 shown]
.LBB106_179:
	s_or_b32 exec_lo, exec_lo, s8
	v_mov_b32_e32 v4, s30
	v_cmp_lt_u32_e64 s4, 19, v0
	s_clause 0x3
	buffer_load_dword v1, v4, s[0:3], 0 offen
	buffer_load_dword v2, v4, s[0:3], 0 offen offset:4
	buffer_load_dword v3, v4, s[0:3], 0 offen offset:8
	;; [unrolled: 1-line block ×3, first 2 shown]
	s_waitcnt vmcnt(0)
	ds_write_b128 v92, v[1:4]
	s_waitcnt lgkmcnt(0)
	s_waitcnt_vscnt null, 0x0
	s_barrier
	buffer_gl0_inv
	s_and_saveexec_b32 s8, s4
	s_cbranch_execz .LBB106_187
; %bb.180:
	ds_read_b128 v[1:4], v92
	s_andn2_b32 vcc_lo, exec_lo, s50
	s_cbranch_vccnz .LBB106_182
; %bb.181:
	s_clause 0x3
	buffer_load_dword v93, v91, s[0:3], 0 offen offset:8
	buffer_load_dword v94, v91, s[0:3], 0 offen offset:12
	buffer_load_dword v95, v91, s[0:3], 0 offen
	buffer_load_dword v96, v91, s[0:3], 0 offen offset:4
	s_waitcnt vmcnt(2) lgkmcnt(0)
	v_mul_f64 v[98:99], v[3:4], v[93:94]
	v_mul_f64 v[93:94], v[1:2], v[93:94]
	s_waitcnt vmcnt(0)
	v_fma_f64 v[1:2], v[1:2], v[95:96], -v[98:99]
	v_fma_f64 v[3:4], v[3:4], v[95:96], v[93:94]
.LBB106_182:
	s_and_saveexec_b32 s51, s5
	s_cbranch_execz .LBB106_186
; %bb.183:
	v_subrev_nc_u32_e32 v93, 20, v0
	s_movk_i32 s52, 0x3f0
	s_mov_b32 s5, 0
	s_mov_b32 s53, s29
	.p2align	6
.LBB106_184:                            ; =>This Inner Loop Header: Depth=1
	v_mov_b32_e32 v96, s53
	v_add_nc_u32_e32 v93, -1, v93
	s_add_i32 s53, s53, 16
	s_clause 0x3
	buffer_load_dword v94, v96, s[0:3], 0 offen offset:8
	buffer_load_dword v95, v96, s[0:3], 0 offen offset:12
	buffer_load_dword v102, v96, s[0:3], 0 offen
	buffer_load_dword v103, v96, s[0:3], 0 offen offset:4
	v_mov_b32_e32 v96, s52
	v_cmp_eq_u32_e32 vcc_lo, 0, v93
	s_add_i32 s52, s52, 16
	ds_read_b128 v[98:101], v96
	s_or_b32 s5, vcc_lo, s5
	s_waitcnt vmcnt(2) lgkmcnt(0)
	v_mul_f64 v[104:105], v[100:101], v[94:95]
	v_mul_f64 v[94:95], v[98:99], v[94:95]
	s_waitcnt vmcnt(0)
	v_fma_f64 v[98:99], v[98:99], v[102:103], -v[104:105]
	v_fma_f64 v[94:95], v[100:101], v[102:103], v[94:95]
	v_add_f64 v[1:2], v[1:2], v[98:99]
	v_add_f64 v[3:4], v[3:4], v[94:95]
	s_andn2_b32 exec_lo, exec_lo, s5
	s_cbranch_execnz .LBB106_184
; %bb.185:
	s_or_b32 exec_lo, exec_lo, s5
.LBB106_186:
	s_or_b32 exec_lo, exec_lo, s51
	v_mov_b32_e32 v93, 0
	ds_read_b128 v[93:96], v93 offset:304
	s_waitcnt lgkmcnt(0)
	v_mul_f64 v[98:99], v[3:4], v[95:96]
	v_mul_f64 v[95:96], v[1:2], v[95:96]
	v_fma_f64 v[1:2], v[1:2], v[93:94], -v[98:99]
	v_fma_f64 v[3:4], v[3:4], v[93:94], v[95:96]
	buffer_store_dword v2, off, s[0:3], 0 offset:308
	buffer_store_dword v1, off, s[0:3], 0 offset:304
	;; [unrolled: 1-line block ×4, first 2 shown]
.LBB106_187:
	s_or_b32 exec_lo, exec_lo, s8
	v_mov_b32_e32 v4, s31
	v_cmp_lt_u32_e64 s5, 18, v0
	s_clause 0x3
	buffer_load_dword v1, v4, s[0:3], 0 offen
	buffer_load_dword v2, v4, s[0:3], 0 offen offset:4
	buffer_load_dword v3, v4, s[0:3], 0 offen offset:8
	buffer_load_dword v4, v4, s[0:3], 0 offen offset:12
	s_waitcnt vmcnt(0)
	ds_write_b128 v92, v[1:4]
	s_waitcnt lgkmcnt(0)
	s_waitcnt_vscnt null, 0x0
	s_barrier
	buffer_gl0_inv
	s_and_saveexec_b32 s8, s5
	s_cbranch_execz .LBB106_195
; %bb.188:
	ds_read_b128 v[1:4], v92
	s_andn2_b32 vcc_lo, exec_lo, s50
	s_cbranch_vccnz .LBB106_190
; %bb.189:
	s_clause 0x3
	buffer_load_dword v93, v91, s[0:3], 0 offen offset:8
	buffer_load_dword v94, v91, s[0:3], 0 offen offset:12
	buffer_load_dword v95, v91, s[0:3], 0 offen
	buffer_load_dword v96, v91, s[0:3], 0 offen offset:4
	s_waitcnt vmcnt(2) lgkmcnt(0)
	v_mul_f64 v[98:99], v[3:4], v[93:94]
	v_mul_f64 v[93:94], v[1:2], v[93:94]
	s_waitcnt vmcnt(0)
	v_fma_f64 v[1:2], v[1:2], v[95:96], -v[98:99]
	v_fma_f64 v[3:4], v[3:4], v[95:96], v[93:94]
.LBB106_190:
	s_and_saveexec_b32 s51, s4
	s_cbranch_execz .LBB106_194
; %bb.191:
	v_subrev_nc_u32_e32 v93, 19, v0
	s_movk_i32 s52, 0x3e0
	s_mov_b32 s4, 0
	s_mov_b32 s53, s30
	.p2align	6
.LBB106_192:                            ; =>This Inner Loop Header: Depth=1
	v_mov_b32_e32 v96, s53
	v_add_nc_u32_e32 v93, -1, v93
	s_add_i32 s53, s53, 16
	s_clause 0x3
	buffer_load_dword v94, v96, s[0:3], 0 offen offset:8
	buffer_load_dword v95, v96, s[0:3], 0 offen offset:12
	buffer_load_dword v102, v96, s[0:3], 0 offen
	buffer_load_dword v103, v96, s[0:3], 0 offen offset:4
	v_mov_b32_e32 v96, s52
	v_cmp_eq_u32_e32 vcc_lo, 0, v93
	s_add_i32 s52, s52, 16
	ds_read_b128 v[98:101], v96
	s_or_b32 s4, vcc_lo, s4
	s_waitcnt vmcnt(2) lgkmcnt(0)
	v_mul_f64 v[104:105], v[100:101], v[94:95]
	v_mul_f64 v[94:95], v[98:99], v[94:95]
	s_waitcnt vmcnt(0)
	v_fma_f64 v[98:99], v[98:99], v[102:103], -v[104:105]
	v_fma_f64 v[94:95], v[100:101], v[102:103], v[94:95]
	v_add_f64 v[1:2], v[1:2], v[98:99]
	v_add_f64 v[3:4], v[3:4], v[94:95]
	s_andn2_b32 exec_lo, exec_lo, s4
	s_cbranch_execnz .LBB106_192
; %bb.193:
	s_or_b32 exec_lo, exec_lo, s4
.LBB106_194:
	s_or_b32 exec_lo, exec_lo, s51
	v_mov_b32_e32 v93, 0
	ds_read_b128 v[93:96], v93 offset:288
	s_waitcnt lgkmcnt(0)
	v_mul_f64 v[98:99], v[3:4], v[95:96]
	v_mul_f64 v[95:96], v[1:2], v[95:96]
	v_fma_f64 v[1:2], v[1:2], v[93:94], -v[98:99]
	v_fma_f64 v[3:4], v[3:4], v[93:94], v[95:96]
	buffer_store_dword v2, off, s[0:3], 0 offset:292
	buffer_store_dword v1, off, s[0:3], 0 offset:288
	;; [unrolled: 1-line block ×4, first 2 shown]
.LBB106_195:
	s_or_b32 exec_lo, exec_lo, s8
	v_mov_b32_e32 v4, s33
	v_cmp_lt_u32_e64 s4, 17, v0
	s_clause 0x3
	buffer_load_dword v1, v4, s[0:3], 0 offen
	buffer_load_dword v2, v4, s[0:3], 0 offen offset:4
	buffer_load_dword v3, v4, s[0:3], 0 offen offset:8
	;; [unrolled: 1-line block ×3, first 2 shown]
	s_waitcnt vmcnt(0)
	ds_write_b128 v92, v[1:4]
	s_waitcnt lgkmcnt(0)
	s_waitcnt_vscnt null, 0x0
	s_barrier
	buffer_gl0_inv
	s_and_saveexec_b32 s8, s4
	s_cbranch_execz .LBB106_203
; %bb.196:
	ds_read_b128 v[1:4], v92
	s_andn2_b32 vcc_lo, exec_lo, s50
	s_cbranch_vccnz .LBB106_198
; %bb.197:
	s_clause 0x3
	buffer_load_dword v93, v91, s[0:3], 0 offen offset:8
	buffer_load_dword v94, v91, s[0:3], 0 offen offset:12
	buffer_load_dword v95, v91, s[0:3], 0 offen
	buffer_load_dword v96, v91, s[0:3], 0 offen offset:4
	s_waitcnt vmcnt(2) lgkmcnt(0)
	v_mul_f64 v[98:99], v[3:4], v[93:94]
	v_mul_f64 v[93:94], v[1:2], v[93:94]
	s_waitcnt vmcnt(0)
	v_fma_f64 v[1:2], v[1:2], v[95:96], -v[98:99]
	v_fma_f64 v[3:4], v[3:4], v[95:96], v[93:94]
.LBB106_198:
	s_and_saveexec_b32 s51, s5
	s_cbranch_execz .LBB106_202
; %bb.199:
	v_subrev_nc_u32_e32 v93, 18, v0
	s_movk_i32 s52, 0x3d0
	s_mov_b32 s5, 0
	s_mov_b32 s53, s31
	.p2align	6
.LBB106_200:                            ; =>This Inner Loop Header: Depth=1
	v_mov_b32_e32 v96, s53
	v_add_nc_u32_e32 v93, -1, v93
	s_add_i32 s53, s53, 16
	s_clause 0x3
	buffer_load_dword v94, v96, s[0:3], 0 offen offset:8
	buffer_load_dword v95, v96, s[0:3], 0 offen offset:12
	buffer_load_dword v102, v96, s[0:3], 0 offen
	buffer_load_dword v103, v96, s[0:3], 0 offen offset:4
	v_mov_b32_e32 v96, s52
	v_cmp_eq_u32_e32 vcc_lo, 0, v93
	s_add_i32 s52, s52, 16
	ds_read_b128 v[98:101], v96
	s_or_b32 s5, vcc_lo, s5
	s_waitcnt vmcnt(2) lgkmcnt(0)
	v_mul_f64 v[104:105], v[100:101], v[94:95]
	v_mul_f64 v[94:95], v[98:99], v[94:95]
	s_waitcnt vmcnt(0)
	v_fma_f64 v[98:99], v[98:99], v[102:103], -v[104:105]
	v_fma_f64 v[94:95], v[100:101], v[102:103], v[94:95]
	v_add_f64 v[1:2], v[1:2], v[98:99]
	v_add_f64 v[3:4], v[3:4], v[94:95]
	s_andn2_b32 exec_lo, exec_lo, s5
	s_cbranch_execnz .LBB106_200
; %bb.201:
	s_or_b32 exec_lo, exec_lo, s5
.LBB106_202:
	s_or_b32 exec_lo, exec_lo, s51
	v_mov_b32_e32 v93, 0
	ds_read_b128 v[93:96], v93 offset:272
	s_waitcnt lgkmcnt(0)
	v_mul_f64 v[98:99], v[3:4], v[95:96]
	v_mul_f64 v[95:96], v[1:2], v[95:96]
	v_fma_f64 v[1:2], v[1:2], v[93:94], -v[98:99]
	v_fma_f64 v[3:4], v[3:4], v[93:94], v[95:96]
	buffer_store_dword v2, off, s[0:3], 0 offset:276
	buffer_store_dword v1, off, s[0:3], 0 offset:272
	;; [unrolled: 1-line block ×4, first 2 shown]
.LBB106_203:
	s_or_b32 exec_lo, exec_lo, s8
	v_mov_b32_e32 v4, s34
	v_cmp_lt_u32_e64 s5, 16, v0
	s_clause 0x3
	buffer_load_dword v1, v4, s[0:3], 0 offen
	buffer_load_dword v2, v4, s[0:3], 0 offen offset:4
	buffer_load_dword v3, v4, s[0:3], 0 offen offset:8
	;; [unrolled: 1-line block ×3, first 2 shown]
	s_waitcnt vmcnt(0)
	ds_write_b128 v92, v[1:4]
	s_waitcnt lgkmcnt(0)
	s_waitcnt_vscnt null, 0x0
	s_barrier
	buffer_gl0_inv
	s_and_saveexec_b32 s8, s5
	s_cbranch_execz .LBB106_211
; %bb.204:
	ds_read_b128 v[1:4], v92
	s_andn2_b32 vcc_lo, exec_lo, s50
	s_cbranch_vccnz .LBB106_206
; %bb.205:
	s_clause 0x3
	buffer_load_dword v93, v91, s[0:3], 0 offen offset:8
	buffer_load_dword v94, v91, s[0:3], 0 offen offset:12
	buffer_load_dword v95, v91, s[0:3], 0 offen
	buffer_load_dword v96, v91, s[0:3], 0 offen offset:4
	s_waitcnt vmcnt(2) lgkmcnt(0)
	v_mul_f64 v[98:99], v[3:4], v[93:94]
	v_mul_f64 v[93:94], v[1:2], v[93:94]
	s_waitcnt vmcnt(0)
	v_fma_f64 v[1:2], v[1:2], v[95:96], -v[98:99]
	v_fma_f64 v[3:4], v[3:4], v[95:96], v[93:94]
.LBB106_206:
	s_and_saveexec_b32 s51, s4
	s_cbranch_execz .LBB106_210
; %bb.207:
	v_subrev_nc_u32_e32 v93, 17, v0
	s_movk_i32 s52, 0x3c0
	s_mov_b32 s4, 0
	s_mov_b32 s53, s33
	.p2align	6
.LBB106_208:                            ; =>This Inner Loop Header: Depth=1
	v_mov_b32_e32 v96, s53
	v_add_nc_u32_e32 v93, -1, v93
	s_add_i32 s53, s53, 16
	s_clause 0x3
	buffer_load_dword v94, v96, s[0:3], 0 offen offset:8
	buffer_load_dword v95, v96, s[0:3], 0 offen offset:12
	buffer_load_dword v102, v96, s[0:3], 0 offen
	buffer_load_dword v103, v96, s[0:3], 0 offen offset:4
	v_mov_b32_e32 v96, s52
	v_cmp_eq_u32_e32 vcc_lo, 0, v93
	s_add_i32 s52, s52, 16
	ds_read_b128 v[98:101], v96
	s_or_b32 s4, vcc_lo, s4
	s_waitcnt vmcnt(2) lgkmcnt(0)
	v_mul_f64 v[104:105], v[100:101], v[94:95]
	v_mul_f64 v[94:95], v[98:99], v[94:95]
	s_waitcnt vmcnt(0)
	v_fma_f64 v[98:99], v[98:99], v[102:103], -v[104:105]
	v_fma_f64 v[94:95], v[100:101], v[102:103], v[94:95]
	v_add_f64 v[1:2], v[1:2], v[98:99]
	v_add_f64 v[3:4], v[3:4], v[94:95]
	s_andn2_b32 exec_lo, exec_lo, s4
	s_cbranch_execnz .LBB106_208
; %bb.209:
	s_or_b32 exec_lo, exec_lo, s4
.LBB106_210:
	s_or_b32 exec_lo, exec_lo, s51
	v_mov_b32_e32 v93, 0
	ds_read_b128 v[93:96], v93 offset:256
	s_waitcnt lgkmcnt(0)
	v_mul_f64 v[98:99], v[3:4], v[95:96]
	v_mul_f64 v[95:96], v[1:2], v[95:96]
	v_fma_f64 v[1:2], v[1:2], v[93:94], -v[98:99]
	v_fma_f64 v[3:4], v[3:4], v[93:94], v[95:96]
	buffer_store_dword v2, off, s[0:3], 0 offset:260
	buffer_store_dword v1, off, s[0:3], 0 offset:256
	;; [unrolled: 1-line block ×4, first 2 shown]
.LBB106_211:
	s_or_b32 exec_lo, exec_lo, s8
	v_mov_b32_e32 v4, s35
	v_cmp_lt_u32_e64 s4, 15, v0
	s_clause 0x3
	buffer_load_dword v1, v4, s[0:3], 0 offen
	buffer_load_dword v2, v4, s[0:3], 0 offen offset:4
	buffer_load_dword v3, v4, s[0:3], 0 offen offset:8
	;; [unrolled: 1-line block ×3, first 2 shown]
	s_waitcnt vmcnt(0)
	ds_write_b128 v92, v[1:4]
	s_waitcnt lgkmcnt(0)
	s_waitcnt_vscnt null, 0x0
	s_barrier
	buffer_gl0_inv
	s_and_saveexec_b32 s8, s4
	s_cbranch_execz .LBB106_219
; %bb.212:
	ds_read_b128 v[1:4], v92
	s_andn2_b32 vcc_lo, exec_lo, s50
	s_cbranch_vccnz .LBB106_214
; %bb.213:
	s_clause 0x3
	buffer_load_dword v93, v91, s[0:3], 0 offen offset:8
	buffer_load_dword v94, v91, s[0:3], 0 offen offset:12
	buffer_load_dword v95, v91, s[0:3], 0 offen
	buffer_load_dword v96, v91, s[0:3], 0 offen offset:4
	s_waitcnt vmcnt(2) lgkmcnt(0)
	v_mul_f64 v[98:99], v[3:4], v[93:94]
	v_mul_f64 v[93:94], v[1:2], v[93:94]
	s_waitcnt vmcnt(0)
	v_fma_f64 v[1:2], v[1:2], v[95:96], -v[98:99]
	v_fma_f64 v[3:4], v[3:4], v[95:96], v[93:94]
.LBB106_214:
	s_and_saveexec_b32 s51, s5
	s_cbranch_execz .LBB106_218
; %bb.215:
	v_add_nc_u32_e32 v93, -16, v0
	s_movk_i32 s52, 0x3b0
	s_mov_b32 s5, 0
	s_mov_b32 s53, s34
	.p2align	6
.LBB106_216:                            ; =>This Inner Loop Header: Depth=1
	v_mov_b32_e32 v96, s53
	v_add_nc_u32_e32 v93, -1, v93
	s_add_i32 s53, s53, 16
	s_clause 0x3
	buffer_load_dword v94, v96, s[0:3], 0 offen offset:8
	buffer_load_dword v95, v96, s[0:3], 0 offen offset:12
	buffer_load_dword v102, v96, s[0:3], 0 offen
	buffer_load_dword v103, v96, s[0:3], 0 offen offset:4
	v_mov_b32_e32 v96, s52
	v_cmp_eq_u32_e32 vcc_lo, 0, v93
	s_add_i32 s52, s52, 16
	ds_read_b128 v[98:101], v96
	s_or_b32 s5, vcc_lo, s5
	s_waitcnt vmcnt(2) lgkmcnt(0)
	v_mul_f64 v[104:105], v[100:101], v[94:95]
	v_mul_f64 v[94:95], v[98:99], v[94:95]
	s_waitcnt vmcnt(0)
	v_fma_f64 v[98:99], v[98:99], v[102:103], -v[104:105]
	v_fma_f64 v[94:95], v[100:101], v[102:103], v[94:95]
	v_add_f64 v[1:2], v[1:2], v[98:99]
	v_add_f64 v[3:4], v[3:4], v[94:95]
	s_andn2_b32 exec_lo, exec_lo, s5
	s_cbranch_execnz .LBB106_216
; %bb.217:
	s_or_b32 exec_lo, exec_lo, s5
.LBB106_218:
	s_or_b32 exec_lo, exec_lo, s51
	v_mov_b32_e32 v93, 0
	ds_read_b128 v[93:96], v93 offset:240
	s_waitcnt lgkmcnt(0)
	v_mul_f64 v[98:99], v[3:4], v[95:96]
	v_mul_f64 v[95:96], v[1:2], v[95:96]
	v_fma_f64 v[1:2], v[1:2], v[93:94], -v[98:99]
	v_fma_f64 v[3:4], v[3:4], v[93:94], v[95:96]
	buffer_store_dword v2, off, s[0:3], 0 offset:244
	buffer_store_dword v1, off, s[0:3], 0 offset:240
	;; [unrolled: 1-line block ×4, first 2 shown]
.LBB106_219:
	s_or_b32 exec_lo, exec_lo, s8
	v_mov_b32_e32 v4, s36
	v_cmp_lt_u32_e64 s5, 14, v0
	s_clause 0x3
	buffer_load_dword v1, v4, s[0:3], 0 offen
	buffer_load_dword v2, v4, s[0:3], 0 offen offset:4
	buffer_load_dword v3, v4, s[0:3], 0 offen offset:8
	;; [unrolled: 1-line block ×3, first 2 shown]
	s_waitcnt vmcnt(0)
	ds_write_b128 v92, v[1:4]
	s_waitcnt lgkmcnt(0)
	s_waitcnt_vscnt null, 0x0
	s_barrier
	buffer_gl0_inv
	s_and_saveexec_b32 s8, s5
	s_cbranch_execz .LBB106_227
; %bb.220:
	ds_read_b128 v[1:4], v92
	s_andn2_b32 vcc_lo, exec_lo, s50
	s_cbranch_vccnz .LBB106_222
; %bb.221:
	s_clause 0x3
	buffer_load_dword v93, v91, s[0:3], 0 offen offset:8
	buffer_load_dword v94, v91, s[0:3], 0 offen offset:12
	buffer_load_dword v95, v91, s[0:3], 0 offen
	buffer_load_dword v96, v91, s[0:3], 0 offen offset:4
	s_waitcnt vmcnt(2) lgkmcnt(0)
	v_mul_f64 v[98:99], v[3:4], v[93:94]
	v_mul_f64 v[93:94], v[1:2], v[93:94]
	s_waitcnt vmcnt(0)
	v_fma_f64 v[1:2], v[1:2], v[95:96], -v[98:99]
	v_fma_f64 v[3:4], v[3:4], v[95:96], v[93:94]
.LBB106_222:
	s_and_saveexec_b32 s51, s4
	s_cbranch_execz .LBB106_226
; %bb.223:
	v_add_nc_u32_e32 v93, -15, v0
	s_movk_i32 s52, 0x3a0
	s_mov_b32 s4, 0
	s_mov_b32 s53, s35
	.p2align	6
.LBB106_224:                            ; =>This Inner Loop Header: Depth=1
	v_mov_b32_e32 v96, s53
	v_add_nc_u32_e32 v93, -1, v93
	s_add_i32 s53, s53, 16
	s_clause 0x3
	buffer_load_dword v94, v96, s[0:3], 0 offen offset:8
	buffer_load_dword v95, v96, s[0:3], 0 offen offset:12
	buffer_load_dword v102, v96, s[0:3], 0 offen
	buffer_load_dword v103, v96, s[0:3], 0 offen offset:4
	v_mov_b32_e32 v96, s52
	v_cmp_eq_u32_e32 vcc_lo, 0, v93
	s_add_i32 s52, s52, 16
	ds_read_b128 v[98:101], v96
	s_or_b32 s4, vcc_lo, s4
	s_waitcnt vmcnt(2) lgkmcnt(0)
	v_mul_f64 v[104:105], v[100:101], v[94:95]
	v_mul_f64 v[94:95], v[98:99], v[94:95]
	s_waitcnt vmcnt(0)
	v_fma_f64 v[98:99], v[98:99], v[102:103], -v[104:105]
	v_fma_f64 v[94:95], v[100:101], v[102:103], v[94:95]
	v_add_f64 v[1:2], v[1:2], v[98:99]
	v_add_f64 v[3:4], v[3:4], v[94:95]
	s_andn2_b32 exec_lo, exec_lo, s4
	s_cbranch_execnz .LBB106_224
; %bb.225:
	s_or_b32 exec_lo, exec_lo, s4
.LBB106_226:
	s_or_b32 exec_lo, exec_lo, s51
	v_mov_b32_e32 v93, 0
	ds_read_b128 v[93:96], v93 offset:224
	s_waitcnt lgkmcnt(0)
	v_mul_f64 v[98:99], v[3:4], v[95:96]
	v_mul_f64 v[95:96], v[1:2], v[95:96]
	v_fma_f64 v[1:2], v[1:2], v[93:94], -v[98:99]
	v_fma_f64 v[3:4], v[3:4], v[93:94], v[95:96]
	buffer_store_dword v2, off, s[0:3], 0 offset:228
	buffer_store_dword v1, off, s[0:3], 0 offset:224
	;; [unrolled: 1-line block ×4, first 2 shown]
.LBB106_227:
	s_or_b32 exec_lo, exec_lo, s8
	v_mov_b32_e32 v4, s37
	v_cmp_lt_u32_e64 s4, 13, v0
	s_clause 0x3
	buffer_load_dword v1, v4, s[0:3], 0 offen
	buffer_load_dword v2, v4, s[0:3], 0 offen offset:4
	buffer_load_dword v3, v4, s[0:3], 0 offen offset:8
	;; [unrolled: 1-line block ×3, first 2 shown]
	s_waitcnt vmcnt(0)
	ds_write_b128 v92, v[1:4]
	s_waitcnt lgkmcnt(0)
	s_waitcnt_vscnt null, 0x0
	s_barrier
	buffer_gl0_inv
	s_and_saveexec_b32 s8, s4
	s_cbranch_execz .LBB106_235
; %bb.228:
	ds_read_b128 v[1:4], v92
	s_andn2_b32 vcc_lo, exec_lo, s50
	s_cbranch_vccnz .LBB106_230
; %bb.229:
	s_clause 0x3
	buffer_load_dword v93, v91, s[0:3], 0 offen offset:8
	buffer_load_dword v94, v91, s[0:3], 0 offen offset:12
	buffer_load_dword v95, v91, s[0:3], 0 offen
	buffer_load_dword v96, v91, s[0:3], 0 offen offset:4
	s_waitcnt vmcnt(2) lgkmcnt(0)
	v_mul_f64 v[98:99], v[3:4], v[93:94]
	v_mul_f64 v[93:94], v[1:2], v[93:94]
	s_waitcnt vmcnt(0)
	v_fma_f64 v[1:2], v[1:2], v[95:96], -v[98:99]
	v_fma_f64 v[3:4], v[3:4], v[95:96], v[93:94]
.LBB106_230:
	s_and_saveexec_b32 s51, s5
	s_cbranch_execz .LBB106_234
; %bb.231:
	v_add_nc_u32_e32 v93, -14, v0
	s_movk_i32 s52, 0x390
	s_mov_b32 s5, 0
	s_mov_b32 s53, s36
	.p2align	6
.LBB106_232:                            ; =>This Inner Loop Header: Depth=1
	v_mov_b32_e32 v96, s53
	v_add_nc_u32_e32 v93, -1, v93
	s_add_i32 s53, s53, 16
	s_clause 0x3
	buffer_load_dword v94, v96, s[0:3], 0 offen offset:8
	buffer_load_dword v95, v96, s[0:3], 0 offen offset:12
	buffer_load_dword v102, v96, s[0:3], 0 offen
	buffer_load_dword v103, v96, s[0:3], 0 offen offset:4
	v_mov_b32_e32 v96, s52
	v_cmp_eq_u32_e32 vcc_lo, 0, v93
	s_add_i32 s52, s52, 16
	ds_read_b128 v[98:101], v96
	s_or_b32 s5, vcc_lo, s5
	s_waitcnt vmcnt(2) lgkmcnt(0)
	v_mul_f64 v[104:105], v[100:101], v[94:95]
	v_mul_f64 v[94:95], v[98:99], v[94:95]
	s_waitcnt vmcnt(0)
	v_fma_f64 v[98:99], v[98:99], v[102:103], -v[104:105]
	v_fma_f64 v[94:95], v[100:101], v[102:103], v[94:95]
	v_add_f64 v[1:2], v[1:2], v[98:99]
	v_add_f64 v[3:4], v[3:4], v[94:95]
	s_andn2_b32 exec_lo, exec_lo, s5
	s_cbranch_execnz .LBB106_232
; %bb.233:
	s_or_b32 exec_lo, exec_lo, s5
.LBB106_234:
	s_or_b32 exec_lo, exec_lo, s51
	v_mov_b32_e32 v93, 0
	ds_read_b128 v[93:96], v93 offset:208
	s_waitcnt lgkmcnt(0)
	v_mul_f64 v[98:99], v[3:4], v[95:96]
	v_mul_f64 v[95:96], v[1:2], v[95:96]
	v_fma_f64 v[1:2], v[1:2], v[93:94], -v[98:99]
	v_fma_f64 v[3:4], v[3:4], v[93:94], v[95:96]
	buffer_store_dword v2, off, s[0:3], 0 offset:212
	buffer_store_dword v1, off, s[0:3], 0 offset:208
	buffer_store_dword v4, off, s[0:3], 0 offset:220
	buffer_store_dword v3, off, s[0:3], 0 offset:216
.LBB106_235:
	s_or_b32 exec_lo, exec_lo, s8
	v_mov_b32_e32 v4, s38
	v_cmp_lt_u32_e64 s5, 12, v0
	s_clause 0x3
	buffer_load_dword v1, v4, s[0:3], 0 offen
	buffer_load_dword v2, v4, s[0:3], 0 offen offset:4
	buffer_load_dword v3, v4, s[0:3], 0 offen offset:8
	;; [unrolled: 1-line block ×3, first 2 shown]
	s_waitcnt vmcnt(0)
	ds_write_b128 v92, v[1:4]
	s_waitcnt lgkmcnt(0)
	s_waitcnt_vscnt null, 0x0
	s_barrier
	buffer_gl0_inv
	s_and_saveexec_b32 s8, s5
	s_cbranch_execz .LBB106_243
; %bb.236:
	ds_read_b128 v[1:4], v92
	s_andn2_b32 vcc_lo, exec_lo, s50
	s_cbranch_vccnz .LBB106_238
; %bb.237:
	s_clause 0x3
	buffer_load_dword v93, v91, s[0:3], 0 offen offset:8
	buffer_load_dword v94, v91, s[0:3], 0 offen offset:12
	buffer_load_dword v95, v91, s[0:3], 0 offen
	buffer_load_dword v96, v91, s[0:3], 0 offen offset:4
	s_waitcnt vmcnt(2) lgkmcnt(0)
	v_mul_f64 v[98:99], v[3:4], v[93:94]
	v_mul_f64 v[93:94], v[1:2], v[93:94]
	s_waitcnt vmcnt(0)
	v_fma_f64 v[1:2], v[1:2], v[95:96], -v[98:99]
	v_fma_f64 v[3:4], v[3:4], v[95:96], v[93:94]
.LBB106_238:
	s_and_saveexec_b32 s51, s4
	s_cbranch_execz .LBB106_242
; %bb.239:
	v_add_nc_u32_e32 v93, -13, v0
	s_movk_i32 s52, 0x380
	s_mov_b32 s4, 0
	s_mov_b32 s53, s37
	.p2align	6
.LBB106_240:                            ; =>This Inner Loop Header: Depth=1
	v_mov_b32_e32 v96, s53
	v_add_nc_u32_e32 v93, -1, v93
	s_add_i32 s53, s53, 16
	s_clause 0x3
	buffer_load_dword v94, v96, s[0:3], 0 offen offset:8
	buffer_load_dword v95, v96, s[0:3], 0 offen offset:12
	buffer_load_dword v102, v96, s[0:3], 0 offen
	buffer_load_dword v103, v96, s[0:3], 0 offen offset:4
	v_mov_b32_e32 v96, s52
	v_cmp_eq_u32_e32 vcc_lo, 0, v93
	s_add_i32 s52, s52, 16
	ds_read_b128 v[98:101], v96
	s_or_b32 s4, vcc_lo, s4
	s_waitcnt vmcnt(2) lgkmcnt(0)
	v_mul_f64 v[104:105], v[100:101], v[94:95]
	v_mul_f64 v[94:95], v[98:99], v[94:95]
	s_waitcnt vmcnt(0)
	v_fma_f64 v[98:99], v[98:99], v[102:103], -v[104:105]
	v_fma_f64 v[94:95], v[100:101], v[102:103], v[94:95]
	v_add_f64 v[1:2], v[1:2], v[98:99]
	v_add_f64 v[3:4], v[3:4], v[94:95]
	s_andn2_b32 exec_lo, exec_lo, s4
	s_cbranch_execnz .LBB106_240
; %bb.241:
	s_or_b32 exec_lo, exec_lo, s4
.LBB106_242:
	s_or_b32 exec_lo, exec_lo, s51
	v_mov_b32_e32 v93, 0
	ds_read_b128 v[93:96], v93 offset:192
	s_waitcnt lgkmcnt(0)
	v_mul_f64 v[98:99], v[3:4], v[95:96]
	v_mul_f64 v[95:96], v[1:2], v[95:96]
	v_fma_f64 v[1:2], v[1:2], v[93:94], -v[98:99]
	v_fma_f64 v[3:4], v[3:4], v[93:94], v[95:96]
	buffer_store_dword v2, off, s[0:3], 0 offset:196
	buffer_store_dword v1, off, s[0:3], 0 offset:192
	;; [unrolled: 1-line block ×4, first 2 shown]
.LBB106_243:
	s_or_b32 exec_lo, exec_lo, s8
	v_mov_b32_e32 v4, s39
	v_cmp_lt_u32_e64 s4, 11, v0
	s_clause 0x3
	buffer_load_dword v1, v4, s[0:3], 0 offen
	buffer_load_dword v2, v4, s[0:3], 0 offen offset:4
	buffer_load_dword v3, v4, s[0:3], 0 offen offset:8
	;; [unrolled: 1-line block ×3, first 2 shown]
	s_waitcnt vmcnt(0)
	ds_write_b128 v92, v[1:4]
	s_waitcnt lgkmcnt(0)
	s_waitcnt_vscnt null, 0x0
	s_barrier
	buffer_gl0_inv
	s_and_saveexec_b32 s8, s4
	s_cbranch_execz .LBB106_251
; %bb.244:
	ds_read_b128 v[1:4], v92
	s_andn2_b32 vcc_lo, exec_lo, s50
	s_cbranch_vccnz .LBB106_246
; %bb.245:
	s_clause 0x3
	buffer_load_dword v93, v91, s[0:3], 0 offen offset:8
	buffer_load_dword v94, v91, s[0:3], 0 offen offset:12
	buffer_load_dword v95, v91, s[0:3], 0 offen
	buffer_load_dword v96, v91, s[0:3], 0 offen offset:4
	s_waitcnt vmcnt(2) lgkmcnt(0)
	v_mul_f64 v[98:99], v[3:4], v[93:94]
	v_mul_f64 v[93:94], v[1:2], v[93:94]
	s_waitcnt vmcnt(0)
	v_fma_f64 v[1:2], v[1:2], v[95:96], -v[98:99]
	v_fma_f64 v[3:4], v[3:4], v[95:96], v[93:94]
.LBB106_246:
	s_and_saveexec_b32 s51, s5
	s_cbranch_execz .LBB106_250
; %bb.247:
	v_add_nc_u32_e32 v93, -12, v0
	s_movk_i32 s52, 0x370
	s_mov_b32 s5, 0
	s_mov_b32 s53, s38
	.p2align	6
.LBB106_248:                            ; =>This Inner Loop Header: Depth=1
	v_mov_b32_e32 v96, s53
	v_add_nc_u32_e32 v93, -1, v93
	s_add_i32 s53, s53, 16
	s_clause 0x3
	buffer_load_dword v94, v96, s[0:3], 0 offen offset:8
	buffer_load_dword v95, v96, s[0:3], 0 offen offset:12
	buffer_load_dword v102, v96, s[0:3], 0 offen
	buffer_load_dword v103, v96, s[0:3], 0 offen offset:4
	v_mov_b32_e32 v96, s52
	v_cmp_eq_u32_e32 vcc_lo, 0, v93
	s_add_i32 s52, s52, 16
	ds_read_b128 v[98:101], v96
	s_or_b32 s5, vcc_lo, s5
	s_waitcnt vmcnt(2) lgkmcnt(0)
	v_mul_f64 v[104:105], v[100:101], v[94:95]
	v_mul_f64 v[94:95], v[98:99], v[94:95]
	s_waitcnt vmcnt(0)
	v_fma_f64 v[98:99], v[98:99], v[102:103], -v[104:105]
	v_fma_f64 v[94:95], v[100:101], v[102:103], v[94:95]
	v_add_f64 v[1:2], v[1:2], v[98:99]
	v_add_f64 v[3:4], v[3:4], v[94:95]
	s_andn2_b32 exec_lo, exec_lo, s5
	s_cbranch_execnz .LBB106_248
; %bb.249:
	s_or_b32 exec_lo, exec_lo, s5
.LBB106_250:
	s_or_b32 exec_lo, exec_lo, s51
	v_mov_b32_e32 v93, 0
	ds_read_b128 v[93:96], v93 offset:176
	s_waitcnt lgkmcnt(0)
	v_mul_f64 v[98:99], v[3:4], v[95:96]
	v_mul_f64 v[95:96], v[1:2], v[95:96]
	v_fma_f64 v[1:2], v[1:2], v[93:94], -v[98:99]
	v_fma_f64 v[3:4], v[3:4], v[93:94], v[95:96]
	buffer_store_dword v2, off, s[0:3], 0 offset:180
	buffer_store_dword v1, off, s[0:3], 0 offset:176
	;; [unrolled: 1-line block ×4, first 2 shown]
.LBB106_251:
	s_or_b32 exec_lo, exec_lo, s8
	v_mov_b32_e32 v4, s40
	v_cmp_lt_u32_e64 s5, 10, v0
	s_clause 0x3
	buffer_load_dword v1, v4, s[0:3], 0 offen
	buffer_load_dword v2, v4, s[0:3], 0 offen offset:4
	buffer_load_dword v3, v4, s[0:3], 0 offen offset:8
	;; [unrolled: 1-line block ×3, first 2 shown]
	s_waitcnt vmcnt(0)
	ds_write_b128 v92, v[1:4]
	s_waitcnt lgkmcnt(0)
	s_waitcnt_vscnt null, 0x0
	s_barrier
	buffer_gl0_inv
	s_and_saveexec_b32 s8, s5
	s_cbranch_execz .LBB106_259
; %bb.252:
	ds_read_b128 v[1:4], v92
	s_andn2_b32 vcc_lo, exec_lo, s50
	s_cbranch_vccnz .LBB106_254
; %bb.253:
	s_clause 0x3
	buffer_load_dword v93, v91, s[0:3], 0 offen offset:8
	buffer_load_dword v94, v91, s[0:3], 0 offen offset:12
	buffer_load_dword v95, v91, s[0:3], 0 offen
	buffer_load_dword v96, v91, s[0:3], 0 offen offset:4
	s_waitcnt vmcnt(2) lgkmcnt(0)
	v_mul_f64 v[98:99], v[3:4], v[93:94]
	v_mul_f64 v[93:94], v[1:2], v[93:94]
	s_waitcnt vmcnt(0)
	v_fma_f64 v[1:2], v[1:2], v[95:96], -v[98:99]
	v_fma_f64 v[3:4], v[3:4], v[95:96], v[93:94]
.LBB106_254:
	s_and_saveexec_b32 s51, s4
	s_cbranch_execz .LBB106_258
; %bb.255:
	v_add_nc_u32_e32 v93, -11, v0
	s_movk_i32 s52, 0x360
	s_mov_b32 s4, 0
	s_mov_b32 s53, s39
	.p2align	6
.LBB106_256:                            ; =>This Inner Loop Header: Depth=1
	v_mov_b32_e32 v96, s53
	v_add_nc_u32_e32 v93, -1, v93
	s_add_i32 s53, s53, 16
	s_clause 0x3
	buffer_load_dword v94, v96, s[0:3], 0 offen offset:8
	buffer_load_dword v95, v96, s[0:3], 0 offen offset:12
	buffer_load_dword v102, v96, s[0:3], 0 offen
	buffer_load_dword v103, v96, s[0:3], 0 offen offset:4
	v_mov_b32_e32 v96, s52
	v_cmp_eq_u32_e32 vcc_lo, 0, v93
	s_add_i32 s52, s52, 16
	ds_read_b128 v[98:101], v96
	s_or_b32 s4, vcc_lo, s4
	s_waitcnt vmcnt(2) lgkmcnt(0)
	v_mul_f64 v[104:105], v[100:101], v[94:95]
	v_mul_f64 v[94:95], v[98:99], v[94:95]
	s_waitcnt vmcnt(0)
	v_fma_f64 v[98:99], v[98:99], v[102:103], -v[104:105]
	v_fma_f64 v[94:95], v[100:101], v[102:103], v[94:95]
	v_add_f64 v[1:2], v[1:2], v[98:99]
	v_add_f64 v[3:4], v[3:4], v[94:95]
	s_andn2_b32 exec_lo, exec_lo, s4
	s_cbranch_execnz .LBB106_256
; %bb.257:
	s_or_b32 exec_lo, exec_lo, s4
.LBB106_258:
	s_or_b32 exec_lo, exec_lo, s51
	v_mov_b32_e32 v93, 0
	ds_read_b128 v[93:96], v93 offset:160
	s_waitcnt lgkmcnt(0)
	v_mul_f64 v[98:99], v[3:4], v[95:96]
	v_mul_f64 v[95:96], v[1:2], v[95:96]
	v_fma_f64 v[1:2], v[1:2], v[93:94], -v[98:99]
	v_fma_f64 v[3:4], v[3:4], v[93:94], v[95:96]
	buffer_store_dword v2, off, s[0:3], 0 offset:164
	buffer_store_dword v1, off, s[0:3], 0 offset:160
	;; [unrolled: 1-line block ×4, first 2 shown]
.LBB106_259:
	s_or_b32 exec_lo, exec_lo, s8
	v_mov_b32_e32 v4, s41
	v_cmp_lt_u32_e64 s4, 9, v0
	s_clause 0x3
	buffer_load_dword v1, v4, s[0:3], 0 offen
	buffer_load_dword v2, v4, s[0:3], 0 offen offset:4
	buffer_load_dword v3, v4, s[0:3], 0 offen offset:8
	;; [unrolled: 1-line block ×3, first 2 shown]
	s_waitcnt vmcnt(0)
	ds_write_b128 v92, v[1:4]
	s_waitcnt lgkmcnt(0)
	s_waitcnt_vscnt null, 0x0
	s_barrier
	buffer_gl0_inv
	s_and_saveexec_b32 s8, s4
	s_cbranch_execz .LBB106_267
; %bb.260:
	ds_read_b128 v[1:4], v92
	s_andn2_b32 vcc_lo, exec_lo, s50
	s_cbranch_vccnz .LBB106_262
; %bb.261:
	s_clause 0x3
	buffer_load_dword v93, v91, s[0:3], 0 offen offset:8
	buffer_load_dword v94, v91, s[0:3], 0 offen offset:12
	buffer_load_dword v95, v91, s[0:3], 0 offen
	buffer_load_dword v96, v91, s[0:3], 0 offen offset:4
	s_waitcnt vmcnt(2) lgkmcnt(0)
	v_mul_f64 v[98:99], v[3:4], v[93:94]
	v_mul_f64 v[93:94], v[1:2], v[93:94]
	s_waitcnt vmcnt(0)
	v_fma_f64 v[1:2], v[1:2], v[95:96], -v[98:99]
	v_fma_f64 v[3:4], v[3:4], v[95:96], v[93:94]
.LBB106_262:
	s_and_saveexec_b32 s51, s5
	s_cbranch_execz .LBB106_266
; %bb.263:
	v_add_nc_u32_e32 v93, -10, v0
	s_movk_i32 s52, 0x350
	s_mov_b32 s5, 0
	s_mov_b32 s53, s40
	.p2align	6
.LBB106_264:                            ; =>This Inner Loop Header: Depth=1
	v_mov_b32_e32 v96, s53
	v_add_nc_u32_e32 v93, -1, v93
	s_add_i32 s53, s53, 16
	s_clause 0x3
	buffer_load_dword v94, v96, s[0:3], 0 offen offset:8
	buffer_load_dword v95, v96, s[0:3], 0 offen offset:12
	buffer_load_dword v102, v96, s[0:3], 0 offen
	buffer_load_dword v103, v96, s[0:3], 0 offen offset:4
	v_mov_b32_e32 v96, s52
	v_cmp_eq_u32_e32 vcc_lo, 0, v93
	s_add_i32 s52, s52, 16
	ds_read_b128 v[98:101], v96
	s_or_b32 s5, vcc_lo, s5
	s_waitcnt vmcnt(2) lgkmcnt(0)
	v_mul_f64 v[104:105], v[100:101], v[94:95]
	v_mul_f64 v[94:95], v[98:99], v[94:95]
	s_waitcnt vmcnt(0)
	v_fma_f64 v[98:99], v[98:99], v[102:103], -v[104:105]
	v_fma_f64 v[94:95], v[100:101], v[102:103], v[94:95]
	v_add_f64 v[1:2], v[1:2], v[98:99]
	v_add_f64 v[3:4], v[3:4], v[94:95]
	s_andn2_b32 exec_lo, exec_lo, s5
	s_cbranch_execnz .LBB106_264
; %bb.265:
	s_or_b32 exec_lo, exec_lo, s5
.LBB106_266:
	s_or_b32 exec_lo, exec_lo, s51
	v_mov_b32_e32 v93, 0
	ds_read_b128 v[93:96], v93 offset:144
	s_waitcnt lgkmcnt(0)
	v_mul_f64 v[98:99], v[3:4], v[95:96]
	v_mul_f64 v[95:96], v[1:2], v[95:96]
	v_fma_f64 v[1:2], v[1:2], v[93:94], -v[98:99]
	v_fma_f64 v[3:4], v[3:4], v[93:94], v[95:96]
	buffer_store_dword v2, off, s[0:3], 0 offset:148
	buffer_store_dword v1, off, s[0:3], 0 offset:144
	;; [unrolled: 1-line block ×4, first 2 shown]
.LBB106_267:
	s_or_b32 exec_lo, exec_lo, s8
	v_mov_b32_e32 v4, s42
	v_cmp_lt_u32_e64 s5, 8, v0
	s_clause 0x3
	buffer_load_dword v1, v4, s[0:3], 0 offen
	buffer_load_dword v2, v4, s[0:3], 0 offen offset:4
	buffer_load_dword v3, v4, s[0:3], 0 offen offset:8
	;; [unrolled: 1-line block ×3, first 2 shown]
	s_waitcnt vmcnt(0)
	ds_write_b128 v92, v[1:4]
	s_waitcnt lgkmcnt(0)
	s_waitcnt_vscnt null, 0x0
	s_barrier
	buffer_gl0_inv
	s_and_saveexec_b32 s8, s5
	s_cbranch_execz .LBB106_275
; %bb.268:
	ds_read_b128 v[1:4], v92
	s_andn2_b32 vcc_lo, exec_lo, s50
	s_cbranch_vccnz .LBB106_270
; %bb.269:
	s_clause 0x3
	buffer_load_dword v93, v91, s[0:3], 0 offen offset:8
	buffer_load_dword v94, v91, s[0:3], 0 offen offset:12
	buffer_load_dword v95, v91, s[0:3], 0 offen
	buffer_load_dword v96, v91, s[0:3], 0 offen offset:4
	s_waitcnt vmcnt(2) lgkmcnt(0)
	v_mul_f64 v[98:99], v[3:4], v[93:94]
	v_mul_f64 v[93:94], v[1:2], v[93:94]
	s_waitcnt vmcnt(0)
	v_fma_f64 v[1:2], v[1:2], v[95:96], -v[98:99]
	v_fma_f64 v[3:4], v[3:4], v[95:96], v[93:94]
.LBB106_270:
	s_and_saveexec_b32 s51, s4
	s_cbranch_execz .LBB106_274
; %bb.271:
	v_add_nc_u32_e32 v93, -9, v0
	s_movk_i32 s52, 0x340
	s_mov_b32 s4, 0
	s_mov_b32 s53, s41
	.p2align	6
.LBB106_272:                            ; =>This Inner Loop Header: Depth=1
	v_mov_b32_e32 v96, s53
	v_add_nc_u32_e32 v93, -1, v93
	s_add_i32 s53, s53, 16
	s_clause 0x3
	buffer_load_dword v94, v96, s[0:3], 0 offen offset:8
	buffer_load_dword v95, v96, s[0:3], 0 offen offset:12
	buffer_load_dword v102, v96, s[0:3], 0 offen
	buffer_load_dword v103, v96, s[0:3], 0 offen offset:4
	v_mov_b32_e32 v96, s52
	v_cmp_eq_u32_e32 vcc_lo, 0, v93
	s_add_i32 s52, s52, 16
	ds_read_b128 v[98:101], v96
	s_or_b32 s4, vcc_lo, s4
	s_waitcnt vmcnt(2) lgkmcnt(0)
	v_mul_f64 v[104:105], v[100:101], v[94:95]
	v_mul_f64 v[94:95], v[98:99], v[94:95]
	s_waitcnt vmcnt(0)
	v_fma_f64 v[98:99], v[98:99], v[102:103], -v[104:105]
	v_fma_f64 v[94:95], v[100:101], v[102:103], v[94:95]
	v_add_f64 v[1:2], v[1:2], v[98:99]
	v_add_f64 v[3:4], v[3:4], v[94:95]
	s_andn2_b32 exec_lo, exec_lo, s4
	s_cbranch_execnz .LBB106_272
; %bb.273:
	s_or_b32 exec_lo, exec_lo, s4
.LBB106_274:
	s_or_b32 exec_lo, exec_lo, s51
	v_mov_b32_e32 v93, 0
	ds_read_b128 v[93:96], v93 offset:128
	s_waitcnt lgkmcnt(0)
	v_mul_f64 v[98:99], v[3:4], v[95:96]
	v_mul_f64 v[95:96], v[1:2], v[95:96]
	v_fma_f64 v[1:2], v[1:2], v[93:94], -v[98:99]
	v_fma_f64 v[3:4], v[3:4], v[93:94], v[95:96]
	buffer_store_dword v2, off, s[0:3], 0 offset:132
	buffer_store_dword v1, off, s[0:3], 0 offset:128
	;; [unrolled: 1-line block ×4, first 2 shown]
.LBB106_275:
	s_or_b32 exec_lo, exec_lo, s8
	v_mov_b32_e32 v4, s43
	v_cmp_lt_u32_e64 s4, 7, v0
	s_clause 0x3
	buffer_load_dword v1, v4, s[0:3], 0 offen
	buffer_load_dword v2, v4, s[0:3], 0 offen offset:4
	buffer_load_dword v3, v4, s[0:3], 0 offen offset:8
	;; [unrolled: 1-line block ×3, first 2 shown]
	s_waitcnt vmcnt(0)
	ds_write_b128 v92, v[1:4]
	s_waitcnt lgkmcnt(0)
	s_waitcnt_vscnt null, 0x0
	s_barrier
	buffer_gl0_inv
	s_and_saveexec_b32 s8, s4
	s_cbranch_execz .LBB106_283
; %bb.276:
	ds_read_b128 v[1:4], v92
	s_andn2_b32 vcc_lo, exec_lo, s50
	s_cbranch_vccnz .LBB106_278
; %bb.277:
	s_clause 0x3
	buffer_load_dword v93, v91, s[0:3], 0 offen offset:8
	buffer_load_dword v94, v91, s[0:3], 0 offen offset:12
	buffer_load_dword v95, v91, s[0:3], 0 offen
	buffer_load_dword v96, v91, s[0:3], 0 offen offset:4
	s_waitcnt vmcnt(2) lgkmcnt(0)
	v_mul_f64 v[98:99], v[3:4], v[93:94]
	v_mul_f64 v[93:94], v[1:2], v[93:94]
	s_waitcnt vmcnt(0)
	v_fma_f64 v[1:2], v[1:2], v[95:96], -v[98:99]
	v_fma_f64 v[3:4], v[3:4], v[95:96], v[93:94]
.LBB106_278:
	s_and_saveexec_b32 s51, s5
	s_cbranch_execz .LBB106_282
; %bb.279:
	v_add_nc_u32_e32 v93, -8, v0
	s_movk_i32 s52, 0x330
	s_mov_b32 s5, 0
	s_mov_b32 s53, s42
	.p2align	6
.LBB106_280:                            ; =>This Inner Loop Header: Depth=1
	v_mov_b32_e32 v96, s53
	v_add_nc_u32_e32 v93, -1, v93
	s_add_i32 s53, s53, 16
	s_clause 0x3
	buffer_load_dword v94, v96, s[0:3], 0 offen offset:8
	buffer_load_dword v95, v96, s[0:3], 0 offen offset:12
	buffer_load_dword v102, v96, s[0:3], 0 offen
	buffer_load_dword v103, v96, s[0:3], 0 offen offset:4
	v_mov_b32_e32 v96, s52
	v_cmp_eq_u32_e32 vcc_lo, 0, v93
	s_add_i32 s52, s52, 16
	ds_read_b128 v[98:101], v96
	s_or_b32 s5, vcc_lo, s5
	s_waitcnt vmcnt(2) lgkmcnt(0)
	v_mul_f64 v[104:105], v[100:101], v[94:95]
	v_mul_f64 v[94:95], v[98:99], v[94:95]
	s_waitcnt vmcnt(0)
	v_fma_f64 v[98:99], v[98:99], v[102:103], -v[104:105]
	v_fma_f64 v[94:95], v[100:101], v[102:103], v[94:95]
	v_add_f64 v[1:2], v[1:2], v[98:99]
	v_add_f64 v[3:4], v[3:4], v[94:95]
	s_andn2_b32 exec_lo, exec_lo, s5
	s_cbranch_execnz .LBB106_280
; %bb.281:
	s_or_b32 exec_lo, exec_lo, s5
.LBB106_282:
	s_or_b32 exec_lo, exec_lo, s51
	v_mov_b32_e32 v93, 0
	ds_read_b128 v[93:96], v93 offset:112
	s_waitcnt lgkmcnt(0)
	v_mul_f64 v[98:99], v[3:4], v[95:96]
	v_mul_f64 v[95:96], v[1:2], v[95:96]
	v_fma_f64 v[1:2], v[1:2], v[93:94], -v[98:99]
	v_fma_f64 v[3:4], v[3:4], v[93:94], v[95:96]
	buffer_store_dword v2, off, s[0:3], 0 offset:116
	buffer_store_dword v1, off, s[0:3], 0 offset:112
	;; [unrolled: 1-line block ×4, first 2 shown]
.LBB106_283:
	s_or_b32 exec_lo, exec_lo, s8
	v_mov_b32_e32 v4, s44
	v_cmp_lt_u32_e64 s5, 6, v0
	s_clause 0x3
	buffer_load_dword v1, v4, s[0:3], 0 offen
	buffer_load_dword v2, v4, s[0:3], 0 offen offset:4
	buffer_load_dword v3, v4, s[0:3], 0 offen offset:8
	buffer_load_dword v4, v4, s[0:3], 0 offen offset:12
	s_waitcnt vmcnt(0)
	ds_write_b128 v92, v[1:4]
	s_waitcnt lgkmcnt(0)
	s_waitcnt_vscnt null, 0x0
	s_barrier
	buffer_gl0_inv
	s_and_saveexec_b32 s8, s5
	s_cbranch_execz .LBB106_291
; %bb.284:
	ds_read_b128 v[1:4], v92
	s_andn2_b32 vcc_lo, exec_lo, s50
	s_cbranch_vccnz .LBB106_286
; %bb.285:
	s_clause 0x3
	buffer_load_dword v93, v91, s[0:3], 0 offen offset:8
	buffer_load_dword v94, v91, s[0:3], 0 offen offset:12
	buffer_load_dword v95, v91, s[0:3], 0 offen
	buffer_load_dword v96, v91, s[0:3], 0 offen offset:4
	s_waitcnt vmcnt(2) lgkmcnt(0)
	v_mul_f64 v[98:99], v[3:4], v[93:94]
	v_mul_f64 v[93:94], v[1:2], v[93:94]
	s_waitcnt vmcnt(0)
	v_fma_f64 v[1:2], v[1:2], v[95:96], -v[98:99]
	v_fma_f64 v[3:4], v[3:4], v[95:96], v[93:94]
.LBB106_286:
	s_and_saveexec_b32 s51, s4
	s_cbranch_execz .LBB106_290
; %bb.287:
	v_add_nc_u32_e32 v93, -7, v0
	s_movk_i32 s52, 0x320
	s_mov_b32 s4, 0
	s_mov_b32 s53, s43
	.p2align	6
.LBB106_288:                            ; =>This Inner Loop Header: Depth=1
	v_mov_b32_e32 v96, s53
	v_add_nc_u32_e32 v93, -1, v93
	s_add_i32 s53, s53, 16
	s_clause 0x3
	buffer_load_dword v94, v96, s[0:3], 0 offen offset:8
	buffer_load_dword v95, v96, s[0:3], 0 offen offset:12
	buffer_load_dword v102, v96, s[0:3], 0 offen
	buffer_load_dword v103, v96, s[0:3], 0 offen offset:4
	v_mov_b32_e32 v96, s52
	v_cmp_eq_u32_e32 vcc_lo, 0, v93
	s_add_i32 s52, s52, 16
	ds_read_b128 v[98:101], v96
	s_or_b32 s4, vcc_lo, s4
	s_waitcnt vmcnt(2) lgkmcnt(0)
	v_mul_f64 v[104:105], v[100:101], v[94:95]
	v_mul_f64 v[94:95], v[98:99], v[94:95]
	s_waitcnt vmcnt(0)
	v_fma_f64 v[98:99], v[98:99], v[102:103], -v[104:105]
	v_fma_f64 v[94:95], v[100:101], v[102:103], v[94:95]
	v_add_f64 v[1:2], v[1:2], v[98:99]
	v_add_f64 v[3:4], v[3:4], v[94:95]
	s_andn2_b32 exec_lo, exec_lo, s4
	s_cbranch_execnz .LBB106_288
; %bb.289:
	s_or_b32 exec_lo, exec_lo, s4
.LBB106_290:
	s_or_b32 exec_lo, exec_lo, s51
	v_mov_b32_e32 v93, 0
	ds_read_b128 v[93:96], v93 offset:96
	s_waitcnt lgkmcnt(0)
	v_mul_f64 v[98:99], v[3:4], v[95:96]
	v_mul_f64 v[95:96], v[1:2], v[95:96]
	v_fma_f64 v[1:2], v[1:2], v[93:94], -v[98:99]
	v_fma_f64 v[3:4], v[3:4], v[93:94], v[95:96]
	buffer_store_dword v2, off, s[0:3], 0 offset:100
	buffer_store_dword v1, off, s[0:3], 0 offset:96
	;; [unrolled: 1-line block ×4, first 2 shown]
.LBB106_291:
	s_or_b32 exec_lo, exec_lo, s8
	v_mov_b32_e32 v4, s45
	v_cmp_lt_u32_e64 s4, 5, v0
	s_clause 0x3
	buffer_load_dword v1, v4, s[0:3], 0 offen
	buffer_load_dword v2, v4, s[0:3], 0 offen offset:4
	buffer_load_dword v3, v4, s[0:3], 0 offen offset:8
	;; [unrolled: 1-line block ×3, first 2 shown]
	s_waitcnt vmcnt(0)
	ds_write_b128 v92, v[1:4]
	s_waitcnt lgkmcnt(0)
	s_waitcnt_vscnt null, 0x0
	s_barrier
	buffer_gl0_inv
	s_and_saveexec_b32 s8, s4
	s_cbranch_execz .LBB106_299
; %bb.292:
	ds_read_b128 v[1:4], v92
	s_andn2_b32 vcc_lo, exec_lo, s50
	s_cbranch_vccnz .LBB106_294
; %bb.293:
	s_clause 0x3
	buffer_load_dword v93, v91, s[0:3], 0 offen offset:8
	buffer_load_dword v94, v91, s[0:3], 0 offen offset:12
	buffer_load_dword v95, v91, s[0:3], 0 offen
	buffer_load_dword v96, v91, s[0:3], 0 offen offset:4
	s_waitcnt vmcnt(2) lgkmcnt(0)
	v_mul_f64 v[98:99], v[3:4], v[93:94]
	v_mul_f64 v[93:94], v[1:2], v[93:94]
	s_waitcnt vmcnt(0)
	v_fma_f64 v[1:2], v[1:2], v[95:96], -v[98:99]
	v_fma_f64 v[3:4], v[3:4], v[95:96], v[93:94]
.LBB106_294:
	s_and_saveexec_b32 s51, s5
	s_cbranch_execz .LBB106_298
; %bb.295:
	v_add_nc_u32_e32 v93, -6, v0
	s_movk_i32 s52, 0x310
	s_mov_b32 s5, 0
	s_mov_b32 s53, s44
	.p2align	6
.LBB106_296:                            ; =>This Inner Loop Header: Depth=1
	v_mov_b32_e32 v96, s53
	v_add_nc_u32_e32 v93, -1, v93
	s_add_i32 s53, s53, 16
	s_clause 0x3
	buffer_load_dword v94, v96, s[0:3], 0 offen offset:8
	buffer_load_dword v95, v96, s[0:3], 0 offen offset:12
	buffer_load_dword v102, v96, s[0:3], 0 offen
	buffer_load_dword v103, v96, s[0:3], 0 offen offset:4
	v_mov_b32_e32 v96, s52
	v_cmp_eq_u32_e32 vcc_lo, 0, v93
	s_add_i32 s52, s52, 16
	ds_read_b128 v[98:101], v96
	s_or_b32 s5, vcc_lo, s5
	s_waitcnt vmcnt(2) lgkmcnt(0)
	v_mul_f64 v[104:105], v[100:101], v[94:95]
	v_mul_f64 v[94:95], v[98:99], v[94:95]
	s_waitcnt vmcnt(0)
	v_fma_f64 v[98:99], v[98:99], v[102:103], -v[104:105]
	v_fma_f64 v[94:95], v[100:101], v[102:103], v[94:95]
	v_add_f64 v[1:2], v[1:2], v[98:99]
	v_add_f64 v[3:4], v[3:4], v[94:95]
	s_andn2_b32 exec_lo, exec_lo, s5
	s_cbranch_execnz .LBB106_296
; %bb.297:
	s_or_b32 exec_lo, exec_lo, s5
.LBB106_298:
	s_or_b32 exec_lo, exec_lo, s51
	v_mov_b32_e32 v93, 0
	ds_read_b128 v[93:96], v93 offset:80
	s_waitcnt lgkmcnt(0)
	v_mul_f64 v[98:99], v[3:4], v[95:96]
	v_mul_f64 v[95:96], v[1:2], v[95:96]
	v_fma_f64 v[1:2], v[1:2], v[93:94], -v[98:99]
	v_fma_f64 v[3:4], v[3:4], v[93:94], v[95:96]
	buffer_store_dword v2, off, s[0:3], 0 offset:84
	buffer_store_dword v1, off, s[0:3], 0 offset:80
	;; [unrolled: 1-line block ×4, first 2 shown]
.LBB106_299:
	s_or_b32 exec_lo, exec_lo, s8
	v_mov_b32_e32 v4, s46
	v_cmp_lt_u32_e64 s5, 4, v0
	s_clause 0x3
	buffer_load_dword v1, v4, s[0:3], 0 offen
	buffer_load_dword v2, v4, s[0:3], 0 offen offset:4
	buffer_load_dword v3, v4, s[0:3], 0 offen offset:8
	;; [unrolled: 1-line block ×3, first 2 shown]
	s_waitcnt vmcnt(0)
	ds_write_b128 v92, v[1:4]
	s_waitcnt lgkmcnt(0)
	s_waitcnt_vscnt null, 0x0
	s_barrier
	buffer_gl0_inv
	s_and_saveexec_b32 s8, s5
	s_cbranch_execz .LBB106_307
; %bb.300:
	ds_read_b128 v[1:4], v92
	s_andn2_b32 vcc_lo, exec_lo, s50
	s_cbranch_vccnz .LBB106_302
; %bb.301:
	s_clause 0x3
	buffer_load_dword v93, v91, s[0:3], 0 offen offset:8
	buffer_load_dword v94, v91, s[0:3], 0 offen offset:12
	buffer_load_dword v95, v91, s[0:3], 0 offen
	buffer_load_dword v96, v91, s[0:3], 0 offen offset:4
	s_waitcnt vmcnt(2) lgkmcnt(0)
	v_mul_f64 v[98:99], v[3:4], v[93:94]
	v_mul_f64 v[93:94], v[1:2], v[93:94]
	s_waitcnt vmcnt(0)
	v_fma_f64 v[1:2], v[1:2], v[95:96], -v[98:99]
	v_fma_f64 v[3:4], v[3:4], v[95:96], v[93:94]
.LBB106_302:
	s_and_saveexec_b32 s51, s4
	s_cbranch_execz .LBB106_306
; %bb.303:
	v_add_nc_u32_e32 v93, -5, v0
	s_movk_i32 s52, 0x300
	s_mov_b32 s4, 0
	s_mov_b32 s53, s45
	.p2align	6
.LBB106_304:                            ; =>This Inner Loop Header: Depth=1
	v_mov_b32_e32 v96, s53
	v_add_nc_u32_e32 v93, -1, v93
	s_add_i32 s53, s53, 16
	s_clause 0x3
	buffer_load_dword v94, v96, s[0:3], 0 offen offset:8
	buffer_load_dword v95, v96, s[0:3], 0 offen offset:12
	buffer_load_dword v102, v96, s[0:3], 0 offen
	buffer_load_dword v103, v96, s[0:3], 0 offen offset:4
	v_mov_b32_e32 v96, s52
	v_cmp_eq_u32_e32 vcc_lo, 0, v93
	s_add_i32 s52, s52, 16
	ds_read_b128 v[98:101], v96
	s_or_b32 s4, vcc_lo, s4
	s_waitcnt vmcnt(2) lgkmcnt(0)
	v_mul_f64 v[104:105], v[100:101], v[94:95]
	v_mul_f64 v[94:95], v[98:99], v[94:95]
	s_waitcnt vmcnt(0)
	v_fma_f64 v[98:99], v[98:99], v[102:103], -v[104:105]
	v_fma_f64 v[94:95], v[100:101], v[102:103], v[94:95]
	v_add_f64 v[1:2], v[1:2], v[98:99]
	v_add_f64 v[3:4], v[3:4], v[94:95]
	s_andn2_b32 exec_lo, exec_lo, s4
	s_cbranch_execnz .LBB106_304
; %bb.305:
	s_or_b32 exec_lo, exec_lo, s4
.LBB106_306:
	s_or_b32 exec_lo, exec_lo, s51
	v_mov_b32_e32 v93, 0
	ds_read_b128 v[93:96], v93 offset:64
	s_waitcnt lgkmcnt(0)
	v_mul_f64 v[98:99], v[3:4], v[95:96]
	v_mul_f64 v[95:96], v[1:2], v[95:96]
	v_fma_f64 v[1:2], v[1:2], v[93:94], -v[98:99]
	v_fma_f64 v[3:4], v[3:4], v[93:94], v[95:96]
	buffer_store_dword v2, off, s[0:3], 0 offset:68
	buffer_store_dword v1, off, s[0:3], 0 offset:64
	;; [unrolled: 1-line block ×4, first 2 shown]
.LBB106_307:
	s_or_b32 exec_lo, exec_lo, s8
	v_mov_b32_e32 v4, s47
	v_cmp_lt_u32_e64 s4, 3, v0
	s_clause 0x3
	buffer_load_dword v1, v4, s[0:3], 0 offen
	buffer_load_dword v2, v4, s[0:3], 0 offen offset:4
	buffer_load_dword v3, v4, s[0:3], 0 offen offset:8
	;; [unrolled: 1-line block ×3, first 2 shown]
	s_waitcnt vmcnt(0)
	ds_write_b128 v92, v[1:4]
	s_waitcnt lgkmcnt(0)
	s_waitcnt_vscnt null, 0x0
	s_barrier
	buffer_gl0_inv
	s_and_saveexec_b32 s8, s4
	s_cbranch_execz .LBB106_315
; %bb.308:
	ds_read_b128 v[1:4], v92
	s_andn2_b32 vcc_lo, exec_lo, s50
	s_cbranch_vccnz .LBB106_310
; %bb.309:
	s_clause 0x3
	buffer_load_dword v93, v91, s[0:3], 0 offen offset:8
	buffer_load_dword v94, v91, s[0:3], 0 offen offset:12
	buffer_load_dword v95, v91, s[0:3], 0 offen
	buffer_load_dword v96, v91, s[0:3], 0 offen offset:4
	s_waitcnt vmcnt(2) lgkmcnt(0)
	v_mul_f64 v[98:99], v[3:4], v[93:94]
	v_mul_f64 v[93:94], v[1:2], v[93:94]
	s_waitcnt vmcnt(0)
	v_fma_f64 v[1:2], v[1:2], v[95:96], -v[98:99]
	v_fma_f64 v[3:4], v[3:4], v[95:96], v[93:94]
.LBB106_310:
	s_and_saveexec_b32 s51, s5
	s_cbranch_execz .LBB106_314
; %bb.311:
	v_add_nc_u32_e32 v93, -4, v0
	s_movk_i32 s52, 0x2f0
	s_mov_b32 s5, 0
	s_mov_b32 s53, s46
	.p2align	6
.LBB106_312:                            ; =>This Inner Loop Header: Depth=1
	v_mov_b32_e32 v96, s53
	v_add_nc_u32_e32 v93, -1, v93
	s_add_i32 s53, s53, 16
	s_clause 0x3
	buffer_load_dword v94, v96, s[0:3], 0 offen offset:8
	buffer_load_dword v95, v96, s[0:3], 0 offen offset:12
	buffer_load_dword v102, v96, s[0:3], 0 offen
	buffer_load_dword v103, v96, s[0:3], 0 offen offset:4
	v_mov_b32_e32 v96, s52
	v_cmp_eq_u32_e32 vcc_lo, 0, v93
	s_add_i32 s52, s52, 16
	ds_read_b128 v[98:101], v96
	s_or_b32 s5, vcc_lo, s5
	s_waitcnt vmcnt(2) lgkmcnt(0)
	v_mul_f64 v[104:105], v[100:101], v[94:95]
	v_mul_f64 v[94:95], v[98:99], v[94:95]
	s_waitcnt vmcnt(0)
	v_fma_f64 v[98:99], v[98:99], v[102:103], -v[104:105]
	v_fma_f64 v[94:95], v[100:101], v[102:103], v[94:95]
	v_add_f64 v[1:2], v[1:2], v[98:99]
	v_add_f64 v[3:4], v[3:4], v[94:95]
	s_andn2_b32 exec_lo, exec_lo, s5
	s_cbranch_execnz .LBB106_312
; %bb.313:
	s_or_b32 exec_lo, exec_lo, s5
.LBB106_314:
	s_or_b32 exec_lo, exec_lo, s51
	v_mov_b32_e32 v93, 0
	ds_read_b128 v[93:96], v93 offset:48
	s_waitcnt lgkmcnt(0)
	v_mul_f64 v[98:99], v[3:4], v[95:96]
	v_mul_f64 v[95:96], v[1:2], v[95:96]
	v_fma_f64 v[1:2], v[1:2], v[93:94], -v[98:99]
	v_fma_f64 v[3:4], v[3:4], v[93:94], v[95:96]
	buffer_store_dword v2, off, s[0:3], 0 offset:52
	buffer_store_dword v1, off, s[0:3], 0 offset:48
	;; [unrolled: 1-line block ×4, first 2 shown]
.LBB106_315:
	s_or_b32 exec_lo, exec_lo, s8
	v_mov_b32_e32 v4, s48
	v_cmp_lt_u32_e64 s5, 2, v0
	s_clause 0x3
	buffer_load_dword v1, v4, s[0:3], 0 offen
	buffer_load_dword v2, v4, s[0:3], 0 offen offset:4
	buffer_load_dword v3, v4, s[0:3], 0 offen offset:8
	;; [unrolled: 1-line block ×3, first 2 shown]
	s_waitcnt vmcnt(0)
	ds_write_b128 v92, v[1:4]
	s_waitcnt lgkmcnt(0)
	s_waitcnt_vscnt null, 0x0
	s_barrier
	buffer_gl0_inv
	s_and_saveexec_b32 s8, s5
	s_cbranch_execz .LBB106_323
; %bb.316:
	ds_read_b128 v[1:4], v92
	s_andn2_b32 vcc_lo, exec_lo, s50
	s_cbranch_vccnz .LBB106_318
; %bb.317:
	s_clause 0x3
	buffer_load_dword v93, v91, s[0:3], 0 offen offset:8
	buffer_load_dword v94, v91, s[0:3], 0 offen offset:12
	buffer_load_dword v95, v91, s[0:3], 0 offen
	buffer_load_dword v96, v91, s[0:3], 0 offen offset:4
	s_waitcnt vmcnt(2) lgkmcnt(0)
	v_mul_f64 v[98:99], v[3:4], v[93:94]
	v_mul_f64 v[93:94], v[1:2], v[93:94]
	s_waitcnt vmcnt(0)
	v_fma_f64 v[1:2], v[1:2], v[95:96], -v[98:99]
	v_fma_f64 v[3:4], v[3:4], v[95:96], v[93:94]
.LBB106_318:
	s_and_saveexec_b32 s51, s4
	s_cbranch_execz .LBB106_322
; %bb.319:
	v_add_nc_u32_e32 v93, -3, v0
	s_movk_i32 s52, 0x2e0
	s_mov_b32 s4, 0
	s_mov_b32 s53, s47
	.p2align	6
.LBB106_320:                            ; =>This Inner Loop Header: Depth=1
	v_mov_b32_e32 v96, s53
	v_add_nc_u32_e32 v93, -1, v93
	s_add_i32 s53, s53, 16
	s_clause 0x3
	buffer_load_dword v94, v96, s[0:3], 0 offen offset:8
	buffer_load_dword v95, v96, s[0:3], 0 offen offset:12
	buffer_load_dword v102, v96, s[0:3], 0 offen
	buffer_load_dword v103, v96, s[0:3], 0 offen offset:4
	v_mov_b32_e32 v96, s52
	v_cmp_eq_u32_e32 vcc_lo, 0, v93
	s_add_i32 s52, s52, 16
	ds_read_b128 v[98:101], v96
	s_or_b32 s4, vcc_lo, s4
	s_waitcnt vmcnt(2) lgkmcnt(0)
	v_mul_f64 v[104:105], v[100:101], v[94:95]
	v_mul_f64 v[94:95], v[98:99], v[94:95]
	s_waitcnt vmcnt(0)
	v_fma_f64 v[98:99], v[98:99], v[102:103], -v[104:105]
	v_fma_f64 v[94:95], v[100:101], v[102:103], v[94:95]
	v_add_f64 v[1:2], v[1:2], v[98:99]
	v_add_f64 v[3:4], v[3:4], v[94:95]
	s_andn2_b32 exec_lo, exec_lo, s4
	s_cbranch_execnz .LBB106_320
; %bb.321:
	s_or_b32 exec_lo, exec_lo, s4
.LBB106_322:
	s_or_b32 exec_lo, exec_lo, s51
	v_mov_b32_e32 v93, 0
	ds_read_b128 v[93:96], v93 offset:32
	s_waitcnt lgkmcnt(0)
	v_mul_f64 v[98:99], v[3:4], v[95:96]
	v_mul_f64 v[95:96], v[1:2], v[95:96]
	v_fma_f64 v[1:2], v[1:2], v[93:94], -v[98:99]
	v_fma_f64 v[3:4], v[3:4], v[93:94], v[95:96]
	buffer_store_dword v2, off, s[0:3], 0 offset:36
	buffer_store_dword v1, off, s[0:3], 0 offset:32
	;; [unrolled: 1-line block ×4, first 2 shown]
.LBB106_323:
	s_or_b32 exec_lo, exec_lo, s8
	v_mov_b32_e32 v4, s49
	v_cmp_lt_u32_e64 s4, 1, v0
	s_clause 0x3
	buffer_load_dword v1, v4, s[0:3], 0 offen
	buffer_load_dword v2, v4, s[0:3], 0 offen offset:4
	buffer_load_dword v3, v4, s[0:3], 0 offen offset:8
	;; [unrolled: 1-line block ×3, first 2 shown]
	s_waitcnt vmcnt(0)
	ds_write_b128 v92, v[1:4]
	s_waitcnt lgkmcnt(0)
	s_waitcnt_vscnt null, 0x0
	s_barrier
	buffer_gl0_inv
	s_and_saveexec_b32 s8, s4
	s_cbranch_execz .LBB106_331
; %bb.324:
	ds_read_b128 v[1:4], v92
	s_andn2_b32 vcc_lo, exec_lo, s50
	s_cbranch_vccnz .LBB106_326
; %bb.325:
	s_clause 0x3
	buffer_load_dword v93, v91, s[0:3], 0 offen offset:8
	buffer_load_dword v94, v91, s[0:3], 0 offen offset:12
	buffer_load_dword v95, v91, s[0:3], 0 offen
	buffer_load_dword v96, v91, s[0:3], 0 offen offset:4
	s_waitcnt vmcnt(2) lgkmcnt(0)
	v_mul_f64 v[98:99], v[3:4], v[93:94]
	v_mul_f64 v[93:94], v[1:2], v[93:94]
	s_waitcnt vmcnt(0)
	v_fma_f64 v[1:2], v[1:2], v[95:96], -v[98:99]
	v_fma_f64 v[3:4], v[3:4], v[95:96], v[93:94]
.LBB106_326:
	s_and_saveexec_b32 s51, s5
	s_cbranch_execz .LBB106_330
; %bb.327:
	v_add_nc_u32_e32 v93, -2, v0
	s_movk_i32 s52, 0x2d0
	s_mov_b32 s5, 0
	s_mov_b32 s53, s48
	.p2align	6
.LBB106_328:                            ; =>This Inner Loop Header: Depth=1
	v_mov_b32_e32 v96, s53
	v_add_nc_u32_e32 v93, -1, v93
	s_add_i32 s53, s53, 16
	s_clause 0x3
	buffer_load_dword v94, v96, s[0:3], 0 offen offset:8
	buffer_load_dword v95, v96, s[0:3], 0 offen offset:12
	buffer_load_dword v102, v96, s[0:3], 0 offen
	buffer_load_dword v103, v96, s[0:3], 0 offen offset:4
	v_mov_b32_e32 v96, s52
	v_cmp_eq_u32_e32 vcc_lo, 0, v93
	s_add_i32 s52, s52, 16
	ds_read_b128 v[98:101], v96
	s_or_b32 s5, vcc_lo, s5
	s_waitcnt vmcnt(2) lgkmcnt(0)
	v_mul_f64 v[104:105], v[100:101], v[94:95]
	v_mul_f64 v[94:95], v[98:99], v[94:95]
	s_waitcnt vmcnt(0)
	v_fma_f64 v[98:99], v[98:99], v[102:103], -v[104:105]
	v_fma_f64 v[94:95], v[100:101], v[102:103], v[94:95]
	v_add_f64 v[1:2], v[1:2], v[98:99]
	v_add_f64 v[3:4], v[3:4], v[94:95]
	s_andn2_b32 exec_lo, exec_lo, s5
	s_cbranch_execnz .LBB106_328
; %bb.329:
	s_or_b32 exec_lo, exec_lo, s5
.LBB106_330:
	s_or_b32 exec_lo, exec_lo, s51
	v_mov_b32_e32 v93, 0
	ds_read_b128 v[93:96], v93 offset:16
	s_waitcnt lgkmcnt(0)
	v_mul_f64 v[98:99], v[3:4], v[95:96]
	v_mul_f64 v[95:96], v[1:2], v[95:96]
	v_fma_f64 v[1:2], v[1:2], v[93:94], -v[98:99]
	v_fma_f64 v[3:4], v[3:4], v[93:94], v[95:96]
	buffer_store_dword v2, off, s[0:3], 0 offset:20
	buffer_store_dword v1, off, s[0:3], 0 offset:16
	;; [unrolled: 1-line block ×4, first 2 shown]
.LBB106_331:
	s_or_b32 exec_lo, exec_lo, s8
	s_clause 0x3
	buffer_load_dword v1, off, s[0:3], 0
	buffer_load_dword v2, off, s[0:3], 0 offset:4
	buffer_load_dword v3, off, s[0:3], 0 offset:8
	;; [unrolled: 1-line block ×3, first 2 shown]
	s_mov_b32 s8, 0
	s_mov_b32 s5, 0
	s_mov_b32 s51, exec_lo
                                        ; implicit-def: $sgpr52
	s_waitcnt vmcnt(0)
	ds_write_b128 v92, v[1:4]
	s_waitcnt lgkmcnt(0)
	s_waitcnt_vscnt null, 0x0
	s_barrier
	buffer_gl0_inv
                                        ; implicit-def: $vgpr1_vgpr2
	v_cmpx_ne_u32_e32 0, v0
	s_cbranch_execz .LBB106_339
; %bb.332:
	ds_read_b128 v[1:4], v92
	s_andn2_b32 vcc_lo, exec_lo, s50
	s_cbranch_vccnz .LBB106_334
; %bb.333:
	s_clause 0x3
	buffer_load_dword v93, v91, s[0:3], 0 offen offset:8
	buffer_load_dword v94, v91, s[0:3], 0 offen offset:12
	buffer_load_dword v95, v91, s[0:3], 0 offen
	buffer_load_dword v96, v91, s[0:3], 0 offen offset:4
	s_waitcnt vmcnt(2) lgkmcnt(0)
	v_mul_f64 v[98:99], v[3:4], v[93:94]
	v_mul_f64 v[93:94], v[1:2], v[93:94]
	s_waitcnt vmcnt(0)
	v_fma_f64 v[1:2], v[1:2], v[95:96], -v[98:99]
	v_fma_f64 v[3:4], v[3:4], v[95:96], v[93:94]
.LBB106_334:
	s_and_saveexec_b32 s5, s4
	s_cbranch_execz .LBB106_338
; %bb.335:
	v_add_nc_u32_e32 v93, -1, v0
	s_movk_i32 s52, 0x2c0
	s_mov_b32 s4, 0
	s_mov_b32 s53, s49
	.p2align	6
.LBB106_336:                            ; =>This Inner Loop Header: Depth=1
	v_mov_b32_e32 v96, s53
	v_add_nc_u32_e32 v93, -1, v93
	s_add_i32 s53, s53, 16
	s_clause 0x3
	buffer_load_dword v94, v96, s[0:3], 0 offen offset:8
	buffer_load_dword v95, v96, s[0:3], 0 offen offset:12
	buffer_load_dword v102, v96, s[0:3], 0 offen
	buffer_load_dword v103, v96, s[0:3], 0 offen offset:4
	v_mov_b32_e32 v96, s52
	v_cmp_eq_u32_e32 vcc_lo, 0, v93
	s_add_i32 s52, s52, 16
	ds_read_b128 v[98:101], v96
	s_or_b32 s4, vcc_lo, s4
	s_waitcnt vmcnt(2) lgkmcnt(0)
	v_mul_f64 v[104:105], v[100:101], v[94:95]
	v_mul_f64 v[94:95], v[98:99], v[94:95]
	s_waitcnt vmcnt(0)
	v_fma_f64 v[98:99], v[98:99], v[102:103], -v[104:105]
	v_fma_f64 v[94:95], v[100:101], v[102:103], v[94:95]
	v_add_f64 v[1:2], v[1:2], v[98:99]
	v_add_f64 v[3:4], v[3:4], v[94:95]
	s_andn2_b32 exec_lo, exec_lo, s4
	s_cbranch_execnz .LBB106_336
; %bb.337:
	s_or_b32 exec_lo, exec_lo, s4
.LBB106_338:
	s_or_b32 exec_lo, exec_lo, s5
	v_mov_b32_e32 v93, 0
	s_mov_b32 s5, exec_lo
	s_or_b32 s52, 0, 8
	ds_read_b128 v[93:96], v93
	s_waitcnt lgkmcnt(0)
	v_mul_f64 v[98:99], v[3:4], v[95:96]
	v_mul_f64 v[95:96], v[1:2], v[95:96]
	v_fma_f64 v[98:99], v[1:2], v[93:94], -v[98:99]
	v_fma_f64 v[1:2], v[3:4], v[93:94], v[95:96]
	buffer_store_dword v99, off, s[0:3], 0 offset:4
	buffer_store_dword v98, off, s[0:3], 0
.LBB106_339:
	s_or_b32 exec_lo, exec_lo, s51
	s_and_b32 vcc_lo, exec_lo, s8
	s_cbranch_vccnz .LBB106_341
	s_branch .LBB106_672
.LBB106_340:
	s_mov_b32 s5, 0
                                        ; implicit-def: $vgpr1_vgpr2
                                        ; implicit-def: $sgpr52
	s_cbranch_execz .LBB106_672
.LBB106_341:
	v_mov_b32_e32 v4, s49
	v_cmp_eq_u32_e64 s4, 0, v0
	v_cndmask_b32_e64 v93, 0, 1, s50
	s_clause 0x3
	buffer_load_dword v1, v4, s[0:3], 0 offen
	buffer_load_dword v2, v4, s[0:3], 0 offen offset:4
	buffer_load_dword v3, v4, s[0:3], 0 offen offset:8
	;; [unrolled: 1-line block ×3, first 2 shown]
	s_waitcnt vmcnt(0)
	ds_write_b128 v92, v[1:4]
	s_waitcnt lgkmcnt(0)
	s_waitcnt_vscnt null, 0x0
	s_barrier
	buffer_gl0_inv
	s_and_saveexec_b32 s8, s4
	s_cbranch_execz .LBB106_345
; %bb.342:
	ds_read_b128 v[1:4], v92
	s_andn2_b32 vcc_lo, exec_lo, s50
	s_cbranch_vccnz .LBB106_344
; %bb.343:
	s_clause 0x3
	buffer_load_dword v94, v91, s[0:3], 0 offen offset:8
	buffer_load_dword v95, v91, s[0:3], 0 offen offset:12
	buffer_load_dword v98, v91, s[0:3], 0 offen
	buffer_load_dword v99, v91, s[0:3], 0 offen offset:4
	s_waitcnt vmcnt(2) lgkmcnt(0)
	v_mul_f64 v[100:101], v[3:4], v[94:95]
	v_mul_f64 v[94:95], v[1:2], v[94:95]
	s_waitcnt vmcnt(0)
	v_fma_f64 v[1:2], v[1:2], v[98:99], -v[100:101]
	v_fma_f64 v[3:4], v[3:4], v[98:99], v[94:95]
.LBB106_344:
	v_mov_b32_e32 v94, 0
	ds_read_b128 v[98:101], v94 offset:16
	s_waitcnt lgkmcnt(0)
	v_mul_f64 v[94:95], v[3:4], v[100:101]
	v_mul_f64 v[100:101], v[1:2], v[100:101]
	v_fma_f64 v[1:2], v[1:2], v[98:99], -v[94:95]
	v_fma_f64 v[3:4], v[3:4], v[98:99], v[100:101]
	buffer_store_dword v2, off, s[0:3], 0 offset:20
	buffer_store_dword v1, off, s[0:3], 0 offset:16
	;; [unrolled: 1-line block ×4, first 2 shown]
.LBB106_345:
	s_or_b32 exec_lo, exec_lo, s8
	v_mov_b32_e32 v4, s48
	s_mov_b32 s8, exec_lo
	s_clause 0x3
	buffer_load_dword v1, v4, s[0:3], 0 offen
	buffer_load_dword v2, v4, s[0:3], 0 offen offset:4
	buffer_load_dword v3, v4, s[0:3], 0 offen offset:8
	;; [unrolled: 1-line block ×3, first 2 shown]
	s_waitcnt vmcnt(0)
	ds_write_b128 v92, v[1:4]
	s_waitcnt lgkmcnt(0)
	s_waitcnt_vscnt null, 0x0
	s_barrier
	buffer_gl0_inv
	v_cmpx_gt_u32_e32 2, v0
	s_cbranch_execz .LBB106_351
; %bb.346:
	ds_read_b128 v[1:4], v92
	v_cmp_ne_u32_e32 vcc_lo, 1, v93
	s_cbranch_vccnz .LBB106_348
; %bb.347:
	s_clause 0x3
	buffer_load_dword v94, v91, s[0:3], 0 offen offset:8
	buffer_load_dword v95, v91, s[0:3], 0 offen offset:12
	buffer_load_dword v98, v91, s[0:3], 0 offen
	buffer_load_dword v99, v91, s[0:3], 0 offen offset:4
	s_waitcnt vmcnt(2) lgkmcnt(0)
	v_mul_f64 v[100:101], v[3:4], v[94:95]
	v_mul_f64 v[94:95], v[1:2], v[94:95]
	s_waitcnt vmcnt(0)
	v_fma_f64 v[1:2], v[1:2], v[98:99], -v[100:101]
	v_fma_f64 v[3:4], v[3:4], v[98:99], v[94:95]
.LBB106_348:
	s_and_saveexec_b32 s50, s4
	s_cbranch_execz .LBB106_350
; %bb.349:
	s_clause 0x3
	buffer_load_dword v94, off, s[0:3], 0 offset:24
	buffer_load_dword v95, off, s[0:3], 0 offset:28
	;; [unrolled: 1-line block ×4, first 2 shown]
	v_mov_b32_e32 v96, 0
	ds_read_b128 v[98:101], v96 offset:704
	s_waitcnt vmcnt(2) lgkmcnt(0)
	v_mul_f64 v[104:105], v[100:101], v[94:95]
	v_mul_f64 v[94:95], v[98:99], v[94:95]
	s_waitcnt vmcnt(0)
	v_fma_f64 v[98:99], v[98:99], v[102:103], -v[104:105]
	v_fma_f64 v[94:95], v[100:101], v[102:103], v[94:95]
	v_add_f64 v[1:2], v[1:2], v[98:99]
	v_add_f64 v[3:4], v[3:4], v[94:95]
.LBB106_350:
	s_or_b32 exec_lo, exec_lo, s50
	v_mov_b32_e32 v94, 0
	ds_read_b128 v[98:101], v94 offset:32
	s_waitcnt lgkmcnt(0)
	v_mul_f64 v[94:95], v[3:4], v[100:101]
	v_mul_f64 v[100:101], v[1:2], v[100:101]
	v_fma_f64 v[1:2], v[1:2], v[98:99], -v[94:95]
	v_fma_f64 v[3:4], v[3:4], v[98:99], v[100:101]
	buffer_store_dword v2, off, s[0:3], 0 offset:36
	buffer_store_dword v1, off, s[0:3], 0 offset:32
	;; [unrolled: 1-line block ×4, first 2 shown]
.LBB106_351:
	s_or_b32 exec_lo, exec_lo, s8
	v_mov_b32_e32 v4, s47
	s_mov_b32 s8, exec_lo
	s_clause 0x3
	buffer_load_dword v1, v4, s[0:3], 0 offen
	buffer_load_dword v2, v4, s[0:3], 0 offen offset:4
	buffer_load_dword v3, v4, s[0:3], 0 offen offset:8
	;; [unrolled: 1-line block ×3, first 2 shown]
	s_waitcnt vmcnt(0)
	ds_write_b128 v92, v[1:4]
	s_waitcnt lgkmcnt(0)
	s_waitcnt_vscnt null, 0x0
	s_barrier
	buffer_gl0_inv
	v_cmpx_gt_u32_e32 3, v0
	s_cbranch_execz .LBB106_359
; %bb.352:
	ds_read_b128 v[1:4], v92
	v_cmp_ne_u32_e32 vcc_lo, 1, v93
	s_cbranch_vccnz .LBB106_354
; %bb.353:
	s_clause 0x3
	buffer_load_dword v94, v91, s[0:3], 0 offen offset:8
	buffer_load_dword v95, v91, s[0:3], 0 offen offset:12
	buffer_load_dword v98, v91, s[0:3], 0 offen
	buffer_load_dword v99, v91, s[0:3], 0 offen offset:4
	s_waitcnt vmcnt(2) lgkmcnt(0)
	v_mul_f64 v[100:101], v[3:4], v[94:95]
	v_mul_f64 v[94:95], v[1:2], v[94:95]
	s_waitcnt vmcnt(0)
	v_fma_f64 v[1:2], v[1:2], v[98:99], -v[100:101]
	v_fma_f64 v[3:4], v[3:4], v[98:99], v[94:95]
.LBB106_354:
	s_mov_b32 s50, exec_lo
	v_cmpx_ne_u32_e32 2, v0
	s_cbranch_execz .LBB106_358
; %bb.355:
	s_clause 0x3
	buffer_load_dword v94, v91, s[0:3], 0 offen offset:24
	buffer_load_dword v95, v91, s[0:3], 0 offen offset:28
	;; [unrolled: 1-line block ×4, first 2 shown]
	ds_read_b128 v[98:101], v92 offset:16
	s_waitcnt vmcnt(2) lgkmcnt(0)
	v_mul_f64 v[104:105], v[100:101], v[94:95]
	v_mul_f64 v[94:95], v[98:99], v[94:95]
	s_waitcnt vmcnt(0)
	v_fma_f64 v[98:99], v[98:99], v[102:103], -v[104:105]
	v_fma_f64 v[94:95], v[100:101], v[102:103], v[94:95]
	v_add_f64 v[1:2], v[1:2], v[98:99]
	v_add_f64 v[3:4], v[3:4], v[94:95]
	s_and_saveexec_b32 s51, s4
	s_cbranch_execz .LBB106_357
; %bb.356:
	s_clause 0x3
	buffer_load_dword v94, off, s[0:3], 0 offset:40
	buffer_load_dword v95, off, s[0:3], 0 offset:44
	;; [unrolled: 1-line block ×4, first 2 shown]
	v_mov_b32_e32 v96, 0
	ds_read_b128 v[98:101], v96 offset:720
	s_waitcnt vmcnt(2) lgkmcnt(0)
	v_mul_f64 v[104:105], v[98:99], v[94:95]
	v_mul_f64 v[94:95], v[100:101], v[94:95]
	s_waitcnt vmcnt(0)
	v_fma_f64 v[100:101], v[100:101], v[102:103], v[104:105]
	v_fma_f64 v[94:95], v[98:99], v[102:103], -v[94:95]
	v_add_f64 v[3:4], v[3:4], v[100:101]
	v_add_f64 v[1:2], v[1:2], v[94:95]
.LBB106_357:
	s_or_b32 exec_lo, exec_lo, s51
.LBB106_358:
	s_or_b32 exec_lo, exec_lo, s50
	v_mov_b32_e32 v94, 0
	ds_read_b128 v[98:101], v94 offset:48
	s_waitcnt lgkmcnt(0)
	v_mul_f64 v[94:95], v[3:4], v[100:101]
	v_mul_f64 v[100:101], v[1:2], v[100:101]
	v_fma_f64 v[1:2], v[1:2], v[98:99], -v[94:95]
	v_fma_f64 v[3:4], v[3:4], v[98:99], v[100:101]
	buffer_store_dword v2, off, s[0:3], 0 offset:52
	buffer_store_dword v1, off, s[0:3], 0 offset:48
	;; [unrolled: 1-line block ×4, first 2 shown]
.LBB106_359:
	s_or_b32 exec_lo, exec_lo, s8
	v_mov_b32_e32 v4, s46
	s_mov_b32 s4, exec_lo
	s_clause 0x3
	buffer_load_dword v1, v4, s[0:3], 0 offen
	buffer_load_dword v2, v4, s[0:3], 0 offen offset:4
	buffer_load_dword v3, v4, s[0:3], 0 offen offset:8
	;; [unrolled: 1-line block ×3, first 2 shown]
	s_waitcnt vmcnt(0)
	ds_write_b128 v92, v[1:4]
	s_waitcnt lgkmcnt(0)
	s_waitcnt_vscnt null, 0x0
	s_barrier
	buffer_gl0_inv
	v_cmpx_gt_u32_e32 4, v0
	s_cbranch_execz .LBB106_367
; %bb.360:
	ds_read_b128 v[1:4], v92
	v_cmp_ne_u32_e32 vcc_lo, 1, v93
	s_cbranch_vccnz .LBB106_362
; %bb.361:
	s_clause 0x3
	buffer_load_dword v94, v91, s[0:3], 0 offen offset:8
	buffer_load_dword v95, v91, s[0:3], 0 offen offset:12
	buffer_load_dword v98, v91, s[0:3], 0 offen
	buffer_load_dword v99, v91, s[0:3], 0 offen offset:4
	s_waitcnt vmcnt(2) lgkmcnt(0)
	v_mul_f64 v[100:101], v[3:4], v[94:95]
	v_mul_f64 v[94:95], v[1:2], v[94:95]
	s_waitcnt vmcnt(0)
	v_fma_f64 v[1:2], v[1:2], v[98:99], -v[100:101]
	v_fma_f64 v[3:4], v[3:4], v[98:99], v[94:95]
.LBB106_362:
	s_mov_b32 s8, exec_lo
	v_cmpx_ne_u32_e32 3, v0
	s_cbranch_execz .LBB106_366
; %bb.363:
	v_add_nc_u32_e32 v94, 0x2c0, v97
	v_add3_u32 v95, 0, v97, 16
	v_mov_b32_e32 v96, v0
	s_mov_b32 s50, 0
	.p2align	6
.LBB106_364:                            ; =>This Inner Loop Header: Depth=1
	s_clause 0x3
	buffer_load_dword v102, v95, s[0:3], 0 offen offset:8
	buffer_load_dword v103, v95, s[0:3], 0 offen offset:12
	buffer_load_dword v104, v95, s[0:3], 0 offen
	buffer_load_dword v105, v95, s[0:3], 0 offen offset:4
	ds_read_b128 v[98:101], v94
	v_add_nc_u32_e32 v96, 1, v96
	v_add_nc_u32_e32 v94, 16, v94
	;; [unrolled: 1-line block ×3, first 2 shown]
	v_cmp_lt_u32_e32 vcc_lo, 2, v96
	s_or_b32 s50, vcc_lo, s50
	s_waitcnt vmcnt(2) lgkmcnt(0)
	v_mul_f64 v[106:107], v[100:101], v[102:103]
	v_mul_f64 v[102:103], v[98:99], v[102:103]
	s_waitcnt vmcnt(0)
	v_fma_f64 v[98:99], v[98:99], v[104:105], -v[106:107]
	v_fma_f64 v[100:101], v[100:101], v[104:105], v[102:103]
	v_add_f64 v[1:2], v[1:2], v[98:99]
	v_add_f64 v[3:4], v[3:4], v[100:101]
	s_andn2_b32 exec_lo, exec_lo, s50
	s_cbranch_execnz .LBB106_364
; %bb.365:
	s_or_b32 exec_lo, exec_lo, s50
.LBB106_366:
	s_or_b32 exec_lo, exec_lo, s8
	v_mov_b32_e32 v94, 0
	ds_read_b128 v[98:101], v94 offset:64
	s_waitcnt lgkmcnt(0)
	v_mul_f64 v[94:95], v[3:4], v[100:101]
	v_mul_f64 v[100:101], v[1:2], v[100:101]
	v_fma_f64 v[1:2], v[1:2], v[98:99], -v[94:95]
	v_fma_f64 v[3:4], v[3:4], v[98:99], v[100:101]
	buffer_store_dword v2, off, s[0:3], 0 offset:68
	buffer_store_dword v1, off, s[0:3], 0 offset:64
	;; [unrolled: 1-line block ×4, first 2 shown]
.LBB106_367:
	s_or_b32 exec_lo, exec_lo, s4
	v_mov_b32_e32 v4, s45
	s_mov_b32 s4, exec_lo
	s_clause 0x3
	buffer_load_dword v1, v4, s[0:3], 0 offen
	buffer_load_dword v2, v4, s[0:3], 0 offen offset:4
	buffer_load_dword v3, v4, s[0:3], 0 offen offset:8
	buffer_load_dword v4, v4, s[0:3], 0 offen offset:12
	s_waitcnt vmcnt(0)
	ds_write_b128 v92, v[1:4]
	s_waitcnt lgkmcnt(0)
	s_waitcnt_vscnt null, 0x0
	s_barrier
	buffer_gl0_inv
	v_cmpx_gt_u32_e32 5, v0
	s_cbranch_execz .LBB106_375
; %bb.368:
	ds_read_b128 v[1:4], v92
	v_cmp_ne_u32_e32 vcc_lo, 1, v93
	s_cbranch_vccnz .LBB106_370
; %bb.369:
	s_clause 0x3
	buffer_load_dword v94, v91, s[0:3], 0 offen offset:8
	buffer_load_dword v95, v91, s[0:3], 0 offen offset:12
	buffer_load_dword v98, v91, s[0:3], 0 offen
	buffer_load_dword v99, v91, s[0:3], 0 offen offset:4
	s_waitcnt vmcnt(2) lgkmcnt(0)
	v_mul_f64 v[100:101], v[3:4], v[94:95]
	v_mul_f64 v[94:95], v[1:2], v[94:95]
	s_waitcnt vmcnt(0)
	v_fma_f64 v[1:2], v[1:2], v[98:99], -v[100:101]
	v_fma_f64 v[3:4], v[3:4], v[98:99], v[94:95]
.LBB106_370:
	s_mov_b32 s8, exec_lo
	v_cmpx_ne_u32_e32 4, v0
	s_cbranch_execz .LBB106_374
; %bb.371:
	v_add_nc_u32_e32 v94, 0x2c0, v97
	v_add3_u32 v95, 0, v97, 16
	v_mov_b32_e32 v96, v0
	s_mov_b32 s50, 0
	.p2align	6
.LBB106_372:                            ; =>This Inner Loop Header: Depth=1
	s_clause 0x3
	buffer_load_dword v102, v95, s[0:3], 0 offen offset:8
	buffer_load_dword v103, v95, s[0:3], 0 offen offset:12
	buffer_load_dword v104, v95, s[0:3], 0 offen
	buffer_load_dword v105, v95, s[0:3], 0 offen offset:4
	ds_read_b128 v[98:101], v94
	v_add_nc_u32_e32 v96, 1, v96
	v_add_nc_u32_e32 v94, 16, v94
	;; [unrolled: 1-line block ×3, first 2 shown]
	v_cmp_lt_u32_e32 vcc_lo, 3, v96
	s_or_b32 s50, vcc_lo, s50
	s_waitcnt vmcnt(2) lgkmcnt(0)
	v_mul_f64 v[106:107], v[100:101], v[102:103]
	v_mul_f64 v[102:103], v[98:99], v[102:103]
	s_waitcnt vmcnt(0)
	v_fma_f64 v[98:99], v[98:99], v[104:105], -v[106:107]
	v_fma_f64 v[100:101], v[100:101], v[104:105], v[102:103]
	v_add_f64 v[1:2], v[1:2], v[98:99]
	v_add_f64 v[3:4], v[3:4], v[100:101]
	s_andn2_b32 exec_lo, exec_lo, s50
	s_cbranch_execnz .LBB106_372
; %bb.373:
	s_or_b32 exec_lo, exec_lo, s50
.LBB106_374:
	s_or_b32 exec_lo, exec_lo, s8
	v_mov_b32_e32 v94, 0
	ds_read_b128 v[98:101], v94 offset:80
	s_waitcnt lgkmcnt(0)
	v_mul_f64 v[94:95], v[3:4], v[100:101]
	v_mul_f64 v[100:101], v[1:2], v[100:101]
	v_fma_f64 v[1:2], v[1:2], v[98:99], -v[94:95]
	v_fma_f64 v[3:4], v[3:4], v[98:99], v[100:101]
	buffer_store_dword v2, off, s[0:3], 0 offset:84
	buffer_store_dword v1, off, s[0:3], 0 offset:80
	;; [unrolled: 1-line block ×4, first 2 shown]
.LBB106_375:
	s_or_b32 exec_lo, exec_lo, s4
	v_mov_b32_e32 v4, s44
	s_mov_b32 s4, exec_lo
	s_clause 0x3
	buffer_load_dword v1, v4, s[0:3], 0 offen
	buffer_load_dword v2, v4, s[0:3], 0 offen offset:4
	buffer_load_dword v3, v4, s[0:3], 0 offen offset:8
	buffer_load_dword v4, v4, s[0:3], 0 offen offset:12
	s_waitcnt vmcnt(0)
	ds_write_b128 v92, v[1:4]
	s_waitcnt lgkmcnt(0)
	s_waitcnt_vscnt null, 0x0
	s_barrier
	buffer_gl0_inv
	v_cmpx_gt_u32_e32 6, v0
	s_cbranch_execz .LBB106_383
; %bb.376:
	ds_read_b128 v[1:4], v92
	v_cmp_ne_u32_e32 vcc_lo, 1, v93
	s_cbranch_vccnz .LBB106_378
; %bb.377:
	s_clause 0x3
	buffer_load_dword v94, v91, s[0:3], 0 offen offset:8
	buffer_load_dword v95, v91, s[0:3], 0 offen offset:12
	buffer_load_dword v98, v91, s[0:3], 0 offen
	buffer_load_dword v99, v91, s[0:3], 0 offen offset:4
	s_waitcnt vmcnt(2) lgkmcnt(0)
	v_mul_f64 v[100:101], v[3:4], v[94:95]
	v_mul_f64 v[94:95], v[1:2], v[94:95]
	s_waitcnt vmcnt(0)
	v_fma_f64 v[1:2], v[1:2], v[98:99], -v[100:101]
	v_fma_f64 v[3:4], v[3:4], v[98:99], v[94:95]
.LBB106_378:
	s_mov_b32 s8, exec_lo
	v_cmpx_ne_u32_e32 5, v0
	s_cbranch_execz .LBB106_382
; %bb.379:
	v_add_nc_u32_e32 v94, 0x2c0, v97
	v_add3_u32 v95, 0, v97, 16
	v_mov_b32_e32 v96, v0
	s_mov_b32 s50, 0
	.p2align	6
.LBB106_380:                            ; =>This Inner Loop Header: Depth=1
	s_clause 0x3
	buffer_load_dword v102, v95, s[0:3], 0 offen offset:8
	buffer_load_dword v103, v95, s[0:3], 0 offen offset:12
	buffer_load_dword v104, v95, s[0:3], 0 offen
	buffer_load_dword v105, v95, s[0:3], 0 offen offset:4
	ds_read_b128 v[98:101], v94
	v_add_nc_u32_e32 v96, 1, v96
	v_add_nc_u32_e32 v94, 16, v94
	;; [unrolled: 1-line block ×3, first 2 shown]
	v_cmp_lt_u32_e32 vcc_lo, 4, v96
	s_or_b32 s50, vcc_lo, s50
	s_waitcnt vmcnt(2) lgkmcnt(0)
	v_mul_f64 v[106:107], v[100:101], v[102:103]
	v_mul_f64 v[102:103], v[98:99], v[102:103]
	s_waitcnt vmcnt(0)
	v_fma_f64 v[98:99], v[98:99], v[104:105], -v[106:107]
	v_fma_f64 v[100:101], v[100:101], v[104:105], v[102:103]
	v_add_f64 v[1:2], v[1:2], v[98:99]
	v_add_f64 v[3:4], v[3:4], v[100:101]
	s_andn2_b32 exec_lo, exec_lo, s50
	s_cbranch_execnz .LBB106_380
; %bb.381:
	s_or_b32 exec_lo, exec_lo, s50
.LBB106_382:
	s_or_b32 exec_lo, exec_lo, s8
	v_mov_b32_e32 v94, 0
	ds_read_b128 v[98:101], v94 offset:96
	s_waitcnt lgkmcnt(0)
	v_mul_f64 v[94:95], v[3:4], v[100:101]
	v_mul_f64 v[100:101], v[1:2], v[100:101]
	v_fma_f64 v[1:2], v[1:2], v[98:99], -v[94:95]
	v_fma_f64 v[3:4], v[3:4], v[98:99], v[100:101]
	buffer_store_dword v2, off, s[0:3], 0 offset:100
	buffer_store_dword v1, off, s[0:3], 0 offset:96
	;; [unrolled: 1-line block ×4, first 2 shown]
.LBB106_383:
	s_or_b32 exec_lo, exec_lo, s4
	v_mov_b32_e32 v4, s43
	s_mov_b32 s4, exec_lo
	s_clause 0x3
	buffer_load_dword v1, v4, s[0:3], 0 offen
	buffer_load_dword v2, v4, s[0:3], 0 offen offset:4
	buffer_load_dword v3, v4, s[0:3], 0 offen offset:8
	;; [unrolled: 1-line block ×3, first 2 shown]
	s_waitcnt vmcnt(0)
	ds_write_b128 v92, v[1:4]
	s_waitcnt lgkmcnt(0)
	s_waitcnt_vscnt null, 0x0
	s_barrier
	buffer_gl0_inv
	v_cmpx_gt_u32_e32 7, v0
	s_cbranch_execz .LBB106_391
; %bb.384:
	ds_read_b128 v[1:4], v92
	v_cmp_ne_u32_e32 vcc_lo, 1, v93
	s_cbranch_vccnz .LBB106_386
; %bb.385:
	s_clause 0x3
	buffer_load_dword v94, v91, s[0:3], 0 offen offset:8
	buffer_load_dword v95, v91, s[0:3], 0 offen offset:12
	buffer_load_dword v98, v91, s[0:3], 0 offen
	buffer_load_dword v99, v91, s[0:3], 0 offen offset:4
	s_waitcnt vmcnt(2) lgkmcnt(0)
	v_mul_f64 v[100:101], v[3:4], v[94:95]
	v_mul_f64 v[94:95], v[1:2], v[94:95]
	s_waitcnt vmcnt(0)
	v_fma_f64 v[1:2], v[1:2], v[98:99], -v[100:101]
	v_fma_f64 v[3:4], v[3:4], v[98:99], v[94:95]
.LBB106_386:
	s_mov_b32 s8, exec_lo
	v_cmpx_ne_u32_e32 6, v0
	s_cbranch_execz .LBB106_390
; %bb.387:
	v_add_nc_u32_e32 v94, 0x2c0, v97
	v_add3_u32 v95, 0, v97, 16
	v_mov_b32_e32 v96, v0
	s_mov_b32 s50, 0
	.p2align	6
.LBB106_388:                            ; =>This Inner Loop Header: Depth=1
	s_clause 0x3
	buffer_load_dword v102, v95, s[0:3], 0 offen offset:8
	buffer_load_dword v103, v95, s[0:3], 0 offen offset:12
	buffer_load_dword v104, v95, s[0:3], 0 offen
	buffer_load_dword v105, v95, s[0:3], 0 offen offset:4
	ds_read_b128 v[98:101], v94
	v_add_nc_u32_e32 v96, 1, v96
	v_add_nc_u32_e32 v94, 16, v94
	v_add_nc_u32_e32 v95, 16, v95
	v_cmp_lt_u32_e32 vcc_lo, 5, v96
	s_or_b32 s50, vcc_lo, s50
	s_waitcnt vmcnt(2) lgkmcnt(0)
	v_mul_f64 v[106:107], v[100:101], v[102:103]
	v_mul_f64 v[102:103], v[98:99], v[102:103]
	s_waitcnt vmcnt(0)
	v_fma_f64 v[98:99], v[98:99], v[104:105], -v[106:107]
	v_fma_f64 v[100:101], v[100:101], v[104:105], v[102:103]
	v_add_f64 v[1:2], v[1:2], v[98:99]
	v_add_f64 v[3:4], v[3:4], v[100:101]
	s_andn2_b32 exec_lo, exec_lo, s50
	s_cbranch_execnz .LBB106_388
; %bb.389:
	s_or_b32 exec_lo, exec_lo, s50
.LBB106_390:
	s_or_b32 exec_lo, exec_lo, s8
	v_mov_b32_e32 v94, 0
	ds_read_b128 v[98:101], v94 offset:112
	s_waitcnt lgkmcnt(0)
	v_mul_f64 v[94:95], v[3:4], v[100:101]
	v_mul_f64 v[100:101], v[1:2], v[100:101]
	v_fma_f64 v[1:2], v[1:2], v[98:99], -v[94:95]
	v_fma_f64 v[3:4], v[3:4], v[98:99], v[100:101]
	buffer_store_dword v2, off, s[0:3], 0 offset:116
	buffer_store_dword v1, off, s[0:3], 0 offset:112
	;; [unrolled: 1-line block ×4, first 2 shown]
.LBB106_391:
	s_or_b32 exec_lo, exec_lo, s4
	v_mov_b32_e32 v4, s42
	s_mov_b32 s4, exec_lo
	s_clause 0x3
	buffer_load_dword v1, v4, s[0:3], 0 offen
	buffer_load_dword v2, v4, s[0:3], 0 offen offset:4
	buffer_load_dword v3, v4, s[0:3], 0 offen offset:8
	;; [unrolled: 1-line block ×3, first 2 shown]
	s_waitcnt vmcnt(0)
	ds_write_b128 v92, v[1:4]
	s_waitcnt lgkmcnt(0)
	s_waitcnt_vscnt null, 0x0
	s_barrier
	buffer_gl0_inv
	v_cmpx_gt_u32_e32 8, v0
	s_cbranch_execz .LBB106_399
; %bb.392:
	ds_read_b128 v[1:4], v92
	v_cmp_ne_u32_e32 vcc_lo, 1, v93
	s_cbranch_vccnz .LBB106_394
; %bb.393:
	s_clause 0x3
	buffer_load_dword v94, v91, s[0:3], 0 offen offset:8
	buffer_load_dword v95, v91, s[0:3], 0 offen offset:12
	buffer_load_dword v98, v91, s[0:3], 0 offen
	buffer_load_dword v99, v91, s[0:3], 0 offen offset:4
	s_waitcnt vmcnt(2) lgkmcnt(0)
	v_mul_f64 v[100:101], v[3:4], v[94:95]
	v_mul_f64 v[94:95], v[1:2], v[94:95]
	s_waitcnt vmcnt(0)
	v_fma_f64 v[1:2], v[1:2], v[98:99], -v[100:101]
	v_fma_f64 v[3:4], v[3:4], v[98:99], v[94:95]
.LBB106_394:
	s_mov_b32 s8, exec_lo
	v_cmpx_ne_u32_e32 7, v0
	s_cbranch_execz .LBB106_398
; %bb.395:
	v_add_nc_u32_e32 v94, 0x2c0, v97
	v_add3_u32 v95, 0, v97, 16
	v_mov_b32_e32 v96, v0
	s_mov_b32 s50, 0
	.p2align	6
.LBB106_396:                            ; =>This Inner Loop Header: Depth=1
	s_clause 0x3
	buffer_load_dword v102, v95, s[0:3], 0 offen offset:8
	buffer_load_dword v103, v95, s[0:3], 0 offen offset:12
	buffer_load_dword v104, v95, s[0:3], 0 offen
	buffer_load_dword v105, v95, s[0:3], 0 offen offset:4
	ds_read_b128 v[98:101], v94
	v_add_nc_u32_e32 v96, 1, v96
	v_add_nc_u32_e32 v94, 16, v94
	;; [unrolled: 1-line block ×3, first 2 shown]
	v_cmp_lt_u32_e32 vcc_lo, 6, v96
	s_or_b32 s50, vcc_lo, s50
	s_waitcnt vmcnt(2) lgkmcnt(0)
	v_mul_f64 v[106:107], v[100:101], v[102:103]
	v_mul_f64 v[102:103], v[98:99], v[102:103]
	s_waitcnt vmcnt(0)
	v_fma_f64 v[98:99], v[98:99], v[104:105], -v[106:107]
	v_fma_f64 v[100:101], v[100:101], v[104:105], v[102:103]
	v_add_f64 v[1:2], v[1:2], v[98:99]
	v_add_f64 v[3:4], v[3:4], v[100:101]
	s_andn2_b32 exec_lo, exec_lo, s50
	s_cbranch_execnz .LBB106_396
; %bb.397:
	s_or_b32 exec_lo, exec_lo, s50
.LBB106_398:
	s_or_b32 exec_lo, exec_lo, s8
	v_mov_b32_e32 v94, 0
	ds_read_b128 v[98:101], v94 offset:128
	s_waitcnt lgkmcnt(0)
	v_mul_f64 v[94:95], v[3:4], v[100:101]
	v_mul_f64 v[100:101], v[1:2], v[100:101]
	v_fma_f64 v[1:2], v[1:2], v[98:99], -v[94:95]
	v_fma_f64 v[3:4], v[3:4], v[98:99], v[100:101]
	buffer_store_dword v2, off, s[0:3], 0 offset:132
	buffer_store_dword v1, off, s[0:3], 0 offset:128
	;; [unrolled: 1-line block ×4, first 2 shown]
.LBB106_399:
	s_or_b32 exec_lo, exec_lo, s4
	v_mov_b32_e32 v4, s41
	s_mov_b32 s4, exec_lo
	s_clause 0x3
	buffer_load_dword v1, v4, s[0:3], 0 offen
	buffer_load_dword v2, v4, s[0:3], 0 offen offset:4
	buffer_load_dword v3, v4, s[0:3], 0 offen offset:8
	;; [unrolled: 1-line block ×3, first 2 shown]
	s_waitcnt vmcnt(0)
	ds_write_b128 v92, v[1:4]
	s_waitcnt lgkmcnt(0)
	s_waitcnt_vscnt null, 0x0
	s_barrier
	buffer_gl0_inv
	v_cmpx_gt_u32_e32 9, v0
	s_cbranch_execz .LBB106_407
; %bb.400:
	ds_read_b128 v[1:4], v92
	v_cmp_ne_u32_e32 vcc_lo, 1, v93
	s_cbranch_vccnz .LBB106_402
; %bb.401:
	s_clause 0x3
	buffer_load_dword v94, v91, s[0:3], 0 offen offset:8
	buffer_load_dword v95, v91, s[0:3], 0 offen offset:12
	buffer_load_dword v98, v91, s[0:3], 0 offen
	buffer_load_dword v99, v91, s[0:3], 0 offen offset:4
	s_waitcnt vmcnt(2) lgkmcnt(0)
	v_mul_f64 v[100:101], v[3:4], v[94:95]
	v_mul_f64 v[94:95], v[1:2], v[94:95]
	s_waitcnt vmcnt(0)
	v_fma_f64 v[1:2], v[1:2], v[98:99], -v[100:101]
	v_fma_f64 v[3:4], v[3:4], v[98:99], v[94:95]
.LBB106_402:
	s_mov_b32 s8, exec_lo
	v_cmpx_ne_u32_e32 8, v0
	s_cbranch_execz .LBB106_406
; %bb.403:
	v_add_nc_u32_e32 v94, 0x2c0, v97
	v_add3_u32 v95, 0, v97, 16
	v_mov_b32_e32 v96, v0
	s_mov_b32 s50, 0
	.p2align	6
.LBB106_404:                            ; =>This Inner Loop Header: Depth=1
	s_clause 0x3
	buffer_load_dword v102, v95, s[0:3], 0 offen offset:8
	buffer_load_dword v103, v95, s[0:3], 0 offen offset:12
	buffer_load_dword v104, v95, s[0:3], 0 offen
	buffer_load_dword v105, v95, s[0:3], 0 offen offset:4
	ds_read_b128 v[98:101], v94
	v_add_nc_u32_e32 v96, 1, v96
	v_add_nc_u32_e32 v94, 16, v94
	;; [unrolled: 1-line block ×3, first 2 shown]
	v_cmp_lt_u32_e32 vcc_lo, 7, v96
	s_or_b32 s50, vcc_lo, s50
	s_waitcnt vmcnt(2) lgkmcnt(0)
	v_mul_f64 v[106:107], v[100:101], v[102:103]
	v_mul_f64 v[102:103], v[98:99], v[102:103]
	s_waitcnt vmcnt(0)
	v_fma_f64 v[98:99], v[98:99], v[104:105], -v[106:107]
	v_fma_f64 v[100:101], v[100:101], v[104:105], v[102:103]
	v_add_f64 v[1:2], v[1:2], v[98:99]
	v_add_f64 v[3:4], v[3:4], v[100:101]
	s_andn2_b32 exec_lo, exec_lo, s50
	s_cbranch_execnz .LBB106_404
; %bb.405:
	s_or_b32 exec_lo, exec_lo, s50
.LBB106_406:
	s_or_b32 exec_lo, exec_lo, s8
	v_mov_b32_e32 v94, 0
	ds_read_b128 v[98:101], v94 offset:144
	s_waitcnt lgkmcnt(0)
	v_mul_f64 v[94:95], v[3:4], v[100:101]
	v_mul_f64 v[100:101], v[1:2], v[100:101]
	v_fma_f64 v[1:2], v[1:2], v[98:99], -v[94:95]
	v_fma_f64 v[3:4], v[3:4], v[98:99], v[100:101]
	buffer_store_dword v2, off, s[0:3], 0 offset:148
	buffer_store_dword v1, off, s[0:3], 0 offset:144
	buffer_store_dword v4, off, s[0:3], 0 offset:156
	buffer_store_dword v3, off, s[0:3], 0 offset:152
.LBB106_407:
	s_or_b32 exec_lo, exec_lo, s4
	v_mov_b32_e32 v4, s40
	s_mov_b32 s4, exec_lo
	s_clause 0x3
	buffer_load_dword v1, v4, s[0:3], 0 offen
	buffer_load_dword v2, v4, s[0:3], 0 offen offset:4
	buffer_load_dword v3, v4, s[0:3], 0 offen offset:8
	;; [unrolled: 1-line block ×3, first 2 shown]
	s_waitcnt vmcnt(0)
	ds_write_b128 v92, v[1:4]
	s_waitcnt lgkmcnt(0)
	s_waitcnt_vscnt null, 0x0
	s_barrier
	buffer_gl0_inv
	v_cmpx_gt_u32_e32 10, v0
	s_cbranch_execz .LBB106_415
; %bb.408:
	ds_read_b128 v[1:4], v92
	v_cmp_ne_u32_e32 vcc_lo, 1, v93
	s_cbranch_vccnz .LBB106_410
; %bb.409:
	s_clause 0x3
	buffer_load_dword v94, v91, s[0:3], 0 offen offset:8
	buffer_load_dword v95, v91, s[0:3], 0 offen offset:12
	buffer_load_dword v98, v91, s[0:3], 0 offen
	buffer_load_dword v99, v91, s[0:3], 0 offen offset:4
	s_waitcnt vmcnt(2) lgkmcnt(0)
	v_mul_f64 v[100:101], v[3:4], v[94:95]
	v_mul_f64 v[94:95], v[1:2], v[94:95]
	s_waitcnt vmcnt(0)
	v_fma_f64 v[1:2], v[1:2], v[98:99], -v[100:101]
	v_fma_f64 v[3:4], v[3:4], v[98:99], v[94:95]
.LBB106_410:
	s_mov_b32 s8, exec_lo
	v_cmpx_ne_u32_e32 9, v0
	s_cbranch_execz .LBB106_414
; %bb.411:
	v_add_nc_u32_e32 v94, 0x2c0, v97
	v_add3_u32 v95, 0, v97, 16
	v_mov_b32_e32 v96, v0
	s_mov_b32 s50, 0
	.p2align	6
.LBB106_412:                            ; =>This Inner Loop Header: Depth=1
	s_clause 0x3
	buffer_load_dword v102, v95, s[0:3], 0 offen offset:8
	buffer_load_dword v103, v95, s[0:3], 0 offen offset:12
	buffer_load_dword v104, v95, s[0:3], 0 offen
	buffer_load_dword v105, v95, s[0:3], 0 offen offset:4
	ds_read_b128 v[98:101], v94
	v_add_nc_u32_e32 v96, 1, v96
	v_add_nc_u32_e32 v94, 16, v94
	;; [unrolled: 1-line block ×3, first 2 shown]
	v_cmp_lt_u32_e32 vcc_lo, 8, v96
	s_or_b32 s50, vcc_lo, s50
	s_waitcnt vmcnt(2) lgkmcnt(0)
	v_mul_f64 v[106:107], v[100:101], v[102:103]
	v_mul_f64 v[102:103], v[98:99], v[102:103]
	s_waitcnt vmcnt(0)
	v_fma_f64 v[98:99], v[98:99], v[104:105], -v[106:107]
	v_fma_f64 v[100:101], v[100:101], v[104:105], v[102:103]
	v_add_f64 v[1:2], v[1:2], v[98:99]
	v_add_f64 v[3:4], v[3:4], v[100:101]
	s_andn2_b32 exec_lo, exec_lo, s50
	s_cbranch_execnz .LBB106_412
; %bb.413:
	s_or_b32 exec_lo, exec_lo, s50
.LBB106_414:
	s_or_b32 exec_lo, exec_lo, s8
	v_mov_b32_e32 v94, 0
	ds_read_b128 v[98:101], v94 offset:160
	s_waitcnt lgkmcnt(0)
	v_mul_f64 v[94:95], v[3:4], v[100:101]
	v_mul_f64 v[100:101], v[1:2], v[100:101]
	v_fma_f64 v[1:2], v[1:2], v[98:99], -v[94:95]
	v_fma_f64 v[3:4], v[3:4], v[98:99], v[100:101]
	buffer_store_dword v2, off, s[0:3], 0 offset:164
	buffer_store_dword v1, off, s[0:3], 0 offset:160
	;; [unrolled: 1-line block ×4, first 2 shown]
.LBB106_415:
	s_or_b32 exec_lo, exec_lo, s4
	v_mov_b32_e32 v4, s39
	s_mov_b32 s4, exec_lo
	s_clause 0x3
	buffer_load_dword v1, v4, s[0:3], 0 offen
	buffer_load_dword v2, v4, s[0:3], 0 offen offset:4
	buffer_load_dword v3, v4, s[0:3], 0 offen offset:8
	;; [unrolled: 1-line block ×3, first 2 shown]
	s_waitcnt vmcnt(0)
	ds_write_b128 v92, v[1:4]
	s_waitcnt lgkmcnt(0)
	s_waitcnt_vscnt null, 0x0
	s_barrier
	buffer_gl0_inv
	v_cmpx_gt_u32_e32 11, v0
	s_cbranch_execz .LBB106_423
; %bb.416:
	ds_read_b128 v[1:4], v92
	v_cmp_ne_u32_e32 vcc_lo, 1, v93
	s_cbranch_vccnz .LBB106_418
; %bb.417:
	s_clause 0x3
	buffer_load_dword v94, v91, s[0:3], 0 offen offset:8
	buffer_load_dword v95, v91, s[0:3], 0 offen offset:12
	buffer_load_dword v98, v91, s[0:3], 0 offen
	buffer_load_dword v99, v91, s[0:3], 0 offen offset:4
	s_waitcnt vmcnt(2) lgkmcnt(0)
	v_mul_f64 v[100:101], v[3:4], v[94:95]
	v_mul_f64 v[94:95], v[1:2], v[94:95]
	s_waitcnt vmcnt(0)
	v_fma_f64 v[1:2], v[1:2], v[98:99], -v[100:101]
	v_fma_f64 v[3:4], v[3:4], v[98:99], v[94:95]
.LBB106_418:
	s_mov_b32 s8, exec_lo
	v_cmpx_ne_u32_e32 10, v0
	s_cbranch_execz .LBB106_422
; %bb.419:
	v_add_nc_u32_e32 v94, 0x2c0, v97
	v_add3_u32 v95, 0, v97, 16
	v_mov_b32_e32 v96, v0
	s_mov_b32 s50, 0
	.p2align	6
.LBB106_420:                            ; =>This Inner Loop Header: Depth=1
	s_clause 0x3
	buffer_load_dword v102, v95, s[0:3], 0 offen offset:8
	buffer_load_dword v103, v95, s[0:3], 0 offen offset:12
	buffer_load_dword v104, v95, s[0:3], 0 offen
	buffer_load_dword v105, v95, s[0:3], 0 offen offset:4
	ds_read_b128 v[98:101], v94
	v_add_nc_u32_e32 v96, 1, v96
	v_add_nc_u32_e32 v94, 16, v94
	;; [unrolled: 1-line block ×3, first 2 shown]
	v_cmp_lt_u32_e32 vcc_lo, 9, v96
	s_or_b32 s50, vcc_lo, s50
	s_waitcnt vmcnt(2) lgkmcnt(0)
	v_mul_f64 v[106:107], v[100:101], v[102:103]
	v_mul_f64 v[102:103], v[98:99], v[102:103]
	s_waitcnt vmcnt(0)
	v_fma_f64 v[98:99], v[98:99], v[104:105], -v[106:107]
	v_fma_f64 v[100:101], v[100:101], v[104:105], v[102:103]
	v_add_f64 v[1:2], v[1:2], v[98:99]
	v_add_f64 v[3:4], v[3:4], v[100:101]
	s_andn2_b32 exec_lo, exec_lo, s50
	s_cbranch_execnz .LBB106_420
; %bb.421:
	s_or_b32 exec_lo, exec_lo, s50
.LBB106_422:
	s_or_b32 exec_lo, exec_lo, s8
	v_mov_b32_e32 v94, 0
	ds_read_b128 v[98:101], v94 offset:176
	s_waitcnt lgkmcnt(0)
	v_mul_f64 v[94:95], v[3:4], v[100:101]
	v_mul_f64 v[100:101], v[1:2], v[100:101]
	v_fma_f64 v[1:2], v[1:2], v[98:99], -v[94:95]
	v_fma_f64 v[3:4], v[3:4], v[98:99], v[100:101]
	buffer_store_dword v2, off, s[0:3], 0 offset:180
	buffer_store_dword v1, off, s[0:3], 0 offset:176
	;; [unrolled: 1-line block ×4, first 2 shown]
.LBB106_423:
	s_or_b32 exec_lo, exec_lo, s4
	v_mov_b32_e32 v4, s38
	s_mov_b32 s4, exec_lo
	s_clause 0x3
	buffer_load_dword v1, v4, s[0:3], 0 offen
	buffer_load_dword v2, v4, s[0:3], 0 offen offset:4
	buffer_load_dword v3, v4, s[0:3], 0 offen offset:8
	;; [unrolled: 1-line block ×3, first 2 shown]
	s_waitcnt vmcnt(0)
	ds_write_b128 v92, v[1:4]
	s_waitcnt lgkmcnt(0)
	s_waitcnt_vscnt null, 0x0
	s_barrier
	buffer_gl0_inv
	v_cmpx_gt_u32_e32 12, v0
	s_cbranch_execz .LBB106_431
; %bb.424:
	ds_read_b128 v[1:4], v92
	v_cmp_ne_u32_e32 vcc_lo, 1, v93
	s_cbranch_vccnz .LBB106_426
; %bb.425:
	s_clause 0x3
	buffer_load_dword v94, v91, s[0:3], 0 offen offset:8
	buffer_load_dword v95, v91, s[0:3], 0 offen offset:12
	buffer_load_dword v98, v91, s[0:3], 0 offen
	buffer_load_dword v99, v91, s[0:3], 0 offen offset:4
	s_waitcnt vmcnt(2) lgkmcnt(0)
	v_mul_f64 v[100:101], v[3:4], v[94:95]
	v_mul_f64 v[94:95], v[1:2], v[94:95]
	s_waitcnt vmcnt(0)
	v_fma_f64 v[1:2], v[1:2], v[98:99], -v[100:101]
	v_fma_f64 v[3:4], v[3:4], v[98:99], v[94:95]
.LBB106_426:
	s_mov_b32 s8, exec_lo
	v_cmpx_ne_u32_e32 11, v0
	s_cbranch_execz .LBB106_430
; %bb.427:
	v_add_nc_u32_e32 v94, 0x2c0, v97
	v_add3_u32 v95, 0, v97, 16
	v_mov_b32_e32 v96, v0
	s_mov_b32 s50, 0
	.p2align	6
.LBB106_428:                            ; =>This Inner Loop Header: Depth=1
	s_clause 0x3
	buffer_load_dword v102, v95, s[0:3], 0 offen offset:8
	buffer_load_dword v103, v95, s[0:3], 0 offen offset:12
	buffer_load_dword v104, v95, s[0:3], 0 offen
	buffer_load_dword v105, v95, s[0:3], 0 offen offset:4
	ds_read_b128 v[98:101], v94
	v_add_nc_u32_e32 v96, 1, v96
	v_add_nc_u32_e32 v94, 16, v94
	;; [unrolled: 1-line block ×3, first 2 shown]
	v_cmp_lt_u32_e32 vcc_lo, 10, v96
	s_or_b32 s50, vcc_lo, s50
	s_waitcnt vmcnt(2) lgkmcnt(0)
	v_mul_f64 v[106:107], v[100:101], v[102:103]
	v_mul_f64 v[102:103], v[98:99], v[102:103]
	s_waitcnt vmcnt(0)
	v_fma_f64 v[98:99], v[98:99], v[104:105], -v[106:107]
	v_fma_f64 v[100:101], v[100:101], v[104:105], v[102:103]
	v_add_f64 v[1:2], v[1:2], v[98:99]
	v_add_f64 v[3:4], v[3:4], v[100:101]
	s_andn2_b32 exec_lo, exec_lo, s50
	s_cbranch_execnz .LBB106_428
; %bb.429:
	s_or_b32 exec_lo, exec_lo, s50
.LBB106_430:
	s_or_b32 exec_lo, exec_lo, s8
	v_mov_b32_e32 v94, 0
	ds_read_b128 v[98:101], v94 offset:192
	s_waitcnt lgkmcnt(0)
	v_mul_f64 v[94:95], v[3:4], v[100:101]
	v_mul_f64 v[100:101], v[1:2], v[100:101]
	v_fma_f64 v[1:2], v[1:2], v[98:99], -v[94:95]
	v_fma_f64 v[3:4], v[3:4], v[98:99], v[100:101]
	buffer_store_dword v2, off, s[0:3], 0 offset:196
	buffer_store_dword v1, off, s[0:3], 0 offset:192
	;; [unrolled: 1-line block ×4, first 2 shown]
.LBB106_431:
	s_or_b32 exec_lo, exec_lo, s4
	v_mov_b32_e32 v4, s37
	s_mov_b32 s4, exec_lo
	s_clause 0x3
	buffer_load_dword v1, v4, s[0:3], 0 offen
	buffer_load_dword v2, v4, s[0:3], 0 offen offset:4
	buffer_load_dword v3, v4, s[0:3], 0 offen offset:8
	;; [unrolled: 1-line block ×3, first 2 shown]
	s_waitcnt vmcnt(0)
	ds_write_b128 v92, v[1:4]
	s_waitcnt lgkmcnt(0)
	s_waitcnt_vscnt null, 0x0
	s_barrier
	buffer_gl0_inv
	v_cmpx_gt_u32_e32 13, v0
	s_cbranch_execz .LBB106_439
; %bb.432:
	ds_read_b128 v[1:4], v92
	v_cmp_ne_u32_e32 vcc_lo, 1, v93
	s_cbranch_vccnz .LBB106_434
; %bb.433:
	s_clause 0x3
	buffer_load_dword v94, v91, s[0:3], 0 offen offset:8
	buffer_load_dword v95, v91, s[0:3], 0 offen offset:12
	buffer_load_dword v98, v91, s[0:3], 0 offen
	buffer_load_dword v99, v91, s[0:3], 0 offen offset:4
	s_waitcnt vmcnt(2) lgkmcnt(0)
	v_mul_f64 v[100:101], v[3:4], v[94:95]
	v_mul_f64 v[94:95], v[1:2], v[94:95]
	s_waitcnt vmcnt(0)
	v_fma_f64 v[1:2], v[1:2], v[98:99], -v[100:101]
	v_fma_f64 v[3:4], v[3:4], v[98:99], v[94:95]
.LBB106_434:
	s_mov_b32 s8, exec_lo
	v_cmpx_ne_u32_e32 12, v0
	s_cbranch_execz .LBB106_438
; %bb.435:
	v_add_nc_u32_e32 v94, 0x2c0, v97
	v_add3_u32 v95, 0, v97, 16
	v_mov_b32_e32 v96, v0
	s_mov_b32 s50, 0
	.p2align	6
.LBB106_436:                            ; =>This Inner Loop Header: Depth=1
	s_clause 0x3
	buffer_load_dword v102, v95, s[0:3], 0 offen offset:8
	buffer_load_dword v103, v95, s[0:3], 0 offen offset:12
	buffer_load_dword v104, v95, s[0:3], 0 offen
	buffer_load_dword v105, v95, s[0:3], 0 offen offset:4
	ds_read_b128 v[98:101], v94
	v_add_nc_u32_e32 v96, 1, v96
	v_add_nc_u32_e32 v94, 16, v94
	;; [unrolled: 1-line block ×3, first 2 shown]
	v_cmp_lt_u32_e32 vcc_lo, 11, v96
	s_or_b32 s50, vcc_lo, s50
	s_waitcnt vmcnt(2) lgkmcnt(0)
	v_mul_f64 v[106:107], v[100:101], v[102:103]
	v_mul_f64 v[102:103], v[98:99], v[102:103]
	s_waitcnt vmcnt(0)
	v_fma_f64 v[98:99], v[98:99], v[104:105], -v[106:107]
	v_fma_f64 v[100:101], v[100:101], v[104:105], v[102:103]
	v_add_f64 v[1:2], v[1:2], v[98:99]
	v_add_f64 v[3:4], v[3:4], v[100:101]
	s_andn2_b32 exec_lo, exec_lo, s50
	s_cbranch_execnz .LBB106_436
; %bb.437:
	s_or_b32 exec_lo, exec_lo, s50
.LBB106_438:
	s_or_b32 exec_lo, exec_lo, s8
	v_mov_b32_e32 v94, 0
	ds_read_b128 v[98:101], v94 offset:208
	s_waitcnt lgkmcnt(0)
	v_mul_f64 v[94:95], v[3:4], v[100:101]
	v_mul_f64 v[100:101], v[1:2], v[100:101]
	v_fma_f64 v[1:2], v[1:2], v[98:99], -v[94:95]
	v_fma_f64 v[3:4], v[3:4], v[98:99], v[100:101]
	buffer_store_dword v2, off, s[0:3], 0 offset:212
	buffer_store_dword v1, off, s[0:3], 0 offset:208
	;; [unrolled: 1-line block ×4, first 2 shown]
.LBB106_439:
	s_or_b32 exec_lo, exec_lo, s4
	v_mov_b32_e32 v4, s36
	s_mov_b32 s4, exec_lo
	s_clause 0x3
	buffer_load_dword v1, v4, s[0:3], 0 offen
	buffer_load_dword v2, v4, s[0:3], 0 offen offset:4
	buffer_load_dword v3, v4, s[0:3], 0 offen offset:8
	;; [unrolled: 1-line block ×3, first 2 shown]
	s_waitcnt vmcnt(0)
	ds_write_b128 v92, v[1:4]
	s_waitcnt lgkmcnt(0)
	s_waitcnt_vscnt null, 0x0
	s_barrier
	buffer_gl0_inv
	v_cmpx_gt_u32_e32 14, v0
	s_cbranch_execz .LBB106_447
; %bb.440:
	ds_read_b128 v[1:4], v92
	v_cmp_ne_u32_e32 vcc_lo, 1, v93
	s_cbranch_vccnz .LBB106_442
; %bb.441:
	s_clause 0x3
	buffer_load_dword v94, v91, s[0:3], 0 offen offset:8
	buffer_load_dword v95, v91, s[0:3], 0 offen offset:12
	buffer_load_dword v98, v91, s[0:3], 0 offen
	buffer_load_dword v99, v91, s[0:3], 0 offen offset:4
	s_waitcnt vmcnt(2) lgkmcnt(0)
	v_mul_f64 v[100:101], v[3:4], v[94:95]
	v_mul_f64 v[94:95], v[1:2], v[94:95]
	s_waitcnt vmcnt(0)
	v_fma_f64 v[1:2], v[1:2], v[98:99], -v[100:101]
	v_fma_f64 v[3:4], v[3:4], v[98:99], v[94:95]
.LBB106_442:
	s_mov_b32 s8, exec_lo
	v_cmpx_ne_u32_e32 13, v0
	s_cbranch_execz .LBB106_446
; %bb.443:
	v_add_nc_u32_e32 v94, 0x2c0, v97
	v_add3_u32 v95, 0, v97, 16
	v_mov_b32_e32 v96, v0
	s_mov_b32 s50, 0
	.p2align	6
.LBB106_444:                            ; =>This Inner Loop Header: Depth=1
	s_clause 0x3
	buffer_load_dword v102, v95, s[0:3], 0 offen offset:8
	buffer_load_dword v103, v95, s[0:3], 0 offen offset:12
	buffer_load_dword v104, v95, s[0:3], 0 offen
	buffer_load_dword v105, v95, s[0:3], 0 offen offset:4
	ds_read_b128 v[98:101], v94
	v_add_nc_u32_e32 v96, 1, v96
	v_add_nc_u32_e32 v94, 16, v94
	;; [unrolled: 1-line block ×3, first 2 shown]
	v_cmp_lt_u32_e32 vcc_lo, 12, v96
	s_or_b32 s50, vcc_lo, s50
	s_waitcnt vmcnt(2) lgkmcnt(0)
	v_mul_f64 v[106:107], v[100:101], v[102:103]
	v_mul_f64 v[102:103], v[98:99], v[102:103]
	s_waitcnt vmcnt(0)
	v_fma_f64 v[98:99], v[98:99], v[104:105], -v[106:107]
	v_fma_f64 v[100:101], v[100:101], v[104:105], v[102:103]
	v_add_f64 v[1:2], v[1:2], v[98:99]
	v_add_f64 v[3:4], v[3:4], v[100:101]
	s_andn2_b32 exec_lo, exec_lo, s50
	s_cbranch_execnz .LBB106_444
; %bb.445:
	s_or_b32 exec_lo, exec_lo, s50
.LBB106_446:
	s_or_b32 exec_lo, exec_lo, s8
	v_mov_b32_e32 v94, 0
	ds_read_b128 v[98:101], v94 offset:224
	s_waitcnt lgkmcnt(0)
	v_mul_f64 v[94:95], v[3:4], v[100:101]
	v_mul_f64 v[100:101], v[1:2], v[100:101]
	v_fma_f64 v[1:2], v[1:2], v[98:99], -v[94:95]
	v_fma_f64 v[3:4], v[3:4], v[98:99], v[100:101]
	buffer_store_dword v2, off, s[0:3], 0 offset:228
	buffer_store_dword v1, off, s[0:3], 0 offset:224
	;; [unrolled: 1-line block ×4, first 2 shown]
.LBB106_447:
	s_or_b32 exec_lo, exec_lo, s4
	v_mov_b32_e32 v4, s35
	s_mov_b32 s4, exec_lo
	s_clause 0x3
	buffer_load_dword v1, v4, s[0:3], 0 offen
	buffer_load_dword v2, v4, s[0:3], 0 offen offset:4
	buffer_load_dword v3, v4, s[0:3], 0 offen offset:8
	;; [unrolled: 1-line block ×3, first 2 shown]
	s_waitcnt vmcnt(0)
	ds_write_b128 v92, v[1:4]
	s_waitcnt lgkmcnt(0)
	s_waitcnt_vscnt null, 0x0
	s_barrier
	buffer_gl0_inv
	v_cmpx_gt_u32_e32 15, v0
	s_cbranch_execz .LBB106_455
; %bb.448:
	ds_read_b128 v[1:4], v92
	v_cmp_ne_u32_e32 vcc_lo, 1, v93
	s_cbranch_vccnz .LBB106_450
; %bb.449:
	s_clause 0x3
	buffer_load_dword v94, v91, s[0:3], 0 offen offset:8
	buffer_load_dword v95, v91, s[0:3], 0 offen offset:12
	buffer_load_dword v98, v91, s[0:3], 0 offen
	buffer_load_dword v99, v91, s[0:3], 0 offen offset:4
	s_waitcnt vmcnt(2) lgkmcnt(0)
	v_mul_f64 v[100:101], v[3:4], v[94:95]
	v_mul_f64 v[94:95], v[1:2], v[94:95]
	s_waitcnt vmcnt(0)
	v_fma_f64 v[1:2], v[1:2], v[98:99], -v[100:101]
	v_fma_f64 v[3:4], v[3:4], v[98:99], v[94:95]
.LBB106_450:
	s_mov_b32 s8, exec_lo
	v_cmpx_ne_u32_e32 14, v0
	s_cbranch_execz .LBB106_454
; %bb.451:
	v_add_nc_u32_e32 v94, 0x2c0, v97
	v_add3_u32 v95, 0, v97, 16
	v_mov_b32_e32 v96, v0
	s_mov_b32 s50, 0
	.p2align	6
.LBB106_452:                            ; =>This Inner Loop Header: Depth=1
	s_clause 0x3
	buffer_load_dword v102, v95, s[0:3], 0 offen offset:8
	buffer_load_dword v103, v95, s[0:3], 0 offen offset:12
	buffer_load_dword v104, v95, s[0:3], 0 offen
	buffer_load_dword v105, v95, s[0:3], 0 offen offset:4
	ds_read_b128 v[98:101], v94
	v_add_nc_u32_e32 v96, 1, v96
	v_add_nc_u32_e32 v94, 16, v94
	;; [unrolled: 1-line block ×3, first 2 shown]
	v_cmp_lt_u32_e32 vcc_lo, 13, v96
	s_or_b32 s50, vcc_lo, s50
	s_waitcnt vmcnt(2) lgkmcnt(0)
	v_mul_f64 v[106:107], v[100:101], v[102:103]
	v_mul_f64 v[102:103], v[98:99], v[102:103]
	s_waitcnt vmcnt(0)
	v_fma_f64 v[98:99], v[98:99], v[104:105], -v[106:107]
	v_fma_f64 v[100:101], v[100:101], v[104:105], v[102:103]
	v_add_f64 v[1:2], v[1:2], v[98:99]
	v_add_f64 v[3:4], v[3:4], v[100:101]
	s_andn2_b32 exec_lo, exec_lo, s50
	s_cbranch_execnz .LBB106_452
; %bb.453:
	s_or_b32 exec_lo, exec_lo, s50
.LBB106_454:
	s_or_b32 exec_lo, exec_lo, s8
	v_mov_b32_e32 v94, 0
	ds_read_b128 v[98:101], v94 offset:240
	s_waitcnt lgkmcnt(0)
	v_mul_f64 v[94:95], v[3:4], v[100:101]
	v_mul_f64 v[100:101], v[1:2], v[100:101]
	v_fma_f64 v[1:2], v[1:2], v[98:99], -v[94:95]
	v_fma_f64 v[3:4], v[3:4], v[98:99], v[100:101]
	buffer_store_dword v2, off, s[0:3], 0 offset:244
	buffer_store_dword v1, off, s[0:3], 0 offset:240
	;; [unrolled: 1-line block ×4, first 2 shown]
.LBB106_455:
	s_or_b32 exec_lo, exec_lo, s4
	v_mov_b32_e32 v4, s34
	s_mov_b32 s4, exec_lo
	s_clause 0x3
	buffer_load_dword v1, v4, s[0:3], 0 offen
	buffer_load_dword v2, v4, s[0:3], 0 offen offset:4
	buffer_load_dword v3, v4, s[0:3], 0 offen offset:8
	;; [unrolled: 1-line block ×3, first 2 shown]
	s_waitcnt vmcnt(0)
	ds_write_b128 v92, v[1:4]
	s_waitcnt lgkmcnt(0)
	s_waitcnt_vscnt null, 0x0
	s_barrier
	buffer_gl0_inv
	v_cmpx_gt_u32_e32 16, v0
	s_cbranch_execz .LBB106_463
; %bb.456:
	ds_read_b128 v[1:4], v92
	v_cmp_ne_u32_e32 vcc_lo, 1, v93
	s_cbranch_vccnz .LBB106_458
; %bb.457:
	s_clause 0x3
	buffer_load_dword v94, v91, s[0:3], 0 offen offset:8
	buffer_load_dword v95, v91, s[0:3], 0 offen offset:12
	buffer_load_dword v98, v91, s[0:3], 0 offen
	buffer_load_dword v99, v91, s[0:3], 0 offen offset:4
	s_waitcnt vmcnt(2) lgkmcnt(0)
	v_mul_f64 v[100:101], v[3:4], v[94:95]
	v_mul_f64 v[94:95], v[1:2], v[94:95]
	s_waitcnt vmcnt(0)
	v_fma_f64 v[1:2], v[1:2], v[98:99], -v[100:101]
	v_fma_f64 v[3:4], v[3:4], v[98:99], v[94:95]
.LBB106_458:
	s_mov_b32 s8, exec_lo
	v_cmpx_ne_u32_e32 15, v0
	s_cbranch_execz .LBB106_462
; %bb.459:
	v_add_nc_u32_e32 v94, 0x2c0, v97
	v_add3_u32 v95, 0, v97, 16
	v_mov_b32_e32 v96, v0
	s_mov_b32 s50, 0
	.p2align	6
.LBB106_460:                            ; =>This Inner Loop Header: Depth=1
	s_clause 0x3
	buffer_load_dword v102, v95, s[0:3], 0 offen offset:8
	buffer_load_dword v103, v95, s[0:3], 0 offen offset:12
	buffer_load_dword v104, v95, s[0:3], 0 offen
	buffer_load_dword v105, v95, s[0:3], 0 offen offset:4
	ds_read_b128 v[98:101], v94
	v_add_nc_u32_e32 v96, 1, v96
	v_add_nc_u32_e32 v94, 16, v94
	;; [unrolled: 1-line block ×3, first 2 shown]
	v_cmp_lt_u32_e32 vcc_lo, 14, v96
	s_or_b32 s50, vcc_lo, s50
	s_waitcnt vmcnt(2) lgkmcnt(0)
	v_mul_f64 v[106:107], v[100:101], v[102:103]
	v_mul_f64 v[102:103], v[98:99], v[102:103]
	s_waitcnt vmcnt(0)
	v_fma_f64 v[98:99], v[98:99], v[104:105], -v[106:107]
	v_fma_f64 v[100:101], v[100:101], v[104:105], v[102:103]
	v_add_f64 v[1:2], v[1:2], v[98:99]
	v_add_f64 v[3:4], v[3:4], v[100:101]
	s_andn2_b32 exec_lo, exec_lo, s50
	s_cbranch_execnz .LBB106_460
; %bb.461:
	s_or_b32 exec_lo, exec_lo, s50
.LBB106_462:
	s_or_b32 exec_lo, exec_lo, s8
	v_mov_b32_e32 v94, 0
	ds_read_b128 v[98:101], v94 offset:256
	s_waitcnt lgkmcnt(0)
	v_mul_f64 v[94:95], v[3:4], v[100:101]
	v_mul_f64 v[100:101], v[1:2], v[100:101]
	v_fma_f64 v[1:2], v[1:2], v[98:99], -v[94:95]
	v_fma_f64 v[3:4], v[3:4], v[98:99], v[100:101]
	buffer_store_dword v2, off, s[0:3], 0 offset:260
	buffer_store_dword v1, off, s[0:3], 0 offset:256
	;; [unrolled: 1-line block ×4, first 2 shown]
.LBB106_463:
	s_or_b32 exec_lo, exec_lo, s4
	v_mov_b32_e32 v4, s33
	s_mov_b32 s4, exec_lo
	s_clause 0x3
	buffer_load_dword v1, v4, s[0:3], 0 offen
	buffer_load_dword v2, v4, s[0:3], 0 offen offset:4
	buffer_load_dword v3, v4, s[0:3], 0 offen offset:8
	;; [unrolled: 1-line block ×3, first 2 shown]
	s_waitcnt vmcnt(0)
	ds_write_b128 v92, v[1:4]
	s_waitcnt lgkmcnt(0)
	s_waitcnt_vscnt null, 0x0
	s_barrier
	buffer_gl0_inv
	v_cmpx_gt_u32_e32 17, v0
	s_cbranch_execz .LBB106_471
; %bb.464:
	ds_read_b128 v[1:4], v92
	v_cmp_ne_u32_e32 vcc_lo, 1, v93
	s_cbranch_vccnz .LBB106_466
; %bb.465:
	s_clause 0x3
	buffer_load_dword v94, v91, s[0:3], 0 offen offset:8
	buffer_load_dword v95, v91, s[0:3], 0 offen offset:12
	buffer_load_dword v98, v91, s[0:3], 0 offen
	buffer_load_dword v99, v91, s[0:3], 0 offen offset:4
	s_waitcnt vmcnt(2) lgkmcnt(0)
	v_mul_f64 v[100:101], v[3:4], v[94:95]
	v_mul_f64 v[94:95], v[1:2], v[94:95]
	s_waitcnt vmcnt(0)
	v_fma_f64 v[1:2], v[1:2], v[98:99], -v[100:101]
	v_fma_f64 v[3:4], v[3:4], v[98:99], v[94:95]
.LBB106_466:
	s_mov_b32 s8, exec_lo
	v_cmpx_ne_u32_e32 16, v0
	s_cbranch_execz .LBB106_470
; %bb.467:
	v_add_nc_u32_e32 v94, 0x2c0, v97
	v_add3_u32 v95, 0, v97, 16
	v_mov_b32_e32 v96, v0
	s_mov_b32 s50, 0
	.p2align	6
.LBB106_468:                            ; =>This Inner Loop Header: Depth=1
	s_clause 0x3
	buffer_load_dword v102, v95, s[0:3], 0 offen offset:8
	buffer_load_dword v103, v95, s[0:3], 0 offen offset:12
	buffer_load_dword v104, v95, s[0:3], 0 offen
	buffer_load_dword v105, v95, s[0:3], 0 offen offset:4
	ds_read_b128 v[98:101], v94
	v_add_nc_u32_e32 v96, 1, v96
	v_add_nc_u32_e32 v94, 16, v94
	;; [unrolled: 1-line block ×3, first 2 shown]
	v_cmp_lt_u32_e32 vcc_lo, 15, v96
	s_or_b32 s50, vcc_lo, s50
	s_waitcnt vmcnt(2) lgkmcnt(0)
	v_mul_f64 v[106:107], v[100:101], v[102:103]
	v_mul_f64 v[102:103], v[98:99], v[102:103]
	s_waitcnt vmcnt(0)
	v_fma_f64 v[98:99], v[98:99], v[104:105], -v[106:107]
	v_fma_f64 v[100:101], v[100:101], v[104:105], v[102:103]
	v_add_f64 v[1:2], v[1:2], v[98:99]
	v_add_f64 v[3:4], v[3:4], v[100:101]
	s_andn2_b32 exec_lo, exec_lo, s50
	s_cbranch_execnz .LBB106_468
; %bb.469:
	s_or_b32 exec_lo, exec_lo, s50
.LBB106_470:
	s_or_b32 exec_lo, exec_lo, s8
	v_mov_b32_e32 v94, 0
	ds_read_b128 v[98:101], v94 offset:272
	s_waitcnt lgkmcnt(0)
	v_mul_f64 v[94:95], v[3:4], v[100:101]
	v_mul_f64 v[100:101], v[1:2], v[100:101]
	v_fma_f64 v[1:2], v[1:2], v[98:99], -v[94:95]
	v_fma_f64 v[3:4], v[3:4], v[98:99], v[100:101]
	buffer_store_dword v2, off, s[0:3], 0 offset:276
	buffer_store_dword v1, off, s[0:3], 0 offset:272
	;; [unrolled: 1-line block ×4, first 2 shown]
.LBB106_471:
	s_or_b32 exec_lo, exec_lo, s4
	v_mov_b32_e32 v4, s31
	s_mov_b32 s4, exec_lo
	s_clause 0x3
	buffer_load_dword v1, v4, s[0:3], 0 offen
	buffer_load_dword v2, v4, s[0:3], 0 offen offset:4
	buffer_load_dword v3, v4, s[0:3], 0 offen offset:8
	;; [unrolled: 1-line block ×3, first 2 shown]
	s_waitcnt vmcnt(0)
	ds_write_b128 v92, v[1:4]
	s_waitcnt lgkmcnt(0)
	s_waitcnt_vscnt null, 0x0
	s_barrier
	buffer_gl0_inv
	v_cmpx_gt_u32_e32 18, v0
	s_cbranch_execz .LBB106_479
; %bb.472:
	ds_read_b128 v[1:4], v92
	v_cmp_ne_u32_e32 vcc_lo, 1, v93
	s_cbranch_vccnz .LBB106_474
; %bb.473:
	s_clause 0x3
	buffer_load_dword v94, v91, s[0:3], 0 offen offset:8
	buffer_load_dword v95, v91, s[0:3], 0 offen offset:12
	buffer_load_dword v98, v91, s[0:3], 0 offen
	buffer_load_dword v99, v91, s[0:3], 0 offen offset:4
	s_waitcnt vmcnt(2) lgkmcnt(0)
	v_mul_f64 v[100:101], v[3:4], v[94:95]
	v_mul_f64 v[94:95], v[1:2], v[94:95]
	s_waitcnt vmcnt(0)
	v_fma_f64 v[1:2], v[1:2], v[98:99], -v[100:101]
	v_fma_f64 v[3:4], v[3:4], v[98:99], v[94:95]
.LBB106_474:
	s_mov_b32 s8, exec_lo
	v_cmpx_ne_u32_e32 17, v0
	s_cbranch_execz .LBB106_478
; %bb.475:
	v_add_nc_u32_e32 v94, 0x2c0, v97
	v_add3_u32 v95, 0, v97, 16
	v_mov_b32_e32 v96, v0
	s_mov_b32 s50, 0
	.p2align	6
.LBB106_476:                            ; =>This Inner Loop Header: Depth=1
	s_clause 0x3
	buffer_load_dword v102, v95, s[0:3], 0 offen offset:8
	buffer_load_dword v103, v95, s[0:3], 0 offen offset:12
	buffer_load_dword v104, v95, s[0:3], 0 offen
	buffer_load_dword v105, v95, s[0:3], 0 offen offset:4
	ds_read_b128 v[98:101], v94
	v_add_nc_u32_e32 v96, 1, v96
	v_add_nc_u32_e32 v94, 16, v94
	;; [unrolled: 1-line block ×3, first 2 shown]
	v_cmp_lt_u32_e32 vcc_lo, 16, v96
	s_or_b32 s50, vcc_lo, s50
	s_waitcnt vmcnt(2) lgkmcnt(0)
	v_mul_f64 v[106:107], v[100:101], v[102:103]
	v_mul_f64 v[102:103], v[98:99], v[102:103]
	s_waitcnt vmcnt(0)
	v_fma_f64 v[98:99], v[98:99], v[104:105], -v[106:107]
	v_fma_f64 v[100:101], v[100:101], v[104:105], v[102:103]
	v_add_f64 v[1:2], v[1:2], v[98:99]
	v_add_f64 v[3:4], v[3:4], v[100:101]
	s_andn2_b32 exec_lo, exec_lo, s50
	s_cbranch_execnz .LBB106_476
; %bb.477:
	s_or_b32 exec_lo, exec_lo, s50
.LBB106_478:
	s_or_b32 exec_lo, exec_lo, s8
	v_mov_b32_e32 v94, 0
	ds_read_b128 v[98:101], v94 offset:288
	s_waitcnt lgkmcnt(0)
	v_mul_f64 v[94:95], v[3:4], v[100:101]
	v_mul_f64 v[100:101], v[1:2], v[100:101]
	v_fma_f64 v[1:2], v[1:2], v[98:99], -v[94:95]
	v_fma_f64 v[3:4], v[3:4], v[98:99], v[100:101]
	buffer_store_dword v2, off, s[0:3], 0 offset:292
	buffer_store_dword v1, off, s[0:3], 0 offset:288
	buffer_store_dword v4, off, s[0:3], 0 offset:300
	buffer_store_dword v3, off, s[0:3], 0 offset:296
.LBB106_479:
	s_or_b32 exec_lo, exec_lo, s4
	v_mov_b32_e32 v4, s30
	s_mov_b32 s4, exec_lo
	s_clause 0x3
	buffer_load_dword v1, v4, s[0:3], 0 offen
	buffer_load_dword v2, v4, s[0:3], 0 offen offset:4
	buffer_load_dword v3, v4, s[0:3], 0 offen offset:8
	;; [unrolled: 1-line block ×3, first 2 shown]
	s_waitcnt vmcnt(0)
	ds_write_b128 v92, v[1:4]
	s_waitcnt lgkmcnt(0)
	s_waitcnt_vscnt null, 0x0
	s_barrier
	buffer_gl0_inv
	v_cmpx_gt_u32_e32 19, v0
	s_cbranch_execz .LBB106_487
; %bb.480:
	ds_read_b128 v[1:4], v92
	v_cmp_ne_u32_e32 vcc_lo, 1, v93
	s_cbranch_vccnz .LBB106_482
; %bb.481:
	s_clause 0x3
	buffer_load_dword v94, v91, s[0:3], 0 offen offset:8
	buffer_load_dword v95, v91, s[0:3], 0 offen offset:12
	buffer_load_dword v98, v91, s[0:3], 0 offen
	buffer_load_dword v99, v91, s[0:3], 0 offen offset:4
	s_waitcnt vmcnt(2) lgkmcnt(0)
	v_mul_f64 v[100:101], v[3:4], v[94:95]
	v_mul_f64 v[94:95], v[1:2], v[94:95]
	s_waitcnt vmcnt(0)
	v_fma_f64 v[1:2], v[1:2], v[98:99], -v[100:101]
	v_fma_f64 v[3:4], v[3:4], v[98:99], v[94:95]
.LBB106_482:
	s_mov_b32 s8, exec_lo
	v_cmpx_ne_u32_e32 18, v0
	s_cbranch_execz .LBB106_486
; %bb.483:
	v_add_nc_u32_e32 v94, 0x2c0, v97
	v_add3_u32 v95, 0, v97, 16
	v_mov_b32_e32 v96, v0
	s_mov_b32 s50, 0
	.p2align	6
.LBB106_484:                            ; =>This Inner Loop Header: Depth=1
	s_clause 0x3
	buffer_load_dword v102, v95, s[0:3], 0 offen offset:8
	buffer_load_dword v103, v95, s[0:3], 0 offen offset:12
	buffer_load_dword v104, v95, s[0:3], 0 offen
	buffer_load_dword v105, v95, s[0:3], 0 offen offset:4
	ds_read_b128 v[98:101], v94
	v_add_nc_u32_e32 v96, 1, v96
	v_add_nc_u32_e32 v94, 16, v94
	;; [unrolled: 1-line block ×3, first 2 shown]
	v_cmp_lt_u32_e32 vcc_lo, 17, v96
	s_or_b32 s50, vcc_lo, s50
	s_waitcnt vmcnt(2) lgkmcnt(0)
	v_mul_f64 v[106:107], v[100:101], v[102:103]
	v_mul_f64 v[102:103], v[98:99], v[102:103]
	s_waitcnt vmcnt(0)
	v_fma_f64 v[98:99], v[98:99], v[104:105], -v[106:107]
	v_fma_f64 v[100:101], v[100:101], v[104:105], v[102:103]
	v_add_f64 v[1:2], v[1:2], v[98:99]
	v_add_f64 v[3:4], v[3:4], v[100:101]
	s_andn2_b32 exec_lo, exec_lo, s50
	s_cbranch_execnz .LBB106_484
; %bb.485:
	s_or_b32 exec_lo, exec_lo, s50
.LBB106_486:
	s_or_b32 exec_lo, exec_lo, s8
	v_mov_b32_e32 v94, 0
	ds_read_b128 v[98:101], v94 offset:304
	s_waitcnt lgkmcnt(0)
	v_mul_f64 v[94:95], v[3:4], v[100:101]
	v_mul_f64 v[100:101], v[1:2], v[100:101]
	v_fma_f64 v[1:2], v[1:2], v[98:99], -v[94:95]
	v_fma_f64 v[3:4], v[3:4], v[98:99], v[100:101]
	buffer_store_dword v2, off, s[0:3], 0 offset:308
	buffer_store_dword v1, off, s[0:3], 0 offset:304
	;; [unrolled: 1-line block ×4, first 2 shown]
.LBB106_487:
	s_or_b32 exec_lo, exec_lo, s4
	v_mov_b32_e32 v4, s29
	s_mov_b32 s4, exec_lo
	s_clause 0x3
	buffer_load_dword v1, v4, s[0:3], 0 offen
	buffer_load_dword v2, v4, s[0:3], 0 offen offset:4
	buffer_load_dword v3, v4, s[0:3], 0 offen offset:8
	;; [unrolled: 1-line block ×3, first 2 shown]
	s_waitcnt vmcnt(0)
	ds_write_b128 v92, v[1:4]
	s_waitcnt lgkmcnt(0)
	s_waitcnt_vscnt null, 0x0
	s_barrier
	buffer_gl0_inv
	v_cmpx_gt_u32_e32 20, v0
	s_cbranch_execz .LBB106_495
; %bb.488:
	ds_read_b128 v[1:4], v92
	v_cmp_ne_u32_e32 vcc_lo, 1, v93
	s_cbranch_vccnz .LBB106_490
; %bb.489:
	s_clause 0x3
	buffer_load_dword v94, v91, s[0:3], 0 offen offset:8
	buffer_load_dword v95, v91, s[0:3], 0 offen offset:12
	buffer_load_dword v98, v91, s[0:3], 0 offen
	buffer_load_dword v99, v91, s[0:3], 0 offen offset:4
	s_waitcnt vmcnt(2) lgkmcnt(0)
	v_mul_f64 v[100:101], v[3:4], v[94:95]
	v_mul_f64 v[94:95], v[1:2], v[94:95]
	s_waitcnt vmcnt(0)
	v_fma_f64 v[1:2], v[1:2], v[98:99], -v[100:101]
	v_fma_f64 v[3:4], v[3:4], v[98:99], v[94:95]
.LBB106_490:
	s_mov_b32 s8, exec_lo
	v_cmpx_ne_u32_e32 19, v0
	s_cbranch_execz .LBB106_494
; %bb.491:
	v_add_nc_u32_e32 v94, 0x2c0, v97
	v_add3_u32 v95, 0, v97, 16
	v_mov_b32_e32 v96, v0
	s_mov_b32 s50, 0
	.p2align	6
.LBB106_492:                            ; =>This Inner Loop Header: Depth=1
	s_clause 0x3
	buffer_load_dword v102, v95, s[0:3], 0 offen offset:8
	buffer_load_dword v103, v95, s[0:3], 0 offen offset:12
	buffer_load_dword v104, v95, s[0:3], 0 offen
	buffer_load_dword v105, v95, s[0:3], 0 offen offset:4
	ds_read_b128 v[98:101], v94
	v_add_nc_u32_e32 v96, 1, v96
	v_add_nc_u32_e32 v94, 16, v94
	;; [unrolled: 1-line block ×3, first 2 shown]
	v_cmp_lt_u32_e32 vcc_lo, 18, v96
	s_or_b32 s50, vcc_lo, s50
	s_waitcnt vmcnt(2) lgkmcnt(0)
	v_mul_f64 v[106:107], v[100:101], v[102:103]
	v_mul_f64 v[102:103], v[98:99], v[102:103]
	s_waitcnt vmcnt(0)
	v_fma_f64 v[98:99], v[98:99], v[104:105], -v[106:107]
	v_fma_f64 v[100:101], v[100:101], v[104:105], v[102:103]
	v_add_f64 v[1:2], v[1:2], v[98:99]
	v_add_f64 v[3:4], v[3:4], v[100:101]
	s_andn2_b32 exec_lo, exec_lo, s50
	s_cbranch_execnz .LBB106_492
; %bb.493:
	s_or_b32 exec_lo, exec_lo, s50
.LBB106_494:
	s_or_b32 exec_lo, exec_lo, s8
	v_mov_b32_e32 v94, 0
	ds_read_b128 v[98:101], v94 offset:320
	s_waitcnt lgkmcnt(0)
	v_mul_f64 v[94:95], v[3:4], v[100:101]
	v_mul_f64 v[100:101], v[1:2], v[100:101]
	v_fma_f64 v[1:2], v[1:2], v[98:99], -v[94:95]
	v_fma_f64 v[3:4], v[3:4], v[98:99], v[100:101]
	buffer_store_dword v2, off, s[0:3], 0 offset:324
	buffer_store_dword v1, off, s[0:3], 0 offset:320
	;; [unrolled: 1-line block ×4, first 2 shown]
.LBB106_495:
	s_or_b32 exec_lo, exec_lo, s4
	v_mov_b32_e32 v4, s28
	s_mov_b32 s4, exec_lo
	s_clause 0x3
	buffer_load_dword v1, v4, s[0:3], 0 offen
	buffer_load_dword v2, v4, s[0:3], 0 offen offset:4
	buffer_load_dword v3, v4, s[0:3], 0 offen offset:8
	;; [unrolled: 1-line block ×3, first 2 shown]
	s_waitcnt vmcnt(0)
	ds_write_b128 v92, v[1:4]
	s_waitcnt lgkmcnt(0)
	s_waitcnt_vscnt null, 0x0
	s_barrier
	buffer_gl0_inv
	v_cmpx_gt_u32_e32 21, v0
	s_cbranch_execz .LBB106_503
; %bb.496:
	ds_read_b128 v[1:4], v92
	v_cmp_ne_u32_e32 vcc_lo, 1, v93
	s_cbranch_vccnz .LBB106_498
; %bb.497:
	s_clause 0x3
	buffer_load_dword v94, v91, s[0:3], 0 offen offset:8
	buffer_load_dword v95, v91, s[0:3], 0 offen offset:12
	buffer_load_dword v98, v91, s[0:3], 0 offen
	buffer_load_dword v99, v91, s[0:3], 0 offen offset:4
	s_waitcnt vmcnt(2) lgkmcnt(0)
	v_mul_f64 v[100:101], v[3:4], v[94:95]
	v_mul_f64 v[94:95], v[1:2], v[94:95]
	s_waitcnt vmcnt(0)
	v_fma_f64 v[1:2], v[1:2], v[98:99], -v[100:101]
	v_fma_f64 v[3:4], v[3:4], v[98:99], v[94:95]
.LBB106_498:
	s_mov_b32 s8, exec_lo
	v_cmpx_ne_u32_e32 20, v0
	s_cbranch_execz .LBB106_502
; %bb.499:
	v_add_nc_u32_e32 v94, 0x2c0, v97
	v_add3_u32 v95, 0, v97, 16
	v_mov_b32_e32 v96, v0
	s_mov_b32 s50, 0
	.p2align	6
.LBB106_500:                            ; =>This Inner Loop Header: Depth=1
	s_clause 0x3
	buffer_load_dword v102, v95, s[0:3], 0 offen offset:8
	buffer_load_dword v103, v95, s[0:3], 0 offen offset:12
	buffer_load_dword v104, v95, s[0:3], 0 offen
	buffer_load_dword v105, v95, s[0:3], 0 offen offset:4
	ds_read_b128 v[98:101], v94
	v_add_nc_u32_e32 v96, 1, v96
	v_add_nc_u32_e32 v94, 16, v94
	;; [unrolled: 1-line block ×3, first 2 shown]
	v_cmp_lt_u32_e32 vcc_lo, 19, v96
	s_or_b32 s50, vcc_lo, s50
	s_waitcnt vmcnt(2) lgkmcnt(0)
	v_mul_f64 v[106:107], v[100:101], v[102:103]
	v_mul_f64 v[102:103], v[98:99], v[102:103]
	s_waitcnt vmcnt(0)
	v_fma_f64 v[98:99], v[98:99], v[104:105], -v[106:107]
	v_fma_f64 v[100:101], v[100:101], v[104:105], v[102:103]
	v_add_f64 v[1:2], v[1:2], v[98:99]
	v_add_f64 v[3:4], v[3:4], v[100:101]
	s_andn2_b32 exec_lo, exec_lo, s50
	s_cbranch_execnz .LBB106_500
; %bb.501:
	s_or_b32 exec_lo, exec_lo, s50
.LBB106_502:
	s_or_b32 exec_lo, exec_lo, s8
	v_mov_b32_e32 v94, 0
	ds_read_b128 v[98:101], v94 offset:336
	s_waitcnt lgkmcnt(0)
	v_mul_f64 v[94:95], v[3:4], v[100:101]
	v_mul_f64 v[100:101], v[1:2], v[100:101]
	v_fma_f64 v[1:2], v[1:2], v[98:99], -v[94:95]
	v_fma_f64 v[3:4], v[3:4], v[98:99], v[100:101]
	buffer_store_dword v2, off, s[0:3], 0 offset:340
	buffer_store_dword v1, off, s[0:3], 0 offset:336
	;; [unrolled: 1-line block ×4, first 2 shown]
.LBB106_503:
	s_or_b32 exec_lo, exec_lo, s4
	v_mov_b32_e32 v4, s27
	s_mov_b32 s4, exec_lo
	s_clause 0x3
	buffer_load_dword v1, v4, s[0:3], 0 offen
	buffer_load_dword v2, v4, s[0:3], 0 offen offset:4
	buffer_load_dword v3, v4, s[0:3], 0 offen offset:8
	;; [unrolled: 1-line block ×3, first 2 shown]
	s_waitcnt vmcnt(0)
	ds_write_b128 v92, v[1:4]
	s_waitcnt lgkmcnt(0)
	s_waitcnt_vscnt null, 0x0
	s_barrier
	buffer_gl0_inv
	v_cmpx_gt_u32_e32 22, v0
	s_cbranch_execz .LBB106_511
; %bb.504:
	ds_read_b128 v[1:4], v92
	v_cmp_ne_u32_e32 vcc_lo, 1, v93
	s_cbranch_vccnz .LBB106_506
; %bb.505:
	s_clause 0x3
	buffer_load_dword v94, v91, s[0:3], 0 offen offset:8
	buffer_load_dword v95, v91, s[0:3], 0 offen offset:12
	buffer_load_dword v98, v91, s[0:3], 0 offen
	buffer_load_dword v99, v91, s[0:3], 0 offen offset:4
	s_waitcnt vmcnt(2) lgkmcnt(0)
	v_mul_f64 v[100:101], v[3:4], v[94:95]
	v_mul_f64 v[94:95], v[1:2], v[94:95]
	s_waitcnt vmcnt(0)
	v_fma_f64 v[1:2], v[1:2], v[98:99], -v[100:101]
	v_fma_f64 v[3:4], v[3:4], v[98:99], v[94:95]
.LBB106_506:
	s_mov_b32 s8, exec_lo
	v_cmpx_ne_u32_e32 21, v0
	s_cbranch_execz .LBB106_510
; %bb.507:
	v_add_nc_u32_e32 v94, 0x2c0, v97
	v_add3_u32 v95, 0, v97, 16
	v_mov_b32_e32 v96, v0
	s_mov_b32 s50, 0
	.p2align	6
.LBB106_508:                            ; =>This Inner Loop Header: Depth=1
	s_clause 0x3
	buffer_load_dword v102, v95, s[0:3], 0 offen offset:8
	buffer_load_dword v103, v95, s[0:3], 0 offen offset:12
	buffer_load_dword v104, v95, s[0:3], 0 offen
	buffer_load_dword v105, v95, s[0:3], 0 offen offset:4
	ds_read_b128 v[98:101], v94
	v_add_nc_u32_e32 v96, 1, v96
	v_add_nc_u32_e32 v94, 16, v94
	v_add_nc_u32_e32 v95, 16, v95
	v_cmp_lt_u32_e32 vcc_lo, 20, v96
	s_or_b32 s50, vcc_lo, s50
	s_waitcnt vmcnt(2) lgkmcnt(0)
	v_mul_f64 v[106:107], v[100:101], v[102:103]
	v_mul_f64 v[102:103], v[98:99], v[102:103]
	s_waitcnt vmcnt(0)
	v_fma_f64 v[98:99], v[98:99], v[104:105], -v[106:107]
	v_fma_f64 v[100:101], v[100:101], v[104:105], v[102:103]
	v_add_f64 v[1:2], v[1:2], v[98:99]
	v_add_f64 v[3:4], v[3:4], v[100:101]
	s_andn2_b32 exec_lo, exec_lo, s50
	s_cbranch_execnz .LBB106_508
; %bb.509:
	s_or_b32 exec_lo, exec_lo, s50
.LBB106_510:
	s_or_b32 exec_lo, exec_lo, s8
	v_mov_b32_e32 v94, 0
	ds_read_b128 v[98:101], v94 offset:352
	s_waitcnt lgkmcnt(0)
	v_mul_f64 v[94:95], v[3:4], v[100:101]
	v_mul_f64 v[100:101], v[1:2], v[100:101]
	v_fma_f64 v[1:2], v[1:2], v[98:99], -v[94:95]
	v_fma_f64 v[3:4], v[3:4], v[98:99], v[100:101]
	buffer_store_dword v2, off, s[0:3], 0 offset:356
	buffer_store_dword v1, off, s[0:3], 0 offset:352
	;; [unrolled: 1-line block ×4, first 2 shown]
.LBB106_511:
	s_or_b32 exec_lo, exec_lo, s4
	v_mov_b32_e32 v4, s26
	s_mov_b32 s4, exec_lo
	s_clause 0x3
	buffer_load_dword v1, v4, s[0:3], 0 offen
	buffer_load_dword v2, v4, s[0:3], 0 offen offset:4
	buffer_load_dword v3, v4, s[0:3], 0 offen offset:8
	;; [unrolled: 1-line block ×3, first 2 shown]
	s_waitcnt vmcnt(0)
	ds_write_b128 v92, v[1:4]
	s_waitcnt lgkmcnt(0)
	s_waitcnt_vscnt null, 0x0
	s_barrier
	buffer_gl0_inv
	v_cmpx_gt_u32_e32 23, v0
	s_cbranch_execz .LBB106_519
; %bb.512:
	ds_read_b128 v[1:4], v92
	v_cmp_ne_u32_e32 vcc_lo, 1, v93
	s_cbranch_vccnz .LBB106_514
; %bb.513:
	s_clause 0x3
	buffer_load_dword v94, v91, s[0:3], 0 offen offset:8
	buffer_load_dword v95, v91, s[0:3], 0 offen offset:12
	buffer_load_dword v98, v91, s[0:3], 0 offen
	buffer_load_dword v99, v91, s[0:3], 0 offen offset:4
	s_waitcnt vmcnt(2) lgkmcnt(0)
	v_mul_f64 v[100:101], v[3:4], v[94:95]
	v_mul_f64 v[94:95], v[1:2], v[94:95]
	s_waitcnt vmcnt(0)
	v_fma_f64 v[1:2], v[1:2], v[98:99], -v[100:101]
	v_fma_f64 v[3:4], v[3:4], v[98:99], v[94:95]
.LBB106_514:
	s_mov_b32 s8, exec_lo
	v_cmpx_ne_u32_e32 22, v0
	s_cbranch_execz .LBB106_518
; %bb.515:
	v_add_nc_u32_e32 v94, 0x2c0, v97
	v_add3_u32 v95, 0, v97, 16
	v_mov_b32_e32 v96, v0
	s_mov_b32 s50, 0
	.p2align	6
.LBB106_516:                            ; =>This Inner Loop Header: Depth=1
	s_clause 0x3
	buffer_load_dword v102, v95, s[0:3], 0 offen offset:8
	buffer_load_dword v103, v95, s[0:3], 0 offen offset:12
	buffer_load_dword v104, v95, s[0:3], 0 offen
	buffer_load_dword v105, v95, s[0:3], 0 offen offset:4
	ds_read_b128 v[98:101], v94
	v_add_nc_u32_e32 v96, 1, v96
	v_add_nc_u32_e32 v94, 16, v94
	;; [unrolled: 1-line block ×3, first 2 shown]
	v_cmp_lt_u32_e32 vcc_lo, 21, v96
	s_or_b32 s50, vcc_lo, s50
	s_waitcnt vmcnt(2) lgkmcnt(0)
	v_mul_f64 v[106:107], v[100:101], v[102:103]
	v_mul_f64 v[102:103], v[98:99], v[102:103]
	s_waitcnt vmcnt(0)
	v_fma_f64 v[98:99], v[98:99], v[104:105], -v[106:107]
	v_fma_f64 v[100:101], v[100:101], v[104:105], v[102:103]
	v_add_f64 v[1:2], v[1:2], v[98:99]
	v_add_f64 v[3:4], v[3:4], v[100:101]
	s_andn2_b32 exec_lo, exec_lo, s50
	s_cbranch_execnz .LBB106_516
; %bb.517:
	s_or_b32 exec_lo, exec_lo, s50
.LBB106_518:
	s_or_b32 exec_lo, exec_lo, s8
	v_mov_b32_e32 v94, 0
	ds_read_b128 v[98:101], v94 offset:368
	s_waitcnt lgkmcnt(0)
	v_mul_f64 v[94:95], v[3:4], v[100:101]
	v_mul_f64 v[100:101], v[1:2], v[100:101]
	v_fma_f64 v[1:2], v[1:2], v[98:99], -v[94:95]
	v_fma_f64 v[3:4], v[3:4], v[98:99], v[100:101]
	buffer_store_dword v2, off, s[0:3], 0 offset:372
	buffer_store_dword v1, off, s[0:3], 0 offset:368
	buffer_store_dword v4, off, s[0:3], 0 offset:380
	buffer_store_dword v3, off, s[0:3], 0 offset:376
.LBB106_519:
	s_or_b32 exec_lo, exec_lo, s4
	v_mov_b32_e32 v4, s25
	s_mov_b32 s4, exec_lo
	s_clause 0x3
	buffer_load_dword v1, v4, s[0:3], 0 offen
	buffer_load_dword v2, v4, s[0:3], 0 offen offset:4
	buffer_load_dword v3, v4, s[0:3], 0 offen offset:8
	;; [unrolled: 1-line block ×3, first 2 shown]
	s_waitcnt vmcnt(0)
	ds_write_b128 v92, v[1:4]
	s_waitcnt lgkmcnt(0)
	s_waitcnt_vscnt null, 0x0
	s_barrier
	buffer_gl0_inv
	v_cmpx_gt_u32_e32 24, v0
	s_cbranch_execz .LBB106_527
; %bb.520:
	ds_read_b128 v[1:4], v92
	v_cmp_ne_u32_e32 vcc_lo, 1, v93
	s_cbranch_vccnz .LBB106_522
; %bb.521:
	s_clause 0x3
	buffer_load_dword v94, v91, s[0:3], 0 offen offset:8
	buffer_load_dword v95, v91, s[0:3], 0 offen offset:12
	buffer_load_dword v98, v91, s[0:3], 0 offen
	buffer_load_dword v99, v91, s[0:3], 0 offen offset:4
	s_waitcnt vmcnt(2) lgkmcnt(0)
	v_mul_f64 v[100:101], v[3:4], v[94:95]
	v_mul_f64 v[94:95], v[1:2], v[94:95]
	s_waitcnt vmcnt(0)
	v_fma_f64 v[1:2], v[1:2], v[98:99], -v[100:101]
	v_fma_f64 v[3:4], v[3:4], v[98:99], v[94:95]
.LBB106_522:
	s_mov_b32 s8, exec_lo
	v_cmpx_ne_u32_e32 23, v0
	s_cbranch_execz .LBB106_526
; %bb.523:
	v_add_nc_u32_e32 v94, 0x2c0, v97
	v_add3_u32 v95, 0, v97, 16
	v_mov_b32_e32 v96, v0
	s_mov_b32 s50, 0
	.p2align	6
.LBB106_524:                            ; =>This Inner Loop Header: Depth=1
	s_clause 0x3
	buffer_load_dword v102, v95, s[0:3], 0 offen offset:8
	buffer_load_dword v103, v95, s[0:3], 0 offen offset:12
	buffer_load_dword v104, v95, s[0:3], 0 offen
	buffer_load_dword v105, v95, s[0:3], 0 offen offset:4
	ds_read_b128 v[98:101], v94
	v_add_nc_u32_e32 v96, 1, v96
	v_add_nc_u32_e32 v94, 16, v94
	v_add_nc_u32_e32 v95, 16, v95
	v_cmp_lt_u32_e32 vcc_lo, 22, v96
	s_or_b32 s50, vcc_lo, s50
	s_waitcnt vmcnt(2) lgkmcnt(0)
	v_mul_f64 v[106:107], v[100:101], v[102:103]
	v_mul_f64 v[102:103], v[98:99], v[102:103]
	s_waitcnt vmcnt(0)
	v_fma_f64 v[98:99], v[98:99], v[104:105], -v[106:107]
	v_fma_f64 v[100:101], v[100:101], v[104:105], v[102:103]
	v_add_f64 v[1:2], v[1:2], v[98:99]
	v_add_f64 v[3:4], v[3:4], v[100:101]
	s_andn2_b32 exec_lo, exec_lo, s50
	s_cbranch_execnz .LBB106_524
; %bb.525:
	s_or_b32 exec_lo, exec_lo, s50
.LBB106_526:
	s_or_b32 exec_lo, exec_lo, s8
	v_mov_b32_e32 v94, 0
	ds_read_b128 v[98:101], v94 offset:384
	s_waitcnt lgkmcnt(0)
	v_mul_f64 v[94:95], v[3:4], v[100:101]
	v_mul_f64 v[100:101], v[1:2], v[100:101]
	v_fma_f64 v[1:2], v[1:2], v[98:99], -v[94:95]
	v_fma_f64 v[3:4], v[3:4], v[98:99], v[100:101]
	buffer_store_dword v2, off, s[0:3], 0 offset:388
	buffer_store_dword v1, off, s[0:3], 0 offset:384
	;; [unrolled: 1-line block ×4, first 2 shown]
.LBB106_527:
	s_or_b32 exec_lo, exec_lo, s4
	v_mov_b32_e32 v4, s24
	s_mov_b32 s4, exec_lo
	s_clause 0x3
	buffer_load_dword v1, v4, s[0:3], 0 offen
	buffer_load_dword v2, v4, s[0:3], 0 offen offset:4
	buffer_load_dword v3, v4, s[0:3], 0 offen offset:8
	;; [unrolled: 1-line block ×3, first 2 shown]
	s_waitcnt vmcnt(0)
	ds_write_b128 v92, v[1:4]
	s_waitcnt lgkmcnt(0)
	s_waitcnt_vscnt null, 0x0
	s_barrier
	buffer_gl0_inv
	v_cmpx_gt_u32_e32 25, v0
	s_cbranch_execz .LBB106_535
; %bb.528:
	ds_read_b128 v[1:4], v92
	v_cmp_ne_u32_e32 vcc_lo, 1, v93
	s_cbranch_vccnz .LBB106_530
; %bb.529:
	s_clause 0x3
	buffer_load_dword v94, v91, s[0:3], 0 offen offset:8
	buffer_load_dword v95, v91, s[0:3], 0 offen offset:12
	buffer_load_dword v98, v91, s[0:3], 0 offen
	buffer_load_dword v99, v91, s[0:3], 0 offen offset:4
	s_waitcnt vmcnt(2) lgkmcnt(0)
	v_mul_f64 v[100:101], v[3:4], v[94:95]
	v_mul_f64 v[94:95], v[1:2], v[94:95]
	s_waitcnt vmcnt(0)
	v_fma_f64 v[1:2], v[1:2], v[98:99], -v[100:101]
	v_fma_f64 v[3:4], v[3:4], v[98:99], v[94:95]
.LBB106_530:
	s_mov_b32 s8, exec_lo
	v_cmpx_ne_u32_e32 24, v0
	s_cbranch_execz .LBB106_534
; %bb.531:
	v_add_nc_u32_e32 v94, 0x2c0, v97
	v_add3_u32 v95, 0, v97, 16
	v_mov_b32_e32 v96, v0
	s_mov_b32 s50, 0
	.p2align	6
.LBB106_532:                            ; =>This Inner Loop Header: Depth=1
	s_clause 0x3
	buffer_load_dword v102, v95, s[0:3], 0 offen offset:8
	buffer_load_dword v103, v95, s[0:3], 0 offen offset:12
	buffer_load_dword v104, v95, s[0:3], 0 offen
	buffer_load_dword v105, v95, s[0:3], 0 offen offset:4
	ds_read_b128 v[98:101], v94
	v_add_nc_u32_e32 v96, 1, v96
	v_add_nc_u32_e32 v94, 16, v94
	;; [unrolled: 1-line block ×3, first 2 shown]
	v_cmp_lt_u32_e32 vcc_lo, 23, v96
	s_or_b32 s50, vcc_lo, s50
	s_waitcnt vmcnt(2) lgkmcnt(0)
	v_mul_f64 v[106:107], v[100:101], v[102:103]
	v_mul_f64 v[102:103], v[98:99], v[102:103]
	s_waitcnt vmcnt(0)
	v_fma_f64 v[98:99], v[98:99], v[104:105], -v[106:107]
	v_fma_f64 v[100:101], v[100:101], v[104:105], v[102:103]
	v_add_f64 v[1:2], v[1:2], v[98:99]
	v_add_f64 v[3:4], v[3:4], v[100:101]
	s_andn2_b32 exec_lo, exec_lo, s50
	s_cbranch_execnz .LBB106_532
; %bb.533:
	s_or_b32 exec_lo, exec_lo, s50
.LBB106_534:
	s_or_b32 exec_lo, exec_lo, s8
	v_mov_b32_e32 v94, 0
	ds_read_b128 v[98:101], v94 offset:400
	s_waitcnt lgkmcnt(0)
	v_mul_f64 v[94:95], v[3:4], v[100:101]
	v_mul_f64 v[100:101], v[1:2], v[100:101]
	v_fma_f64 v[1:2], v[1:2], v[98:99], -v[94:95]
	v_fma_f64 v[3:4], v[3:4], v[98:99], v[100:101]
	buffer_store_dword v2, off, s[0:3], 0 offset:404
	buffer_store_dword v1, off, s[0:3], 0 offset:400
	;; [unrolled: 1-line block ×4, first 2 shown]
.LBB106_535:
	s_or_b32 exec_lo, exec_lo, s4
	v_mov_b32_e32 v4, s23
	s_mov_b32 s4, exec_lo
	s_clause 0x3
	buffer_load_dword v1, v4, s[0:3], 0 offen
	buffer_load_dword v2, v4, s[0:3], 0 offen offset:4
	buffer_load_dword v3, v4, s[0:3], 0 offen offset:8
	;; [unrolled: 1-line block ×3, first 2 shown]
	s_waitcnt vmcnt(0)
	ds_write_b128 v92, v[1:4]
	s_waitcnt lgkmcnt(0)
	s_waitcnt_vscnt null, 0x0
	s_barrier
	buffer_gl0_inv
	v_cmpx_gt_u32_e32 26, v0
	s_cbranch_execz .LBB106_543
; %bb.536:
	ds_read_b128 v[1:4], v92
	v_cmp_ne_u32_e32 vcc_lo, 1, v93
	s_cbranch_vccnz .LBB106_538
; %bb.537:
	s_clause 0x3
	buffer_load_dword v94, v91, s[0:3], 0 offen offset:8
	buffer_load_dword v95, v91, s[0:3], 0 offen offset:12
	buffer_load_dword v98, v91, s[0:3], 0 offen
	buffer_load_dword v99, v91, s[0:3], 0 offen offset:4
	s_waitcnt vmcnt(2) lgkmcnt(0)
	v_mul_f64 v[100:101], v[3:4], v[94:95]
	v_mul_f64 v[94:95], v[1:2], v[94:95]
	s_waitcnt vmcnt(0)
	v_fma_f64 v[1:2], v[1:2], v[98:99], -v[100:101]
	v_fma_f64 v[3:4], v[3:4], v[98:99], v[94:95]
.LBB106_538:
	s_mov_b32 s8, exec_lo
	v_cmpx_ne_u32_e32 25, v0
	s_cbranch_execz .LBB106_542
; %bb.539:
	v_add_nc_u32_e32 v94, 0x2c0, v97
	v_add3_u32 v95, 0, v97, 16
	v_mov_b32_e32 v96, v0
	s_mov_b32 s50, 0
	.p2align	6
.LBB106_540:                            ; =>This Inner Loop Header: Depth=1
	s_clause 0x3
	buffer_load_dword v102, v95, s[0:3], 0 offen offset:8
	buffer_load_dword v103, v95, s[0:3], 0 offen offset:12
	buffer_load_dword v104, v95, s[0:3], 0 offen
	buffer_load_dword v105, v95, s[0:3], 0 offen offset:4
	ds_read_b128 v[98:101], v94
	v_add_nc_u32_e32 v96, 1, v96
	v_add_nc_u32_e32 v94, 16, v94
	v_add_nc_u32_e32 v95, 16, v95
	v_cmp_lt_u32_e32 vcc_lo, 24, v96
	s_or_b32 s50, vcc_lo, s50
	s_waitcnt vmcnt(2) lgkmcnt(0)
	v_mul_f64 v[106:107], v[100:101], v[102:103]
	v_mul_f64 v[102:103], v[98:99], v[102:103]
	s_waitcnt vmcnt(0)
	v_fma_f64 v[98:99], v[98:99], v[104:105], -v[106:107]
	v_fma_f64 v[100:101], v[100:101], v[104:105], v[102:103]
	v_add_f64 v[1:2], v[1:2], v[98:99]
	v_add_f64 v[3:4], v[3:4], v[100:101]
	s_andn2_b32 exec_lo, exec_lo, s50
	s_cbranch_execnz .LBB106_540
; %bb.541:
	s_or_b32 exec_lo, exec_lo, s50
.LBB106_542:
	s_or_b32 exec_lo, exec_lo, s8
	v_mov_b32_e32 v94, 0
	ds_read_b128 v[98:101], v94 offset:416
	s_waitcnt lgkmcnt(0)
	v_mul_f64 v[94:95], v[3:4], v[100:101]
	v_mul_f64 v[100:101], v[1:2], v[100:101]
	v_fma_f64 v[1:2], v[1:2], v[98:99], -v[94:95]
	v_fma_f64 v[3:4], v[3:4], v[98:99], v[100:101]
	buffer_store_dword v2, off, s[0:3], 0 offset:420
	buffer_store_dword v1, off, s[0:3], 0 offset:416
	;; [unrolled: 1-line block ×4, first 2 shown]
.LBB106_543:
	s_or_b32 exec_lo, exec_lo, s4
	v_mov_b32_e32 v4, s22
	s_mov_b32 s4, exec_lo
	s_clause 0x3
	buffer_load_dword v1, v4, s[0:3], 0 offen
	buffer_load_dword v2, v4, s[0:3], 0 offen offset:4
	buffer_load_dword v3, v4, s[0:3], 0 offen offset:8
	;; [unrolled: 1-line block ×3, first 2 shown]
	s_waitcnt vmcnt(0)
	ds_write_b128 v92, v[1:4]
	s_waitcnt lgkmcnt(0)
	s_waitcnt_vscnt null, 0x0
	s_barrier
	buffer_gl0_inv
	v_cmpx_gt_u32_e32 27, v0
	s_cbranch_execz .LBB106_551
; %bb.544:
	ds_read_b128 v[1:4], v92
	v_cmp_ne_u32_e32 vcc_lo, 1, v93
	s_cbranch_vccnz .LBB106_546
; %bb.545:
	s_clause 0x3
	buffer_load_dword v94, v91, s[0:3], 0 offen offset:8
	buffer_load_dword v95, v91, s[0:3], 0 offen offset:12
	buffer_load_dword v98, v91, s[0:3], 0 offen
	buffer_load_dword v99, v91, s[0:3], 0 offen offset:4
	s_waitcnt vmcnt(2) lgkmcnt(0)
	v_mul_f64 v[100:101], v[3:4], v[94:95]
	v_mul_f64 v[94:95], v[1:2], v[94:95]
	s_waitcnt vmcnt(0)
	v_fma_f64 v[1:2], v[1:2], v[98:99], -v[100:101]
	v_fma_f64 v[3:4], v[3:4], v[98:99], v[94:95]
.LBB106_546:
	s_mov_b32 s8, exec_lo
	v_cmpx_ne_u32_e32 26, v0
	s_cbranch_execz .LBB106_550
; %bb.547:
	v_add_nc_u32_e32 v94, 0x2c0, v97
	v_add3_u32 v95, 0, v97, 16
	v_mov_b32_e32 v96, v0
	s_mov_b32 s50, 0
	.p2align	6
.LBB106_548:                            ; =>This Inner Loop Header: Depth=1
	s_clause 0x3
	buffer_load_dword v102, v95, s[0:3], 0 offen offset:8
	buffer_load_dword v103, v95, s[0:3], 0 offen offset:12
	buffer_load_dword v104, v95, s[0:3], 0 offen
	buffer_load_dword v105, v95, s[0:3], 0 offen offset:4
	ds_read_b128 v[98:101], v94
	v_add_nc_u32_e32 v96, 1, v96
	v_add_nc_u32_e32 v94, 16, v94
	;; [unrolled: 1-line block ×3, first 2 shown]
	v_cmp_lt_u32_e32 vcc_lo, 25, v96
	s_or_b32 s50, vcc_lo, s50
	s_waitcnt vmcnt(2) lgkmcnt(0)
	v_mul_f64 v[106:107], v[100:101], v[102:103]
	v_mul_f64 v[102:103], v[98:99], v[102:103]
	s_waitcnt vmcnt(0)
	v_fma_f64 v[98:99], v[98:99], v[104:105], -v[106:107]
	v_fma_f64 v[100:101], v[100:101], v[104:105], v[102:103]
	v_add_f64 v[1:2], v[1:2], v[98:99]
	v_add_f64 v[3:4], v[3:4], v[100:101]
	s_andn2_b32 exec_lo, exec_lo, s50
	s_cbranch_execnz .LBB106_548
; %bb.549:
	s_or_b32 exec_lo, exec_lo, s50
.LBB106_550:
	s_or_b32 exec_lo, exec_lo, s8
	v_mov_b32_e32 v94, 0
	ds_read_b128 v[98:101], v94 offset:432
	s_waitcnt lgkmcnt(0)
	v_mul_f64 v[94:95], v[3:4], v[100:101]
	v_mul_f64 v[100:101], v[1:2], v[100:101]
	v_fma_f64 v[1:2], v[1:2], v[98:99], -v[94:95]
	v_fma_f64 v[3:4], v[3:4], v[98:99], v[100:101]
	buffer_store_dword v2, off, s[0:3], 0 offset:436
	buffer_store_dword v1, off, s[0:3], 0 offset:432
	;; [unrolled: 1-line block ×4, first 2 shown]
.LBB106_551:
	s_or_b32 exec_lo, exec_lo, s4
	v_mov_b32_e32 v4, s21
	s_mov_b32 s4, exec_lo
	s_clause 0x3
	buffer_load_dword v1, v4, s[0:3], 0 offen
	buffer_load_dword v2, v4, s[0:3], 0 offen offset:4
	buffer_load_dword v3, v4, s[0:3], 0 offen offset:8
	;; [unrolled: 1-line block ×3, first 2 shown]
	s_waitcnt vmcnt(0)
	ds_write_b128 v92, v[1:4]
	s_waitcnt lgkmcnt(0)
	s_waitcnt_vscnt null, 0x0
	s_barrier
	buffer_gl0_inv
	v_cmpx_gt_u32_e32 28, v0
	s_cbranch_execz .LBB106_559
; %bb.552:
	ds_read_b128 v[1:4], v92
	v_cmp_ne_u32_e32 vcc_lo, 1, v93
	s_cbranch_vccnz .LBB106_554
; %bb.553:
	s_clause 0x3
	buffer_load_dword v94, v91, s[0:3], 0 offen offset:8
	buffer_load_dword v95, v91, s[0:3], 0 offen offset:12
	buffer_load_dword v98, v91, s[0:3], 0 offen
	buffer_load_dword v99, v91, s[0:3], 0 offen offset:4
	s_waitcnt vmcnt(2) lgkmcnt(0)
	v_mul_f64 v[100:101], v[3:4], v[94:95]
	v_mul_f64 v[94:95], v[1:2], v[94:95]
	s_waitcnt vmcnt(0)
	v_fma_f64 v[1:2], v[1:2], v[98:99], -v[100:101]
	v_fma_f64 v[3:4], v[3:4], v[98:99], v[94:95]
.LBB106_554:
	s_mov_b32 s8, exec_lo
	v_cmpx_ne_u32_e32 27, v0
	s_cbranch_execz .LBB106_558
; %bb.555:
	v_add_nc_u32_e32 v94, 0x2c0, v97
	v_add3_u32 v95, 0, v97, 16
	v_mov_b32_e32 v96, v0
	s_mov_b32 s50, 0
	.p2align	6
.LBB106_556:                            ; =>This Inner Loop Header: Depth=1
	s_clause 0x3
	buffer_load_dword v102, v95, s[0:3], 0 offen offset:8
	buffer_load_dword v103, v95, s[0:3], 0 offen offset:12
	buffer_load_dword v104, v95, s[0:3], 0 offen
	buffer_load_dword v105, v95, s[0:3], 0 offen offset:4
	ds_read_b128 v[98:101], v94
	v_add_nc_u32_e32 v96, 1, v96
	v_add_nc_u32_e32 v94, 16, v94
	;; [unrolled: 1-line block ×3, first 2 shown]
	v_cmp_lt_u32_e32 vcc_lo, 26, v96
	s_or_b32 s50, vcc_lo, s50
	s_waitcnt vmcnt(2) lgkmcnt(0)
	v_mul_f64 v[106:107], v[100:101], v[102:103]
	v_mul_f64 v[102:103], v[98:99], v[102:103]
	s_waitcnt vmcnt(0)
	v_fma_f64 v[98:99], v[98:99], v[104:105], -v[106:107]
	v_fma_f64 v[100:101], v[100:101], v[104:105], v[102:103]
	v_add_f64 v[1:2], v[1:2], v[98:99]
	v_add_f64 v[3:4], v[3:4], v[100:101]
	s_andn2_b32 exec_lo, exec_lo, s50
	s_cbranch_execnz .LBB106_556
; %bb.557:
	s_or_b32 exec_lo, exec_lo, s50
.LBB106_558:
	s_or_b32 exec_lo, exec_lo, s8
	v_mov_b32_e32 v94, 0
	ds_read_b128 v[98:101], v94 offset:448
	s_waitcnt lgkmcnt(0)
	v_mul_f64 v[94:95], v[3:4], v[100:101]
	v_mul_f64 v[100:101], v[1:2], v[100:101]
	v_fma_f64 v[1:2], v[1:2], v[98:99], -v[94:95]
	v_fma_f64 v[3:4], v[3:4], v[98:99], v[100:101]
	buffer_store_dword v2, off, s[0:3], 0 offset:452
	buffer_store_dword v1, off, s[0:3], 0 offset:448
	;; [unrolled: 1-line block ×4, first 2 shown]
.LBB106_559:
	s_or_b32 exec_lo, exec_lo, s4
	v_mov_b32_e32 v4, s20
	s_mov_b32 s4, exec_lo
	s_clause 0x3
	buffer_load_dword v1, v4, s[0:3], 0 offen
	buffer_load_dword v2, v4, s[0:3], 0 offen offset:4
	buffer_load_dword v3, v4, s[0:3], 0 offen offset:8
	;; [unrolled: 1-line block ×3, first 2 shown]
	s_waitcnt vmcnt(0)
	ds_write_b128 v92, v[1:4]
	s_waitcnt lgkmcnt(0)
	s_waitcnt_vscnt null, 0x0
	s_barrier
	buffer_gl0_inv
	v_cmpx_gt_u32_e32 29, v0
	s_cbranch_execz .LBB106_567
; %bb.560:
	ds_read_b128 v[1:4], v92
	v_cmp_ne_u32_e32 vcc_lo, 1, v93
	s_cbranch_vccnz .LBB106_562
; %bb.561:
	s_clause 0x3
	buffer_load_dword v94, v91, s[0:3], 0 offen offset:8
	buffer_load_dword v95, v91, s[0:3], 0 offen offset:12
	buffer_load_dword v98, v91, s[0:3], 0 offen
	buffer_load_dword v99, v91, s[0:3], 0 offen offset:4
	s_waitcnt vmcnt(2) lgkmcnt(0)
	v_mul_f64 v[100:101], v[3:4], v[94:95]
	v_mul_f64 v[94:95], v[1:2], v[94:95]
	s_waitcnt vmcnt(0)
	v_fma_f64 v[1:2], v[1:2], v[98:99], -v[100:101]
	v_fma_f64 v[3:4], v[3:4], v[98:99], v[94:95]
.LBB106_562:
	s_mov_b32 s8, exec_lo
	v_cmpx_ne_u32_e32 28, v0
	s_cbranch_execz .LBB106_566
; %bb.563:
	v_add_nc_u32_e32 v94, 0x2c0, v97
	v_add3_u32 v95, 0, v97, 16
	v_mov_b32_e32 v96, v0
	s_mov_b32 s50, 0
	.p2align	6
.LBB106_564:                            ; =>This Inner Loop Header: Depth=1
	s_clause 0x3
	buffer_load_dword v102, v95, s[0:3], 0 offen offset:8
	buffer_load_dword v103, v95, s[0:3], 0 offen offset:12
	buffer_load_dword v104, v95, s[0:3], 0 offen
	buffer_load_dword v105, v95, s[0:3], 0 offen offset:4
	ds_read_b128 v[98:101], v94
	v_add_nc_u32_e32 v96, 1, v96
	v_add_nc_u32_e32 v94, 16, v94
	;; [unrolled: 1-line block ×3, first 2 shown]
	v_cmp_lt_u32_e32 vcc_lo, 27, v96
	s_or_b32 s50, vcc_lo, s50
	s_waitcnt vmcnt(2) lgkmcnt(0)
	v_mul_f64 v[106:107], v[100:101], v[102:103]
	v_mul_f64 v[102:103], v[98:99], v[102:103]
	s_waitcnt vmcnt(0)
	v_fma_f64 v[98:99], v[98:99], v[104:105], -v[106:107]
	v_fma_f64 v[100:101], v[100:101], v[104:105], v[102:103]
	v_add_f64 v[1:2], v[1:2], v[98:99]
	v_add_f64 v[3:4], v[3:4], v[100:101]
	s_andn2_b32 exec_lo, exec_lo, s50
	s_cbranch_execnz .LBB106_564
; %bb.565:
	s_or_b32 exec_lo, exec_lo, s50
.LBB106_566:
	s_or_b32 exec_lo, exec_lo, s8
	v_mov_b32_e32 v94, 0
	ds_read_b128 v[98:101], v94 offset:464
	s_waitcnt lgkmcnt(0)
	v_mul_f64 v[94:95], v[3:4], v[100:101]
	v_mul_f64 v[100:101], v[1:2], v[100:101]
	v_fma_f64 v[1:2], v[1:2], v[98:99], -v[94:95]
	v_fma_f64 v[3:4], v[3:4], v[98:99], v[100:101]
	buffer_store_dword v2, off, s[0:3], 0 offset:468
	buffer_store_dword v1, off, s[0:3], 0 offset:464
	;; [unrolled: 1-line block ×4, first 2 shown]
.LBB106_567:
	s_or_b32 exec_lo, exec_lo, s4
	v_mov_b32_e32 v4, s19
	s_mov_b32 s4, exec_lo
	s_clause 0x3
	buffer_load_dword v1, v4, s[0:3], 0 offen
	buffer_load_dword v2, v4, s[0:3], 0 offen offset:4
	buffer_load_dword v3, v4, s[0:3], 0 offen offset:8
	;; [unrolled: 1-line block ×3, first 2 shown]
	s_waitcnt vmcnt(0)
	ds_write_b128 v92, v[1:4]
	s_waitcnt lgkmcnt(0)
	s_waitcnt_vscnt null, 0x0
	s_barrier
	buffer_gl0_inv
	v_cmpx_gt_u32_e32 30, v0
	s_cbranch_execz .LBB106_575
; %bb.568:
	ds_read_b128 v[1:4], v92
	v_cmp_ne_u32_e32 vcc_lo, 1, v93
	s_cbranch_vccnz .LBB106_570
; %bb.569:
	s_clause 0x3
	buffer_load_dword v94, v91, s[0:3], 0 offen offset:8
	buffer_load_dword v95, v91, s[0:3], 0 offen offset:12
	buffer_load_dword v98, v91, s[0:3], 0 offen
	buffer_load_dword v99, v91, s[0:3], 0 offen offset:4
	s_waitcnt vmcnt(2) lgkmcnt(0)
	v_mul_f64 v[100:101], v[3:4], v[94:95]
	v_mul_f64 v[94:95], v[1:2], v[94:95]
	s_waitcnt vmcnt(0)
	v_fma_f64 v[1:2], v[1:2], v[98:99], -v[100:101]
	v_fma_f64 v[3:4], v[3:4], v[98:99], v[94:95]
.LBB106_570:
	s_mov_b32 s8, exec_lo
	v_cmpx_ne_u32_e32 29, v0
	s_cbranch_execz .LBB106_574
; %bb.571:
	v_add_nc_u32_e32 v94, 0x2c0, v97
	v_add3_u32 v95, 0, v97, 16
	v_mov_b32_e32 v96, v0
	s_mov_b32 s50, 0
	.p2align	6
.LBB106_572:                            ; =>This Inner Loop Header: Depth=1
	s_clause 0x3
	buffer_load_dword v102, v95, s[0:3], 0 offen offset:8
	buffer_load_dword v103, v95, s[0:3], 0 offen offset:12
	buffer_load_dword v104, v95, s[0:3], 0 offen
	buffer_load_dword v105, v95, s[0:3], 0 offen offset:4
	ds_read_b128 v[98:101], v94
	v_add_nc_u32_e32 v96, 1, v96
	v_add_nc_u32_e32 v94, 16, v94
	;; [unrolled: 1-line block ×3, first 2 shown]
	v_cmp_lt_u32_e32 vcc_lo, 28, v96
	s_or_b32 s50, vcc_lo, s50
	s_waitcnt vmcnt(2) lgkmcnt(0)
	v_mul_f64 v[106:107], v[100:101], v[102:103]
	v_mul_f64 v[102:103], v[98:99], v[102:103]
	s_waitcnt vmcnt(0)
	v_fma_f64 v[98:99], v[98:99], v[104:105], -v[106:107]
	v_fma_f64 v[100:101], v[100:101], v[104:105], v[102:103]
	v_add_f64 v[1:2], v[1:2], v[98:99]
	v_add_f64 v[3:4], v[3:4], v[100:101]
	s_andn2_b32 exec_lo, exec_lo, s50
	s_cbranch_execnz .LBB106_572
; %bb.573:
	s_or_b32 exec_lo, exec_lo, s50
.LBB106_574:
	s_or_b32 exec_lo, exec_lo, s8
	v_mov_b32_e32 v94, 0
	ds_read_b128 v[98:101], v94 offset:480
	s_waitcnt lgkmcnt(0)
	v_mul_f64 v[94:95], v[3:4], v[100:101]
	v_mul_f64 v[100:101], v[1:2], v[100:101]
	v_fma_f64 v[1:2], v[1:2], v[98:99], -v[94:95]
	v_fma_f64 v[3:4], v[3:4], v[98:99], v[100:101]
	buffer_store_dword v2, off, s[0:3], 0 offset:484
	buffer_store_dword v1, off, s[0:3], 0 offset:480
	;; [unrolled: 1-line block ×4, first 2 shown]
.LBB106_575:
	s_or_b32 exec_lo, exec_lo, s4
	v_mov_b32_e32 v4, s18
	s_mov_b32 s4, exec_lo
	s_clause 0x3
	buffer_load_dword v1, v4, s[0:3], 0 offen
	buffer_load_dword v2, v4, s[0:3], 0 offen offset:4
	buffer_load_dword v3, v4, s[0:3], 0 offen offset:8
	;; [unrolled: 1-line block ×3, first 2 shown]
	s_waitcnt vmcnt(0)
	ds_write_b128 v92, v[1:4]
	s_waitcnt lgkmcnt(0)
	s_waitcnt_vscnt null, 0x0
	s_barrier
	buffer_gl0_inv
	v_cmpx_gt_u32_e32 31, v0
	s_cbranch_execz .LBB106_583
; %bb.576:
	ds_read_b128 v[1:4], v92
	v_cmp_ne_u32_e32 vcc_lo, 1, v93
	s_cbranch_vccnz .LBB106_578
; %bb.577:
	s_clause 0x3
	buffer_load_dword v94, v91, s[0:3], 0 offen offset:8
	buffer_load_dword v95, v91, s[0:3], 0 offen offset:12
	buffer_load_dword v98, v91, s[0:3], 0 offen
	buffer_load_dword v99, v91, s[0:3], 0 offen offset:4
	s_waitcnt vmcnt(2) lgkmcnt(0)
	v_mul_f64 v[100:101], v[3:4], v[94:95]
	v_mul_f64 v[94:95], v[1:2], v[94:95]
	s_waitcnt vmcnt(0)
	v_fma_f64 v[1:2], v[1:2], v[98:99], -v[100:101]
	v_fma_f64 v[3:4], v[3:4], v[98:99], v[94:95]
.LBB106_578:
	s_mov_b32 s8, exec_lo
	v_cmpx_ne_u32_e32 30, v0
	s_cbranch_execz .LBB106_582
; %bb.579:
	v_add_nc_u32_e32 v94, 0x2c0, v97
	v_add3_u32 v95, 0, v97, 16
	v_mov_b32_e32 v96, v0
	s_mov_b32 s50, 0
	.p2align	6
.LBB106_580:                            ; =>This Inner Loop Header: Depth=1
	s_clause 0x3
	buffer_load_dword v102, v95, s[0:3], 0 offen offset:8
	buffer_load_dword v103, v95, s[0:3], 0 offen offset:12
	buffer_load_dword v104, v95, s[0:3], 0 offen
	buffer_load_dword v105, v95, s[0:3], 0 offen offset:4
	ds_read_b128 v[98:101], v94
	v_add_nc_u32_e32 v96, 1, v96
	v_add_nc_u32_e32 v94, 16, v94
	;; [unrolled: 1-line block ×3, first 2 shown]
	v_cmp_lt_u32_e32 vcc_lo, 29, v96
	s_or_b32 s50, vcc_lo, s50
	s_waitcnt vmcnt(2) lgkmcnt(0)
	v_mul_f64 v[106:107], v[100:101], v[102:103]
	v_mul_f64 v[102:103], v[98:99], v[102:103]
	s_waitcnt vmcnt(0)
	v_fma_f64 v[98:99], v[98:99], v[104:105], -v[106:107]
	v_fma_f64 v[100:101], v[100:101], v[104:105], v[102:103]
	v_add_f64 v[1:2], v[1:2], v[98:99]
	v_add_f64 v[3:4], v[3:4], v[100:101]
	s_andn2_b32 exec_lo, exec_lo, s50
	s_cbranch_execnz .LBB106_580
; %bb.581:
	s_or_b32 exec_lo, exec_lo, s50
.LBB106_582:
	s_or_b32 exec_lo, exec_lo, s8
	v_mov_b32_e32 v94, 0
	ds_read_b128 v[98:101], v94 offset:496
	s_waitcnt lgkmcnt(0)
	v_mul_f64 v[94:95], v[3:4], v[100:101]
	v_mul_f64 v[100:101], v[1:2], v[100:101]
	v_fma_f64 v[1:2], v[1:2], v[98:99], -v[94:95]
	v_fma_f64 v[3:4], v[3:4], v[98:99], v[100:101]
	buffer_store_dword v2, off, s[0:3], 0 offset:500
	buffer_store_dword v1, off, s[0:3], 0 offset:496
	;; [unrolled: 1-line block ×4, first 2 shown]
.LBB106_583:
	s_or_b32 exec_lo, exec_lo, s4
	v_mov_b32_e32 v4, s17
	s_mov_b32 s4, exec_lo
	s_clause 0x3
	buffer_load_dword v1, v4, s[0:3], 0 offen
	buffer_load_dword v2, v4, s[0:3], 0 offen offset:4
	buffer_load_dword v3, v4, s[0:3], 0 offen offset:8
	;; [unrolled: 1-line block ×3, first 2 shown]
	s_waitcnt vmcnt(0)
	ds_write_b128 v92, v[1:4]
	s_waitcnt lgkmcnt(0)
	s_waitcnt_vscnt null, 0x0
	s_barrier
	buffer_gl0_inv
	v_cmpx_gt_u32_e32 32, v0
	s_cbranch_execz .LBB106_591
; %bb.584:
	ds_read_b128 v[1:4], v92
	v_cmp_ne_u32_e32 vcc_lo, 1, v93
	s_cbranch_vccnz .LBB106_586
; %bb.585:
	s_clause 0x3
	buffer_load_dword v94, v91, s[0:3], 0 offen offset:8
	buffer_load_dword v95, v91, s[0:3], 0 offen offset:12
	buffer_load_dword v98, v91, s[0:3], 0 offen
	buffer_load_dword v99, v91, s[0:3], 0 offen offset:4
	s_waitcnt vmcnt(2) lgkmcnt(0)
	v_mul_f64 v[100:101], v[3:4], v[94:95]
	v_mul_f64 v[94:95], v[1:2], v[94:95]
	s_waitcnt vmcnt(0)
	v_fma_f64 v[1:2], v[1:2], v[98:99], -v[100:101]
	v_fma_f64 v[3:4], v[3:4], v[98:99], v[94:95]
.LBB106_586:
	s_mov_b32 s8, exec_lo
	v_cmpx_ne_u32_e32 31, v0
	s_cbranch_execz .LBB106_590
; %bb.587:
	v_add_nc_u32_e32 v94, 0x2c0, v97
	v_add3_u32 v95, 0, v97, 16
	v_mov_b32_e32 v96, v0
	s_mov_b32 s50, 0
	.p2align	6
.LBB106_588:                            ; =>This Inner Loop Header: Depth=1
	s_clause 0x3
	buffer_load_dword v102, v95, s[0:3], 0 offen offset:8
	buffer_load_dword v103, v95, s[0:3], 0 offen offset:12
	buffer_load_dword v104, v95, s[0:3], 0 offen
	buffer_load_dword v105, v95, s[0:3], 0 offen offset:4
	ds_read_b128 v[98:101], v94
	v_add_nc_u32_e32 v96, 1, v96
	v_add_nc_u32_e32 v94, 16, v94
	;; [unrolled: 1-line block ×3, first 2 shown]
	v_cmp_lt_u32_e32 vcc_lo, 30, v96
	s_or_b32 s50, vcc_lo, s50
	s_waitcnt vmcnt(2) lgkmcnt(0)
	v_mul_f64 v[106:107], v[100:101], v[102:103]
	v_mul_f64 v[102:103], v[98:99], v[102:103]
	s_waitcnt vmcnt(0)
	v_fma_f64 v[98:99], v[98:99], v[104:105], -v[106:107]
	v_fma_f64 v[100:101], v[100:101], v[104:105], v[102:103]
	v_add_f64 v[1:2], v[1:2], v[98:99]
	v_add_f64 v[3:4], v[3:4], v[100:101]
	s_andn2_b32 exec_lo, exec_lo, s50
	s_cbranch_execnz .LBB106_588
; %bb.589:
	s_or_b32 exec_lo, exec_lo, s50
.LBB106_590:
	s_or_b32 exec_lo, exec_lo, s8
	v_mov_b32_e32 v94, 0
	ds_read_b128 v[98:101], v94 offset:512
	s_waitcnt lgkmcnt(0)
	v_mul_f64 v[94:95], v[3:4], v[100:101]
	v_mul_f64 v[100:101], v[1:2], v[100:101]
	v_fma_f64 v[1:2], v[1:2], v[98:99], -v[94:95]
	v_fma_f64 v[3:4], v[3:4], v[98:99], v[100:101]
	buffer_store_dword v2, off, s[0:3], 0 offset:516
	buffer_store_dword v1, off, s[0:3], 0 offset:512
	;; [unrolled: 1-line block ×4, first 2 shown]
.LBB106_591:
	s_or_b32 exec_lo, exec_lo, s4
	v_mov_b32_e32 v4, s16
	s_mov_b32 s4, exec_lo
	s_clause 0x3
	buffer_load_dword v1, v4, s[0:3], 0 offen
	buffer_load_dword v2, v4, s[0:3], 0 offen offset:4
	buffer_load_dword v3, v4, s[0:3], 0 offen offset:8
	;; [unrolled: 1-line block ×3, first 2 shown]
	s_waitcnt vmcnt(0)
	ds_write_b128 v92, v[1:4]
	s_waitcnt lgkmcnt(0)
	s_waitcnt_vscnt null, 0x0
	s_barrier
	buffer_gl0_inv
	v_cmpx_gt_u32_e32 33, v0
	s_cbranch_execz .LBB106_599
; %bb.592:
	ds_read_b128 v[1:4], v92
	v_cmp_ne_u32_e32 vcc_lo, 1, v93
	s_cbranch_vccnz .LBB106_594
; %bb.593:
	s_clause 0x3
	buffer_load_dword v94, v91, s[0:3], 0 offen offset:8
	buffer_load_dword v95, v91, s[0:3], 0 offen offset:12
	buffer_load_dword v98, v91, s[0:3], 0 offen
	buffer_load_dword v99, v91, s[0:3], 0 offen offset:4
	s_waitcnt vmcnt(2) lgkmcnt(0)
	v_mul_f64 v[100:101], v[3:4], v[94:95]
	v_mul_f64 v[94:95], v[1:2], v[94:95]
	s_waitcnt vmcnt(0)
	v_fma_f64 v[1:2], v[1:2], v[98:99], -v[100:101]
	v_fma_f64 v[3:4], v[3:4], v[98:99], v[94:95]
.LBB106_594:
	s_mov_b32 s8, exec_lo
	v_cmpx_ne_u32_e32 32, v0
	s_cbranch_execz .LBB106_598
; %bb.595:
	v_add_nc_u32_e32 v94, 0x2c0, v97
	v_add3_u32 v95, 0, v97, 16
	v_mov_b32_e32 v96, v0
	s_mov_b32 s50, 0
	.p2align	6
.LBB106_596:                            ; =>This Inner Loop Header: Depth=1
	s_clause 0x3
	buffer_load_dword v102, v95, s[0:3], 0 offen offset:8
	buffer_load_dword v103, v95, s[0:3], 0 offen offset:12
	buffer_load_dword v104, v95, s[0:3], 0 offen
	buffer_load_dword v105, v95, s[0:3], 0 offen offset:4
	ds_read_b128 v[98:101], v94
	v_add_nc_u32_e32 v96, 1, v96
	v_add_nc_u32_e32 v94, 16, v94
	;; [unrolled: 1-line block ×3, first 2 shown]
	v_cmp_lt_u32_e32 vcc_lo, 31, v96
	s_or_b32 s50, vcc_lo, s50
	s_waitcnt vmcnt(2) lgkmcnt(0)
	v_mul_f64 v[106:107], v[100:101], v[102:103]
	v_mul_f64 v[102:103], v[98:99], v[102:103]
	s_waitcnt vmcnt(0)
	v_fma_f64 v[98:99], v[98:99], v[104:105], -v[106:107]
	v_fma_f64 v[100:101], v[100:101], v[104:105], v[102:103]
	v_add_f64 v[1:2], v[1:2], v[98:99]
	v_add_f64 v[3:4], v[3:4], v[100:101]
	s_andn2_b32 exec_lo, exec_lo, s50
	s_cbranch_execnz .LBB106_596
; %bb.597:
	s_or_b32 exec_lo, exec_lo, s50
.LBB106_598:
	s_or_b32 exec_lo, exec_lo, s8
	v_mov_b32_e32 v94, 0
	ds_read_b128 v[98:101], v94 offset:528
	s_waitcnt lgkmcnt(0)
	v_mul_f64 v[94:95], v[3:4], v[100:101]
	v_mul_f64 v[100:101], v[1:2], v[100:101]
	v_fma_f64 v[1:2], v[1:2], v[98:99], -v[94:95]
	v_fma_f64 v[3:4], v[3:4], v[98:99], v[100:101]
	buffer_store_dword v2, off, s[0:3], 0 offset:532
	buffer_store_dword v1, off, s[0:3], 0 offset:528
	;; [unrolled: 1-line block ×4, first 2 shown]
.LBB106_599:
	s_or_b32 exec_lo, exec_lo, s4
	v_mov_b32_e32 v4, s15
	s_mov_b32 s4, exec_lo
	s_clause 0x3
	buffer_load_dword v1, v4, s[0:3], 0 offen
	buffer_load_dword v2, v4, s[0:3], 0 offen offset:4
	buffer_load_dword v3, v4, s[0:3], 0 offen offset:8
	;; [unrolled: 1-line block ×3, first 2 shown]
	s_waitcnt vmcnt(0)
	ds_write_b128 v92, v[1:4]
	s_waitcnt lgkmcnt(0)
	s_waitcnt_vscnt null, 0x0
	s_barrier
	buffer_gl0_inv
	v_cmpx_gt_u32_e32 34, v0
	s_cbranch_execz .LBB106_607
; %bb.600:
	ds_read_b128 v[1:4], v92
	v_cmp_ne_u32_e32 vcc_lo, 1, v93
	s_cbranch_vccnz .LBB106_602
; %bb.601:
	s_clause 0x3
	buffer_load_dword v94, v91, s[0:3], 0 offen offset:8
	buffer_load_dword v95, v91, s[0:3], 0 offen offset:12
	buffer_load_dword v98, v91, s[0:3], 0 offen
	buffer_load_dword v99, v91, s[0:3], 0 offen offset:4
	s_waitcnt vmcnt(2) lgkmcnt(0)
	v_mul_f64 v[100:101], v[3:4], v[94:95]
	v_mul_f64 v[94:95], v[1:2], v[94:95]
	s_waitcnt vmcnt(0)
	v_fma_f64 v[1:2], v[1:2], v[98:99], -v[100:101]
	v_fma_f64 v[3:4], v[3:4], v[98:99], v[94:95]
.LBB106_602:
	s_mov_b32 s8, exec_lo
	v_cmpx_ne_u32_e32 33, v0
	s_cbranch_execz .LBB106_606
; %bb.603:
	v_add_nc_u32_e32 v94, 0x2c0, v97
	v_add3_u32 v95, 0, v97, 16
	v_mov_b32_e32 v96, v0
	s_mov_b32 s50, 0
	.p2align	6
.LBB106_604:                            ; =>This Inner Loop Header: Depth=1
	s_clause 0x3
	buffer_load_dword v102, v95, s[0:3], 0 offen offset:8
	buffer_load_dword v103, v95, s[0:3], 0 offen offset:12
	buffer_load_dword v104, v95, s[0:3], 0 offen
	buffer_load_dword v105, v95, s[0:3], 0 offen offset:4
	ds_read_b128 v[98:101], v94
	v_add_nc_u32_e32 v96, 1, v96
	v_add_nc_u32_e32 v94, 16, v94
	;; [unrolled: 1-line block ×3, first 2 shown]
	v_cmp_lt_u32_e32 vcc_lo, 32, v96
	s_or_b32 s50, vcc_lo, s50
	s_waitcnt vmcnt(2) lgkmcnt(0)
	v_mul_f64 v[106:107], v[100:101], v[102:103]
	v_mul_f64 v[102:103], v[98:99], v[102:103]
	s_waitcnt vmcnt(0)
	v_fma_f64 v[98:99], v[98:99], v[104:105], -v[106:107]
	v_fma_f64 v[100:101], v[100:101], v[104:105], v[102:103]
	v_add_f64 v[1:2], v[1:2], v[98:99]
	v_add_f64 v[3:4], v[3:4], v[100:101]
	s_andn2_b32 exec_lo, exec_lo, s50
	s_cbranch_execnz .LBB106_604
; %bb.605:
	s_or_b32 exec_lo, exec_lo, s50
.LBB106_606:
	s_or_b32 exec_lo, exec_lo, s8
	v_mov_b32_e32 v94, 0
	ds_read_b128 v[98:101], v94 offset:544
	s_waitcnt lgkmcnt(0)
	v_mul_f64 v[94:95], v[3:4], v[100:101]
	v_mul_f64 v[100:101], v[1:2], v[100:101]
	v_fma_f64 v[1:2], v[1:2], v[98:99], -v[94:95]
	v_fma_f64 v[3:4], v[3:4], v[98:99], v[100:101]
	buffer_store_dword v2, off, s[0:3], 0 offset:548
	buffer_store_dword v1, off, s[0:3], 0 offset:544
	;; [unrolled: 1-line block ×4, first 2 shown]
.LBB106_607:
	s_or_b32 exec_lo, exec_lo, s4
	v_mov_b32_e32 v4, s14
	s_mov_b32 s4, exec_lo
	s_clause 0x3
	buffer_load_dword v1, v4, s[0:3], 0 offen
	buffer_load_dword v2, v4, s[0:3], 0 offen offset:4
	buffer_load_dword v3, v4, s[0:3], 0 offen offset:8
	;; [unrolled: 1-line block ×3, first 2 shown]
	s_waitcnt vmcnt(0)
	ds_write_b128 v92, v[1:4]
	s_waitcnt lgkmcnt(0)
	s_waitcnt_vscnt null, 0x0
	s_barrier
	buffer_gl0_inv
	v_cmpx_gt_u32_e32 35, v0
	s_cbranch_execz .LBB106_615
; %bb.608:
	ds_read_b128 v[1:4], v92
	v_cmp_ne_u32_e32 vcc_lo, 1, v93
	s_cbranch_vccnz .LBB106_610
; %bb.609:
	s_clause 0x3
	buffer_load_dword v94, v91, s[0:3], 0 offen offset:8
	buffer_load_dword v95, v91, s[0:3], 0 offen offset:12
	buffer_load_dword v98, v91, s[0:3], 0 offen
	buffer_load_dword v99, v91, s[0:3], 0 offen offset:4
	s_waitcnt vmcnt(2) lgkmcnt(0)
	v_mul_f64 v[100:101], v[3:4], v[94:95]
	v_mul_f64 v[94:95], v[1:2], v[94:95]
	s_waitcnt vmcnt(0)
	v_fma_f64 v[1:2], v[1:2], v[98:99], -v[100:101]
	v_fma_f64 v[3:4], v[3:4], v[98:99], v[94:95]
.LBB106_610:
	s_mov_b32 s8, exec_lo
	v_cmpx_ne_u32_e32 34, v0
	s_cbranch_execz .LBB106_614
; %bb.611:
	v_add_nc_u32_e32 v94, 0x2c0, v97
	v_add3_u32 v95, 0, v97, 16
	v_mov_b32_e32 v96, v0
	s_mov_b32 s50, 0
	.p2align	6
.LBB106_612:                            ; =>This Inner Loop Header: Depth=1
	s_clause 0x3
	buffer_load_dword v102, v95, s[0:3], 0 offen offset:8
	buffer_load_dword v103, v95, s[0:3], 0 offen offset:12
	buffer_load_dword v104, v95, s[0:3], 0 offen
	buffer_load_dword v105, v95, s[0:3], 0 offen offset:4
	ds_read_b128 v[98:101], v94
	v_add_nc_u32_e32 v96, 1, v96
	v_add_nc_u32_e32 v94, 16, v94
	;; [unrolled: 1-line block ×3, first 2 shown]
	v_cmp_lt_u32_e32 vcc_lo, 33, v96
	s_or_b32 s50, vcc_lo, s50
	s_waitcnt vmcnt(2) lgkmcnt(0)
	v_mul_f64 v[106:107], v[100:101], v[102:103]
	v_mul_f64 v[102:103], v[98:99], v[102:103]
	s_waitcnt vmcnt(0)
	v_fma_f64 v[98:99], v[98:99], v[104:105], -v[106:107]
	v_fma_f64 v[100:101], v[100:101], v[104:105], v[102:103]
	v_add_f64 v[1:2], v[1:2], v[98:99]
	v_add_f64 v[3:4], v[3:4], v[100:101]
	s_andn2_b32 exec_lo, exec_lo, s50
	s_cbranch_execnz .LBB106_612
; %bb.613:
	s_or_b32 exec_lo, exec_lo, s50
.LBB106_614:
	s_or_b32 exec_lo, exec_lo, s8
	v_mov_b32_e32 v94, 0
	ds_read_b128 v[98:101], v94 offset:560
	s_waitcnt lgkmcnt(0)
	v_mul_f64 v[94:95], v[3:4], v[100:101]
	v_mul_f64 v[100:101], v[1:2], v[100:101]
	v_fma_f64 v[1:2], v[1:2], v[98:99], -v[94:95]
	v_fma_f64 v[3:4], v[3:4], v[98:99], v[100:101]
	buffer_store_dword v2, off, s[0:3], 0 offset:564
	buffer_store_dword v1, off, s[0:3], 0 offset:560
	buffer_store_dword v4, off, s[0:3], 0 offset:572
	buffer_store_dword v3, off, s[0:3], 0 offset:568
.LBB106_615:
	s_or_b32 exec_lo, exec_lo, s4
	v_mov_b32_e32 v4, s13
	s_mov_b32 s4, exec_lo
	s_clause 0x3
	buffer_load_dword v1, v4, s[0:3], 0 offen
	buffer_load_dword v2, v4, s[0:3], 0 offen offset:4
	buffer_load_dword v3, v4, s[0:3], 0 offen offset:8
	;; [unrolled: 1-line block ×3, first 2 shown]
	s_waitcnt vmcnt(0)
	ds_write_b128 v92, v[1:4]
	s_waitcnt lgkmcnt(0)
	s_waitcnt_vscnt null, 0x0
	s_barrier
	buffer_gl0_inv
	v_cmpx_gt_u32_e32 36, v0
	s_cbranch_execz .LBB106_623
; %bb.616:
	ds_read_b128 v[1:4], v92
	v_cmp_ne_u32_e32 vcc_lo, 1, v93
	s_cbranch_vccnz .LBB106_618
; %bb.617:
	s_clause 0x3
	buffer_load_dword v94, v91, s[0:3], 0 offen offset:8
	buffer_load_dword v95, v91, s[0:3], 0 offen offset:12
	buffer_load_dword v98, v91, s[0:3], 0 offen
	buffer_load_dword v99, v91, s[0:3], 0 offen offset:4
	s_waitcnt vmcnt(2) lgkmcnt(0)
	v_mul_f64 v[100:101], v[3:4], v[94:95]
	v_mul_f64 v[94:95], v[1:2], v[94:95]
	s_waitcnt vmcnt(0)
	v_fma_f64 v[1:2], v[1:2], v[98:99], -v[100:101]
	v_fma_f64 v[3:4], v[3:4], v[98:99], v[94:95]
.LBB106_618:
	s_mov_b32 s8, exec_lo
	v_cmpx_ne_u32_e32 35, v0
	s_cbranch_execz .LBB106_622
; %bb.619:
	v_add_nc_u32_e32 v94, 0x2c0, v97
	v_add3_u32 v95, 0, v97, 16
	v_mov_b32_e32 v96, v0
	s_mov_b32 s50, 0
	.p2align	6
.LBB106_620:                            ; =>This Inner Loop Header: Depth=1
	s_clause 0x3
	buffer_load_dword v102, v95, s[0:3], 0 offen offset:8
	buffer_load_dword v103, v95, s[0:3], 0 offen offset:12
	buffer_load_dword v104, v95, s[0:3], 0 offen
	buffer_load_dword v105, v95, s[0:3], 0 offen offset:4
	ds_read_b128 v[98:101], v94
	v_add_nc_u32_e32 v96, 1, v96
	v_add_nc_u32_e32 v94, 16, v94
	;; [unrolled: 1-line block ×3, first 2 shown]
	v_cmp_lt_u32_e32 vcc_lo, 34, v96
	s_or_b32 s50, vcc_lo, s50
	s_waitcnt vmcnt(2) lgkmcnt(0)
	v_mul_f64 v[106:107], v[100:101], v[102:103]
	v_mul_f64 v[102:103], v[98:99], v[102:103]
	s_waitcnt vmcnt(0)
	v_fma_f64 v[98:99], v[98:99], v[104:105], -v[106:107]
	v_fma_f64 v[100:101], v[100:101], v[104:105], v[102:103]
	v_add_f64 v[1:2], v[1:2], v[98:99]
	v_add_f64 v[3:4], v[3:4], v[100:101]
	s_andn2_b32 exec_lo, exec_lo, s50
	s_cbranch_execnz .LBB106_620
; %bb.621:
	s_or_b32 exec_lo, exec_lo, s50
.LBB106_622:
	s_or_b32 exec_lo, exec_lo, s8
	v_mov_b32_e32 v94, 0
	ds_read_b128 v[98:101], v94 offset:576
	s_waitcnt lgkmcnt(0)
	v_mul_f64 v[94:95], v[3:4], v[100:101]
	v_mul_f64 v[100:101], v[1:2], v[100:101]
	v_fma_f64 v[1:2], v[1:2], v[98:99], -v[94:95]
	v_fma_f64 v[3:4], v[3:4], v[98:99], v[100:101]
	buffer_store_dword v2, off, s[0:3], 0 offset:580
	buffer_store_dword v1, off, s[0:3], 0 offset:576
	;; [unrolled: 1-line block ×4, first 2 shown]
.LBB106_623:
	s_or_b32 exec_lo, exec_lo, s4
	v_mov_b32_e32 v4, s12
	s_mov_b32 s4, exec_lo
	s_clause 0x3
	buffer_load_dword v1, v4, s[0:3], 0 offen
	buffer_load_dword v2, v4, s[0:3], 0 offen offset:4
	buffer_load_dword v3, v4, s[0:3], 0 offen offset:8
	;; [unrolled: 1-line block ×3, first 2 shown]
	s_waitcnt vmcnt(0)
	ds_write_b128 v92, v[1:4]
	s_waitcnt lgkmcnt(0)
	s_waitcnt_vscnt null, 0x0
	s_barrier
	buffer_gl0_inv
	v_cmpx_gt_u32_e32 37, v0
	s_cbranch_execz .LBB106_631
; %bb.624:
	ds_read_b128 v[1:4], v92
	v_cmp_ne_u32_e32 vcc_lo, 1, v93
	s_cbranch_vccnz .LBB106_626
; %bb.625:
	s_clause 0x3
	buffer_load_dword v94, v91, s[0:3], 0 offen offset:8
	buffer_load_dword v95, v91, s[0:3], 0 offen offset:12
	buffer_load_dword v98, v91, s[0:3], 0 offen
	buffer_load_dword v99, v91, s[0:3], 0 offen offset:4
	s_waitcnt vmcnt(2) lgkmcnt(0)
	v_mul_f64 v[100:101], v[3:4], v[94:95]
	v_mul_f64 v[94:95], v[1:2], v[94:95]
	s_waitcnt vmcnt(0)
	v_fma_f64 v[1:2], v[1:2], v[98:99], -v[100:101]
	v_fma_f64 v[3:4], v[3:4], v[98:99], v[94:95]
.LBB106_626:
	s_mov_b32 s8, exec_lo
	v_cmpx_ne_u32_e32 36, v0
	s_cbranch_execz .LBB106_630
; %bb.627:
	v_add_nc_u32_e32 v94, 0x2c0, v97
	v_add3_u32 v95, 0, v97, 16
	v_mov_b32_e32 v96, v0
	s_mov_b32 s50, 0
	.p2align	6
.LBB106_628:                            ; =>This Inner Loop Header: Depth=1
	s_clause 0x3
	buffer_load_dword v102, v95, s[0:3], 0 offen offset:8
	buffer_load_dword v103, v95, s[0:3], 0 offen offset:12
	buffer_load_dword v104, v95, s[0:3], 0 offen
	buffer_load_dword v105, v95, s[0:3], 0 offen offset:4
	ds_read_b128 v[98:101], v94
	v_add_nc_u32_e32 v96, 1, v96
	v_add_nc_u32_e32 v94, 16, v94
	;; [unrolled: 1-line block ×3, first 2 shown]
	v_cmp_lt_u32_e32 vcc_lo, 35, v96
	s_or_b32 s50, vcc_lo, s50
	s_waitcnt vmcnt(2) lgkmcnt(0)
	v_mul_f64 v[106:107], v[100:101], v[102:103]
	v_mul_f64 v[102:103], v[98:99], v[102:103]
	s_waitcnt vmcnt(0)
	v_fma_f64 v[98:99], v[98:99], v[104:105], -v[106:107]
	v_fma_f64 v[100:101], v[100:101], v[104:105], v[102:103]
	v_add_f64 v[1:2], v[1:2], v[98:99]
	v_add_f64 v[3:4], v[3:4], v[100:101]
	s_andn2_b32 exec_lo, exec_lo, s50
	s_cbranch_execnz .LBB106_628
; %bb.629:
	s_or_b32 exec_lo, exec_lo, s50
.LBB106_630:
	s_or_b32 exec_lo, exec_lo, s8
	v_mov_b32_e32 v94, 0
	ds_read_b128 v[98:101], v94 offset:592
	s_waitcnt lgkmcnt(0)
	v_mul_f64 v[94:95], v[3:4], v[100:101]
	v_mul_f64 v[100:101], v[1:2], v[100:101]
	v_fma_f64 v[1:2], v[1:2], v[98:99], -v[94:95]
	v_fma_f64 v[3:4], v[3:4], v[98:99], v[100:101]
	buffer_store_dword v2, off, s[0:3], 0 offset:596
	buffer_store_dword v1, off, s[0:3], 0 offset:592
	buffer_store_dword v4, off, s[0:3], 0 offset:604
	buffer_store_dword v3, off, s[0:3], 0 offset:600
.LBB106_631:
	s_or_b32 exec_lo, exec_lo, s4
	v_mov_b32_e32 v4, s11
	s_mov_b32 s4, exec_lo
	s_clause 0x3
	buffer_load_dword v1, v4, s[0:3], 0 offen
	buffer_load_dword v2, v4, s[0:3], 0 offen offset:4
	buffer_load_dword v3, v4, s[0:3], 0 offen offset:8
	;; [unrolled: 1-line block ×3, first 2 shown]
	s_waitcnt vmcnt(0)
	ds_write_b128 v92, v[1:4]
	s_waitcnt lgkmcnt(0)
	s_waitcnt_vscnt null, 0x0
	s_barrier
	buffer_gl0_inv
	v_cmpx_gt_u32_e32 38, v0
	s_cbranch_execz .LBB106_639
; %bb.632:
	ds_read_b128 v[1:4], v92
	v_cmp_ne_u32_e32 vcc_lo, 1, v93
	s_cbranch_vccnz .LBB106_634
; %bb.633:
	s_clause 0x3
	buffer_load_dword v94, v91, s[0:3], 0 offen offset:8
	buffer_load_dword v95, v91, s[0:3], 0 offen offset:12
	buffer_load_dword v98, v91, s[0:3], 0 offen
	buffer_load_dword v99, v91, s[0:3], 0 offen offset:4
	s_waitcnt vmcnt(2) lgkmcnt(0)
	v_mul_f64 v[100:101], v[3:4], v[94:95]
	v_mul_f64 v[94:95], v[1:2], v[94:95]
	s_waitcnt vmcnt(0)
	v_fma_f64 v[1:2], v[1:2], v[98:99], -v[100:101]
	v_fma_f64 v[3:4], v[3:4], v[98:99], v[94:95]
.LBB106_634:
	s_mov_b32 s8, exec_lo
	v_cmpx_ne_u32_e32 37, v0
	s_cbranch_execz .LBB106_638
; %bb.635:
	v_add_nc_u32_e32 v94, 0x2c0, v97
	v_add3_u32 v95, 0, v97, 16
	v_mov_b32_e32 v96, v0
	s_mov_b32 s50, 0
	.p2align	6
.LBB106_636:                            ; =>This Inner Loop Header: Depth=1
	s_clause 0x3
	buffer_load_dword v102, v95, s[0:3], 0 offen offset:8
	buffer_load_dword v103, v95, s[0:3], 0 offen offset:12
	buffer_load_dword v104, v95, s[0:3], 0 offen
	buffer_load_dword v105, v95, s[0:3], 0 offen offset:4
	ds_read_b128 v[98:101], v94
	v_add_nc_u32_e32 v96, 1, v96
	v_add_nc_u32_e32 v94, 16, v94
	;; [unrolled: 1-line block ×3, first 2 shown]
	v_cmp_lt_u32_e32 vcc_lo, 36, v96
	s_or_b32 s50, vcc_lo, s50
	s_waitcnt vmcnt(2) lgkmcnt(0)
	v_mul_f64 v[106:107], v[100:101], v[102:103]
	v_mul_f64 v[102:103], v[98:99], v[102:103]
	s_waitcnt vmcnt(0)
	v_fma_f64 v[98:99], v[98:99], v[104:105], -v[106:107]
	v_fma_f64 v[100:101], v[100:101], v[104:105], v[102:103]
	v_add_f64 v[1:2], v[1:2], v[98:99]
	v_add_f64 v[3:4], v[3:4], v[100:101]
	s_andn2_b32 exec_lo, exec_lo, s50
	s_cbranch_execnz .LBB106_636
; %bb.637:
	s_or_b32 exec_lo, exec_lo, s50
.LBB106_638:
	s_or_b32 exec_lo, exec_lo, s8
	v_mov_b32_e32 v94, 0
	ds_read_b128 v[98:101], v94 offset:608
	s_waitcnt lgkmcnt(0)
	v_mul_f64 v[94:95], v[3:4], v[100:101]
	v_mul_f64 v[100:101], v[1:2], v[100:101]
	v_fma_f64 v[1:2], v[1:2], v[98:99], -v[94:95]
	v_fma_f64 v[3:4], v[3:4], v[98:99], v[100:101]
	buffer_store_dword v2, off, s[0:3], 0 offset:612
	buffer_store_dword v1, off, s[0:3], 0 offset:608
	;; [unrolled: 1-line block ×4, first 2 shown]
.LBB106_639:
	s_or_b32 exec_lo, exec_lo, s4
	v_mov_b32_e32 v4, s10
	s_mov_b32 s4, exec_lo
	s_clause 0x3
	buffer_load_dword v1, v4, s[0:3], 0 offen
	buffer_load_dword v2, v4, s[0:3], 0 offen offset:4
	buffer_load_dword v3, v4, s[0:3], 0 offen offset:8
	;; [unrolled: 1-line block ×3, first 2 shown]
	s_waitcnt vmcnt(0)
	ds_write_b128 v92, v[1:4]
	s_waitcnt lgkmcnt(0)
	s_waitcnt_vscnt null, 0x0
	s_barrier
	buffer_gl0_inv
	v_cmpx_gt_u32_e32 39, v0
	s_cbranch_execz .LBB106_647
; %bb.640:
	ds_read_b128 v[1:4], v92
	v_cmp_ne_u32_e32 vcc_lo, 1, v93
	s_cbranch_vccnz .LBB106_642
; %bb.641:
	s_clause 0x3
	buffer_load_dword v94, v91, s[0:3], 0 offen offset:8
	buffer_load_dword v95, v91, s[0:3], 0 offen offset:12
	buffer_load_dword v98, v91, s[0:3], 0 offen
	buffer_load_dword v99, v91, s[0:3], 0 offen offset:4
	s_waitcnt vmcnt(2) lgkmcnt(0)
	v_mul_f64 v[100:101], v[3:4], v[94:95]
	v_mul_f64 v[94:95], v[1:2], v[94:95]
	s_waitcnt vmcnt(0)
	v_fma_f64 v[1:2], v[1:2], v[98:99], -v[100:101]
	v_fma_f64 v[3:4], v[3:4], v[98:99], v[94:95]
.LBB106_642:
	s_mov_b32 s8, exec_lo
	v_cmpx_ne_u32_e32 38, v0
	s_cbranch_execz .LBB106_646
; %bb.643:
	v_add_nc_u32_e32 v94, 0x2c0, v97
	v_add3_u32 v95, 0, v97, 16
	v_mov_b32_e32 v96, v0
	s_mov_b32 s50, 0
	.p2align	6
.LBB106_644:                            ; =>This Inner Loop Header: Depth=1
	s_clause 0x3
	buffer_load_dword v102, v95, s[0:3], 0 offen offset:8
	buffer_load_dword v103, v95, s[0:3], 0 offen offset:12
	buffer_load_dword v104, v95, s[0:3], 0 offen
	buffer_load_dword v105, v95, s[0:3], 0 offen offset:4
	ds_read_b128 v[98:101], v94
	v_add_nc_u32_e32 v96, 1, v96
	v_add_nc_u32_e32 v94, 16, v94
	;; [unrolled: 1-line block ×3, first 2 shown]
	v_cmp_lt_u32_e32 vcc_lo, 37, v96
	s_or_b32 s50, vcc_lo, s50
	s_waitcnt vmcnt(2) lgkmcnt(0)
	v_mul_f64 v[106:107], v[100:101], v[102:103]
	v_mul_f64 v[102:103], v[98:99], v[102:103]
	s_waitcnt vmcnt(0)
	v_fma_f64 v[98:99], v[98:99], v[104:105], -v[106:107]
	v_fma_f64 v[100:101], v[100:101], v[104:105], v[102:103]
	v_add_f64 v[1:2], v[1:2], v[98:99]
	v_add_f64 v[3:4], v[3:4], v[100:101]
	s_andn2_b32 exec_lo, exec_lo, s50
	s_cbranch_execnz .LBB106_644
; %bb.645:
	s_or_b32 exec_lo, exec_lo, s50
.LBB106_646:
	s_or_b32 exec_lo, exec_lo, s8
	v_mov_b32_e32 v94, 0
	ds_read_b128 v[98:101], v94 offset:624
	s_waitcnt lgkmcnt(0)
	v_mul_f64 v[94:95], v[3:4], v[100:101]
	v_mul_f64 v[100:101], v[1:2], v[100:101]
	v_fma_f64 v[1:2], v[1:2], v[98:99], -v[94:95]
	v_fma_f64 v[3:4], v[3:4], v[98:99], v[100:101]
	buffer_store_dword v2, off, s[0:3], 0 offset:628
	buffer_store_dword v1, off, s[0:3], 0 offset:624
	;; [unrolled: 1-line block ×4, first 2 shown]
.LBB106_647:
	s_or_b32 exec_lo, exec_lo, s4
	v_mov_b32_e32 v4, s9
	s_mov_b32 s4, exec_lo
	s_clause 0x3
	buffer_load_dword v1, v4, s[0:3], 0 offen
	buffer_load_dword v2, v4, s[0:3], 0 offen offset:4
	buffer_load_dword v3, v4, s[0:3], 0 offen offset:8
	;; [unrolled: 1-line block ×3, first 2 shown]
	s_waitcnt vmcnt(0)
	ds_write_b128 v92, v[1:4]
	s_waitcnt lgkmcnt(0)
	s_waitcnt_vscnt null, 0x0
	s_barrier
	buffer_gl0_inv
	v_cmpx_gt_u32_e32 40, v0
	s_cbranch_execz .LBB106_655
; %bb.648:
	ds_read_b128 v[1:4], v92
	v_cmp_ne_u32_e32 vcc_lo, 1, v93
	s_cbranch_vccnz .LBB106_650
; %bb.649:
	s_clause 0x3
	buffer_load_dword v94, v91, s[0:3], 0 offen offset:8
	buffer_load_dword v95, v91, s[0:3], 0 offen offset:12
	buffer_load_dword v98, v91, s[0:3], 0 offen
	buffer_load_dword v99, v91, s[0:3], 0 offen offset:4
	s_waitcnt vmcnt(2) lgkmcnt(0)
	v_mul_f64 v[100:101], v[3:4], v[94:95]
	v_mul_f64 v[94:95], v[1:2], v[94:95]
	s_waitcnt vmcnt(0)
	v_fma_f64 v[1:2], v[1:2], v[98:99], -v[100:101]
	v_fma_f64 v[3:4], v[3:4], v[98:99], v[94:95]
.LBB106_650:
	s_mov_b32 s8, exec_lo
	v_cmpx_ne_u32_e32 39, v0
	s_cbranch_execz .LBB106_654
; %bb.651:
	v_add_nc_u32_e32 v94, 0x2c0, v97
	v_add3_u32 v95, 0, v97, 16
	v_mov_b32_e32 v96, v0
	s_mov_b32 s50, 0
	.p2align	6
.LBB106_652:                            ; =>This Inner Loop Header: Depth=1
	s_clause 0x3
	buffer_load_dword v102, v95, s[0:3], 0 offen offset:8
	buffer_load_dword v103, v95, s[0:3], 0 offen offset:12
	buffer_load_dword v104, v95, s[0:3], 0 offen
	buffer_load_dword v105, v95, s[0:3], 0 offen offset:4
	ds_read_b128 v[98:101], v94
	v_add_nc_u32_e32 v96, 1, v96
	v_add_nc_u32_e32 v94, 16, v94
	;; [unrolled: 1-line block ×3, first 2 shown]
	v_cmp_lt_u32_e32 vcc_lo, 38, v96
	s_or_b32 s50, vcc_lo, s50
	s_waitcnt vmcnt(2) lgkmcnt(0)
	v_mul_f64 v[106:107], v[100:101], v[102:103]
	v_mul_f64 v[102:103], v[98:99], v[102:103]
	s_waitcnt vmcnt(0)
	v_fma_f64 v[98:99], v[98:99], v[104:105], -v[106:107]
	v_fma_f64 v[100:101], v[100:101], v[104:105], v[102:103]
	v_add_f64 v[1:2], v[1:2], v[98:99]
	v_add_f64 v[3:4], v[3:4], v[100:101]
	s_andn2_b32 exec_lo, exec_lo, s50
	s_cbranch_execnz .LBB106_652
; %bb.653:
	s_or_b32 exec_lo, exec_lo, s50
.LBB106_654:
	s_or_b32 exec_lo, exec_lo, s8
	v_mov_b32_e32 v94, 0
	ds_read_b128 v[98:101], v94 offset:640
	s_waitcnt lgkmcnt(0)
	v_mul_f64 v[94:95], v[3:4], v[100:101]
	v_mul_f64 v[100:101], v[1:2], v[100:101]
	v_fma_f64 v[1:2], v[1:2], v[98:99], -v[94:95]
	v_fma_f64 v[3:4], v[3:4], v[98:99], v[100:101]
	buffer_store_dword v2, off, s[0:3], 0 offset:644
	buffer_store_dword v1, off, s[0:3], 0 offset:640
	;; [unrolled: 1-line block ×4, first 2 shown]
.LBB106_655:
	s_or_b32 exec_lo, exec_lo, s4
	v_mov_b32_e32 v4, s7
	v_cmp_gt_u32_e64 s4, 41, v0
	s_clause 0x3
	buffer_load_dword v1, v4, s[0:3], 0 offen
	buffer_load_dword v2, v4, s[0:3], 0 offen offset:4
	buffer_load_dword v3, v4, s[0:3], 0 offen offset:8
	;; [unrolled: 1-line block ×3, first 2 shown]
	s_waitcnt vmcnt(0)
	ds_write_b128 v92, v[1:4]
	s_waitcnt lgkmcnt(0)
	s_waitcnt_vscnt null, 0x0
	s_barrier
	buffer_gl0_inv
	s_and_saveexec_b32 s8, s4
	s_cbranch_execz .LBB106_663
; %bb.656:
	ds_read_b128 v[1:4], v92
	v_cmp_ne_u32_e32 vcc_lo, 1, v93
	s_cbranch_vccnz .LBB106_658
; %bb.657:
	s_clause 0x3
	buffer_load_dword v94, v91, s[0:3], 0 offen offset:8
	buffer_load_dword v95, v91, s[0:3], 0 offen offset:12
	buffer_load_dword v98, v91, s[0:3], 0 offen
	buffer_load_dword v99, v91, s[0:3], 0 offen offset:4
	s_waitcnt vmcnt(2) lgkmcnt(0)
	v_mul_f64 v[100:101], v[3:4], v[94:95]
	v_mul_f64 v[94:95], v[1:2], v[94:95]
	s_waitcnt vmcnt(0)
	v_fma_f64 v[1:2], v[1:2], v[98:99], -v[100:101]
	v_fma_f64 v[3:4], v[3:4], v[98:99], v[94:95]
.LBB106_658:
	s_mov_b32 s50, exec_lo
	v_cmpx_ne_u32_e32 40, v0
	s_cbranch_execz .LBB106_662
; %bb.659:
	v_add_nc_u32_e32 v94, 0x2c0, v97
	v_add3_u32 v95, 0, v97, 16
	v_mov_b32_e32 v96, v0
	s_mov_b32 s51, 0
	.p2align	6
.LBB106_660:                            ; =>This Inner Loop Header: Depth=1
	s_clause 0x3
	buffer_load_dword v102, v95, s[0:3], 0 offen offset:8
	buffer_load_dword v103, v95, s[0:3], 0 offen offset:12
	buffer_load_dword v104, v95, s[0:3], 0 offen
	buffer_load_dword v105, v95, s[0:3], 0 offen offset:4
	ds_read_b128 v[98:101], v94
	v_add_nc_u32_e32 v96, 1, v96
	v_add_nc_u32_e32 v94, 16, v94
	;; [unrolled: 1-line block ×3, first 2 shown]
	v_cmp_lt_u32_e32 vcc_lo, 39, v96
	s_or_b32 s51, vcc_lo, s51
	s_waitcnt vmcnt(2) lgkmcnt(0)
	v_mul_f64 v[106:107], v[100:101], v[102:103]
	v_mul_f64 v[102:103], v[98:99], v[102:103]
	s_waitcnt vmcnt(0)
	v_fma_f64 v[98:99], v[98:99], v[104:105], -v[106:107]
	v_fma_f64 v[100:101], v[100:101], v[104:105], v[102:103]
	v_add_f64 v[1:2], v[1:2], v[98:99]
	v_add_f64 v[3:4], v[3:4], v[100:101]
	s_andn2_b32 exec_lo, exec_lo, s51
	s_cbranch_execnz .LBB106_660
; %bb.661:
	s_or_b32 exec_lo, exec_lo, s51
.LBB106_662:
	s_or_b32 exec_lo, exec_lo, s50
	v_mov_b32_e32 v94, 0
	ds_read_b128 v[98:101], v94 offset:656
	s_waitcnt lgkmcnt(0)
	v_mul_f64 v[94:95], v[3:4], v[100:101]
	v_mul_f64 v[100:101], v[1:2], v[100:101]
	v_fma_f64 v[1:2], v[1:2], v[98:99], -v[94:95]
	v_fma_f64 v[3:4], v[3:4], v[98:99], v[100:101]
	buffer_store_dword v2, off, s[0:3], 0 offset:660
	buffer_store_dword v1, off, s[0:3], 0 offset:656
	;; [unrolled: 1-line block ×4, first 2 shown]
.LBB106_663:
	s_or_b32 exec_lo, exec_lo, s8
	v_mov_b32_e32 v4, s6
	s_mov_b32 s8, exec_lo
                                        ; implicit-def: $sgpr52
	s_clause 0x3
	buffer_load_dword v1, v4, s[0:3], 0 offen
	buffer_load_dword v2, v4, s[0:3], 0 offen offset:4
	buffer_load_dword v3, v4, s[0:3], 0 offen offset:8
	;; [unrolled: 1-line block ×3, first 2 shown]
	s_waitcnt vmcnt(0)
	ds_write_b128 v92, v[1:4]
	s_waitcnt lgkmcnt(0)
	s_waitcnt_vscnt null, 0x0
	s_barrier
	buffer_gl0_inv
                                        ; implicit-def: $vgpr1_vgpr2
	v_cmpx_ne_u32_e32 42, v0
	s_cbranch_execz .LBB106_671
; %bb.664:
	ds_read_b128 v[1:4], v92
	v_cmp_ne_u32_e32 vcc_lo, 1, v93
	s_cbranch_vccnz .LBB106_666
; %bb.665:
	s_clause 0x3
	buffer_load_dword v92, v91, s[0:3], 0 offen offset:8
	buffer_load_dword v93, v91, s[0:3], 0 offen offset:12
	buffer_load_dword v94, v91, s[0:3], 0 offen
	buffer_load_dword v95, v91, s[0:3], 0 offen offset:4
	s_waitcnt vmcnt(2) lgkmcnt(0)
	v_mul_f64 v[98:99], v[3:4], v[92:93]
	v_mul_f64 v[91:92], v[1:2], v[92:93]
	s_waitcnt vmcnt(0)
	v_fma_f64 v[1:2], v[1:2], v[94:95], -v[98:99]
	v_fma_f64 v[3:4], v[3:4], v[94:95], v[91:92]
.LBB106_666:
	s_and_saveexec_b32 s50, s4
	s_cbranch_execz .LBB106_670
; %bb.667:
	v_add_nc_u32_e32 v91, 0x2c0, v97
	v_add3_u32 v92, 0, v97, 16
	s_mov_b32 s4, 0
	.p2align	6
.LBB106_668:                            ; =>This Inner Loop Header: Depth=1
	s_clause 0x3
	buffer_load_dword v97, v92, s[0:3], 0 offen offset:8
	buffer_load_dword v98, v92, s[0:3], 0 offen offset:12
	buffer_load_dword v99, v92, s[0:3], 0 offen
	buffer_load_dword v100, v92, s[0:3], 0 offen offset:4
	ds_read_b128 v[93:96], v91
	v_add_nc_u32_e32 v0, 1, v0
	v_add_nc_u32_e32 v91, 16, v91
	;; [unrolled: 1-line block ×3, first 2 shown]
	v_cmp_lt_u32_e32 vcc_lo, 40, v0
	s_or_b32 s4, vcc_lo, s4
	s_waitcnt vmcnt(2) lgkmcnt(0)
	v_mul_f64 v[101:102], v[95:96], v[97:98]
	v_mul_f64 v[97:98], v[93:94], v[97:98]
	s_waitcnt vmcnt(0)
	v_fma_f64 v[93:94], v[93:94], v[99:100], -v[101:102]
	v_fma_f64 v[95:96], v[95:96], v[99:100], v[97:98]
	v_add_f64 v[1:2], v[1:2], v[93:94]
	v_add_f64 v[3:4], v[3:4], v[95:96]
	s_andn2_b32 exec_lo, exec_lo, s4
	s_cbranch_execnz .LBB106_668
; %bb.669:
	s_or_b32 exec_lo, exec_lo, s4
.LBB106_670:
	s_or_b32 exec_lo, exec_lo, s50
	v_mov_b32_e32 v0, 0
	s_movk_i32 s52, 0x2a8
	s_or_b32 s5, s5, exec_lo
	ds_read_b128 v[91:94], v0 offset:672
	s_waitcnt lgkmcnt(0)
	v_mul_f64 v[95:96], v[3:4], v[93:94]
	v_mul_f64 v[93:94], v[1:2], v[93:94]
	v_fma_f64 v[95:96], v[1:2], v[91:92], -v[95:96]
	v_fma_f64 v[1:2], v[3:4], v[91:92], v[93:94]
	buffer_store_dword v96, off, s[0:3], 0 offset:676
	buffer_store_dword v95, off, s[0:3], 0 offset:672
.LBB106_671:
	s_or_b32 exec_lo, exec_lo, s8
.LBB106_672:
	s_and_saveexec_b32 s4, s5
	s_cbranch_execz .LBB106_674
; %bb.673:
	v_mov_b32_e32 v0, s52
	buffer_store_dword v2, v0, s[0:3], 0 offen offset:4
	buffer_store_dword v1, v0, s[0:3], 0 offen
.LBB106_674:
	s_or_b32 exec_lo, exec_lo, s4
	s_clause 0x3
	buffer_load_dword v0, off, s[0:3], 0
	buffer_load_dword v1, off, s[0:3], 0 offset:4
	buffer_load_dword v2, off, s[0:3], 0 offset:8
	;; [unrolled: 1-line block ×3, first 2 shown]
	v_mov_b32_e32 v4, s49
	s_waitcnt vmcnt(0)
	flat_store_dwordx4 v[5:6], v[0:3]
	s_clause 0x3
	buffer_load_dword v0, v4, s[0:3], 0 offen
	buffer_load_dword v1, v4, s[0:3], 0 offen offset:4
	buffer_load_dword v2, v4, s[0:3], 0 offen offset:8
	buffer_load_dword v3, v4, s[0:3], 0 offen offset:12
	v_mov_b32_e32 v4, s48
	s_waitcnt vmcnt(0)
	flat_store_dwordx4 v[59:60], v[0:3]
	s_clause 0x3
	buffer_load_dword v0, v4, s[0:3], 0 offen
	buffer_load_dword v1, v4, s[0:3], 0 offen offset:4
	buffer_load_dword v2, v4, s[0:3], 0 offen offset:8
	buffer_load_dword v3, v4, s[0:3], 0 offen offset:12
	v_mov_b32_e32 v4, s47
	s_waitcnt vmcnt(0)
	flat_store_dwordx4 v[57:58], v[0:3]
	s_clause 0x3
	buffer_load_dword v0, v4, s[0:3], 0 offen
	buffer_load_dword v1, v4, s[0:3], 0 offen offset:4
	buffer_load_dword v2, v4, s[0:3], 0 offen offset:8
	buffer_load_dword v3, v4, s[0:3], 0 offen offset:12
	v_mov_b32_e32 v4, s46
	s_waitcnt vmcnt(0)
	flat_store_dwordx4 v[55:56], v[0:3]
	s_clause 0x3
	buffer_load_dword v0, v4, s[0:3], 0 offen
	buffer_load_dword v1, v4, s[0:3], 0 offen offset:4
	buffer_load_dword v2, v4, s[0:3], 0 offen offset:8
	buffer_load_dword v3, v4, s[0:3], 0 offen offset:12
	v_mov_b32_e32 v4, s45
	s_waitcnt vmcnt(0)
	flat_store_dwordx4 v[53:54], v[0:3]
	s_clause 0x3
	buffer_load_dword v0, v4, s[0:3], 0 offen
	buffer_load_dword v1, v4, s[0:3], 0 offen offset:4
	buffer_load_dword v2, v4, s[0:3], 0 offen offset:8
	buffer_load_dword v3, v4, s[0:3], 0 offen offset:12
	v_mov_b32_e32 v4, s44
	s_waitcnt vmcnt(0)
	flat_store_dwordx4 v[49:50], v[0:3]
	s_clause 0x3
	buffer_load_dword v0, v4, s[0:3], 0 offen
	buffer_load_dword v1, v4, s[0:3], 0 offen offset:4
	buffer_load_dword v2, v4, s[0:3], 0 offen offset:8
	buffer_load_dword v3, v4, s[0:3], 0 offen offset:12
	v_mov_b32_e32 v4, s43
	s_waitcnt vmcnt(0)
	flat_store_dwordx4 v[47:48], v[0:3]
	s_clause 0x3
	buffer_load_dword v0, v4, s[0:3], 0 offen
	buffer_load_dword v1, v4, s[0:3], 0 offen offset:4
	buffer_load_dword v2, v4, s[0:3], 0 offen offset:8
	buffer_load_dword v3, v4, s[0:3], 0 offen offset:12
	v_mov_b32_e32 v4, s42
	s_waitcnt vmcnt(0)
	flat_store_dwordx4 v[45:46], v[0:3]
	s_clause 0x3
	buffer_load_dword v0, v4, s[0:3], 0 offen
	buffer_load_dword v1, v4, s[0:3], 0 offen offset:4
	buffer_load_dword v2, v4, s[0:3], 0 offen offset:8
	buffer_load_dword v3, v4, s[0:3], 0 offen offset:12
	v_mov_b32_e32 v4, s41
	s_waitcnt vmcnt(0)
	flat_store_dwordx4 v[43:44], v[0:3]
	s_clause 0x3
	buffer_load_dword v0, v4, s[0:3], 0 offen
	buffer_load_dword v1, v4, s[0:3], 0 offen offset:4
	buffer_load_dword v2, v4, s[0:3], 0 offen offset:8
	buffer_load_dword v3, v4, s[0:3], 0 offen offset:12
	v_mov_b32_e32 v4, s40
	s_waitcnt vmcnt(0)
	flat_store_dwordx4 v[41:42], v[0:3]
	s_clause 0x3
	buffer_load_dword v0, v4, s[0:3], 0 offen
	buffer_load_dword v1, v4, s[0:3], 0 offen offset:4
	buffer_load_dword v2, v4, s[0:3], 0 offen offset:8
	buffer_load_dword v3, v4, s[0:3], 0 offen offset:12
	v_mov_b32_e32 v4, s39
	s_waitcnt vmcnt(0)
	flat_store_dwordx4 v[39:40], v[0:3]
	s_clause 0x3
	buffer_load_dword v0, v4, s[0:3], 0 offen
	buffer_load_dword v1, v4, s[0:3], 0 offen offset:4
	buffer_load_dword v2, v4, s[0:3], 0 offen offset:8
	buffer_load_dword v3, v4, s[0:3], 0 offen offset:12
	v_mov_b32_e32 v4, s38
	s_waitcnt vmcnt(0)
	flat_store_dwordx4 v[37:38], v[0:3]
	s_clause 0x3
	buffer_load_dword v0, v4, s[0:3], 0 offen
	buffer_load_dword v1, v4, s[0:3], 0 offen offset:4
	buffer_load_dword v2, v4, s[0:3], 0 offen offset:8
	buffer_load_dword v3, v4, s[0:3], 0 offen offset:12
	v_mov_b32_e32 v4, s37
	s_waitcnt vmcnt(0)
	flat_store_dwordx4 v[35:36], v[0:3]
	s_clause 0x3
	buffer_load_dword v0, v4, s[0:3], 0 offen
	buffer_load_dword v1, v4, s[0:3], 0 offen offset:4
	buffer_load_dword v2, v4, s[0:3], 0 offen offset:8
	buffer_load_dword v3, v4, s[0:3], 0 offen offset:12
	v_mov_b32_e32 v4, s36
	s_waitcnt vmcnt(0)
	flat_store_dwordx4 v[31:32], v[0:3]
	s_clause 0x3
	buffer_load_dword v0, v4, s[0:3], 0 offen
	buffer_load_dword v1, v4, s[0:3], 0 offen offset:4
	buffer_load_dword v2, v4, s[0:3], 0 offen offset:8
	buffer_load_dword v3, v4, s[0:3], 0 offen offset:12
	v_mov_b32_e32 v4, s35
	s_waitcnt vmcnt(0)
	flat_store_dwordx4 v[29:30], v[0:3]
	s_clause 0x3
	buffer_load_dword v0, v4, s[0:3], 0 offen
	buffer_load_dword v1, v4, s[0:3], 0 offen offset:4
	buffer_load_dword v2, v4, s[0:3], 0 offen offset:8
	buffer_load_dword v3, v4, s[0:3], 0 offen offset:12
	v_mov_b32_e32 v4, s34
	s_waitcnt vmcnt(0)
	flat_store_dwordx4 v[27:28], v[0:3]
	s_clause 0x3
	buffer_load_dword v0, v4, s[0:3], 0 offen
	buffer_load_dword v1, v4, s[0:3], 0 offen offset:4
	buffer_load_dword v2, v4, s[0:3], 0 offen offset:8
	buffer_load_dword v3, v4, s[0:3], 0 offen offset:12
	v_mov_b32_e32 v4, s33
	s_waitcnt vmcnt(0)
	flat_store_dwordx4 v[25:26], v[0:3]
	s_clause 0x3
	buffer_load_dword v0, v4, s[0:3], 0 offen
	buffer_load_dword v1, v4, s[0:3], 0 offen offset:4
	buffer_load_dword v2, v4, s[0:3], 0 offen offset:8
	buffer_load_dword v3, v4, s[0:3], 0 offen offset:12
	v_mov_b32_e32 v4, s31
	s_waitcnt vmcnt(0)
	flat_store_dwordx4 v[23:24], v[0:3]
	s_clause 0x3
	buffer_load_dword v0, v4, s[0:3], 0 offen
	buffer_load_dword v1, v4, s[0:3], 0 offen offset:4
	buffer_load_dword v2, v4, s[0:3], 0 offen offset:8
	buffer_load_dword v3, v4, s[0:3], 0 offen offset:12
	v_mov_b32_e32 v4, s30
	s_waitcnt vmcnt(0)
	flat_store_dwordx4 v[21:22], v[0:3]
	s_clause 0x3
	buffer_load_dword v0, v4, s[0:3], 0 offen
	buffer_load_dword v1, v4, s[0:3], 0 offen offset:4
	buffer_load_dword v2, v4, s[0:3], 0 offen offset:8
	buffer_load_dword v3, v4, s[0:3], 0 offen offset:12
	v_mov_b32_e32 v4, s29
	s_waitcnt vmcnt(0)
	flat_store_dwordx4 v[19:20], v[0:3]
	s_clause 0x3
	buffer_load_dword v0, v4, s[0:3], 0 offen
	buffer_load_dword v1, v4, s[0:3], 0 offen offset:4
	buffer_load_dword v2, v4, s[0:3], 0 offen offset:8
	buffer_load_dword v3, v4, s[0:3], 0 offen offset:12
	v_mov_b32_e32 v4, s28
	s_waitcnt vmcnt(0)
	flat_store_dwordx4 v[17:18], v[0:3]
	s_clause 0x3
	buffer_load_dword v0, v4, s[0:3], 0 offen
	buffer_load_dword v1, v4, s[0:3], 0 offen offset:4
	buffer_load_dword v2, v4, s[0:3], 0 offen offset:8
	buffer_load_dword v3, v4, s[0:3], 0 offen offset:12
	v_mov_b32_e32 v4, s27
	s_waitcnt vmcnt(0)
	flat_store_dwordx4 v[15:16], v[0:3]
	s_clause 0x3
	buffer_load_dword v0, v4, s[0:3], 0 offen
	buffer_load_dword v1, v4, s[0:3], 0 offen offset:4
	buffer_load_dword v2, v4, s[0:3], 0 offen offset:8
	buffer_load_dword v3, v4, s[0:3], 0 offen offset:12
	v_mov_b32_e32 v4, s26
	s_waitcnt vmcnt(0)
	flat_store_dwordx4 v[13:14], v[0:3]
	s_clause 0x3
	buffer_load_dword v0, v4, s[0:3], 0 offen
	buffer_load_dword v1, v4, s[0:3], 0 offen offset:4
	buffer_load_dword v2, v4, s[0:3], 0 offen offset:8
	buffer_load_dword v3, v4, s[0:3], 0 offen offset:12
	v_mov_b32_e32 v4, s25
	s_waitcnt vmcnt(0)
	flat_store_dwordx4 v[11:12], v[0:3]
	s_clause 0x3
	buffer_load_dword v0, v4, s[0:3], 0 offen
	buffer_load_dword v1, v4, s[0:3], 0 offen offset:4
	buffer_load_dword v2, v4, s[0:3], 0 offen offset:8
	buffer_load_dword v3, v4, s[0:3], 0 offen offset:12
	v_mov_b32_e32 v4, s24
	s_waitcnt vmcnt(0)
	flat_store_dwordx4 v[9:10], v[0:3]
	s_clause 0x3
	buffer_load_dword v0, v4, s[0:3], 0 offen
	buffer_load_dword v1, v4, s[0:3], 0 offen offset:4
	buffer_load_dword v2, v4, s[0:3], 0 offen offset:8
	buffer_load_dword v3, v4, s[0:3], 0 offen offset:12
	v_mov_b32_e32 v4, s23
	s_waitcnt vmcnt(0)
	flat_store_dwordx4 v[7:8], v[0:3]
	s_clause 0x3
	buffer_load_dword v0, v4, s[0:3], 0 offen
	buffer_load_dword v1, v4, s[0:3], 0 offen offset:4
	buffer_load_dword v2, v4, s[0:3], 0 offen offset:8
	buffer_load_dword v3, v4, s[0:3], 0 offen offset:12
	v_mov_b32_e32 v4, s22
	s_waitcnt vmcnt(0)
	flat_store_dwordx4 v[33:34], v[0:3]
	s_clause 0x3
	buffer_load_dword v0, v4, s[0:3], 0 offen
	buffer_load_dword v1, v4, s[0:3], 0 offen offset:4
	buffer_load_dword v2, v4, s[0:3], 0 offen offset:8
	buffer_load_dword v3, v4, s[0:3], 0 offen offset:12
	v_mov_b32_e32 v4, s21
	s_waitcnt vmcnt(0)
	flat_store_dwordx4 v[51:52], v[0:3]
	s_clause 0x3
	buffer_load_dword v0, v4, s[0:3], 0 offen
	buffer_load_dword v1, v4, s[0:3], 0 offen offset:4
	buffer_load_dword v2, v4, s[0:3], 0 offen offset:8
	buffer_load_dword v3, v4, s[0:3], 0 offen offset:12
	v_mov_b32_e32 v4, s20
	s_waitcnt vmcnt(0)
	flat_store_dwordx4 v[61:62], v[0:3]
	s_clause 0x3
	buffer_load_dword v0, v4, s[0:3], 0 offen
	buffer_load_dword v1, v4, s[0:3], 0 offen offset:4
	buffer_load_dword v2, v4, s[0:3], 0 offen offset:8
	buffer_load_dword v3, v4, s[0:3], 0 offen offset:12
	v_mov_b32_e32 v4, s19
	s_waitcnt vmcnt(0)
	flat_store_dwordx4 v[63:64], v[0:3]
	s_clause 0x3
	buffer_load_dword v0, v4, s[0:3], 0 offen
	buffer_load_dword v1, v4, s[0:3], 0 offen offset:4
	buffer_load_dword v2, v4, s[0:3], 0 offen offset:8
	buffer_load_dword v3, v4, s[0:3], 0 offen offset:12
	v_mov_b32_e32 v4, s18
	s_waitcnt vmcnt(0)
	flat_store_dwordx4 v[65:66], v[0:3]
	s_clause 0x3
	buffer_load_dword v0, v4, s[0:3], 0 offen
	buffer_load_dword v1, v4, s[0:3], 0 offen offset:4
	buffer_load_dword v2, v4, s[0:3], 0 offen offset:8
	buffer_load_dword v3, v4, s[0:3], 0 offen offset:12
	v_mov_b32_e32 v4, s17
	s_waitcnt vmcnt(0)
	flat_store_dwordx4 v[67:68], v[0:3]
	s_clause 0x3
	buffer_load_dword v0, v4, s[0:3], 0 offen
	buffer_load_dword v1, v4, s[0:3], 0 offen offset:4
	buffer_load_dword v2, v4, s[0:3], 0 offen offset:8
	buffer_load_dword v3, v4, s[0:3], 0 offen offset:12
	v_mov_b32_e32 v4, s16
	s_waitcnt vmcnt(0)
	flat_store_dwordx4 v[69:70], v[0:3]
	s_clause 0x3
	buffer_load_dword v0, v4, s[0:3], 0 offen
	buffer_load_dword v1, v4, s[0:3], 0 offen offset:4
	buffer_load_dword v2, v4, s[0:3], 0 offen offset:8
	buffer_load_dword v3, v4, s[0:3], 0 offen offset:12
	v_mov_b32_e32 v4, s15
	s_waitcnt vmcnt(0)
	flat_store_dwordx4 v[71:72], v[0:3]
	s_clause 0x3
	buffer_load_dword v0, v4, s[0:3], 0 offen
	buffer_load_dword v1, v4, s[0:3], 0 offen offset:4
	buffer_load_dword v2, v4, s[0:3], 0 offen offset:8
	buffer_load_dword v3, v4, s[0:3], 0 offen offset:12
	v_mov_b32_e32 v4, s14
	s_waitcnt vmcnt(0)
	flat_store_dwordx4 v[73:74], v[0:3]
	s_clause 0x3
	buffer_load_dword v0, v4, s[0:3], 0 offen
	buffer_load_dword v1, v4, s[0:3], 0 offen offset:4
	buffer_load_dword v2, v4, s[0:3], 0 offen offset:8
	buffer_load_dword v3, v4, s[0:3], 0 offen offset:12
	v_mov_b32_e32 v4, s13
	s_waitcnt vmcnt(0)
	flat_store_dwordx4 v[75:76], v[0:3]
	s_clause 0x3
	buffer_load_dword v0, v4, s[0:3], 0 offen
	buffer_load_dword v1, v4, s[0:3], 0 offen offset:4
	buffer_load_dword v2, v4, s[0:3], 0 offen offset:8
	buffer_load_dword v3, v4, s[0:3], 0 offen offset:12
	v_mov_b32_e32 v4, s12
	s_waitcnt vmcnt(0)
	flat_store_dwordx4 v[77:78], v[0:3]
	s_clause 0x3
	buffer_load_dword v0, v4, s[0:3], 0 offen
	buffer_load_dword v1, v4, s[0:3], 0 offen offset:4
	buffer_load_dword v2, v4, s[0:3], 0 offen offset:8
	buffer_load_dword v3, v4, s[0:3], 0 offen offset:12
	v_mov_b32_e32 v4, s11
	s_waitcnt vmcnt(0)
	flat_store_dwordx4 v[79:80], v[0:3]
	s_clause 0x3
	buffer_load_dword v0, v4, s[0:3], 0 offen
	buffer_load_dword v1, v4, s[0:3], 0 offen offset:4
	buffer_load_dword v2, v4, s[0:3], 0 offen offset:8
	buffer_load_dword v3, v4, s[0:3], 0 offen offset:12
	v_mov_b32_e32 v4, s10
	s_waitcnt vmcnt(0)
	flat_store_dwordx4 v[81:82], v[0:3]
	s_clause 0x3
	buffer_load_dword v0, v4, s[0:3], 0 offen
	buffer_load_dword v1, v4, s[0:3], 0 offen offset:4
	buffer_load_dword v2, v4, s[0:3], 0 offen offset:8
	buffer_load_dword v3, v4, s[0:3], 0 offen offset:12
	v_mov_b32_e32 v4, s9
	s_waitcnt vmcnt(0)
	flat_store_dwordx4 v[83:84], v[0:3]
	s_clause 0x3
	buffer_load_dword v0, v4, s[0:3], 0 offen
	buffer_load_dword v1, v4, s[0:3], 0 offen offset:4
	buffer_load_dword v2, v4, s[0:3], 0 offen offset:8
	buffer_load_dword v3, v4, s[0:3], 0 offen offset:12
	v_mov_b32_e32 v4, s7
	s_waitcnt vmcnt(0)
	flat_store_dwordx4 v[85:86], v[0:3]
	s_clause 0x3
	buffer_load_dword v0, v4, s[0:3], 0 offen
	buffer_load_dword v1, v4, s[0:3], 0 offen offset:4
	buffer_load_dword v2, v4, s[0:3], 0 offen offset:8
	buffer_load_dword v3, v4, s[0:3], 0 offen offset:12
	v_mov_b32_e32 v4, s6
	s_waitcnt vmcnt(0)
	flat_store_dwordx4 v[87:88], v[0:3]
	s_clause 0x3
	buffer_load_dword v0, v4, s[0:3], 0 offen
	buffer_load_dword v1, v4, s[0:3], 0 offen offset:4
	buffer_load_dword v2, v4, s[0:3], 0 offen offset:8
	buffer_load_dword v3, v4, s[0:3], 0 offen offset:12
	s_waitcnt vmcnt(0)
	flat_store_dwordx4 v[89:90], v[0:3]
.LBB106_675:
	s_endpgm
	.section	.rodata,"a",@progbits
	.p2align	6, 0x0
	.amdhsa_kernel _ZN9rocsolver6v33100L18trti2_kernel_smallILi43E19rocblas_complex_numIdEPKPS3_EEv13rocblas_fill_17rocblas_diagonal_T1_iil
		.amdhsa_group_segment_fixed_size 1376
		.amdhsa_private_segment_fixed_size 704
		.amdhsa_kernarg_size 32
		.amdhsa_user_sgpr_count 6
		.amdhsa_user_sgpr_private_segment_buffer 1
		.amdhsa_user_sgpr_dispatch_ptr 0
		.amdhsa_user_sgpr_queue_ptr 0
		.amdhsa_user_sgpr_kernarg_segment_ptr 1
		.amdhsa_user_sgpr_dispatch_id 0
		.amdhsa_user_sgpr_flat_scratch_init 0
		.amdhsa_user_sgpr_private_segment_size 0
		.amdhsa_wavefront_size32 1
		.amdhsa_uses_dynamic_stack 0
		.amdhsa_system_sgpr_private_segment_wavefront_offset 1
		.amdhsa_system_sgpr_workgroup_id_x 1
		.amdhsa_system_sgpr_workgroup_id_y 0
		.amdhsa_system_sgpr_workgroup_id_z 0
		.amdhsa_system_sgpr_workgroup_info 0
		.amdhsa_system_vgpr_workitem_id 0
		.amdhsa_next_free_vgpr 108
		.amdhsa_next_free_sgpr 69
		.amdhsa_reserve_vcc 1
		.amdhsa_reserve_flat_scratch 0
		.amdhsa_float_round_mode_32 0
		.amdhsa_float_round_mode_16_64 0
		.amdhsa_float_denorm_mode_32 3
		.amdhsa_float_denorm_mode_16_64 3
		.amdhsa_dx10_clamp 1
		.amdhsa_ieee_mode 1
		.amdhsa_fp16_overflow 0
		.amdhsa_workgroup_processor_mode 1
		.amdhsa_memory_ordered 1
		.amdhsa_forward_progress 1
		.amdhsa_shared_vgpr_count 0
		.amdhsa_exception_fp_ieee_invalid_op 0
		.amdhsa_exception_fp_denorm_src 0
		.amdhsa_exception_fp_ieee_div_zero 0
		.amdhsa_exception_fp_ieee_overflow 0
		.amdhsa_exception_fp_ieee_underflow 0
		.amdhsa_exception_fp_ieee_inexact 0
		.amdhsa_exception_int_div_zero 0
	.end_amdhsa_kernel
	.section	.text._ZN9rocsolver6v33100L18trti2_kernel_smallILi43E19rocblas_complex_numIdEPKPS3_EEv13rocblas_fill_17rocblas_diagonal_T1_iil,"axG",@progbits,_ZN9rocsolver6v33100L18trti2_kernel_smallILi43E19rocblas_complex_numIdEPKPS3_EEv13rocblas_fill_17rocblas_diagonal_T1_iil,comdat
.Lfunc_end106:
	.size	_ZN9rocsolver6v33100L18trti2_kernel_smallILi43E19rocblas_complex_numIdEPKPS3_EEv13rocblas_fill_17rocblas_diagonal_T1_iil, .Lfunc_end106-_ZN9rocsolver6v33100L18trti2_kernel_smallILi43E19rocblas_complex_numIdEPKPS3_EEv13rocblas_fill_17rocblas_diagonal_T1_iil
                                        ; -- End function
	.set _ZN9rocsolver6v33100L18trti2_kernel_smallILi43E19rocblas_complex_numIdEPKPS3_EEv13rocblas_fill_17rocblas_diagonal_T1_iil.num_vgpr, 108
	.set _ZN9rocsolver6v33100L18trti2_kernel_smallILi43E19rocblas_complex_numIdEPKPS3_EEv13rocblas_fill_17rocblas_diagonal_T1_iil.num_agpr, 0
	.set _ZN9rocsolver6v33100L18trti2_kernel_smallILi43E19rocblas_complex_numIdEPKPS3_EEv13rocblas_fill_17rocblas_diagonal_T1_iil.numbered_sgpr, 69
	.set _ZN9rocsolver6v33100L18trti2_kernel_smallILi43E19rocblas_complex_numIdEPKPS3_EEv13rocblas_fill_17rocblas_diagonal_T1_iil.num_named_barrier, 0
	.set _ZN9rocsolver6v33100L18trti2_kernel_smallILi43E19rocblas_complex_numIdEPKPS3_EEv13rocblas_fill_17rocblas_diagonal_T1_iil.private_seg_size, 704
	.set _ZN9rocsolver6v33100L18trti2_kernel_smallILi43E19rocblas_complex_numIdEPKPS3_EEv13rocblas_fill_17rocblas_diagonal_T1_iil.uses_vcc, 1
	.set _ZN9rocsolver6v33100L18trti2_kernel_smallILi43E19rocblas_complex_numIdEPKPS3_EEv13rocblas_fill_17rocblas_diagonal_T1_iil.uses_flat_scratch, 0
	.set _ZN9rocsolver6v33100L18trti2_kernel_smallILi43E19rocblas_complex_numIdEPKPS3_EEv13rocblas_fill_17rocblas_diagonal_T1_iil.has_dyn_sized_stack, 0
	.set _ZN9rocsolver6v33100L18trti2_kernel_smallILi43E19rocblas_complex_numIdEPKPS3_EEv13rocblas_fill_17rocblas_diagonal_T1_iil.has_recursion, 0
	.set _ZN9rocsolver6v33100L18trti2_kernel_smallILi43E19rocblas_complex_numIdEPKPS3_EEv13rocblas_fill_17rocblas_diagonal_T1_iil.has_indirect_call, 0
	.section	.AMDGPU.csdata,"",@progbits
; Kernel info:
; codeLenInByte = 43696
; TotalNumSgprs: 71
; NumVgprs: 108
; ScratchSize: 704
; MemoryBound: 0
; FloatMode: 240
; IeeeMode: 1
; LDSByteSize: 1376 bytes/workgroup (compile time only)
; SGPRBlocks: 0
; VGPRBlocks: 13
; NumSGPRsForWavesPerEU: 71
; NumVGPRsForWavesPerEU: 108
; Occupancy: 9
; WaveLimiterHint : 1
; COMPUTE_PGM_RSRC2:SCRATCH_EN: 1
; COMPUTE_PGM_RSRC2:USER_SGPR: 6
; COMPUTE_PGM_RSRC2:TRAP_HANDLER: 0
; COMPUTE_PGM_RSRC2:TGID_X_EN: 1
; COMPUTE_PGM_RSRC2:TGID_Y_EN: 0
; COMPUTE_PGM_RSRC2:TGID_Z_EN: 0
; COMPUTE_PGM_RSRC2:TIDIG_COMP_CNT: 0
	.section	.text._ZN9rocsolver6v33100L18trti2_kernel_smallILi44E19rocblas_complex_numIdEPKPS3_EEv13rocblas_fill_17rocblas_diagonal_T1_iil,"axG",@progbits,_ZN9rocsolver6v33100L18trti2_kernel_smallILi44E19rocblas_complex_numIdEPKPS3_EEv13rocblas_fill_17rocblas_diagonal_T1_iil,comdat
	.globl	_ZN9rocsolver6v33100L18trti2_kernel_smallILi44E19rocblas_complex_numIdEPKPS3_EEv13rocblas_fill_17rocblas_diagonal_T1_iil ; -- Begin function _ZN9rocsolver6v33100L18trti2_kernel_smallILi44E19rocblas_complex_numIdEPKPS3_EEv13rocblas_fill_17rocblas_diagonal_T1_iil
	.p2align	8
	.type	_ZN9rocsolver6v33100L18trti2_kernel_smallILi44E19rocblas_complex_numIdEPKPS3_EEv13rocblas_fill_17rocblas_diagonal_T1_iil,@function
_ZN9rocsolver6v33100L18trti2_kernel_smallILi44E19rocblas_complex_numIdEPKPS3_EEv13rocblas_fill_17rocblas_diagonal_T1_iil: ; @_ZN9rocsolver6v33100L18trti2_kernel_smallILi44E19rocblas_complex_numIdEPKPS3_EEv13rocblas_fill_17rocblas_diagonal_T1_iil
; %bb.0:
	s_add_u32 s0, s0, s7
	s_addc_u32 s1, s1, 0
	s_mov_b32 s7, exec_lo
	v_cmpx_gt_u32_e32 44, v0
	s_cbranch_execz .LBB107_691
; %bb.1:
	s_clause 0x1
	s_load_dwordx2 s[12:13], s[4:5], 0x10
	s_load_dwordx4 s[8:11], s[4:5], 0x0
	s_ashr_i32 s7, s6, 31
	v_lshlrev_b32_e32 v99, 4, v0
	s_lshl_b64 s[4:5], s[6:7], 3
	s_movk_i32 s14, 0xd0
	s_movk_i32 s15, 0xe0
	;; [unrolled: 1-line block ×15, first 2 shown]
	s_waitcnt lgkmcnt(0)
	s_ashr_i32 s7, s12, 31
	s_add_u32 s4, s10, s4
	s_addc_u32 s5, s11, s5
	s_mov_b32 s6, s12
	s_load_dwordx2 s[4:5], s[4:5], 0x0
	s_lshl_b64 s[6:7], s[6:7], 4
	v_add3_u32 v7, s13, s13, v0
	s_movk_i32 s10, 0x90
	s_movk_i32 s11, 0xa0
	;; [unrolled: 1-line block ×4, first 2 shown]
	v_ashrrev_i32_e32 v8, 31, v7
	s_movk_i32 s56, 0x1d0
	s_movk_i32 s57, 0x1e0
	;; [unrolled: 1-line block ×4, first 2 shown]
	v_lshlrev_b64 v[8:9], 4, v[7:8]
	v_add_nc_u32_e32 v7, s13, v7
	s_movk_i32 s60, 0x210
	s_movk_i32 s61, 0x220
	;; [unrolled: 1-line block ×6, first 2 shown]
	s_waitcnt lgkmcnt(0)
	s_add_u32 s6, s4, s6
	s_addc_u32 s7, s5, s7
	v_add_co_u32 v5, s4, s6, v99
	v_add_co_ci_u32_e64 v6, null, s7, 0, s4
	s_mov_b32 s4, s13
	s_ashr_i32 s5, s13, 31
	s_movk_i32 s66, 0x270
	flat_load_dwordx4 v[1:4], v[5:6]
	s_lshl_b64 s[4:5], s[4:5], 4
	s_cmpk_lg_i32 s9, 0x84
	v_add_co_u32 v59, vcc_lo, v5, s4
	v_add_co_ci_u32_e64 v60, null, s5, v6, vcc_lo
	v_add_co_u32 v57, vcc_lo, s6, v8
	v_add_co_ci_u32_e64 v58, null, s7, v9, vcc_lo
	v_ashrrev_i32_e32 v8, 31, v7
	s_movk_i32 s4, 0x50
	s_movk_i32 s5, 0x60
	;; [unrolled: 1-line block ×4, first 2 shown]
	v_lshlrev_b64 v[8:9], 4, v[7:8]
	v_add_nc_u32_e32 v7, s13, v7
	s_movk_i32 s69, 0x2a0
	s_movk_i32 s70, 0x2b0
	s_cselect_b32 s52, -1, 0
	s_cmpk_eq_i32 s9, 0x84
	v_add_co_u32 v55, vcc_lo, s6, v8
	v_add_co_ci_u32_e64 v56, null, s7, v9, vcc_lo
	v_ashrrev_i32_e32 v8, 31, v7
	s_waitcnt vmcnt(0) lgkmcnt(0)
	buffer_store_dword v4, off, s[0:3], 0 offset:12
	buffer_store_dword v3, off, s[0:3], 0 offset:8
	;; [unrolled: 1-line block ×3, first 2 shown]
	buffer_store_dword v1, off, s[0:3], 0
	flat_load_dwordx4 v[1:4], v[59:60]
	v_lshlrev_b64 v[8:9], 4, v[7:8]
	v_add_nc_u32_e32 v7, s13, v7
	s_waitcnt vmcnt(0) lgkmcnt(0)
	buffer_store_dword v4, off, s[0:3], 0 offset:28
	buffer_store_dword v3, off, s[0:3], 0 offset:24
	;; [unrolled: 1-line block ×4, first 2 shown]
	flat_load_dwordx4 v[1:4], v[57:58]
	v_add_co_u32 v53, vcc_lo, s6, v8
	v_add_co_ci_u32_e64 v54, null, s7, v9, vcc_lo
	v_ashrrev_i32_e32 v8, 31, v7
	s_waitcnt vmcnt(0) lgkmcnt(0)
	buffer_store_dword v4, off, s[0:3], 0 offset:44
	buffer_store_dword v3, off, s[0:3], 0 offset:40
	buffer_store_dword v2, off, s[0:3], 0 offset:36
	buffer_store_dword v1, off, s[0:3], 0 offset:32
	flat_load_dwordx4 v[1:4], v[55:56]
	v_lshlrev_b64 v[8:9], 4, v[7:8]
	v_add_nc_u32_e32 v7, s13, v7
	s_waitcnt vmcnt(0) lgkmcnt(0)
	buffer_store_dword v4, off, s[0:3], 0 offset:60
	buffer_store_dword v3, off, s[0:3], 0 offset:56
	;; [unrolled: 1-line block ×4, first 2 shown]
	flat_load_dwordx4 v[1:4], v[53:54]
	v_add_co_u32 v49, vcc_lo, s6, v8
	v_add_co_ci_u32_e64 v50, null, s7, v9, vcc_lo
	v_ashrrev_i32_e32 v8, 31, v7
	s_waitcnt vmcnt(0) lgkmcnt(0)
	buffer_store_dword v4, off, s[0:3], 0 offset:76
	buffer_store_dword v3, off, s[0:3], 0 offset:72
	;; [unrolled: 1-line block ×4, first 2 shown]
	flat_load_dwordx4 v[1:4], v[49:50]
	v_lshlrev_b64 v[8:9], 4, v[7:8]
	v_add_nc_u32_e32 v7, s13, v7
	s_waitcnt vmcnt(0) lgkmcnt(0)
	buffer_store_dword v4, off, s[0:3], 0 offset:92
	buffer_store_dword v3, off, s[0:3], 0 offset:88
	;; [unrolled: 1-line block ×4, first 2 shown]
	v_add_co_u32 v47, vcc_lo, s6, v8
	v_add_co_ci_u32_e64 v48, null, s7, v9, vcc_lo
	v_ashrrev_i32_e32 v8, 31, v7
	flat_load_dwordx4 v[1:4], v[47:48]
	s_waitcnt vmcnt(0) lgkmcnt(0)
	buffer_store_dword v4, off, s[0:3], 0 offset:108
	buffer_store_dword v3, off, s[0:3], 0 offset:104
	buffer_store_dword v2, off, s[0:3], 0 offset:100
	buffer_store_dword v1, off, s[0:3], 0 offset:96
	v_lshlrev_b64 v[8:9], 4, v[7:8]
	v_add_nc_u32_e32 v7, s13, v7
	v_add_co_u32 v45, vcc_lo, s6, v8
	v_add_co_ci_u32_e64 v46, null, s7, v9, vcc_lo
	v_ashrrev_i32_e32 v8, 31, v7
	flat_load_dwordx4 v[1:4], v[45:46]
	s_waitcnt vmcnt(0) lgkmcnt(0)
	buffer_store_dword v4, off, s[0:3], 0 offset:124
	buffer_store_dword v3, off, s[0:3], 0 offset:120
	buffer_store_dword v2, off, s[0:3], 0 offset:116
	buffer_store_dword v1, off, s[0:3], 0 offset:112
	v_lshlrev_b64 v[8:9], 4, v[7:8]
	v_add_nc_u32_e32 v7, s13, v7
	;; [unrolled: 11-line block ×17, first 2 shown]
	v_add_co_u32 v11, vcc_lo, s6, v8
	v_add_co_ci_u32_e64 v12, null, s7, v9, vcc_lo
	v_ashrrev_i32_e32 v8, 31, v7
	v_add_nc_u32_e32 v33, s13, v7
	flat_load_dwordx4 v[1:4], v[11:12]
	s_waitcnt vmcnt(0) lgkmcnt(0)
	buffer_store_dword v4, off, s[0:3], 0 offset:380
	buffer_store_dword v3, off, s[0:3], 0 offset:376
	;; [unrolled: 1-line block ×4, first 2 shown]
	v_lshlrev_b64 v[9:10], 4, v[7:8]
	v_ashrrev_i32_e32 v34, 31, v33
	v_add_nc_u32_e32 v51, s13, v33
	v_add_co_u32 v9, vcc_lo, s6, v9
	v_add_co_ci_u32_e64 v10, null, s7, v10, vcc_lo
	v_lshlrev_b64 v[7:8], 4, v[33:34]
	v_ashrrev_i32_e32 v52, 31, v51
	v_add_nc_u32_e32 v61, s13, v51
	flat_load_dwordx4 v[1:4], v[9:10]
	s_waitcnt vmcnt(0) lgkmcnt(0)
	buffer_store_dword v4, off, s[0:3], 0 offset:396
	buffer_store_dword v3, off, s[0:3], 0 offset:392
	buffer_store_dword v2, off, s[0:3], 0 offset:388
	buffer_store_dword v1, off, s[0:3], 0 offset:384
	v_add_co_u32 v7, vcc_lo, s6, v7
	v_add_co_ci_u32_e64 v8, null, s7, v8, vcc_lo
	v_lshlrev_b64 v[33:34], 4, v[51:52]
	v_ashrrev_i32_e32 v62, 31, v61
	v_add_nc_u32_e32 v63, s13, v61
	flat_load_dwordx4 v[1:4], v[7:8]
	s_waitcnt vmcnt(0) lgkmcnt(0)
	buffer_store_dword v4, off, s[0:3], 0 offset:412
	buffer_store_dword v3, off, s[0:3], 0 offset:408
	buffer_store_dword v2, off, s[0:3], 0 offset:404
	buffer_store_dword v1, off, s[0:3], 0 offset:400
	;; [unrolled: 11-line block ×16, first 2 shown]
	v_add_co_u32 v85, vcc_lo, s6, v85
	v_add_co_ci_u32_e64 v86, null, s7, v86, vcc_lo
	v_lshlrev_b64 v[87:88], 4, v[89:90]
	v_ashrrev_i32_e32 v92, 31, v91
	flat_load_dwordx4 v[1:4], v[85:86]
	s_waitcnt vmcnt(0) lgkmcnt(0)
	buffer_store_dword v4, off, s[0:3], 0 offset:652
	buffer_store_dword v3, off, s[0:3], 0 offset:648
	;; [unrolled: 1-line block ×4, first 2 shown]
	v_add_co_u32 v87, vcc_lo, s6, v87
	v_add_co_ci_u32_e64 v88, null, s7, v88, vcc_lo
	v_lshlrev_b64 v[89:90], 4, v[91:92]
	v_add_nc_u32_e32 v91, s13, v91
	s_movk_i32 s13, 0xc0
	flat_load_dwordx4 v[1:4], v[87:88]
	s_waitcnt vmcnt(0) lgkmcnt(0)
	buffer_store_dword v4, off, s[0:3], 0 offset:668
	buffer_store_dword v3, off, s[0:3], 0 offset:664
	;; [unrolled: 1-line block ×4, first 2 shown]
	v_add_co_u32 v89, vcc_lo, s6, v89
	v_add_co_ci_u32_e64 v90, null, s7, v90, vcc_lo
	v_ashrrev_i32_e32 v92, 31, v91
	flat_load_dwordx4 v[1:4], v[89:90]
	s_waitcnt vmcnt(0) lgkmcnt(0)
	buffer_store_dword v4, off, s[0:3], 0 offset:684
	buffer_store_dword v3, off, s[0:3], 0 offset:680
	;; [unrolled: 1-line block ×4, first 2 shown]
	v_lshlrev_b64 v[91:92], 4, v[91:92]
	v_add_co_u32 v91, vcc_lo, s6, v91
	v_add_co_ci_u32_e64 v92, null, s7, v92, vcc_lo
	s_movk_i32 s6, 0x70
	s_movk_i32 s7, 0x80
	flat_load_dwordx4 v[1:4], v[91:92]
	s_waitcnt vmcnt(0) lgkmcnt(0)
	buffer_store_dword v4, off, s[0:3], 0 offset:700
	buffer_store_dword v3, off, s[0:3], 0 offset:696
	;; [unrolled: 1-line block ×4, first 2 shown]
	s_cbranch_scc1 .LBB107_7
; %bb.2:
	v_lshl_add_u32 v100, v0, 4, 0
                                        ; implicit-def: $vgpr95_vgpr96
                                        ; implicit-def: $vgpr3_vgpr4
	s_clause 0x3
	buffer_load_dword v93, v100, s[0:3], 0 offen
	buffer_load_dword v94, v100, s[0:3], 0 offen offset:4
	buffer_load_dword v97, v100, s[0:3], 0 offen offset:8
	;; [unrolled: 1-line block ×3, first 2 shown]
	s_waitcnt vmcnt(0)
	v_cmp_ngt_f64_e64 s9, |v[93:94]|, |v[97:98]|
	s_and_saveexec_b32 s27, s9
	s_xor_b32 s9, exec_lo, s27
	s_cbranch_execz .LBB107_4
; %bb.3:
	v_div_scale_f64 v[1:2], null, v[97:98], v[97:98], v[93:94]
	v_div_scale_f64 v[101:102], vcc_lo, v[93:94], v[97:98], v[93:94]
	v_rcp_f64_e32 v[3:4], v[1:2]
	v_fma_f64 v[95:96], -v[1:2], v[3:4], 1.0
	v_fma_f64 v[3:4], v[3:4], v[95:96], v[3:4]
	v_fma_f64 v[95:96], -v[1:2], v[3:4], 1.0
	v_fma_f64 v[3:4], v[3:4], v[95:96], v[3:4]
	v_mul_f64 v[95:96], v[101:102], v[3:4]
	v_fma_f64 v[1:2], -v[1:2], v[95:96], v[101:102]
	v_div_fmas_f64 v[1:2], v[1:2], v[3:4], v[95:96]
	v_div_fixup_f64 v[1:2], v[1:2], v[97:98], v[93:94]
	v_fma_f64 v[3:4], v[93:94], v[1:2], v[97:98]
	v_div_scale_f64 v[93:94], null, v[3:4], v[3:4], 1.0
	v_div_scale_f64 v[101:102], vcc_lo, 1.0, v[3:4], 1.0
	v_rcp_f64_e32 v[95:96], v[93:94]
	v_fma_f64 v[97:98], -v[93:94], v[95:96], 1.0
	v_fma_f64 v[95:96], v[95:96], v[97:98], v[95:96]
	v_fma_f64 v[97:98], -v[93:94], v[95:96], 1.0
	v_fma_f64 v[95:96], v[95:96], v[97:98], v[95:96]
	v_mul_f64 v[97:98], v[101:102], v[95:96]
	v_fma_f64 v[93:94], -v[93:94], v[97:98], v[101:102]
	v_div_fmas_f64 v[93:94], v[93:94], v[95:96], v[97:98]
                                        ; implicit-def: $vgpr97_vgpr98
	v_div_fixup_f64 v[3:4], v[93:94], v[3:4], 1.0
                                        ; implicit-def: $vgpr93_vgpr94
	v_mul_f64 v[95:96], v[1:2], v[3:4]
	v_xor_b32_e32 v4, 0x80000000, v4
	v_xor_b32_e32 v2, 0x80000000, v96
	v_mov_b32_e32 v1, v95
.LBB107_4:
	s_andn2_saveexec_b32 s9, s9
	s_cbranch_execz .LBB107_6
; %bb.5:
	v_div_scale_f64 v[1:2], null, v[93:94], v[93:94], v[97:98]
	v_div_scale_f64 v[101:102], vcc_lo, v[97:98], v[93:94], v[97:98]
	v_rcp_f64_e32 v[3:4], v[1:2]
	v_fma_f64 v[95:96], -v[1:2], v[3:4], 1.0
	v_fma_f64 v[3:4], v[3:4], v[95:96], v[3:4]
	v_fma_f64 v[95:96], -v[1:2], v[3:4], 1.0
	v_fma_f64 v[3:4], v[3:4], v[95:96], v[3:4]
	v_mul_f64 v[95:96], v[101:102], v[3:4]
	v_fma_f64 v[1:2], -v[1:2], v[95:96], v[101:102]
	v_div_fmas_f64 v[1:2], v[1:2], v[3:4], v[95:96]
	v_div_fixup_f64 v[1:2], v[1:2], v[93:94], v[97:98]
	v_fma_f64 v[3:4], v[97:98], v[1:2], v[93:94]
	v_div_scale_f64 v[93:94], null, v[3:4], v[3:4], 1.0
	v_rcp_f64_e32 v[95:96], v[93:94]
	v_fma_f64 v[97:98], -v[93:94], v[95:96], 1.0
	v_fma_f64 v[95:96], v[95:96], v[97:98], v[95:96]
	v_fma_f64 v[97:98], -v[93:94], v[95:96], 1.0
	v_fma_f64 v[95:96], v[95:96], v[97:98], v[95:96]
	v_div_scale_f64 v[97:98], vcc_lo, 1.0, v[3:4], 1.0
	v_mul_f64 v[101:102], v[97:98], v[95:96]
	v_fma_f64 v[93:94], -v[93:94], v[101:102], v[97:98]
	v_div_fmas_f64 v[93:94], v[93:94], v[95:96], v[101:102]
	v_div_fixup_f64 v[95:96], v[93:94], v[3:4], 1.0
	v_mul_f64 v[3:4], v[1:2], -v[95:96]
	v_xor_b32_e32 v2, 0x80000000, v96
	v_mov_b32_e32 v1, v95
.LBB107_6:
	s_or_b32 exec_lo, exec_lo, s9
	buffer_store_dword v4, v100, s[0:3], 0 offen offset:12
	v_xor_b32_e32 v4, 0x80000000, v4
	buffer_store_dword v96, v100, s[0:3], 0 offen offset:4
	buffer_store_dword v95, v100, s[0:3], 0 offen
	buffer_store_dword v3, v100, s[0:3], 0 offen offset:8
	s_branch .LBB107_8
.LBB107_7:
	v_mov_b32_e32 v1, 0
	v_mov_b32_e32 v3, 0
	;; [unrolled: 1-line block ×4, first 2 shown]
.LBB107_8:
	v_add_nc_u32_e32 v94, 0x2c0, v99
	v_mov_b32_e32 v93, v99
	s_mov_b32 s51, 16
	s_mov_b32 s50, 32
	;; [unrolled: 1-line block ×42, first 2 shown]
	s_cmpk_eq_i32 s8, 0x79
	ds_write_b128 v99, v[1:4]
	s_cbranch_scc1 .LBB107_348
; %bb.9:
	v_mov_b32_e32 v4, s9
	v_cmp_eq_u32_e64 s4, 43, v0
	s_clause 0x3
	buffer_load_dword v1, v4, s[0:3], 0 offen
	buffer_load_dword v2, v4, s[0:3], 0 offen offset:4
	buffer_load_dword v3, v4, s[0:3], 0 offen offset:8
	;; [unrolled: 1-line block ×3, first 2 shown]
	s_waitcnt vmcnt(0)
	ds_write_b128 v94, v[1:4]
	s_waitcnt lgkmcnt(0)
	s_waitcnt_vscnt null, 0x0
	s_barrier
	buffer_gl0_inv
	s_and_saveexec_b32 s5, s4
	s_cbranch_execz .LBB107_13
; %bb.10:
	ds_read_b128 v[1:4], v94
	s_andn2_b32 vcc_lo, exec_lo, s52
	s_cbranch_vccnz .LBB107_12
; %bb.11:
	s_clause 0x3
	buffer_load_dword v95, v93, s[0:3], 0 offen offset:8
	buffer_load_dword v96, v93, s[0:3], 0 offen offset:12
	buffer_load_dword v97, v93, s[0:3], 0 offen
	buffer_load_dword v98, v93, s[0:3], 0 offen offset:4
	s_waitcnt vmcnt(2) lgkmcnt(0)
	v_mul_f64 v[100:101], v[3:4], v[95:96]
	v_mul_f64 v[95:96], v[1:2], v[95:96]
	s_waitcnt vmcnt(0)
	v_fma_f64 v[1:2], v[1:2], v[97:98], -v[100:101]
	v_fma_f64 v[3:4], v[3:4], v[97:98], v[95:96]
.LBB107_12:
	v_mov_b32_e32 v95, 0
	ds_read_b128 v[95:98], v95 offset:672
	s_waitcnt lgkmcnt(0)
	v_mul_f64 v[100:101], v[3:4], v[97:98]
	v_mul_f64 v[97:98], v[1:2], v[97:98]
	v_fma_f64 v[1:2], v[1:2], v[95:96], -v[100:101]
	v_fma_f64 v[3:4], v[3:4], v[95:96], v[97:98]
	buffer_store_dword v2, off, s[0:3], 0 offset:676
	buffer_store_dword v1, off, s[0:3], 0 offset:672
	;; [unrolled: 1-line block ×4, first 2 shown]
.LBB107_13:
	s_or_b32 exec_lo, exec_lo, s5
	v_mov_b32_e32 v4, s10
	v_cmp_lt_u32_e64 s5, 41, v0
	s_clause 0x3
	buffer_load_dword v1, v4, s[0:3], 0 offen
	buffer_load_dword v2, v4, s[0:3], 0 offen offset:4
	buffer_load_dword v3, v4, s[0:3], 0 offen offset:8
	;; [unrolled: 1-line block ×3, first 2 shown]
	s_waitcnt vmcnt(0)
	ds_write_b128 v94, v[1:4]
	s_waitcnt lgkmcnt(0)
	s_waitcnt_vscnt null, 0x0
	s_barrier
	buffer_gl0_inv
	s_and_saveexec_b32 s6, s5
	s_cbranch_execz .LBB107_19
; %bb.14:
	ds_read_b128 v[1:4], v94
	s_andn2_b32 vcc_lo, exec_lo, s52
	s_cbranch_vccnz .LBB107_16
; %bb.15:
	s_clause 0x3
	buffer_load_dword v95, v93, s[0:3], 0 offen offset:8
	buffer_load_dword v96, v93, s[0:3], 0 offen offset:12
	buffer_load_dword v97, v93, s[0:3], 0 offen
	buffer_load_dword v98, v93, s[0:3], 0 offen offset:4
	s_waitcnt vmcnt(2) lgkmcnt(0)
	v_mul_f64 v[100:101], v[3:4], v[95:96]
	v_mul_f64 v[95:96], v[1:2], v[95:96]
	s_waitcnt vmcnt(0)
	v_fma_f64 v[1:2], v[1:2], v[97:98], -v[100:101]
	v_fma_f64 v[3:4], v[3:4], v[97:98], v[95:96]
.LBB107_16:
	s_and_saveexec_b32 s8, s4
	s_cbranch_execz .LBB107_18
; %bb.17:
	s_clause 0x3
	buffer_load_dword v100, off, s[0:3], 0 offset:680
	buffer_load_dword v101, off, s[0:3], 0 offset:684
	;; [unrolled: 1-line block ×4, first 2 shown]
	v_mov_b32_e32 v95, 0
	ds_read_b128 v[95:98], v95 offset:1376
	s_waitcnt vmcnt(2) lgkmcnt(0)
	v_mul_f64 v[104:105], v[95:96], v[100:101]
	v_mul_f64 v[100:101], v[97:98], v[100:101]
	s_waitcnt vmcnt(0)
	v_fma_f64 v[97:98], v[97:98], v[102:103], v[104:105]
	v_fma_f64 v[95:96], v[95:96], v[102:103], -v[100:101]
	v_add_f64 v[3:4], v[3:4], v[97:98]
	v_add_f64 v[1:2], v[1:2], v[95:96]
.LBB107_18:
	s_or_b32 exec_lo, exec_lo, s8
	v_mov_b32_e32 v95, 0
	ds_read_b128 v[95:98], v95 offset:656
	s_waitcnt lgkmcnt(0)
	v_mul_f64 v[100:101], v[3:4], v[97:98]
	v_mul_f64 v[97:98], v[1:2], v[97:98]
	v_fma_f64 v[1:2], v[1:2], v[95:96], -v[100:101]
	v_fma_f64 v[3:4], v[3:4], v[95:96], v[97:98]
	buffer_store_dword v2, off, s[0:3], 0 offset:660
	buffer_store_dword v1, off, s[0:3], 0 offset:656
	;; [unrolled: 1-line block ×4, first 2 shown]
.LBB107_19:
	s_or_b32 exec_lo, exec_lo, s6
	v_mov_b32_e32 v4, s11
	v_cmp_lt_u32_e64 s4, 40, v0
	s_clause 0x3
	buffer_load_dword v1, v4, s[0:3], 0 offen
	buffer_load_dword v2, v4, s[0:3], 0 offen offset:4
	buffer_load_dword v3, v4, s[0:3], 0 offen offset:8
	;; [unrolled: 1-line block ×3, first 2 shown]
	s_waitcnt vmcnt(0)
	ds_write_b128 v94, v[1:4]
	s_waitcnt lgkmcnt(0)
	s_waitcnt_vscnt null, 0x0
	s_barrier
	buffer_gl0_inv
	s_and_saveexec_b32 s6, s4
	s_cbranch_execz .LBB107_27
; %bb.20:
	ds_read_b128 v[1:4], v94
	s_andn2_b32 vcc_lo, exec_lo, s52
	s_cbranch_vccnz .LBB107_22
; %bb.21:
	s_clause 0x3
	buffer_load_dword v95, v93, s[0:3], 0 offen offset:8
	buffer_load_dword v96, v93, s[0:3], 0 offen offset:12
	buffer_load_dword v97, v93, s[0:3], 0 offen
	buffer_load_dword v98, v93, s[0:3], 0 offen offset:4
	s_waitcnt vmcnt(2) lgkmcnt(0)
	v_mul_f64 v[100:101], v[3:4], v[95:96]
	v_mul_f64 v[95:96], v[1:2], v[95:96]
	s_waitcnt vmcnt(0)
	v_fma_f64 v[1:2], v[1:2], v[97:98], -v[100:101]
	v_fma_f64 v[3:4], v[3:4], v[97:98], v[95:96]
.LBB107_22:
	s_and_saveexec_b32 s8, s5
	s_cbranch_execz .LBB107_26
; %bb.23:
	v_subrev_nc_u32_e32 v95, 41, v0
	s_movk_i32 s53, 0x550
	s_mov_b32 s5, 0
	s_mov_b32 s54, s10
	.p2align	6
.LBB107_24:                             ; =>This Inner Loop Header: Depth=1
	v_mov_b32_e32 v98, s54
	v_add_nc_u32_e32 v95, -1, v95
	s_add_i32 s54, s54, 16
	s_clause 0x3
	buffer_load_dword v96, v98, s[0:3], 0 offen offset:8
	buffer_load_dword v97, v98, s[0:3], 0 offen offset:12
	buffer_load_dword v104, v98, s[0:3], 0 offen
	buffer_load_dword v105, v98, s[0:3], 0 offen offset:4
	v_mov_b32_e32 v98, s53
	v_cmp_eq_u32_e32 vcc_lo, 0, v95
	s_add_i32 s53, s53, 16
	ds_read_b128 v[100:103], v98
	s_or_b32 s5, vcc_lo, s5
	s_waitcnt vmcnt(2) lgkmcnt(0)
	v_mul_f64 v[106:107], v[102:103], v[96:97]
	v_mul_f64 v[96:97], v[100:101], v[96:97]
	s_waitcnt vmcnt(0)
	v_fma_f64 v[100:101], v[100:101], v[104:105], -v[106:107]
	v_fma_f64 v[96:97], v[102:103], v[104:105], v[96:97]
	v_add_f64 v[1:2], v[1:2], v[100:101]
	v_add_f64 v[3:4], v[3:4], v[96:97]
	s_andn2_b32 exec_lo, exec_lo, s5
	s_cbranch_execnz .LBB107_24
; %bb.25:
	s_or_b32 exec_lo, exec_lo, s5
.LBB107_26:
	s_or_b32 exec_lo, exec_lo, s8
	v_mov_b32_e32 v95, 0
	ds_read_b128 v[95:98], v95 offset:640
	s_waitcnt lgkmcnt(0)
	v_mul_f64 v[100:101], v[3:4], v[97:98]
	v_mul_f64 v[97:98], v[1:2], v[97:98]
	v_fma_f64 v[1:2], v[1:2], v[95:96], -v[100:101]
	v_fma_f64 v[3:4], v[3:4], v[95:96], v[97:98]
	buffer_store_dword v2, off, s[0:3], 0 offset:644
	buffer_store_dword v1, off, s[0:3], 0 offset:640
	;; [unrolled: 1-line block ×4, first 2 shown]
.LBB107_27:
	s_or_b32 exec_lo, exec_lo, s6
	v_mov_b32_e32 v4, s12
	v_cmp_lt_u32_e64 s5, 39, v0
	s_clause 0x3
	buffer_load_dword v1, v4, s[0:3], 0 offen
	buffer_load_dword v2, v4, s[0:3], 0 offen offset:4
	buffer_load_dword v3, v4, s[0:3], 0 offen offset:8
	;; [unrolled: 1-line block ×3, first 2 shown]
	s_waitcnt vmcnt(0)
	ds_write_b128 v94, v[1:4]
	s_waitcnt lgkmcnt(0)
	s_waitcnt_vscnt null, 0x0
	s_barrier
	buffer_gl0_inv
	s_and_saveexec_b32 s6, s5
	s_cbranch_execz .LBB107_35
; %bb.28:
	ds_read_b128 v[1:4], v94
	s_andn2_b32 vcc_lo, exec_lo, s52
	s_cbranch_vccnz .LBB107_30
; %bb.29:
	s_clause 0x3
	buffer_load_dword v95, v93, s[0:3], 0 offen offset:8
	buffer_load_dword v96, v93, s[0:3], 0 offen offset:12
	buffer_load_dword v97, v93, s[0:3], 0 offen
	buffer_load_dword v98, v93, s[0:3], 0 offen offset:4
	s_waitcnt vmcnt(2) lgkmcnt(0)
	v_mul_f64 v[100:101], v[3:4], v[95:96]
	v_mul_f64 v[95:96], v[1:2], v[95:96]
	s_waitcnt vmcnt(0)
	v_fma_f64 v[1:2], v[1:2], v[97:98], -v[100:101]
	v_fma_f64 v[3:4], v[3:4], v[97:98], v[95:96]
.LBB107_30:
	s_and_saveexec_b32 s8, s4
	s_cbranch_execz .LBB107_34
; %bb.31:
	v_subrev_nc_u32_e32 v95, 40, v0
	s_movk_i32 s53, 0x540
	s_mov_b32 s4, 0
	s_mov_b32 s54, s11
	.p2align	6
.LBB107_32:                             ; =>This Inner Loop Header: Depth=1
	v_mov_b32_e32 v98, s54
	v_add_nc_u32_e32 v95, -1, v95
	s_add_i32 s54, s54, 16
	s_clause 0x3
	buffer_load_dword v96, v98, s[0:3], 0 offen offset:8
	buffer_load_dword v97, v98, s[0:3], 0 offen offset:12
	buffer_load_dword v104, v98, s[0:3], 0 offen
	buffer_load_dword v105, v98, s[0:3], 0 offen offset:4
	v_mov_b32_e32 v98, s53
	v_cmp_eq_u32_e32 vcc_lo, 0, v95
	s_add_i32 s53, s53, 16
	ds_read_b128 v[100:103], v98
	s_or_b32 s4, vcc_lo, s4
	s_waitcnt vmcnt(2) lgkmcnt(0)
	v_mul_f64 v[106:107], v[102:103], v[96:97]
	v_mul_f64 v[96:97], v[100:101], v[96:97]
	s_waitcnt vmcnt(0)
	v_fma_f64 v[100:101], v[100:101], v[104:105], -v[106:107]
	v_fma_f64 v[96:97], v[102:103], v[104:105], v[96:97]
	v_add_f64 v[1:2], v[1:2], v[100:101]
	v_add_f64 v[3:4], v[3:4], v[96:97]
	s_andn2_b32 exec_lo, exec_lo, s4
	s_cbranch_execnz .LBB107_32
; %bb.33:
	s_or_b32 exec_lo, exec_lo, s4
.LBB107_34:
	s_or_b32 exec_lo, exec_lo, s8
	v_mov_b32_e32 v95, 0
	ds_read_b128 v[95:98], v95 offset:624
	s_waitcnt lgkmcnt(0)
	v_mul_f64 v[100:101], v[3:4], v[97:98]
	v_mul_f64 v[97:98], v[1:2], v[97:98]
	v_fma_f64 v[1:2], v[1:2], v[95:96], -v[100:101]
	v_fma_f64 v[3:4], v[3:4], v[95:96], v[97:98]
	buffer_store_dword v2, off, s[0:3], 0 offset:628
	buffer_store_dword v1, off, s[0:3], 0 offset:624
	;; [unrolled: 1-line block ×4, first 2 shown]
.LBB107_35:
	s_or_b32 exec_lo, exec_lo, s6
	v_mov_b32_e32 v4, s13
	v_cmp_lt_u32_e64 s4, 38, v0
	s_clause 0x3
	buffer_load_dword v1, v4, s[0:3], 0 offen
	buffer_load_dword v2, v4, s[0:3], 0 offen offset:4
	buffer_load_dword v3, v4, s[0:3], 0 offen offset:8
	;; [unrolled: 1-line block ×3, first 2 shown]
	s_waitcnt vmcnt(0)
	ds_write_b128 v94, v[1:4]
	s_waitcnt lgkmcnt(0)
	s_waitcnt_vscnt null, 0x0
	s_barrier
	buffer_gl0_inv
	s_and_saveexec_b32 s6, s4
	s_cbranch_execz .LBB107_43
; %bb.36:
	ds_read_b128 v[1:4], v94
	s_andn2_b32 vcc_lo, exec_lo, s52
	s_cbranch_vccnz .LBB107_38
; %bb.37:
	s_clause 0x3
	buffer_load_dword v95, v93, s[0:3], 0 offen offset:8
	buffer_load_dword v96, v93, s[0:3], 0 offen offset:12
	buffer_load_dword v97, v93, s[0:3], 0 offen
	buffer_load_dword v98, v93, s[0:3], 0 offen offset:4
	s_waitcnt vmcnt(2) lgkmcnt(0)
	v_mul_f64 v[100:101], v[3:4], v[95:96]
	v_mul_f64 v[95:96], v[1:2], v[95:96]
	s_waitcnt vmcnt(0)
	v_fma_f64 v[1:2], v[1:2], v[97:98], -v[100:101]
	v_fma_f64 v[3:4], v[3:4], v[97:98], v[95:96]
.LBB107_38:
	s_and_saveexec_b32 s8, s5
	s_cbranch_execz .LBB107_42
; %bb.39:
	v_subrev_nc_u32_e32 v95, 39, v0
	s_movk_i32 s53, 0x530
	s_mov_b32 s5, 0
	s_mov_b32 s54, s12
	.p2align	6
.LBB107_40:                             ; =>This Inner Loop Header: Depth=1
	v_mov_b32_e32 v98, s54
	v_add_nc_u32_e32 v95, -1, v95
	s_add_i32 s54, s54, 16
	s_clause 0x3
	buffer_load_dword v96, v98, s[0:3], 0 offen offset:8
	buffer_load_dword v97, v98, s[0:3], 0 offen offset:12
	buffer_load_dword v104, v98, s[0:3], 0 offen
	buffer_load_dword v105, v98, s[0:3], 0 offen offset:4
	v_mov_b32_e32 v98, s53
	v_cmp_eq_u32_e32 vcc_lo, 0, v95
	s_add_i32 s53, s53, 16
	ds_read_b128 v[100:103], v98
	s_or_b32 s5, vcc_lo, s5
	s_waitcnt vmcnt(2) lgkmcnt(0)
	v_mul_f64 v[106:107], v[102:103], v[96:97]
	v_mul_f64 v[96:97], v[100:101], v[96:97]
	s_waitcnt vmcnt(0)
	v_fma_f64 v[100:101], v[100:101], v[104:105], -v[106:107]
	v_fma_f64 v[96:97], v[102:103], v[104:105], v[96:97]
	v_add_f64 v[1:2], v[1:2], v[100:101]
	v_add_f64 v[3:4], v[3:4], v[96:97]
	s_andn2_b32 exec_lo, exec_lo, s5
	s_cbranch_execnz .LBB107_40
; %bb.41:
	s_or_b32 exec_lo, exec_lo, s5
.LBB107_42:
	s_or_b32 exec_lo, exec_lo, s8
	v_mov_b32_e32 v95, 0
	ds_read_b128 v[95:98], v95 offset:608
	s_waitcnt lgkmcnt(0)
	v_mul_f64 v[100:101], v[3:4], v[97:98]
	v_mul_f64 v[97:98], v[1:2], v[97:98]
	v_fma_f64 v[1:2], v[1:2], v[95:96], -v[100:101]
	v_fma_f64 v[3:4], v[3:4], v[95:96], v[97:98]
	buffer_store_dword v2, off, s[0:3], 0 offset:612
	buffer_store_dword v1, off, s[0:3], 0 offset:608
	;; [unrolled: 1-line block ×4, first 2 shown]
.LBB107_43:
	s_or_b32 exec_lo, exec_lo, s6
	v_mov_b32_e32 v4, s14
	v_cmp_lt_u32_e64 s5, 37, v0
	s_clause 0x3
	buffer_load_dword v1, v4, s[0:3], 0 offen
	buffer_load_dword v2, v4, s[0:3], 0 offen offset:4
	buffer_load_dword v3, v4, s[0:3], 0 offen offset:8
	;; [unrolled: 1-line block ×3, first 2 shown]
	s_waitcnt vmcnt(0)
	ds_write_b128 v94, v[1:4]
	s_waitcnt lgkmcnt(0)
	s_waitcnt_vscnt null, 0x0
	s_barrier
	buffer_gl0_inv
	s_and_saveexec_b32 s6, s5
	s_cbranch_execz .LBB107_51
; %bb.44:
	ds_read_b128 v[1:4], v94
	s_andn2_b32 vcc_lo, exec_lo, s52
	s_cbranch_vccnz .LBB107_46
; %bb.45:
	s_clause 0x3
	buffer_load_dword v95, v93, s[0:3], 0 offen offset:8
	buffer_load_dword v96, v93, s[0:3], 0 offen offset:12
	buffer_load_dword v97, v93, s[0:3], 0 offen
	buffer_load_dword v98, v93, s[0:3], 0 offen offset:4
	s_waitcnt vmcnt(2) lgkmcnt(0)
	v_mul_f64 v[100:101], v[3:4], v[95:96]
	v_mul_f64 v[95:96], v[1:2], v[95:96]
	s_waitcnt vmcnt(0)
	v_fma_f64 v[1:2], v[1:2], v[97:98], -v[100:101]
	v_fma_f64 v[3:4], v[3:4], v[97:98], v[95:96]
.LBB107_46:
	s_and_saveexec_b32 s8, s4
	s_cbranch_execz .LBB107_50
; %bb.47:
	v_subrev_nc_u32_e32 v95, 38, v0
	s_movk_i32 s53, 0x520
	s_mov_b32 s4, 0
	s_mov_b32 s54, s13
	.p2align	6
.LBB107_48:                             ; =>This Inner Loop Header: Depth=1
	v_mov_b32_e32 v98, s54
	v_add_nc_u32_e32 v95, -1, v95
	s_add_i32 s54, s54, 16
	s_clause 0x3
	buffer_load_dword v96, v98, s[0:3], 0 offen offset:8
	buffer_load_dword v97, v98, s[0:3], 0 offen offset:12
	buffer_load_dword v104, v98, s[0:3], 0 offen
	buffer_load_dword v105, v98, s[0:3], 0 offen offset:4
	v_mov_b32_e32 v98, s53
	v_cmp_eq_u32_e32 vcc_lo, 0, v95
	s_add_i32 s53, s53, 16
	ds_read_b128 v[100:103], v98
	s_or_b32 s4, vcc_lo, s4
	s_waitcnt vmcnt(2) lgkmcnt(0)
	v_mul_f64 v[106:107], v[102:103], v[96:97]
	v_mul_f64 v[96:97], v[100:101], v[96:97]
	s_waitcnt vmcnt(0)
	v_fma_f64 v[100:101], v[100:101], v[104:105], -v[106:107]
	v_fma_f64 v[96:97], v[102:103], v[104:105], v[96:97]
	v_add_f64 v[1:2], v[1:2], v[100:101]
	v_add_f64 v[3:4], v[3:4], v[96:97]
	s_andn2_b32 exec_lo, exec_lo, s4
	s_cbranch_execnz .LBB107_48
; %bb.49:
	s_or_b32 exec_lo, exec_lo, s4
.LBB107_50:
	s_or_b32 exec_lo, exec_lo, s8
	v_mov_b32_e32 v95, 0
	ds_read_b128 v[95:98], v95 offset:592
	s_waitcnt lgkmcnt(0)
	v_mul_f64 v[100:101], v[3:4], v[97:98]
	v_mul_f64 v[97:98], v[1:2], v[97:98]
	v_fma_f64 v[1:2], v[1:2], v[95:96], -v[100:101]
	v_fma_f64 v[3:4], v[3:4], v[95:96], v[97:98]
	buffer_store_dword v2, off, s[0:3], 0 offset:596
	buffer_store_dword v1, off, s[0:3], 0 offset:592
	;; [unrolled: 1-line block ×4, first 2 shown]
.LBB107_51:
	s_or_b32 exec_lo, exec_lo, s6
	v_mov_b32_e32 v4, s15
	v_cmp_lt_u32_e64 s4, 36, v0
	s_clause 0x3
	buffer_load_dword v1, v4, s[0:3], 0 offen
	buffer_load_dword v2, v4, s[0:3], 0 offen offset:4
	buffer_load_dword v3, v4, s[0:3], 0 offen offset:8
	;; [unrolled: 1-line block ×3, first 2 shown]
	s_waitcnt vmcnt(0)
	ds_write_b128 v94, v[1:4]
	s_waitcnt lgkmcnt(0)
	s_waitcnt_vscnt null, 0x0
	s_barrier
	buffer_gl0_inv
	s_and_saveexec_b32 s6, s4
	s_cbranch_execz .LBB107_59
; %bb.52:
	ds_read_b128 v[1:4], v94
	s_andn2_b32 vcc_lo, exec_lo, s52
	s_cbranch_vccnz .LBB107_54
; %bb.53:
	s_clause 0x3
	buffer_load_dword v95, v93, s[0:3], 0 offen offset:8
	buffer_load_dword v96, v93, s[0:3], 0 offen offset:12
	buffer_load_dword v97, v93, s[0:3], 0 offen
	buffer_load_dword v98, v93, s[0:3], 0 offen offset:4
	s_waitcnt vmcnt(2) lgkmcnt(0)
	v_mul_f64 v[100:101], v[3:4], v[95:96]
	v_mul_f64 v[95:96], v[1:2], v[95:96]
	s_waitcnt vmcnt(0)
	v_fma_f64 v[1:2], v[1:2], v[97:98], -v[100:101]
	v_fma_f64 v[3:4], v[3:4], v[97:98], v[95:96]
.LBB107_54:
	s_and_saveexec_b32 s8, s5
	s_cbranch_execz .LBB107_58
; %bb.55:
	v_subrev_nc_u32_e32 v95, 37, v0
	s_movk_i32 s53, 0x510
	s_mov_b32 s5, 0
	s_mov_b32 s54, s14
	.p2align	6
.LBB107_56:                             ; =>This Inner Loop Header: Depth=1
	v_mov_b32_e32 v98, s54
	v_add_nc_u32_e32 v95, -1, v95
	s_add_i32 s54, s54, 16
	s_clause 0x3
	buffer_load_dword v96, v98, s[0:3], 0 offen offset:8
	buffer_load_dword v97, v98, s[0:3], 0 offen offset:12
	buffer_load_dword v104, v98, s[0:3], 0 offen
	buffer_load_dword v105, v98, s[0:3], 0 offen offset:4
	v_mov_b32_e32 v98, s53
	v_cmp_eq_u32_e32 vcc_lo, 0, v95
	s_add_i32 s53, s53, 16
	ds_read_b128 v[100:103], v98
	s_or_b32 s5, vcc_lo, s5
	s_waitcnt vmcnt(2) lgkmcnt(0)
	v_mul_f64 v[106:107], v[102:103], v[96:97]
	v_mul_f64 v[96:97], v[100:101], v[96:97]
	s_waitcnt vmcnt(0)
	v_fma_f64 v[100:101], v[100:101], v[104:105], -v[106:107]
	v_fma_f64 v[96:97], v[102:103], v[104:105], v[96:97]
	v_add_f64 v[1:2], v[1:2], v[100:101]
	v_add_f64 v[3:4], v[3:4], v[96:97]
	s_andn2_b32 exec_lo, exec_lo, s5
	s_cbranch_execnz .LBB107_56
; %bb.57:
	s_or_b32 exec_lo, exec_lo, s5
.LBB107_58:
	s_or_b32 exec_lo, exec_lo, s8
	v_mov_b32_e32 v95, 0
	ds_read_b128 v[95:98], v95 offset:576
	s_waitcnt lgkmcnt(0)
	v_mul_f64 v[100:101], v[3:4], v[97:98]
	v_mul_f64 v[97:98], v[1:2], v[97:98]
	v_fma_f64 v[1:2], v[1:2], v[95:96], -v[100:101]
	v_fma_f64 v[3:4], v[3:4], v[95:96], v[97:98]
	buffer_store_dword v2, off, s[0:3], 0 offset:580
	buffer_store_dword v1, off, s[0:3], 0 offset:576
	;; [unrolled: 1-line block ×4, first 2 shown]
.LBB107_59:
	s_or_b32 exec_lo, exec_lo, s6
	v_mov_b32_e32 v4, s16
	v_cmp_lt_u32_e64 s5, 35, v0
	s_clause 0x3
	buffer_load_dword v1, v4, s[0:3], 0 offen
	buffer_load_dword v2, v4, s[0:3], 0 offen offset:4
	buffer_load_dword v3, v4, s[0:3], 0 offen offset:8
	;; [unrolled: 1-line block ×3, first 2 shown]
	s_waitcnt vmcnt(0)
	ds_write_b128 v94, v[1:4]
	s_waitcnt lgkmcnt(0)
	s_waitcnt_vscnt null, 0x0
	s_barrier
	buffer_gl0_inv
	s_and_saveexec_b32 s6, s5
	s_cbranch_execz .LBB107_67
; %bb.60:
	ds_read_b128 v[1:4], v94
	s_andn2_b32 vcc_lo, exec_lo, s52
	s_cbranch_vccnz .LBB107_62
; %bb.61:
	s_clause 0x3
	buffer_load_dword v95, v93, s[0:3], 0 offen offset:8
	buffer_load_dword v96, v93, s[0:3], 0 offen offset:12
	buffer_load_dword v97, v93, s[0:3], 0 offen
	buffer_load_dword v98, v93, s[0:3], 0 offen offset:4
	s_waitcnt vmcnt(2) lgkmcnt(0)
	v_mul_f64 v[100:101], v[3:4], v[95:96]
	v_mul_f64 v[95:96], v[1:2], v[95:96]
	s_waitcnt vmcnt(0)
	v_fma_f64 v[1:2], v[1:2], v[97:98], -v[100:101]
	v_fma_f64 v[3:4], v[3:4], v[97:98], v[95:96]
.LBB107_62:
	s_and_saveexec_b32 s8, s4
	s_cbranch_execz .LBB107_66
; %bb.63:
	v_subrev_nc_u32_e32 v95, 36, v0
	s_movk_i32 s53, 0x500
	s_mov_b32 s4, 0
	s_mov_b32 s54, s15
	.p2align	6
.LBB107_64:                             ; =>This Inner Loop Header: Depth=1
	v_mov_b32_e32 v98, s54
	v_add_nc_u32_e32 v95, -1, v95
	s_add_i32 s54, s54, 16
	s_clause 0x3
	buffer_load_dword v96, v98, s[0:3], 0 offen offset:8
	buffer_load_dword v97, v98, s[0:3], 0 offen offset:12
	buffer_load_dword v104, v98, s[0:3], 0 offen
	buffer_load_dword v105, v98, s[0:3], 0 offen offset:4
	v_mov_b32_e32 v98, s53
	v_cmp_eq_u32_e32 vcc_lo, 0, v95
	s_add_i32 s53, s53, 16
	ds_read_b128 v[100:103], v98
	s_or_b32 s4, vcc_lo, s4
	s_waitcnt vmcnt(2) lgkmcnt(0)
	v_mul_f64 v[106:107], v[102:103], v[96:97]
	v_mul_f64 v[96:97], v[100:101], v[96:97]
	s_waitcnt vmcnt(0)
	v_fma_f64 v[100:101], v[100:101], v[104:105], -v[106:107]
	v_fma_f64 v[96:97], v[102:103], v[104:105], v[96:97]
	v_add_f64 v[1:2], v[1:2], v[100:101]
	v_add_f64 v[3:4], v[3:4], v[96:97]
	s_andn2_b32 exec_lo, exec_lo, s4
	s_cbranch_execnz .LBB107_64
; %bb.65:
	s_or_b32 exec_lo, exec_lo, s4
.LBB107_66:
	s_or_b32 exec_lo, exec_lo, s8
	v_mov_b32_e32 v95, 0
	ds_read_b128 v[95:98], v95 offset:560
	s_waitcnt lgkmcnt(0)
	v_mul_f64 v[100:101], v[3:4], v[97:98]
	v_mul_f64 v[97:98], v[1:2], v[97:98]
	v_fma_f64 v[1:2], v[1:2], v[95:96], -v[100:101]
	v_fma_f64 v[3:4], v[3:4], v[95:96], v[97:98]
	buffer_store_dword v2, off, s[0:3], 0 offset:564
	buffer_store_dword v1, off, s[0:3], 0 offset:560
	;; [unrolled: 1-line block ×4, first 2 shown]
.LBB107_67:
	s_or_b32 exec_lo, exec_lo, s6
	v_mov_b32_e32 v4, s17
	v_cmp_lt_u32_e64 s4, 34, v0
	s_clause 0x3
	buffer_load_dword v1, v4, s[0:3], 0 offen
	buffer_load_dword v2, v4, s[0:3], 0 offen offset:4
	buffer_load_dword v3, v4, s[0:3], 0 offen offset:8
	;; [unrolled: 1-line block ×3, first 2 shown]
	s_waitcnt vmcnt(0)
	ds_write_b128 v94, v[1:4]
	s_waitcnt lgkmcnt(0)
	s_waitcnt_vscnt null, 0x0
	s_barrier
	buffer_gl0_inv
	s_and_saveexec_b32 s6, s4
	s_cbranch_execz .LBB107_75
; %bb.68:
	ds_read_b128 v[1:4], v94
	s_andn2_b32 vcc_lo, exec_lo, s52
	s_cbranch_vccnz .LBB107_70
; %bb.69:
	s_clause 0x3
	buffer_load_dword v95, v93, s[0:3], 0 offen offset:8
	buffer_load_dword v96, v93, s[0:3], 0 offen offset:12
	buffer_load_dword v97, v93, s[0:3], 0 offen
	buffer_load_dword v98, v93, s[0:3], 0 offen offset:4
	s_waitcnt vmcnt(2) lgkmcnt(0)
	v_mul_f64 v[100:101], v[3:4], v[95:96]
	v_mul_f64 v[95:96], v[1:2], v[95:96]
	s_waitcnt vmcnt(0)
	v_fma_f64 v[1:2], v[1:2], v[97:98], -v[100:101]
	v_fma_f64 v[3:4], v[3:4], v[97:98], v[95:96]
.LBB107_70:
	s_and_saveexec_b32 s8, s5
	s_cbranch_execz .LBB107_74
; %bb.71:
	v_subrev_nc_u32_e32 v95, 35, v0
	s_movk_i32 s53, 0x4f0
	s_mov_b32 s5, 0
	s_mov_b32 s54, s16
	.p2align	6
.LBB107_72:                             ; =>This Inner Loop Header: Depth=1
	v_mov_b32_e32 v98, s54
	v_add_nc_u32_e32 v95, -1, v95
	s_add_i32 s54, s54, 16
	s_clause 0x3
	buffer_load_dword v96, v98, s[0:3], 0 offen offset:8
	buffer_load_dword v97, v98, s[0:3], 0 offen offset:12
	buffer_load_dword v104, v98, s[0:3], 0 offen
	buffer_load_dword v105, v98, s[0:3], 0 offen offset:4
	v_mov_b32_e32 v98, s53
	v_cmp_eq_u32_e32 vcc_lo, 0, v95
	s_add_i32 s53, s53, 16
	ds_read_b128 v[100:103], v98
	s_or_b32 s5, vcc_lo, s5
	s_waitcnt vmcnt(2) lgkmcnt(0)
	v_mul_f64 v[106:107], v[102:103], v[96:97]
	v_mul_f64 v[96:97], v[100:101], v[96:97]
	s_waitcnt vmcnt(0)
	v_fma_f64 v[100:101], v[100:101], v[104:105], -v[106:107]
	v_fma_f64 v[96:97], v[102:103], v[104:105], v[96:97]
	v_add_f64 v[1:2], v[1:2], v[100:101]
	v_add_f64 v[3:4], v[3:4], v[96:97]
	s_andn2_b32 exec_lo, exec_lo, s5
	s_cbranch_execnz .LBB107_72
; %bb.73:
	s_or_b32 exec_lo, exec_lo, s5
.LBB107_74:
	s_or_b32 exec_lo, exec_lo, s8
	v_mov_b32_e32 v95, 0
	ds_read_b128 v[95:98], v95 offset:544
	s_waitcnt lgkmcnt(0)
	v_mul_f64 v[100:101], v[3:4], v[97:98]
	v_mul_f64 v[97:98], v[1:2], v[97:98]
	v_fma_f64 v[1:2], v[1:2], v[95:96], -v[100:101]
	v_fma_f64 v[3:4], v[3:4], v[95:96], v[97:98]
	buffer_store_dword v2, off, s[0:3], 0 offset:548
	buffer_store_dword v1, off, s[0:3], 0 offset:544
	;; [unrolled: 1-line block ×4, first 2 shown]
.LBB107_75:
	s_or_b32 exec_lo, exec_lo, s6
	v_mov_b32_e32 v4, s18
	v_cmp_lt_u32_e64 s5, 33, v0
	s_clause 0x3
	buffer_load_dword v1, v4, s[0:3], 0 offen
	buffer_load_dword v2, v4, s[0:3], 0 offen offset:4
	buffer_load_dword v3, v4, s[0:3], 0 offen offset:8
	;; [unrolled: 1-line block ×3, first 2 shown]
	s_waitcnt vmcnt(0)
	ds_write_b128 v94, v[1:4]
	s_waitcnt lgkmcnt(0)
	s_waitcnt_vscnt null, 0x0
	s_barrier
	buffer_gl0_inv
	s_and_saveexec_b32 s6, s5
	s_cbranch_execz .LBB107_83
; %bb.76:
	ds_read_b128 v[1:4], v94
	s_andn2_b32 vcc_lo, exec_lo, s52
	s_cbranch_vccnz .LBB107_78
; %bb.77:
	s_clause 0x3
	buffer_load_dword v95, v93, s[0:3], 0 offen offset:8
	buffer_load_dword v96, v93, s[0:3], 0 offen offset:12
	buffer_load_dword v97, v93, s[0:3], 0 offen
	buffer_load_dword v98, v93, s[0:3], 0 offen offset:4
	s_waitcnt vmcnt(2) lgkmcnt(0)
	v_mul_f64 v[100:101], v[3:4], v[95:96]
	v_mul_f64 v[95:96], v[1:2], v[95:96]
	s_waitcnt vmcnt(0)
	v_fma_f64 v[1:2], v[1:2], v[97:98], -v[100:101]
	v_fma_f64 v[3:4], v[3:4], v[97:98], v[95:96]
.LBB107_78:
	s_and_saveexec_b32 s8, s4
	s_cbranch_execz .LBB107_82
; %bb.79:
	v_subrev_nc_u32_e32 v95, 34, v0
	s_movk_i32 s53, 0x4e0
	s_mov_b32 s4, 0
	s_mov_b32 s54, s17
	.p2align	6
.LBB107_80:                             ; =>This Inner Loop Header: Depth=1
	v_mov_b32_e32 v98, s54
	v_add_nc_u32_e32 v95, -1, v95
	s_add_i32 s54, s54, 16
	s_clause 0x3
	buffer_load_dword v96, v98, s[0:3], 0 offen offset:8
	buffer_load_dword v97, v98, s[0:3], 0 offen offset:12
	buffer_load_dword v104, v98, s[0:3], 0 offen
	buffer_load_dword v105, v98, s[0:3], 0 offen offset:4
	v_mov_b32_e32 v98, s53
	v_cmp_eq_u32_e32 vcc_lo, 0, v95
	s_add_i32 s53, s53, 16
	ds_read_b128 v[100:103], v98
	s_or_b32 s4, vcc_lo, s4
	s_waitcnt vmcnt(2) lgkmcnt(0)
	v_mul_f64 v[106:107], v[102:103], v[96:97]
	v_mul_f64 v[96:97], v[100:101], v[96:97]
	s_waitcnt vmcnt(0)
	v_fma_f64 v[100:101], v[100:101], v[104:105], -v[106:107]
	v_fma_f64 v[96:97], v[102:103], v[104:105], v[96:97]
	v_add_f64 v[1:2], v[1:2], v[100:101]
	v_add_f64 v[3:4], v[3:4], v[96:97]
	s_andn2_b32 exec_lo, exec_lo, s4
	s_cbranch_execnz .LBB107_80
; %bb.81:
	s_or_b32 exec_lo, exec_lo, s4
.LBB107_82:
	s_or_b32 exec_lo, exec_lo, s8
	v_mov_b32_e32 v95, 0
	ds_read_b128 v[95:98], v95 offset:528
	s_waitcnt lgkmcnt(0)
	v_mul_f64 v[100:101], v[3:4], v[97:98]
	v_mul_f64 v[97:98], v[1:2], v[97:98]
	v_fma_f64 v[1:2], v[1:2], v[95:96], -v[100:101]
	v_fma_f64 v[3:4], v[3:4], v[95:96], v[97:98]
	buffer_store_dword v2, off, s[0:3], 0 offset:532
	buffer_store_dword v1, off, s[0:3], 0 offset:528
	;; [unrolled: 1-line block ×4, first 2 shown]
.LBB107_83:
	s_or_b32 exec_lo, exec_lo, s6
	v_mov_b32_e32 v4, s19
	v_cmp_lt_u32_e64 s4, 32, v0
	s_clause 0x3
	buffer_load_dword v1, v4, s[0:3], 0 offen
	buffer_load_dword v2, v4, s[0:3], 0 offen offset:4
	buffer_load_dword v3, v4, s[0:3], 0 offen offset:8
	buffer_load_dword v4, v4, s[0:3], 0 offen offset:12
	s_waitcnt vmcnt(0)
	ds_write_b128 v94, v[1:4]
	s_waitcnt lgkmcnt(0)
	s_waitcnt_vscnt null, 0x0
	s_barrier
	buffer_gl0_inv
	s_and_saveexec_b32 s6, s4
	s_cbranch_execz .LBB107_91
; %bb.84:
	ds_read_b128 v[1:4], v94
	s_andn2_b32 vcc_lo, exec_lo, s52
	s_cbranch_vccnz .LBB107_86
; %bb.85:
	s_clause 0x3
	buffer_load_dword v95, v93, s[0:3], 0 offen offset:8
	buffer_load_dword v96, v93, s[0:3], 0 offen offset:12
	buffer_load_dword v97, v93, s[0:3], 0 offen
	buffer_load_dword v98, v93, s[0:3], 0 offen offset:4
	s_waitcnt vmcnt(2) lgkmcnt(0)
	v_mul_f64 v[100:101], v[3:4], v[95:96]
	v_mul_f64 v[95:96], v[1:2], v[95:96]
	s_waitcnt vmcnt(0)
	v_fma_f64 v[1:2], v[1:2], v[97:98], -v[100:101]
	v_fma_f64 v[3:4], v[3:4], v[97:98], v[95:96]
.LBB107_86:
	s_and_saveexec_b32 s8, s5
	s_cbranch_execz .LBB107_90
; %bb.87:
	v_subrev_nc_u32_e32 v95, 33, v0
	s_movk_i32 s53, 0x4d0
	s_mov_b32 s5, 0
	s_mov_b32 s54, s18
	.p2align	6
.LBB107_88:                             ; =>This Inner Loop Header: Depth=1
	v_mov_b32_e32 v98, s54
	v_add_nc_u32_e32 v95, -1, v95
	s_add_i32 s54, s54, 16
	s_clause 0x3
	buffer_load_dword v96, v98, s[0:3], 0 offen offset:8
	buffer_load_dword v97, v98, s[0:3], 0 offen offset:12
	buffer_load_dword v104, v98, s[0:3], 0 offen
	buffer_load_dword v105, v98, s[0:3], 0 offen offset:4
	v_mov_b32_e32 v98, s53
	v_cmp_eq_u32_e32 vcc_lo, 0, v95
	s_add_i32 s53, s53, 16
	ds_read_b128 v[100:103], v98
	s_or_b32 s5, vcc_lo, s5
	s_waitcnt vmcnt(2) lgkmcnt(0)
	v_mul_f64 v[106:107], v[102:103], v[96:97]
	v_mul_f64 v[96:97], v[100:101], v[96:97]
	s_waitcnt vmcnt(0)
	v_fma_f64 v[100:101], v[100:101], v[104:105], -v[106:107]
	v_fma_f64 v[96:97], v[102:103], v[104:105], v[96:97]
	v_add_f64 v[1:2], v[1:2], v[100:101]
	v_add_f64 v[3:4], v[3:4], v[96:97]
	s_andn2_b32 exec_lo, exec_lo, s5
	s_cbranch_execnz .LBB107_88
; %bb.89:
	s_or_b32 exec_lo, exec_lo, s5
.LBB107_90:
	s_or_b32 exec_lo, exec_lo, s8
	v_mov_b32_e32 v95, 0
	ds_read_b128 v[95:98], v95 offset:512
	s_waitcnt lgkmcnt(0)
	v_mul_f64 v[100:101], v[3:4], v[97:98]
	v_mul_f64 v[97:98], v[1:2], v[97:98]
	v_fma_f64 v[1:2], v[1:2], v[95:96], -v[100:101]
	v_fma_f64 v[3:4], v[3:4], v[95:96], v[97:98]
	buffer_store_dword v2, off, s[0:3], 0 offset:516
	buffer_store_dword v1, off, s[0:3], 0 offset:512
	;; [unrolled: 1-line block ×4, first 2 shown]
.LBB107_91:
	s_or_b32 exec_lo, exec_lo, s6
	v_mov_b32_e32 v4, s20
	v_cmp_lt_u32_e64 s5, 31, v0
	s_clause 0x3
	buffer_load_dword v1, v4, s[0:3], 0 offen
	buffer_load_dword v2, v4, s[0:3], 0 offen offset:4
	buffer_load_dword v3, v4, s[0:3], 0 offen offset:8
	;; [unrolled: 1-line block ×3, first 2 shown]
	s_waitcnt vmcnt(0)
	ds_write_b128 v94, v[1:4]
	s_waitcnt lgkmcnt(0)
	s_waitcnt_vscnt null, 0x0
	s_barrier
	buffer_gl0_inv
	s_and_saveexec_b32 s6, s5
	s_cbranch_execz .LBB107_99
; %bb.92:
	ds_read_b128 v[1:4], v94
	s_andn2_b32 vcc_lo, exec_lo, s52
	s_cbranch_vccnz .LBB107_94
; %bb.93:
	s_clause 0x3
	buffer_load_dword v95, v93, s[0:3], 0 offen offset:8
	buffer_load_dword v96, v93, s[0:3], 0 offen offset:12
	buffer_load_dword v97, v93, s[0:3], 0 offen
	buffer_load_dword v98, v93, s[0:3], 0 offen offset:4
	s_waitcnt vmcnt(2) lgkmcnt(0)
	v_mul_f64 v[100:101], v[3:4], v[95:96]
	v_mul_f64 v[95:96], v[1:2], v[95:96]
	s_waitcnt vmcnt(0)
	v_fma_f64 v[1:2], v[1:2], v[97:98], -v[100:101]
	v_fma_f64 v[3:4], v[3:4], v[97:98], v[95:96]
.LBB107_94:
	s_and_saveexec_b32 s8, s4
	s_cbranch_execz .LBB107_98
; %bb.95:
	v_subrev_nc_u32_e32 v95, 32, v0
	s_movk_i32 s53, 0x4c0
	s_mov_b32 s4, 0
	s_mov_b32 s54, s19
	.p2align	6
.LBB107_96:                             ; =>This Inner Loop Header: Depth=1
	v_mov_b32_e32 v98, s54
	v_add_nc_u32_e32 v95, -1, v95
	s_add_i32 s54, s54, 16
	s_clause 0x3
	buffer_load_dword v96, v98, s[0:3], 0 offen offset:8
	buffer_load_dword v97, v98, s[0:3], 0 offen offset:12
	buffer_load_dword v104, v98, s[0:3], 0 offen
	buffer_load_dword v105, v98, s[0:3], 0 offen offset:4
	v_mov_b32_e32 v98, s53
	v_cmp_eq_u32_e32 vcc_lo, 0, v95
	s_add_i32 s53, s53, 16
	ds_read_b128 v[100:103], v98
	s_or_b32 s4, vcc_lo, s4
	s_waitcnt vmcnt(2) lgkmcnt(0)
	v_mul_f64 v[106:107], v[102:103], v[96:97]
	v_mul_f64 v[96:97], v[100:101], v[96:97]
	s_waitcnt vmcnt(0)
	v_fma_f64 v[100:101], v[100:101], v[104:105], -v[106:107]
	v_fma_f64 v[96:97], v[102:103], v[104:105], v[96:97]
	v_add_f64 v[1:2], v[1:2], v[100:101]
	v_add_f64 v[3:4], v[3:4], v[96:97]
	s_andn2_b32 exec_lo, exec_lo, s4
	s_cbranch_execnz .LBB107_96
; %bb.97:
	s_or_b32 exec_lo, exec_lo, s4
.LBB107_98:
	s_or_b32 exec_lo, exec_lo, s8
	v_mov_b32_e32 v95, 0
	ds_read_b128 v[95:98], v95 offset:496
	s_waitcnt lgkmcnt(0)
	v_mul_f64 v[100:101], v[3:4], v[97:98]
	v_mul_f64 v[97:98], v[1:2], v[97:98]
	v_fma_f64 v[1:2], v[1:2], v[95:96], -v[100:101]
	v_fma_f64 v[3:4], v[3:4], v[95:96], v[97:98]
	buffer_store_dword v2, off, s[0:3], 0 offset:500
	buffer_store_dword v1, off, s[0:3], 0 offset:496
	;; [unrolled: 1-line block ×4, first 2 shown]
.LBB107_99:
	s_or_b32 exec_lo, exec_lo, s6
	v_mov_b32_e32 v4, s21
	v_cmp_lt_u32_e64 s4, 30, v0
	s_clause 0x3
	buffer_load_dword v1, v4, s[0:3], 0 offen
	buffer_load_dword v2, v4, s[0:3], 0 offen offset:4
	buffer_load_dword v3, v4, s[0:3], 0 offen offset:8
	;; [unrolled: 1-line block ×3, first 2 shown]
	s_waitcnt vmcnt(0)
	ds_write_b128 v94, v[1:4]
	s_waitcnt lgkmcnt(0)
	s_waitcnt_vscnt null, 0x0
	s_barrier
	buffer_gl0_inv
	s_and_saveexec_b32 s6, s4
	s_cbranch_execz .LBB107_107
; %bb.100:
	ds_read_b128 v[1:4], v94
	s_andn2_b32 vcc_lo, exec_lo, s52
	s_cbranch_vccnz .LBB107_102
; %bb.101:
	s_clause 0x3
	buffer_load_dword v95, v93, s[0:3], 0 offen offset:8
	buffer_load_dword v96, v93, s[0:3], 0 offen offset:12
	buffer_load_dword v97, v93, s[0:3], 0 offen
	buffer_load_dword v98, v93, s[0:3], 0 offen offset:4
	s_waitcnt vmcnt(2) lgkmcnt(0)
	v_mul_f64 v[100:101], v[3:4], v[95:96]
	v_mul_f64 v[95:96], v[1:2], v[95:96]
	s_waitcnt vmcnt(0)
	v_fma_f64 v[1:2], v[1:2], v[97:98], -v[100:101]
	v_fma_f64 v[3:4], v[3:4], v[97:98], v[95:96]
.LBB107_102:
	s_and_saveexec_b32 s8, s5
	s_cbranch_execz .LBB107_106
; %bb.103:
	v_subrev_nc_u32_e32 v95, 31, v0
	s_movk_i32 s53, 0x4b0
	s_mov_b32 s5, 0
	s_mov_b32 s54, s20
	.p2align	6
.LBB107_104:                            ; =>This Inner Loop Header: Depth=1
	v_mov_b32_e32 v98, s54
	v_add_nc_u32_e32 v95, -1, v95
	s_add_i32 s54, s54, 16
	s_clause 0x3
	buffer_load_dword v96, v98, s[0:3], 0 offen offset:8
	buffer_load_dword v97, v98, s[0:3], 0 offen offset:12
	buffer_load_dword v104, v98, s[0:3], 0 offen
	buffer_load_dword v105, v98, s[0:3], 0 offen offset:4
	v_mov_b32_e32 v98, s53
	v_cmp_eq_u32_e32 vcc_lo, 0, v95
	s_add_i32 s53, s53, 16
	ds_read_b128 v[100:103], v98
	s_or_b32 s5, vcc_lo, s5
	s_waitcnt vmcnt(2) lgkmcnt(0)
	v_mul_f64 v[106:107], v[102:103], v[96:97]
	v_mul_f64 v[96:97], v[100:101], v[96:97]
	s_waitcnt vmcnt(0)
	v_fma_f64 v[100:101], v[100:101], v[104:105], -v[106:107]
	v_fma_f64 v[96:97], v[102:103], v[104:105], v[96:97]
	v_add_f64 v[1:2], v[1:2], v[100:101]
	v_add_f64 v[3:4], v[3:4], v[96:97]
	s_andn2_b32 exec_lo, exec_lo, s5
	s_cbranch_execnz .LBB107_104
; %bb.105:
	s_or_b32 exec_lo, exec_lo, s5
.LBB107_106:
	s_or_b32 exec_lo, exec_lo, s8
	v_mov_b32_e32 v95, 0
	ds_read_b128 v[95:98], v95 offset:480
	s_waitcnt lgkmcnt(0)
	v_mul_f64 v[100:101], v[3:4], v[97:98]
	v_mul_f64 v[97:98], v[1:2], v[97:98]
	v_fma_f64 v[1:2], v[1:2], v[95:96], -v[100:101]
	v_fma_f64 v[3:4], v[3:4], v[95:96], v[97:98]
	buffer_store_dword v2, off, s[0:3], 0 offset:484
	buffer_store_dword v1, off, s[0:3], 0 offset:480
	;; [unrolled: 1-line block ×4, first 2 shown]
.LBB107_107:
	s_or_b32 exec_lo, exec_lo, s6
	v_mov_b32_e32 v4, s22
	v_cmp_lt_u32_e64 s5, 29, v0
	s_clause 0x3
	buffer_load_dword v1, v4, s[0:3], 0 offen
	buffer_load_dword v2, v4, s[0:3], 0 offen offset:4
	buffer_load_dword v3, v4, s[0:3], 0 offen offset:8
	;; [unrolled: 1-line block ×3, first 2 shown]
	s_waitcnt vmcnt(0)
	ds_write_b128 v94, v[1:4]
	s_waitcnt lgkmcnt(0)
	s_waitcnt_vscnt null, 0x0
	s_barrier
	buffer_gl0_inv
	s_and_saveexec_b32 s6, s5
	s_cbranch_execz .LBB107_115
; %bb.108:
	ds_read_b128 v[1:4], v94
	s_andn2_b32 vcc_lo, exec_lo, s52
	s_cbranch_vccnz .LBB107_110
; %bb.109:
	s_clause 0x3
	buffer_load_dword v95, v93, s[0:3], 0 offen offset:8
	buffer_load_dword v96, v93, s[0:3], 0 offen offset:12
	buffer_load_dword v97, v93, s[0:3], 0 offen
	buffer_load_dword v98, v93, s[0:3], 0 offen offset:4
	s_waitcnt vmcnt(2) lgkmcnt(0)
	v_mul_f64 v[100:101], v[3:4], v[95:96]
	v_mul_f64 v[95:96], v[1:2], v[95:96]
	s_waitcnt vmcnt(0)
	v_fma_f64 v[1:2], v[1:2], v[97:98], -v[100:101]
	v_fma_f64 v[3:4], v[3:4], v[97:98], v[95:96]
.LBB107_110:
	s_and_saveexec_b32 s8, s4
	s_cbranch_execz .LBB107_114
; %bb.111:
	v_subrev_nc_u32_e32 v95, 30, v0
	s_movk_i32 s53, 0x4a0
	s_mov_b32 s4, 0
	s_mov_b32 s54, s21
	.p2align	6
.LBB107_112:                            ; =>This Inner Loop Header: Depth=1
	v_mov_b32_e32 v98, s54
	v_add_nc_u32_e32 v95, -1, v95
	s_add_i32 s54, s54, 16
	s_clause 0x3
	buffer_load_dword v96, v98, s[0:3], 0 offen offset:8
	buffer_load_dword v97, v98, s[0:3], 0 offen offset:12
	buffer_load_dword v104, v98, s[0:3], 0 offen
	buffer_load_dword v105, v98, s[0:3], 0 offen offset:4
	v_mov_b32_e32 v98, s53
	v_cmp_eq_u32_e32 vcc_lo, 0, v95
	s_add_i32 s53, s53, 16
	ds_read_b128 v[100:103], v98
	s_or_b32 s4, vcc_lo, s4
	s_waitcnt vmcnt(2) lgkmcnt(0)
	v_mul_f64 v[106:107], v[102:103], v[96:97]
	v_mul_f64 v[96:97], v[100:101], v[96:97]
	s_waitcnt vmcnt(0)
	v_fma_f64 v[100:101], v[100:101], v[104:105], -v[106:107]
	v_fma_f64 v[96:97], v[102:103], v[104:105], v[96:97]
	v_add_f64 v[1:2], v[1:2], v[100:101]
	v_add_f64 v[3:4], v[3:4], v[96:97]
	s_andn2_b32 exec_lo, exec_lo, s4
	s_cbranch_execnz .LBB107_112
; %bb.113:
	s_or_b32 exec_lo, exec_lo, s4
.LBB107_114:
	s_or_b32 exec_lo, exec_lo, s8
	v_mov_b32_e32 v95, 0
	ds_read_b128 v[95:98], v95 offset:464
	s_waitcnt lgkmcnt(0)
	v_mul_f64 v[100:101], v[3:4], v[97:98]
	v_mul_f64 v[97:98], v[1:2], v[97:98]
	v_fma_f64 v[1:2], v[1:2], v[95:96], -v[100:101]
	v_fma_f64 v[3:4], v[3:4], v[95:96], v[97:98]
	buffer_store_dword v2, off, s[0:3], 0 offset:468
	buffer_store_dword v1, off, s[0:3], 0 offset:464
	;; [unrolled: 1-line block ×4, first 2 shown]
.LBB107_115:
	s_or_b32 exec_lo, exec_lo, s6
	v_mov_b32_e32 v4, s23
	v_cmp_lt_u32_e64 s4, 28, v0
	s_clause 0x3
	buffer_load_dword v1, v4, s[0:3], 0 offen
	buffer_load_dword v2, v4, s[0:3], 0 offen offset:4
	buffer_load_dword v3, v4, s[0:3], 0 offen offset:8
	;; [unrolled: 1-line block ×3, first 2 shown]
	s_waitcnt vmcnt(0)
	ds_write_b128 v94, v[1:4]
	s_waitcnt lgkmcnt(0)
	s_waitcnt_vscnt null, 0x0
	s_barrier
	buffer_gl0_inv
	s_and_saveexec_b32 s6, s4
	s_cbranch_execz .LBB107_123
; %bb.116:
	ds_read_b128 v[1:4], v94
	s_andn2_b32 vcc_lo, exec_lo, s52
	s_cbranch_vccnz .LBB107_118
; %bb.117:
	s_clause 0x3
	buffer_load_dword v95, v93, s[0:3], 0 offen offset:8
	buffer_load_dword v96, v93, s[0:3], 0 offen offset:12
	buffer_load_dword v97, v93, s[0:3], 0 offen
	buffer_load_dword v98, v93, s[0:3], 0 offen offset:4
	s_waitcnt vmcnt(2) lgkmcnt(0)
	v_mul_f64 v[100:101], v[3:4], v[95:96]
	v_mul_f64 v[95:96], v[1:2], v[95:96]
	s_waitcnt vmcnt(0)
	v_fma_f64 v[1:2], v[1:2], v[97:98], -v[100:101]
	v_fma_f64 v[3:4], v[3:4], v[97:98], v[95:96]
.LBB107_118:
	s_and_saveexec_b32 s8, s5
	s_cbranch_execz .LBB107_122
; %bb.119:
	v_subrev_nc_u32_e32 v95, 29, v0
	s_movk_i32 s53, 0x490
	s_mov_b32 s5, 0
	s_mov_b32 s54, s22
	.p2align	6
.LBB107_120:                            ; =>This Inner Loop Header: Depth=1
	v_mov_b32_e32 v98, s54
	v_add_nc_u32_e32 v95, -1, v95
	s_add_i32 s54, s54, 16
	s_clause 0x3
	buffer_load_dword v96, v98, s[0:3], 0 offen offset:8
	buffer_load_dword v97, v98, s[0:3], 0 offen offset:12
	buffer_load_dword v104, v98, s[0:3], 0 offen
	buffer_load_dword v105, v98, s[0:3], 0 offen offset:4
	v_mov_b32_e32 v98, s53
	v_cmp_eq_u32_e32 vcc_lo, 0, v95
	s_add_i32 s53, s53, 16
	ds_read_b128 v[100:103], v98
	s_or_b32 s5, vcc_lo, s5
	s_waitcnt vmcnt(2) lgkmcnt(0)
	v_mul_f64 v[106:107], v[102:103], v[96:97]
	v_mul_f64 v[96:97], v[100:101], v[96:97]
	s_waitcnt vmcnt(0)
	v_fma_f64 v[100:101], v[100:101], v[104:105], -v[106:107]
	v_fma_f64 v[96:97], v[102:103], v[104:105], v[96:97]
	v_add_f64 v[1:2], v[1:2], v[100:101]
	v_add_f64 v[3:4], v[3:4], v[96:97]
	s_andn2_b32 exec_lo, exec_lo, s5
	s_cbranch_execnz .LBB107_120
; %bb.121:
	s_or_b32 exec_lo, exec_lo, s5
.LBB107_122:
	s_or_b32 exec_lo, exec_lo, s8
	v_mov_b32_e32 v95, 0
	ds_read_b128 v[95:98], v95 offset:448
	s_waitcnt lgkmcnt(0)
	v_mul_f64 v[100:101], v[3:4], v[97:98]
	v_mul_f64 v[97:98], v[1:2], v[97:98]
	v_fma_f64 v[1:2], v[1:2], v[95:96], -v[100:101]
	v_fma_f64 v[3:4], v[3:4], v[95:96], v[97:98]
	buffer_store_dword v2, off, s[0:3], 0 offset:452
	buffer_store_dword v1, off, s[0:3], 0 offset:448
	;; [unrolled: 1-line block ×4, first 2 shown]
.LBB107_123:
	s_or_b32 exec_lo, exec_lo, s6
	v_mov_b32_e32 v4, s24
	v_cmp_lt_u32_e64 s5, 27, v0
	s_clause 0x3
	buffer_load_dword v1, v4, s[0:3], 0 offen
	buffer_load_dword v2, v4, s[0:3], 0 offen offset:4
	buffer_load_dword v3, v4, s[0:3], 0 offen offset:8
	buffer_load_dword v4, v4, s[0:3], 0 offen offset:12
	s_waitcnt vmcnt(0)
	ds_write_b128 v94, v[1:4]
	s_waitcnt lgkmcnt(0)
	s_waitcnt_vscnt null, 0x0
	s_barrier
	buffer_gl0_inv
	s_and_saveexec_b32 s6, s5
	s_cbranch_execz .LBB107_131
; %bb.124:
	ds_read_b128 v[1:4], v94
	s_andn2_b32 vcc_lo, exec_lo, s52
	s_cbranch_vccnz .LBB107_126
; %bb.125:
	s_clause 0x3
	buffer_load_dword v95, v93, s[0:3], 0 offen offset:8
	buffer_load_dword v96, v93, s[0:3], 0 offen offset:12
	buffer_load_dword v97, v93, s[0:3], 0 offen
	buffer_load_dword v98, v93, s[0:3], 0 offen offset:4
	s_waitcnt vmcnt(2) lgkmcnt(0)
	v_mul_f64 v[100:101], v[3:4], v[95:96]
	v_mul_f64 v[95:96], v[1:2], v[95:96]
	s_waitcnt vmcnt(0)
	v_fma_f64 v[1:2], v[1:2], v[97:98], -v[100:101]
	v_fma_f64 v[3:4], v[3:4], v[97:98], v[95:96]
.LBB107_126:
	s_and_saveexec_b32 s8, s4
	s_cbranch_execz .LBB107_130
; %bb.127:
	v_subrev_nc_u32_e32 v95, 28, v0
	s_movk_i32 s53, 0x480
	s_mov_b32 s4, 0
	s_mov_b32 s54, s23
	.p2align	6
.LBB107_128:                            ; =>This Inner Loop Header: Depth=1
	v_mov_b32_e32 v98, s54
	v_add_nc_u32_e32 v95, -1, v95
	s_add_i32 s54, s54, 16
	s_clause 0x3
	buffer_load_dword v96, v98, s[0:3], 0 offen offset:8
	buffer_load_dword v97, v98, s[0:3], 0 offen offset:12
	buffer_load_dword v104, v98, s[0:3], 0 offen
	buffer_load_dword v105, v98, s[0:3], 0 offen offset:4
	v_mov_b32_e32 v98, s53
	v_cmp_eq_u32_e32 vcc_lo, 0, v95
	s_add_i32 s53, s53, 16
	ds_read_b128 v[100:103], v98
	s_or_b32 s4, vcc_lo, s4
	s_waitcnt vmcnt(2) lgkmcnt(0)
	v_mul_f64 v[106:107], v[102:103], v[96:97]
	v_mul_f64 v[96:97], v[100:101], v[96:97]
	s_waitcnt vmcnt(0)
	v_fma_f64 v[100:101], v[100:101], v[104:105], -v[106:107]
	v_fma_f64 v[96:97], v[102:103], v[104:105], v[96:97]
	v_add_f64 v[1:2], v[1:2], v[100:101]
	v_add_f64 v[3:4], v[3:4], v[96:97]
	s_andn2_b32 exec_lo, exec_lo, s4
	s_cbranch_execnz .LBB107_128
; %bb.129:
	s_or_b32 exec_lo, exec_lo, s4
.LBB107_130:
	s_or_b32 exec_lo, exec_lo, s8
	v_mov_b32_e32 v95, 0
	ds_read_b128 v[95:98], v95 offset:432
	s_waitcnt lgkmcnt(0)
	v_mul_f64 v[100:101], v[3:4], v[97:98]
	v_mul_f64 v[97:98], v[1:2], v[97:98]
	v_fma_f64 v[1:2], v[1:2], v[95:96], -v[100:101]
	v_fma_f64 v[3:4], v[3:4], v[95:96], v[97:98]
	buffer_store_dword v2, off, s[0:3], 0 offset:436
	buffer_store_dword v1, off, s[0:3], 0 offset:432
	buffer_store_dword v4, off, s[0:3], 0 offset:444
	buffer_store_dword v3, off, s[0:3], 0 offset:440
.LBB107_131:
	s_or_b32 exec_lo, exec_lo, s6
	v_mov_b32_e32 v4, s25
	v_cmp_lt_u32_e64 s4, 26, v0
	s_clause 0x3
	buffer_load_dword v1, v4, s[0:3], 0 offen
	buffer_load_dword v2, v4, s[0:3], 0 offen offset:4
	buffer_load_dword v3, v4, s[0:3], 0 offen offset:8
	;; [unrolled: 1-line block ×3, first 2 shown]
	s_waitcnt vmcnt(0)
	ds_write_b128 v94, v[1:4]
	s_waitcnt lgkmcnt(0)
	s_waitcnt_vscnt null, 0x0
	s_barrier
	buffer_gl0_inv
	s_and_saveexec_b32 s6, s4
	s_cbranch_execz .LBB107_139
; %bb.132:
	ds_read_b128 v[1:4], v94
	s_andn2_b32 vcc_lo, exec_lo, s52
	s_cbranch_vccnz .LBB107_134
; %bb.133:
	s_clause 0x3
	buffer_load_dword v95, v93, s[0:3], 0 offen offset:8
	buffer_load_dword v96, v93, s[0:3], 0 offen offset:12
	buffer_load_dword v97, v93, s[0:3], 0 offen
	buffer_load_dword v98, v93, s[0:3], 0 offen offset:4
	s_waitcnt vmcnt(2) lgkmcnt(0)
	v_mul_f64 v[100:101], v[3:4], v[95:96]
	v_mul_f64 v[95:96], v[1:2], v[95:96]
	s_waitcnt vmcnt(0)
	v_fma_f64 v[1:2], v[1:2], v[97:98], -v[100:101]
	v_fma_f64 v[3:4], v[3:4], v[97:98], v[95:96]
.LBB107_134:
	s_and_saveexec_b32 s8, s5
	s_cbranch_execz .LBB107_138
; %bb.135:
	v_subrev_nc_u32_e32 v95, 27, v0
	s_movk_i32 s53, 0x470
	s_mov_b32 s5, 0
	s_mov_b32 s54, s24
	.p2align	6
.LBB107_136:                            ; =>This Inner Loop Header: Depth=1
	v_mov_b32_e32 v98, s54
	v_add_nc_u32_e32 v95, -1, v95
	s_add_i32 s54, s54, 16
	s_clause 0x3
	buffer_load_dword v96, v98, s[0:3], 0 offen offset:8
	buffer_load_dword v97, v98, s[0:3], 0 offen offset:12
	buffer_load_dword v104, v98, s[0:3], 0 offen
	buffer_load_dword v105, v98, s[0:3], 0 offen offset:4
	v_mov_b32_e32 v98, s53
	v_cmp_eq_u32_e32 vcc_lo, 0, v95
	s_add_i32 s53, s53, 16
	ds_read_b128 v[100:103], v98
	s_or_b32 s5, vcc_lo, s5
	s_waitcnt vmcnt(2) lgkmcnt(0)
	v_mul_f64 v[106:107], v[102:103], v[96:97]
	v_mul_f64 v[96:97], v[100:101], v[96:97]
	s_waitcnt vmcnt(0)
	v_fma_f64 v[100:101], v[100:101], v[104:105], -v[106:107]
	v_fma_f64 v[96:97], v[102:103], v[104:105], v[96:97]
	v_add_f64 v[1:2], v[1:2], v[100:101]
	v_add_f64 v[3:4], v[3:4], v[96:97]
	s_andn2_b32 exec_lo, exec_lo, s5
	s_cbranch_execnz .LBB107_136
; %bb.137:
	s_or_b32 exec_lo, exec_lo, s5
.LBB107_138:
	s_or_b32 exec_lo, exec_lo, s8
	v_mov_b32_e32 v95, 0
	ds_read_b128 v[95:98], v95 offset:416
	s_waitcnt lgkmcnt(0)
	v_mul_f64 v[100:101], v[3:4], v[97:98]
	v_mul_f64 v[97:98], v[1:2], v[97:98]
	v_fma_f64 v[1:2], v[1:2], v[95:96], -v[100:101]
	v_fma_f64 v[3:4], v[3:4], v[95:96], v[97:98]
	buffer_store_dword v2, off, s[0:3], 0 offset:420
	buffer_store_dword v1, off, s[0:3], 0 offset:416
	;; [unrolled: 1-line block ×4, first 2 shown]
.LBB107_139:
	s_or_b32 exec_lo, exec_lo, s6
	v_mov_b32_e32 v4, s26
	v_cmp_lt_u32_e64 s5, 25, v0
	s_clause 0x3
	buffer_load_dword v1, v4, s[0:3], 0 offen
	buffer_load_dword v2, v4, s[0:3], 0 offen offset:4
	buffer_load_dword v3, v4, s[0:3], 0 offen offset:8
	;; [unrolled: 1-line block ×3, first 2 shown]
	s_waitcnt vmcnt(0)
	ds_write_b128 v94, v[1:4]
	s_waitcnt lgkmcnt(0)
	s_waitcnt_vscnt null, 0x0
	s_barrier
	buffer_gl0_inv
	s_and_saveexec_b32 s6, s5
	s_cbranch_execz .LBB107_147
; %bb.140:
	ds_read_b128 v[1:4], v94
	s_andn2_b32 vcc_lo, exec_lo, s52
	s_cbranch_vccnz .LBB107_142
; %bb.141:
	s_clause 0x3
	buffer_load_dword v95, v93, s[0:3], 0 offen offset:8
	buffer_load_dword v96, v93, s[0:3], 0 offen offset:12
	buffer_load_dword v97, v93, s[0:3], 0 offen
	buffer_load_dword v98, v93, s[0:3], 0 offen offset:4
	s_waitcnt vmcnt(2) lgkmcnt(0)
	v_mul_f64 v[100:101], v[3:4], v[95:96]
	v_mul_f64 v[95:96], v[1:2], v[95:96]
	s_waitcnt vmcnt(0)
	v_fma_f64 v[1:2], v[1:2], v[97:98], -v[100:101]
	v_fma_f64 v[3:4], v[3:4], v[97:98], v[95:96]
.LBB107_142:
	s_and_saveexec_b32 s8, s4
	s_cbranch_execz .LBB107_146
; %bb.143:
	v_subrev_nc_u32_e32 v95, 26, v0
	s_movk_i32 s53, 0x460
	s_mov_b32 s4, 0
	s_mov_b32 s54, s25
	.p2align	6
.LBB107_144:                            ; =>This Inner Loop Header: Depth=1
	v_mov_b32_e32 v98, s54
	v_add_nc_u32_e32 v95, -1, v95
	s_add_i32 s54, s54, 16
	s_clause 0x3
	buffer_load_dword v96, v98, s[0:3], 0 offen offset:8
	buffer_load_dword v97, v98, s[0:3], 0 offen offset:12
	buffer_load_dword v104, v98, s[0:3], 0 offen
	buffer_load_dword v105, v98, s[0:3], 0 offen offset:4
	v_mov_b32_e32 v98, s53
	v_cmp_eq_u32_e32 vcc_lo, 0, v95
	s_add_i32 s53, s53, 16
	ds_read_b128 v[100:103], v98
	s_or_b32 s4, vcc_lo, s4
	s_waitcnt vmcnt(2) lgkmcnt(0)
	v_mul_f64 v[106:107], v[102:103], v[96:97]
	v_mul_f64 v[96:97], v[100:101], v[96:97]
	s_waitcnt vmcnt(0)
	v_fma_f64 v[100:101], v[100:101], v[104:105], -v[106:107]
	v_fma_f64 v[96:97], v[102:103], v[104:105], v[96:97]
	v_add_f64 v[1:2], v[1:2], v[100:101]
	v_add_f64 v[3:4], v[3:4], v[96:97]
	s_andn2_b32 exec_lo, exec_lo, s4
	s_cbranch_execnz .LBB107_144
; %bb.145:
	s_or_b32 exec_lo, exec_lo, s4
.LBB107_146:
	s_or_b32 exec_lo, exec_lo, s8
	v_mov_b32_e32 v95, 0
	ds_read_b128 v[95:98], v95 offset:400
	s_waitcnt lgkmcnt(0)
	v_mul_f64 v[100:101], v[3:4], v[97:98]
	v_mul_f64 v[97:98], v[1:2], v[97:98]
	v_fma_f64 v[1:2], v[1:2], v[95:96], -v[100:101]
	v_fma_f64 v[3:4], v[3:4], v[95:96], v[97:98]
	buffer_store_dword v2, off, s[0:3], 0 offset:404
	buffer_store_dword v1, off, s[0:3], 0 offset:400
	;; [unrolled: 1-line block ×4, first 2 shown]
.LBB107_147:
	s_or_b32 exec_lo, exec_lo, s6
	v_mov_b32_e32 v4, s27
	v_cmp_lt_u32_e64 s4, 24, v0
	s_clause 0x3
	buffer_load_dword v1, v4, s[0:3], 0 offen
	buffer_load_dword v2, v4, s[0:3], 0 offen offset:4
	buffer_load_dword v3, v4, s[0:3], 0 offen offset:8
	;; [unrolled: 1-line block ×3, first 2 shown]
	s_waitcnt vmcnt(0)
	ds_write_b128 v94, v[1:4]
	s_waitcnt lgkmcnt(0)
	s_waitcnt_vscnt null, 0x0
	s_barrier
	buffer_gl0_inv
	s_and_saveexec_b32 s6, s4
	s_cbranch_execz .LBB107_155
; %bb.148:
	ds_read_b128 v[1:4], v94
	s_andn2_b32 vcc_lo, exec_lo, s52
	s_cbranch_vccnz .LBB107_150
; %bb.149:
	s_clause 0x3
	buffer_load_dword v95, v93, s[0:3], 0 offen offset:8
	buffer_load_dword v96, v93, s[0:3], 0 offen offset:12
	buffer_load_dword v97, v93, s[0:3], 0 offen
	buffer_load_dword v98, v93, s[0:3], 0 offen offset:4
	s_waitcnt vmcnt(2) lgkmcnt(0)
	v_mul_f64 v[100:101], v[3:4], v[95:96]
	v_mul_f64 v[95:96], v[1:2], v[95:96]
	s_waitcnt vmcnt(0)
	v_fma_f64 v[1:2], v[1:2], v[97:98], -v[100:101]
	v_fma_f64 v[3:4], v[3:4], v[97:98], v[95:96]
.LBB107_150:
	s_and_saveexec_b32 s8, s5
	s_cbranch_execz .LBB107_154
; %bb.151:
	v_subrev_nc_u32_e32 v95, 25, v0
	s_movk_i32 s53, 0x450
	s_mov_b32 s5, 0
	s_mov_b32 s54, s26
	.p2align	6
.LBB107_152:                            ; =>This Inner Loop Header: Depth=1
	v_mov_b32_e32 v98, s54
	v_add_nc_u32_e32 v95, -1, v95
	s_add_i32 s54, s54, 16
	s_clause 0x3
	buffer_load_dword v96, v98, s[0:3], 0 offen offset:8
	buffer_load_dword v97, v98, s[0:3], 0 offen offset:12
	buffer_load_dword v104, v98, s[0:3], 0 offen
	buffer_load_dword v105, v98, s[0:3], 0 offen offset:4
	v_mov_b32_e32 v98, s53
	v_cmp_eq_u32_e32 vcc_lo, 0, v95
	s_add_i32 s53, s53, 16
	ds_read_b128 v[100:103], v98
	s_or_b32 s5, vcc_lo, s5
	s_waitcnt vmcnt(2) lgkmcnt(0)
	v_mul_f64 v[106:107], v[102:103], v[96:97]
	v_mul_f64 v[96:97], v[100:101], v[96:97]
	s_waitcnt vmcnt(0)
	v_fma_f64 v[100:101], v[100:101], v[104:105], -v[106:107]
	v_fma_f64 v[96:97], v[102:103], v[104:105], v[96:97]
	v_add_f64 v[1:2], v[1:2], v[100:101]
	v_add_f64 v[3:4], v[3:4], v[96:97]
	s_andn2_b32 exec_lo, exec_lo, s5
	s_cbranch_execnz .LBB107_152
; %bb.153:
	s_or_b32 exec_lo, exec_lo, s5
.LBB107_154:
	s_or_b32 exec_lo, exec_lo, s8
	v_mov_b32_e32 v95, 0
	ds_read_b128 v[95:98], v95 offset:384
	s_waitcnt lgkmcnt(0)
	v_mul_f64 v[100:101], v[3:4], v[97:98]
	v_mul_f64 v[97:98], v[1:2], v[97:98]
	v_fma_f64 v[1:2], v[1:2], v[95:96], -v[100:101]
	v_fma_f64 v[3:4], v[3:4], v[95:96], v[97:98]
	buffer_store_dword v2, off, s[0:3], 0 offset:388
	buffer_store_dword v1, off, s[0:3], 0 offset:384
	;; [unrolled: 1-line block ×4, first 2 shown]
.LBB107_155:
	s_or_b32 exec_lo, exec_lo, s6
	v_mov_b32_e32 v4, s28
	v_cmp_lt_u32_e64 s5, 23, v0
	s_clause 0x3
	buffer_load_dword v1, v4, s[0:3], 0 offen
	buffer_load_dword v2, v4, s[0:3], 0 offen offset:4
	buffer_load_dword v3, v4, s[0:3], 0 offen offset:8
	;; [unrolled: 1-line block ×3, first 2 shown]
	s_waitcnt vmcnt(0)
	ds_write_b128 v94, v[1:4]
	s_waitcnt lgkmcnt(0)
	s_waitcnt_vscnt null, 0x0
	s_barrier
	buffer_gl0_inv
	s_and_saveexec_b32 s6, s5
	s_cbranch_execz .LBB107_163
; %bb.156:
	ds_read_b128 v[1:4], v94
	s_andn2_b32 vcc_lo, exec_lo, s52
	s_cbranch_vccnz .LBB107_158
; %bb.157:
	s_clause 0x3
	buffer_load_dword v95, v93, s[0:3], 0 offen offset:8
	buffer_load_dword v96, v93, s[0:3], 0 offen offset:12
	buffer_load_dword v97, v93, s[0:3], 0 offen
	buffer_load_dword v98, v93, s[0:3], 0 offen offset:4
	s_waitcnt vmcnt(2) lgkmcnt(0)
	v_mul_f64 v[100:101], v[3:4], v[95:96]
	v_mul_f64 v[95:96], v[1:2], v[95:96]
	s_waitcnt vmcnt(0)
	v_fma_f64 v[1:2], v[1:2], v[97:98], -v[100:101]
	v_fma_f64 v[3:4], v[3:4], v[97:98], v[95:96]
.LBB107_158:
	s_and_saveexec_b32 s8, s4
	s_cbranch_execz .LBB107_162
; %bb.159:
	v_subrev_nc_u32_e32 v95, 24, v0
	s_movk_i32 s53, 0x440
	s_mov_b32 s4, 0
	s_mov_b32 s54, s27
	.p2align	6
.LBB107_160:                            ; =>This Inner Loop Header: Depth=1
	v_mov_b32_e32 v98, s54
	v_add_nc_u32_e32 v95, -1, v95
	s_add_i32 s54, s54, 16
	s_clause 0x3
	buffer_load_dword v96, v98, s[0:3], 0 offen offset:8
	buffer_load_dword v97, v98, s[0:3], 0 offen offset:12
	buffer_load_dword v104, v98, s[0:3], 0 offen
	buffer_load_dword v105, v98, s[0:3], 0 offen offset:4
	v_mov_b32_e32 v98, s53
	v_cmp_eq_u32_e32 vcc_lo, 0, v95
	s_add_i32 s53, s53, 16
	ds_read_b128 v[100:103], v98
	s_or_b32 s4, vcc_lo, s4
	s_waitcnt vmcnt(2) lgkmcnt(0)
	v_mul_f64 v[106:107], v[102:103], v[96:97]
	v_mul_f64 v[96:97], v[100:101], v[96:97]
	s_waitcnt vmcnt(0)
	v_fma_f64 v[100:101], v[100:101], v[104:105], -v[106:107]
	v_fma_f64 v[96:97], v[102:103], v[104:105], v[96:97]
	v_add_f64 v[1:2], v[1:2], v[100:101]
	v_add_f64 v[3:4], v[3:4], v[96:97]
	s_andn2_b32 exec_lo, exec_lo, s4
	s_cbranch_execnz .LBB107_160
; %bb.161:
	s_or_b32 exec_lo, exec_lo, s4
.LBB107_162:
	s_or_b32 exec_lo, exec_lo, s8
	v_mov_b32_e32 v95, 0
	ds_read_b128 v[95:98], v95 offset:368
	s_waitcnt lgkmcnt(0)
	v_mul_f64 v[100:101], v[3:4], v[97:98]
	v_mul_f64 v[97:98], v[1:2], v[97:98]
	v_fma_f64 v[1:2], v[1:2], v[95:96], -v[100:101]
	v_fma_f64 v[3:4], v[3:4], v[95:96], v[97:98]
	buffer_store_dword v2, off, s[0:3], 0 offset:372
	buffer_store_dword v1, off, s[0:3], 0 offset:368
	;; [unrolled: 1-line block ×4, first 2 shown]
.LBB107_163:
	s_or_b32 exec_lo, exec_lo, s6
	v_mov_b32_e32 v4, s29
	v_cmp_lt_u32_e64 s4, 22, v0
	s_clause 0x3
	buffer_load_dword v1, v4, s[0:3], 0 offen
	buffer_load_dword v2, v4, s[0:3], 0 offen offset:4
	buffer_load_dword v3, v4, s[0:3], 0 offen offset:8
	;; [unrolled: 1-line block ×3, first 2 shown]
	s_waitcnt vmcnt(0)
	ds_write_b128 v94, v[1:4]
	s_waitcnt lgkmcnt(0)
	s_waitcnt_vscnt null, 0x0
	s_barrier
	buffer_gl0_inv
	s_and_saveexec_b32 s6, s4
	s_cbranch_execz .LBB107_171
; %bb.164:
	ds_read_b128 v[1:4], v94
	s_andn2_b32 vcc_lo, exec_lo, s52
	s_cbranch_vccnz .LBB107_166
; %bb.165:
	s_clause 0x3
	buffer_load_dword v95, v93, s[0:3], 0 offen offset:8
	buffer_load_dword v96, v93, s[0:3], 0 offen offset:12
	buffer_load_dword v97, v93, s[0:3], 0 offen
	buffer_load_dword v98, v93, s[0:3], 0 offen offset:4
	s_waitcnt vmcnt(2) lgkmcnt(0)
	v_mul_f64 v[100:101], v[3:4], v[95:96]
	v_mul_f64 v[95:96], v[1:2], v[95:96]
	s_waitcnt vmcnt(0)
	v_fma_f64 v[1:2], v[1:2], v[97:98], -v[100:101]
	v_fma_f64 v[3:4], v[3:4], v[97:98], v[95:96]
.LBB107_166:
	s_and_saveexec_b32 s8, s5
	s_cbranch_execz .LBB107_170
; %bb.167:
	v_subrev_nc_u32_e32 v95, 23, v0
	s_movk_i32 s53, 0x430
	s_mov_b32 s5, 0
	s_mov_b32 s54, s28
	.p2align	6
.LBB107_168:                            ; =>This Inner Loop Header: Depth=1
	v_mov_b32_e32 v98, s54
	v_add_nc_u32_e32 v95, -1, v95
	s_add_i32 s54, s54, 16
	s_clause 0x3
	buffer_load_dword v96, v98, s[0:3], 0 offen offset:8
	buffer_load_dword v97, v98, s[0:3], 0 offen offset:12
	buffer_load_dword v104, v98, s[0:3], 0 offen
	buffer_load_dword v105, v98, s[0:3], 0 offen offset:4
	v_mov_b32_e32 v98, s53
	v_cmp_eq_u32_e32 vcc_lo, 0, v95
	s_add_i32 s53, s53, 16
	ds_read_b128 v[100:103], v98
	s_or_b32 s5, vcc_lo, s5
	s_waitcnt vmcnt(2) lgkmcnt(0)
	v_mul_f64 v[106:107], v[102:103], v[96:97]
	v_mul_f64 v[96:97], v[100:101], v[96:97]
	s_waitcnt vmcnt(0)
	v_fma_f64 v[100:101], v[100:101], v[104:105], -v[106:107]
	v_fma_f64 v[96:97], v[102:103], v[104:105], v[96:97]
	v_add_f64 v[1:2], v[1:2], v[100:101]
	v_add_f64 v[3:4], v[3:4], v[96:97]
	s_andn2_b32 exec_lo, exec_lo, s5
	s_cbranch_execnz .LBB107_168
; %bb.169:
	s_or_b32 exec_lo, exec_lo, s5
.LBB107_170:
	s_or_b32 exec_lo, exec_lo, s8
	v_mov_b32_e32 v95, 0
	ds_read_b128 v[95:98], v95 offset:352
	s_waitcnt lgkmcnt(0)
	v_mul_f64 v[100:101], v[3:4], v[97:98]
	v_mul_f64 v[97:98], v[1:2], v[97:98]
	v_fma_f64 v[1:2], v[1:2], v[95:96], -v[100:101]
	v_fma_f64 v[3:4], v[3:4], v[95:96], v[97:98]
	buffer_store_dword v2, off, s[0:3], 0 offset:356
	buffer_store_dword v1, off, s[0:3], 0 offset:352
	;; [unrolled: 1-line block ×4, first 2 shown]
.LBB107_171:
	s_or_b32 exec_lo, exec_lo, s6
	v_mov_b32_e32 v4, s30
	v_cmp_lt_u32_e64 s5, 21, v0
	s_clause 0x3
	buffer_load_dword v1, v4, s[0:3], 0 offen
	buffer_load_dword v2, v4, s[0:3], 0 offen offset:4
	buffer_load_dword v3, v4, s[0:3], 0 offen offset:8
	;; [unrolled: 1-line block ×3, first 2 shown]
	s_waitcnt vmcnt(0)
	ds_write_b128 v94, v[1:4]
	s_waitcnt lgkmcnt(0)
	s_waitcnt_vscnt null, 0x0
	s_barrier
	buffer_gl0_inv
	s_and_saveexec_b32 s6, s5
	s_cbranch_execz .LBB107_179
; %bb.172:
	ds_read_b128 v[1:4], v94
	s_andn2_b32 vcc_lo, exec_lo, s52
	s_cbranch_vccnz .LBB107_174
; %bb.173:
	s_clause 0x3
	buffer_load_dword v95, v93, s[0:3], 0 offen offset:8
	buffer_load_dword v96, v93, s[0:3], 0 offen offset:12
	buffer_load_dword v97, v93, s[0:3], 0 offen
	buffer_load_dword v98, v93, s[0:3], 0 offen offset:4
	s_waitcnt vmcnt(2) lgkmcnt(0)
	v_mul_f64 v[100:101], v[3:4], v[95:96]
	v_mul_f64 v[95:96], v[1:2], v[95:96]
	s_waitcnt vmcnt(0)
	v_fma_f64 v[1:2], v[1:2], v[97:98], -v[100:101]
	v_fma_f64 v[3:4], v[3:4], v[97:98], v[95:96]
.LBB107_174:
	s_and_saveexec_b32 s8, s4
	s_cbranch_execz .LBB107_178
; %bb.175:
	v_subrev_nc_u32_e32 v95, 22, v0
	s_movk_i32 s53, 0x420
	s_mov_b32 s4, 0
	s_mov_b32 s54, s29
	.p2align	6
.LBB107_176:                            ; =>This Inner Loop Header: Depth=1
	v_mov_b32_e32 v98, s54
	v_add_nc_u32_e32 v95, -1, v95
	s_add_i32 s54, s54, 16
	s_clause 0x3
	buffer_load_dword v96, v98, s[0:3], 0 offen offset:8
	buffer_load_dword v97, v98, s[0:3], 0 offen offset:12
	buffer_load_dword v104, v98, s[0:3], 0 offen
	buffer_load_dword v105, v98, s[0:3], 0 offen offset:4
	v_mov_b32_e32 v98, s53
	v_cmp_eq_u32_e32 vcc_lo, 0, v95
	s_add_i32 s53, s53, 16
	ds_read_b128 v[100:103], v98
	s_or_b32 s4, vcc_lo, s4
	s_waitcnt vmcnt(2) lgkmcnt(0)
	v_mul_f64 v[106:107], v[102:103], v[96:97]
	v_mul_f64 v[96:97], v[100:101], v[96:97]
	s_waitcnt vmcnt(0)
	v_fma_f64 v[100:101], v[100:101], v[104:105], -v[106:107]
	v_fma_f64 v[96:97], v[102:103], v[104:105], v[96:97]
	v_add_f64 v[1:2], v[1:2], v[100:101]
	v_add_f64 v[3:4], v[3:4], v[96:97]
	s_andn2_b32 exec_lo, exec_lo, s4
	s_cbranch_execnz .LBB107_176
; %bb.177:
	s_or_b32 exec_lo, exec_lo, s4
.LBB107_178:
	s_or_b32 exec_lo, exec_lo, s8
	v_mov_b32_e32 v95, 0
	ds_read_b128 v[95:98], v95 offset:336
	s_waitcnt lgkmcnt(0)
	v_mul_f64 v[100:101], v[3:4], v[97:98]
	v_mul_f64 v[97:98], v[1:2], v[97:98]
	v_fma_f64 v[1:2], v[1:2], v[95:96], -v[100:101]
	v_fma_f64 v[3:4], v[3:4], v[95:96], v[97:98]
	buffer_store_dword v2, off, s[0:3], 0 offset:340
	buffer_store_dword v1, off, s[0:3], 0 offset:336
	buffer_store_dword v4, off, s[0:3], 0 offset:348
	buffer_store_dword v3, off, s[0:3], 0 offset:344
.LBB107_179:
	s_or_b32 exec_lo, exec_lo, s6
	v_mov_b32_e32 v4, s31
	v_cmp_lt_u32_e64 s4, 20, v0
	s_clause 0x3
	buffer_load_dword v1, v4, s[0:3], 0 offen
	buffer_load_dword v2, v4, s[0:3], 0 offen offset:4
	buffer_load_dword v3, v4, s[0:3], 0 offen offset:8
	;; [unrolled: 1-line block ×3, first 2 shown]
	s_waitcnt vmcnt(0)
	ds_write_b128 v94, v[1:4]
	s_waitcnt lgkmcnt(0)
	s_waitcnt_vscnt null, 0x0
	s_barrier
	buffer_gl0_inv
	s_and_saveexec_b32 s6, s4
	s_cbranch_execz .LBB107_187
; %bb.180:
	ds_read_b128 v[1:4], v94
	s_andn2_b32 vcc_lo, exec_lo, s52
	s_cbranch_vccnz .LBB107_182
; %bb.181:
	s_clause 0x3
	buffer_load_dword v95, v93, s[0:3], 0 offen offset:8
	buffer_load_dword v96, v93, s[0:3], 0 offen offset:12
	buffer_load_dword v97, v93, s[0:3], 0 offen
	buffer_load_dword v98, v93, s[0:3], 0 offen offset:4
	s_waitcnt vmcnt(2) lgkmcnt(0)
	v_mul_f64 v[100:101], v[3:4], v[95:96]
	v_mul_f64 v[95:96], v[1:2], v[95:96]
	s_waitcnt vmcnt(0)
	v_fma_f64 v[1:2], v[1:2], v[97:98], -v[100:101]
	v_fma_f64 v[3:4], v[3:4], v[97:98], v[95:96]
.LBB107_182:
	s_and_saveexec_b32 s8, s5
	s_cbranch_execz .LBB107_186
; %bb.183:
	v_subrev_nc_u32_e32 v95, 21, v0
	s_movk_i32 s53, 0x410
	s_mov_b32 s5, 0
	s_mov_b32 s54, s30
	.p2align	6
.LBB107_184:                            ; =>This Inner Loop Header: Depth=1
	v_mov_b32_e32 v98, s54
	v_add_nc_u32_e32 v95, -1, v95
	s_add_i32 s54, s54, 16
	s_clause 0x3
	buffer_load_dword v96, v98, s[0:3], 0 offen offset:8
	buffer_load_dword v97, v98, s[0:3], 0 offen offset:12
	buffer_load_dword v104, v98, s[0:3], 0 offen
	buffer_load_dword v105, v98, s[0:3], 0 offen offset:4
	v_mov_b32_e32 v98, s53
	v_cmp_eq_u32_e32 vcc_lo, 0, v95
	s_add_i32 s53, s53, 16
	ds_read_b128 v[100:103], v98
	s_or_b32 s5, vcc_lo, s5
	s_waitcnt vmcnt(2) lgkmcnt(0)
	v_mul_f64 v[106:107], v[102:103], v[96:97]
	v_mul_f64 v[96:97], v[100:101], v[96:97]
	s_waitcnt vmcnt(0)
	v_fma_f64 v[100:101], v[100:101], v[104:105], -v[106:107]
	v_fma_f64 v[96:97], v[102:103], v[104:105], v[96:97]
	v_add_f64 v[1:2], v[1:2], v[100:101]
	v_add_f64 v[3:4], v[3:4], v[96:97]
	s_andn2_b32 exec_lo, exec_lo, s5
	s_cbranch_execnz .LBB107_184
; %bb.185:
	s_or_b32 exec_lo, exec_lo, s5
.LBB107_186:
	s_or_b32 exec_lo, exec_lo, s8
	v_mov_b32_e32 v95, 0
	ds_read_b128 v[95:98], v95 offset:320
	s_waitcnt lgkmcnt(0)
	v_mul_f64 v[100:101], v[3:4], v[97:98]
	v_mul_f64 v[97:98], v[1:2], v[97:98]
	v_fma_f64 v[1:2], v[1:2], v[95:96], -v[100:101]
	v_fma_f64 v[3:4], v[3:4], v[95:96], v[97:98]
	buffer_store_dword v2, off, s[0:3], 0 offset:324
	buffer_store_dword v1, off, s[0:3], 0 offset:320
	;; [unrolled: 1-line block ×4, first 2 shown]
.LBB107_187:
	s_or_b32 exec_lo, exec_lo, s6
	v_mov_b32_e32 v4, s33
	v_cmp_lt_u32_e64 s5, 19, v0
	s_clause 0x3
	buffer_load_dword v1, v4, s[0:3], 0 offen
	buffer_load_dword v2, v4, s[0:3], 0 offen offset:4
	buffer_load_dword v3, v4, s[0:3], 0 offen offset:8
	;; [unrolled: 1-line block ×3, first 2 shown]
	s_waitcnt vmcnt(0)
	ds_write_b128 v94, v[1:4]
	s_waitcnt lgkmcnt(0)
	s_waitcnt_vscnt null, 0x0
	s_barrier
	buffer_gl0_inv
	s_and_saveexec_b32 s6, s5
	s_cbranch_execz .LBB107_195
; %bb.188:
	ds_read_b128 v[1:4], v94
	s_andn2_b32 vcc_lo, exec_lo, s52
	s_cbranch_vccnz .LBB107_190
; %bb.189:
	s_clause 0x3
	buffer_load_dword v95, v93, s[0:3], 0 offen offset:8
	buffer_load_dword v96, v93, s[0:3], 0 offen offset:12
	buffer_load_dword v97, v93, s[0:3], 0 offen
	buffer_load_dword v98, v93, s[0:3], 0 offen offset:4
	s_waitcnt vmcnt(2) lgkmcnt(0)
	v_mul_f64 v[100:101], v[3:4], v[95:96]
	v_mul_f64 v[95:96], v[1:2], v[95:96]
	s_waitcnt vmcnt(0)
	v_fma_f64 v[1:2], v[1:2], v[97:98], -v[100:101]
	v_fma_f64 v[3:4], v[3:4], v[97:98], v[95:96]
.LBB107_190:
	s_and_saveexec_b32 s8, s4
	s_cbranch_execz .LBB107_194
; %bb.191:
	v_subrev_nc_u32_e32 v95, 20, v0
	s_movk_i32 s53, 0x400
	s_mov_b32 s4, 0
	s_mov_b32 s54, s31
	.p2align	6
.LBB107_192:                            ; =>This Inner Loop Header: Depth=1
	v_mov_b32_e32 v98, s54
	v_add_nc_u32_e32 v95, -1, v95
	s_add_i32 s54, s54, 16
	s_clause 0x3
	buffer_load_dword v96, v98, s[0:3], 0 offen offset:8
	buffer_load_dword v97, v98, s[0:3], 0 offen offset:12
	buffer_load_dword v104, v98, s[0:3], 0 offen
	buffer_load_dword v105, v98, s[0:3], 0 offen offset:4
	v_mov_b32_e32 v98, s53
	v_cmp_eq_u32_e32 vcc_lo, 0, v95
	s_add_i32 s53, s53, 16
	ds_read_b128 v[100:103], v98
	s_or_b32 s4, vcc_lo, s4
	s_waitcnt vmcnt(2) lgkmcnt(0)
	v_mul_f64 v[106:107], v[102:103], v[96:97]
	v_mul_f64 v[96:97], v[100:101], v[96:97]
	s_waitcnt vmcnt(0)
	v_fma_f64 v[100:101], v[100:101], v[104:105], -v[106:107]
	v_fma_f64 v[96:97], v[102:103], v[104:105], v[96:97]
	v_add_f64 v[1:2], v[1:2], v[100:101]
	v_add_f64 v[3:4], v[3:4], v[96:97]
	s_andn2_b32 exec_lo, exec_lo, s4
	s_cbranch_execnz .LBB107_192
; %bb.193:
	s_or_b32 exec_lo, exec_lo, s4
.LBB107_194:
	s_or_b32 exec_lo, exec_lo, s8
	v_mov_b32_e32 v95, 0
	ds_read_b128 v[95:98], v95 offset:304
	s_waitcnt lgkmcnt(0)
	v_mul_f64 v[100:101], v[3:4], v[97:98]
	v_mul_f64 v[97:98], v[1:2], v[97:98]
	v_fma_f64 v[1:2], v[1:2], v[95:96], -v[100:101]
	v_fma_f64 v[3:4], v[3:4], v[95:96], v[97:98]
	buffer_store_dword v2, off, s[0:3], 0 offset:308
	buffer_store_dword v1, off, s[0:3], 0 offset:304
	;; [unrolled: 1-line block ×4, first 2 shown]
.LBB107_195:
	s_or_b32 exec_lo, exec_lo, s6
	v_mov_b32_e32 v4, s34
	v_cmp_lt_u32_e64 s4, 18, v0
	s_clause 0x3
	buffer_load_dword v1, v4, s[0:3], 0 offen
	buffer_load_dword v2, v4, s[0:3], 0 offen offset:4
	buffer_load_dword v3, v4, s[0:3], 0 offen offset:8
	;; [unrolled: 1-line block ×3, first 2 shown]
	s_waitcnt vmcnt(0)
	ds_write_b128 v94, v[1:4]
	s_waitcnt lgkmcnt(0)
	s_waitcnt_vscnt null, 0x0
	s_barrier
	buffer_gl0_inv
	s_and_saveexec_b32 s6, s4
	s_cbranch_execz .LBB107_203
; %bb.196:
	ds_read_b128 v[1:4], v94
	s_andn2_b32 vcc_lo, exec_lo, s52
	s_cbranch_vccnz .LBB107_198
; %bb.197:
	s_clause 0x3
	buffer_load_dword v95, v93, s[0:3], 0 offen offset:8
	buffer_load_dword v96, v93, s[0:3], 0 offen offset:12
	buffer_load_dword v97, v93, s[0:3], 0 offen
	buffer_load_dword v98, v93, s[0:3], 0 offen offset:4
	s_waitcnt vmcnt(2) lgkmcnt(0)
	v_mul_f64 v[100:101], v[3:4], v[95:96]
	v_mul_f64 v[95:96], v[1:2], v[95:96]
	s_waitcnt vmcnt(0)
	v_fma_f64 v[1:2], v[1:2], v[97:98], -v[100:101]
	v_fma_f64 v[3:4], v[3:4], v[97:98], v[95:96]
.LBB107_198:
	s_and_saveexec_b32 s8, s5
	s_cbranch_execz .LBB107_202
; %bb.199:
	v_subrev_nc_u32_e32 v95, 19, v0
	s_movk_i32 s53, 0x3f0
	s_mov_b32 s5, 0
	s_mov_b32 s54, s33
	.p2align	6
.LBB107_200:                            ; =>This Inner Loop Header: Depth=1
	v_mov_b32_e32 v98, s54
	v_add_nc_u32_e32 v95, -1, v95
	s_add_i32 s54, s54, 16
	s_clause 0x3
	buffer_load_dword v96, v98, s[0:3], 0 offen offset:8
	buffer_load_dword v97, v98, s[0:3], 0 offen offset:12
	buffer_load_dword v104, v98, s[0:3], 0 offen
	buffer_load_dword v105, v98, s[0:3], 0 offen offset:4
	v_mov_b32_e32 v98, s53
	v_cmp_eq_u32_e32 vcc_lo, 0, v95
	s_add_i32 s53, s53, 16
	ds_read_b128 v[100:103], v98
	s_or_b32 s5, vcc_lo, s5
	s_waitcnt vmcnt(2) lgkmcnt(0)
	v_mul_f64 v[106:107], v[102:103], v[96:97]
	v_mul_f64 v[96:97], v[100:101], v[96:97]
	s_waitcnt vmcnt(0)
	v_fma_f64 v[100:101], v[100:101], v[104:105], -v[106:107]
	v_fma_f64 v[96:97], v[102:103], v[104:105], v[96:97]
	v_add_f64 v[1:2], v[1:2], v[100:101]
	v_add_f64 v[3:4], v[3:4], v[96:97]
	s_andn2_b32 exec_lo, exec_lo, s5
	s_cbranch_execnz .LBB107_200
; %bb.201:
	s_or_b32 exec_lo, exec_lo, s5
.LBB107_202:
	s_or_b32 exec_lo, exec_lo, s8
	v_mov_b32_e32 v95, 0
	ds_read_b128 v[95:98], v95 offset:288
	s_waitcnt lgkmcnt(0)
	v_mul_f64 v[100:101], v[3:4], v[97:98]
	v_mul_f64 v[97:98], v[1:2], v[97:98]
	v_fma_f64 v[1:2], v[1:2], v[95:96], -v[100:101]
	v_fma_f64 v[3:4], v[3:4], v[95:96], v[97:98]
	buffer_store_dword v2, off, s[0:3], 0 offset:292
	buffer_store_dword v1, off, s[0:3], 0 offset:288
	;; [unrolled: 1-line block ×4, first 2 shown]
.LBB107_203:
	s_or_b32 exec_lo, exec_lo, s6
	v_mov_b32_e32 v4, s35
	v_cmp_lt_u32_e64 s5, 17, v0
	s_clause 0x3
	buffer_load_dword v1, v4, s[0:3], 0 offen
	buffer_load_dword v2, v4, s[0:3], 0 offen offset:4
	buffer_load_dword v3, v4, s[0:3], 0 offen offset:8
	;; [unrolled: 1-line block ×3, first 2 shown]
	s_waitcnt vmcnt(0)
	ds_write_b128 v94, v[1:4]
	s_waitcnt lgkmcnt(0)
	s_waitcnt_vscnt null, 0x0
	s_barrier
	buffer_gl0_inv
	s_and_saveexec_b32 s6, s5
	s_cbranch_execz .LBB107_211
; %bb.204:
	ds_read_b128 v[1:4], v94
	s_andn2_b32 vcc_lo, exec_lo, s52
	s_cbranch_vccnz .LBB107_206
; %bb.205:
	s_clause 0x3
	buffer_load_dword v95, v93, s[0:3], 0 offen offset:8
	buffer_load_dword v96, v93, s[0:3], 0 offen offset:12
	buffer_load_dword v97, v93, s[0:3], 0 offen
	buffer_load_dword v98, v93, s[0:3], 0 offen offset:4
	s_waitcnt vmcnt(2) lgkmcnt(0)
	v_mul_f64 v[100:101], v[3:4], v[95:96]
	v_mul_f64 v[95:96], v[1:2], v[95:96]
	s_waitcnt vmcnt(0)
	v_fma_f64 v[1:2], v[1:2], v[97:98], -v[100:101]
	v_fma_f64 v[3:4], v[3:4], v[97:98], v[95:96]
.LBB107_206:
	s_and_saveexec_b32 s8, s4
	s_cbranch_execz .LBB107_210
; %bb.207:
	v_subrev_nc_u32_e32 v95, 18, v0
	s_movk_i32 s53, 0x3e0
	s_mov_b32 s4, 0
	s_mov_b32 s54, s34
	.p2align	6
.LBB107_208:                            ; =>This Inner Loop Header: Depth=1
	v_mov_b32_e32 v98, s54
	v_add_nc_u32_e32 v95, -1, v95
	s_add_i32 s54, s54, 16
	s_clause 0x3
	buffer_load_dword v96, v98, s[0:3], 0 offen offset:8
	buffer_load_dword v97, v98, s[0:3], 0 offen offset:12
	buffer_load_dword v104, v98, s[0:3], 0 offen
	buffer_load_dword v105, v98, s[0:3], 0 offen offset:4
	v_mov_b32_e32 v98, s53
	v_cmp_eq_u32_e32 vcc_lo, 0, v95
	s_add_i32 s53, s53, 16
	ds_read_b128 v[100:103], v98
	s_or_b32 s4, vcc_lo, s4
	s_waitcnt vmcnt(2) lgkmcnt(0)
	v_mul_f64 v[106:107], v[102:103], v[96:97]
	v_mul_f64 v[96:97], v[100:101], v[96:97]
	s_waitcnt vmcnt(0)
	v_fma_f64 v[100:101], v[100:101], v[104:105], -v[106:107]
	v_fma_f64 v[96:97], v[102:103], v[104:105], v[96:97]
	v_add_f64 v[1:2], v[1:2], v[100:101]
	v_add_f64 v[3:4], v[3:4], v[96:97]
	s_andn2_b32 exec_lo, exec_lo, s4
	s_cbranch_execnz .LBB107_208
; %bb.209:
	s_or_b32 exec_lo, exec_lo, s4
.LBB107_210:
	s_or_b32 exec_lo, exec_lo, s8
	v_mov_b32_e32 v95, 0
	ds_read_b128 v[95:98], v95 offset:272
	s_waitcnt lgkmcnt(0)
	v_mul_f64 v[100:101], v[3:4], v[97:98]
	v_mul_f64 v[97:98], v[1:2], v[97:98]
	v_fma_f64 v[1:2], v[1:2], v[95:96], -v[100:101]
	v_fma_f64 v[3:4], v[3:4], v[95:96], v[97:98]
	buffer_store_dword v2, off, s[0:3], 0 offset:276
	buffer_store_dword v1, off, s[0:3], 0 offset:272
	;; [unrolled: 1-line block ×4, first 2 shown]
.LBB107_211:
	s_or_b32 exec_lo, exec_lo, s6
	v_mov_b32_e32 v4, s36
	v_cmp_lt_u32_e64 s4, 16, v0
	s_clause 0x3
	buffer_load_dword v1, v4, s[0:3], 0 offen
	buffer_load_dword v2, v4, s[0:3], 0 offen offset:4
	buffer_load_dword v3, v4, s[0:3], 0 offen offset:8
	;; [unrolled: 1-line block ×3, first 2 shown]
	s_waitcnt vmcnt(0)
	ds_write_b128 v94, v[1:4]
	s_waitcnt lgkmcnt(0)
	s_waitcnt_vscnt null, 0x0
	s_barrier
	buffer_gl0_inv
	s_and_saveexec_b32 s6, s4
	s_cbranch_execz .LBB107_219
; %bb.212:
	ds_read_b128 v[1:4], v94
	s_andn2_b32 vcc_lo, exec_lo, s52
	s_cbranch_vccnz .LBB107_214
; %bb.213:
	s_clause 0x3
	buffer_load_dword v95, v93, s[0:3], 0 offen offset:8
	buffer_load_dword v96, v93, s[0:3], 0 offen offset:12
	buffer_load_dword v97, v93, s[0:3], 0 offen
	buffer_load_dword v98, v93, s[0:3], 0 offen offset:4
	s_waitcnt vmcnt(2) lgkmcnt(0)
	v_mul_f64 v[100:101], v[3:4], v[95:96]
	v_mul_f64 v[95:96], v[1:2], v[95:96]
	s_waitcnt vmcnt(0)
	v_fma_f64 v[1:2], v[1:2], v[97:98], -v[100:101]
	v_fma_f64 v[3:4], v[3:4], v[97:98], v[95:96]
.LBB107_214:
	s_and_saveexec_b32 s8, s5
	s_cbranch_execz .LBB107_218
; %bb.215:
	v_subrev_nc_u32_e32 v95, 17, v0
	s_movk_i32 s53, 0x3d0
	s_mov_b32 s5, 0
	s_mov_b32 s54, s35
	.p2align	6
.LBB107_216:                            ; =>This Inner Loop Header: Depth=1
	v_mov_b32_e32 v98, s54
	v_add_nc_u32_e32 v95, -1, v95
	s_add_i32 s54, s54, 16
	s_clause 0x3
	buffer_load_dword v96, v98, s[0:3], 0 offen offset:8
	buffer_load_dword v97, v98, s[0:3], 0 offen offset:12
	buffer_load_dword v104, v98, s[0:3], 0 offen
	buffer_load_dword v105, v98, s[0:3], 0 offen offset:4
	v_mov_b32_e32 v98, s53
	v_cmp_eq_u32_e32 vcc_lo, 0, v95
	s_add_i32 s53, s53, 16
	ds_read_b128 v[100:103], v98
	s_or_b32 s5, vcc_lo, s5
	s_waitcnt vmcnt(2) lgkmcnt(0)
	v_mul_f64 v[106:107], v[102:103], v[96:97]
	v_mul_f64 v[96:97], v[100:101], v[96:97]
	s_waitcnt vmcnt(0)
	v_fma_f64 v[100:101], v[100:101], v[104:105], -v[106:107]
	v_fma_f64 v[96:97], v[102:103], v[104:105], v[96:97]
	v_add_f64 v[1:2], v[1:2], v[100:101]
	v_add_f64 v[3:4], v[3:4], v[96:97]
	s_andn2_b32 exec_lo, exec_lo, s5
	s_cbranch_execnz .LBB107_216
; %bb.217:
	s_or_b32 exec_lo, exec_lo, s5
.LBB107_218:
	s_or_b32 exec_lo, exec_lo, s8
	v_mov_b32_e32 v95, 0
	ds_read_b128 v[95:98], v95 offset:256
	s_waitcnt lgkmcnt(0)
	v_mul_f64 v[100:101], v[3:4], v[97:98]
	v_mul_f64 v[97:98], v[1:2], v[97:98]
	v_fma_f64 v[1:2], v[1:2], v[95:96], -v[100:101]
	v_fma_f64 v[3:4], v[3:4], v[95:96], v[97:98]
	buffer_store_dword v2, off, s[0:3], 0 offset:260
	buffer_store_dword v1, off, s[0:3], 0 offset:256
	;; [unrolled: 1-line block ×4, first 2 shown]
.LBB107_219:
	s_or_b32 exec_lo, exec_lo, s6
	v_mov_b32_e32 v4, s37
	v_cmp_lt_u32_e64 s5, 15, v0
	s_clause 0x3
	buffer_load_dword v1, v4, s[0:3], 0 offen
	buffer_load_dword v2, v4, s[0:3], 0 offen offset:4
	buffer_load_dword v3, v4, s[0:3], 0 offen offset:8
	;; [unrolled: 1-line block ×3, first 2 shown]
	s_waitcnt vmcnt(0)
	ds_write_b128 v94, v[1:4]
	s_waitcnt lgkmcnt(0)
	s_waitcnt_vscnt null, 0x0
	s_barrier
	buffer_gl0_inv
	s_and_saveexec_b32 s6, s5
	s_cbranch_execz .LBB107_227
; %bb.220:
	ds_read_b128 v[1:4], v94
	s_andn2_b32 vcc_lo, exec_lo, s52
	s_cbranch_vccnz .LBB107_222
; %bb.221:
	s_clause 0x3
	buffer_load_dword v95, v93, s[0:3], 0 offen offset:8
	buffer_load_dword v96, v93, s[0:3], 0 offen offset:12
	buffer_load_dword v97, v93, s[0:3], 0 offen
	buffer_load_dword v98, v93, s[0:3], 0 offen offset:4
	s_waitcnt vmcnt(2) lgkmcnt(0)
	v_mul_f64 v[100:101], v[3:4], v[95:96]
	v_mul_f64 v[95:96], v[1:2], v[95:96]
	s_waitcnt vmcnt(0)
	v_fma_f64 v[1:2], v[1:2], v[97:98], -v[100:101]
	v_fma_f64 v[3:4], v[3:4], v[97:98], v[95:96]
.LBB107_222:
	s_and_saveexec_b32 s8, s4
	s_cbranch_execz .LBB107_226
; %bb.223:
	v_add_nc_u32_e32 v95, -16, v0
	s_movk_i32 s53, 0x3c0
	s_mov_b32 s4, 0
	s_mov_b32 s54, s36
	.p2align	6
.LBB107_224:                            ; =>This Inner Loop Header: Depth=1
	v_mov_b32_e32 v98, s54
	v_add_nc_u32_e32 v95, -1, v95
	s_add_i32 s54, s54, 16
	s_clause 0x3
	buffer_load_dword v96, v98, s[0:3], 0 offen offset:8
	buffer_load_dword v97, v98, s[0:3], 0 offen offset:12
	buffer_load_dword v104, v98, s[0:3], 0 offen
	buffer_load_dword v105, v98, s[0:3], 0 offen offset:4
	v_mov_b32_e32 v98, s53
	v_cmp_eq_u32_e32 vcc_lo, 0, v95
	s_add_i32 s53, s53, 16
	ds_read_b128 v[100:103], v98
	s_or_b32 s4, vcc_lo, s4
	s_waitcnt vmcnt(2) lgkmcnt(0)
	v_mul_f64 v[106:107], v[102:103], v[96:97]
	v_mul_f64 v[96:97], v[100:101], v[96:97]
	s_waitcnt vmcnt(0)
	v_fma_f64 v[100:101], v[100:101], v[104:105], -v[106:107]
	v_fma_f64 v[96:97], v[102:103], v[104:105], v[96:97]
	v_add_f64 v[1:2], v[1:2], v[100:101]
	v_add_f64 v[3:4], v[3:4], v[96:97]
	s_andn2_b32 exec_lo, exec_lo, s4
	s_cbranch_execnz .LBB107_224
; %bb.225:
	s_or_b32 exec_lo, exec_lo, s4
.LBB107_226:
	s_or_b32 exec_lo, exec_lo, s8
	v_mov_b32_e32 v95, 0
	ds_read_b128 v[95:98], v95 offset:240
	s_waitcnt lgkmcnt(0)
	v_mul_f64 v[100:101], v[3:4], v[97:98]
	v_mul_f64 v[97:98], v[1:2], v[97:98]
	v_fma_f64 v[1:2], v[1:2], v[95:96], -v[100:101]
	v_fma_f64 v[3:4], v[3:4], v[95:96], v[97:98]
	buffer_store_dword v2, off, s[0:3], 0 offset:244
	buffer_store_dword v1, off, s[0:3], 0 offset:240
	;; [unrolled: 1-line block ×4, first 2 shown]
.LBB107_227:
	s_or_b32 exec_lo, exec_lo, s6
	v_mov_b32_e32 v4, s38
	v_cmp_lt_u32_e64 s4, 14, v0
	s_clause 0x3
	buffer_load_dword v1, v4, s[0:3], 0 offen
	buffer_load_dword v2, v4, s[0:3], 0 offen offset:4
	buffer_load_dword v3, v4, s[0:3], 0 offen offset:8
	;; [unrolled: 1-line block ×3, first 2 shown]
	s_waitcnt vmcnt(0)
	ds_write_b128 v94, v[1:4]
	s_waitcnt lgkmcnt(0)
	s_waitcnt_vscnt null, 0x0
	s_barrier
	buffer_gl0_inv
	s_and_saveexec_b32 s6, s4
	s_cbranch_execz .LBB107_235
; %bb.228:
	ds_read_b128 v[1:4], v94
	s_andn2_b32 vcc_lo, exec_lo, s52
	s_cbranch_vccnz .LBB107_230
; %bb.229:
	s_clause 0x3
	buffer_load_dword v95, v93, s[0:3], 0 offen offset:8
	buffer_load_dword v96, v93, s[0:3], 0 offen offset:12
	buffer_load_dword v97, v93, s[0:3], 0 offen
	buffer_load_dword v98, v93, s[0:3], 0 offen offset:4
	s_waitcnt vmcnt(2) lgkmcnt(0)
	v_mul_f64 v[100:101], v[3:4], v[95:96]
	v_mul_f64 v[95:96], v[1:2], v[95:96]
	s_waitcnt vmcnt(0)
	v_fma_f64 v[1:2], v[1:2], v[97:98], -v[100:101]
	v_fma_f64 v[3:4], v[3:4], v[97:98], v[95:96]
.LBB107_230:
	s_and_saveexec_b32 s8, s5
	s_cbranch_execz .LBB107_234
; %bb.231:
	v_add_nc_u32_e32 v95, -15, v0
	s_movk_i32 s53, 0x3b0
	s_mov_b32 s5, 0
	s_mov_b32 s54, s37
	.p2align	6
.LBB107_232:                            ; =>This Inner Loop Header: Depth=1
	v_mov_b32_e32 v98, s54
	v_add_nc_u32_e32 v95, -1, v95
	s_add_i32 s54, s54, 16
	s_clause 0x3
	buffer_load_dword v96, v98, s[0:3], 0 offen offset:8
	buffer_load_dword v97, v98, s[0:3], 0 offen offset:12
	buffer_load_dword v104, v98, s[0:3], 0 offen
	buffer_load_dword v105, v98, s[0:3], 0 offen offset:4
	v_mov_b32_e32 v98, s53
	v_cmp_eq_u32_e32 vcc_lo, 0, v95
	s_add_i32 s53, s53, 16
	ds_read_b128 v[100:103], v98
	s_or_b32 s5, vcc_lo, s5
	s_waitcnt vmcnt(2) lgkmcnt(0)
	v_mul_f64 v[106:107], v[102:103], v[96:97]
	v_mul_f64 v[96:97], v[100:101], v[96:97]
	s_waitcnt vmcnt(0)
	v_fma_f64 v[100:101], v[100:101], v[104:105], -v[106:107]
	v_fma_f64 v[96:97], v[102:103], v[104:105], v[96:97]
	v_add_f64 v[1:2], v[1:2], v[100:101]
	v_add_f64 v[3:4], v[3:4], v[96:97]
	s_andn2_b32 exec_lo, exec_lo, s5
	s_cbranch_execnz .LBB107_232
; %bb.233:
	s_or_b32 exec_lo, exec_lo, s5
.LBB107_234:
	s_or_b32 exec_lo, exec_lo, s8
	v_mov_b32_e32 v95, 0
	ds_read_b128 v[95:98], v95 offset:224
	s_waitcnt lgkmcnt(0)
	v_mul_f64 v[100:101], v[3:4], v[97:98]
	v_mul_f64 v[97:98], v[1:2], v[97:98]
	v_fma_f64 v[1:2], v[1:2], v[95:96], -v[100:101]
	v_fma_f64 v[3:4], v[3:4], v[95:96], v[97:98]
	buffer_store_dword v2, off, s[0:3], 0 offset:228
	buffer_store_dword v1, off, s[0:3], 0 offset:224
	;; [unrolled: 1-line block ×4, first 2 shown]
.LBB107_235:
	s_or_b32 exec_lo, exec_lo, s6
	v_mov_b32_e32 v4, s39
	v_cmp_lt_u32_e64 s5, 13, v0
	s_clause 0x3
	buffer_load_dword v1, v4, s[0:3], 0 offen
	buffer_load_dword v2, v4, s[0:3], 0 offen offset:4
	buffer_load_dword v3, v4, s[0:3], 0 offen offset:8
	;; [unrolled: 1-line block ×3, first 2 shown]
	s_waitcnt vmcnt(0)
	ds_write_b128 v94, v[1:4]
	s_waitcnt lgkmcnt(0)
	s_waitcnt_vscnt null, 0x0
	s_barrier
	buffer_gl0_inv
	s_and_saveexec_b32 s6, s5
	s_cbranch_execz .LBB107_243
; %bb.236:
	ds_read_b128 v[1:4], v94
	s_andn2_b32 vcc_lo, exec_lo, s52
	s_cbranch_vccnz .LBB107_238
; %bb.237:
	s_clause 0x3
	buffer_load_dword v95, v93, s[0:3], 0 offen offset:8
	buffer_load_dword v96, v93, s[0:3], 0 offen offset:12
	buffer_load_dword v97, v93, s[0:3], 0 offen
	buffer_load_dword v98, v93, s[0:3], 0 offen offset:4
	s_waitcnt vmcnt(2) lgkmcnt(0)
	v_mul_f64 v[100:101], v[3:4], v[95:96]
	v_mul_f64 v[95:96], v[1:2], v[95:96]
	s_waitcnt vmcnt(0)
	v_fma_f64 v[1:2], v[1:2], v[97:98], -v[100:101]
	v_fma_f64 v[3:4], v[3:4], v[97:98], v[95:96]
.LBB107_238:
	s_and_saveexec_b32 s8, s4
	s_cbranch_execz .LBB107_242
; %bb.239:
	v_add_nc_u32_e32 v95, -14, v0
	s_movk_i32 s53, 0x3a0
	s_mov_b32 s4, 0
	s_mov_b32 s54, s38
	.p2align	6
.LBB107_240:                            ; =>This Inner Loop Header: Depth=1
	v_mov_b32_e32 v98, s54
	v_add_nc_u32_e32 v95, -1, v95
	s_add_i32 s54, s54, 16
	s_clause 0x3
	buffer_load_dword v96, v98, s[0:3], 0 offen offset:8
	buffer_load_dword v97, v98, s[0:3], 0 offen offset:12
	buffer_load_dword v104, v98, s[0:3], 0 offen
	buffer_load_dword v105, v98, s[0:3], 0 offen offset:4
	v_mov_b32_e32 v98, s53
	v_cmp_eq_u32_e32 vcc_lo, 0, v95
	s_add_i32 s53, s53, 16
	ds_read_b128 v[100:103], v98
	s_or_b32 s4, vcc_lo, s4
	s_waitcnt vmcnt(2) lgkmcnt(0)
	v_mul_f64 v[106:107], v[102:103], v[96:97]
	v_mul_f64 v[96:97], v[100:101], v[96:97]
	s_waitcnt vmcnt(0)
	v_fma_f64 v[100:101], v[100:101], v[104:105], -v[106:107]
	v_fma_f64 v[96:97], v[102:103], v[104:105], v[96:97]
	v_add_f64 v[1:2], v[1:2], v[100:101]
	v_add_f64 v[3:4], v[3:4], v[96:97]
	s_andn2_b32 exec_lo, exec_lo, s4
	s_cbranch_execnz .LBB107_240
; %bb.241:
	s_or_b32 exec_lo, exec_lo, s4
.LBB107_242:
	s_or_b32 exec_lo, exec_lo, s8
	v_mov_b32_e32 v95, 0
	ds_read_b128 v[95:98], v95 offset:208
	s_waitcnt lgkmcnt(0)
	v_mul_f64 v[100:101], v[3:4], v[97:98]
	v_mul_f64 v[97:98], v[1:2], v[97:98]
	v_fma_f64 v[1:2], v[1:2], v[95:96], -v[100:101]
	v_fma_f64 v[3:4], v[3:4], v[95:96], v[97:98]
	buffer_store_dword v2, off, s[0:3], 0 offset:212
	buffer_store_dword v1, off, s[0:3], 0 offset:208
	;; [unrolled: 1-line block ×4, first 2 shown]
.LBB107_243:
	s_or_b32 exec_lo, exec_lo, s6
	v_mov_b32_e32 v4, s40
	v_cmp_lt_u32_e64 s4, 12, v0
	s_clause 0x3
	buffer_load_dword v1, v4, s[0:3], 0 offen
	buffer_load_dword v2, v4, s[0:3], 0 offen offset:4
	buffer_load_dword v3, v4, s[0:3], 0 offen offset:8
	;; [unrolled: 1-line block ×3, first 2 shown]
	s_waitcnt vmcnt(0)
	ds_write_b128 v94, v[1:4]
	s_waitcnt lgkmcnt(0)
	s_waitcnt_vscnt null, 0x0
	s_barrier
	buffer_gl0_inv
	s_and_saveexec_b32 s6, s4
	s_cbranch_execz .LBB107_251
; %bb.244:
	ds_read_b128 v[1:4], v94
	s_andn2_b32 vcc_lo, exec_lo, s52
	s_cbranch_vccnz .LBB107_246
; %bb.245:
	s_clause 0x3
	buffer_load_dword v95, v93, s[0:3], 0 offen offset:8
	buffer_load_dword v96, v93, s[0:3], 0 offen offset:12
	buffer_load_dword v97, v93, s[0:3], 0 offen
	buffer_load_dword v98, v93, s[0:3], 0 offen offset:4
	s_waitcnt vmcnt(2) lgkmcnt(0)
	v_mul_f64 v[100:101], v[3:4], v[95:96]
	v_mul_f64 v[95:96], v[1:2], v[95:96]
	s_waitcnt vmcnt(0)
	v_fma_f64 v[1:2], v[1:2], v[97:98], -v[100:101]
	v_fma_f64 v[3:4], v[3:4], v[97:98], v[95:96]
.LBB107_246:
	s_and_saveexec_b32 s8, s5
	s_cbranch_execz .LBB107_250
; %bb.247:
	v_add_nc_u32_e32 v95, -13, v0
	s_movk_i32 s53, 0x390
	s_mov_b32 s5, 0
	s_mov_b32 s54, s39
	.p2align	6
.LBB107_248:                            ; =>This Inner Loop Header: Depth=1
	v_mov_b32_e32 v98, s54
	v_add_nc_u32_e32 v95, -1, v95
	s_add_i32 s54, s54, 16
	s_clause 0x3
	buffer_load_dword v96, v98, s[0:3], 0 offen offset:8
	buffer_load_dword v97, v98, s[0:3], 0 offen offset:12
	buffer_load_dword v104, v98, s[0:3], 0 offen
	buffer_load_dword v105, v98, s[0:3], 0 offen offset:4
	v_mov_b32_e32 v98, s53
	v_cmp_eq_u32_e32 vcc_lo, 0, v95
	s_add_i32 s53, s53, 16
	ds_read_b128 v[100:103], v98
	s_or_b32 s5, vcc_lo, s5
	s_waitcnt vmcnt(2) lgkmcnt(0)
	v_mul_f64 v[106:107], v[102:103], v[96:97]
	v_mul_f64 v[96:97], v[100:101], v[96:97]
	s_waitcnt vmcnt(0)
	v_fma_f64 v[100:101], v[100:101], v[104:105], -v[106:107]
	v_fma_f64 v[96:97], v[102:103], v[104:105], v[96:97]
	v_add_f64 v[1:2], v[1:2], v[100:101]
	v_add_f64 v[3:4], v[3:4], v[96:97]
	s_andn2_b32 exec_lo, exec_lo, s5
	s_cbranch_execnz .LBB107_248
; %bb.249:
	s_or_b32 exec_lo, exec_lo, s5
.LBB107_250:
	s_or_b32 exec_lo, exec_lo, s8
	v_mov_b32_e32 v95, 0
	ds_read_b128 v[95:98], v95 offset:192
	s_waitcnt lgkmcnt(0)
	v_mul_f64 v[100:101], v[3:4], v[97:98]
	v_mul_f64 v[97:98], v[1:2], v[97:98]
	v_fma_f64 v[1:2], v[1:2], v[95:96], -v[100:101]
	v_fma_f64 v[3:4], v[3:4], v[95:96], v[97:98]
	buffer_store_dword v2, off, s[0:3], 0 offset:196
	buffer_store_dword v1, off, s[0:3], 0 offset:192
	;; [unrolled: 1-line block ×4, first 2 shown]
.LBB107_251:
	s_or_b32 exec_lo, exec_lo, s6
	v_mov_b32_e32 v4, s41
	v_cmp_lt_u32_e64 s5, 11, v0
	s_clause 0x3
	buffer_load_dword v1, v4, s[0:3], 0 offen
	buffer_load_dword v2, v4, s[0:3], 0 offen offset:4
	buffer_load_dword v3, v4, s[0:3], 0 offen offset:8
	buffer_load_dword v4, v4, s[0:3], 0 offen offset:12
	s_waitcnt vmcnt(0)
	ds_write_b128 v94, v[1:4]
	s_waitcnt lgkmcnt(0)
	s_waitcnt_vscnt null, 0x0
	s_barrier
	buffer_gl0_inv
	s_and_saveexec_b32 s6, s5
	s_cbranch_execz .LBB107_259
; %bb.252:
	ds_read_b128 v[1:4], v94
	s_andn2_b32 vcc_lo, exec_lo, s52
	s_cbranch_vccnz .LBB107_254
; %bb.253:
	s_clause 0x3
	buffer_load_dword v95, v93, s[0:3], 0 offen offset:8
	buffer_load_dword v96, v93, s[0:3], 0 offen offset:12
	buffer_load_dword v97, v93, s[0:3], 0 offen
	buffer_load_dword v98, v93, s[0:3], 0 offen offset:4
	s_waitcnt vmcnt(2) lgkmcnt(0)
	v_mul_f64 v[100:101], v[3:4], v[95:96]
	v_mul_f64 v[95:96], v[1:2], v[95:96]
	s_waitcnt vmcnt(0)
	v_fma_f64 v[1:2], v[1:2], v[97:98], -v[100:101]
	v_fma_f64 v[3:4], v[3:4], v[97:98], v[95:96]
.LBB107_254:
	s_and_saveexec_b32 s8, s4
	s_cbranch_execz .LBB107_258
; %bb.255:
	v_add_nc_u32_e32 v95, -12, v0
	s_movk_i32 s53, 0x380
	s_mov_b32 s4, 0
	s_mov_b32 s54, s40
	.p2align	6
.LBB107_256:                            ; =>This Inner Loop Header: Depth=1
	v_mov_b32_e32 v98, s54
	v_add_nc_u32_e32 v95, -1, v95
	s_add_i32 s54, s54, 16
	s_clause 0x3
	buffer_load_dword v96, v98, s[0:3], 0 offen offset:8
	buffer_load_dword v97, v98, s[0:3], 0 offen offset:12
	buffer_load_dword v104, v98, s[0:3], 0 offen
	buffer_load_dword v105, v98, s[0:3], 0 offen offset:4
	v_mov_b32_e32 v98, s53
	v_cmp_eq_u32_e32 vcc_lo, 0, v95
	s_add_i32 s53, s53, 16
	ds_read_b128 v[100:103], v98
	s_or_b32 s4, vcc_lo, s4
	s_waitcnt vmcnt(2) lgkmcnt(0)
	v_mul_f64 v[106:107], v[102:103], v[96:97]
	v_mul_f64 v[96:97], v[100:101], v[96:97]
	s_waitcnt vmcnt(0)
	v_fma_f64 v[100:101], v[100:101], v[104:105], -v[106:107]
	v_fma_f64 v[96:97], v[102:103], v[104:105], v[96:97]
	v_add_f64 v[1:2], v[1:2], v[100:101]
	v_add_f64 v[3:4], v[3:4], v[96:97]
	s_andn2_b32 exec_lo, exec_lo, s4
	s_cbranch_execnz .LBB107_256
; %bb.257:
	s_or_b32 exec_lo, exec_lo, s4
.LBB107_258:
	s_or_b32 exec_lo, exec_lo, s8
	v_mov_b32_e32 v95, 0
	ds_read_b128 v[95:98], v95 offset:176
	s_waitcnt lgkmcnt(0)
	v_mul_f64 v[100:101], v[3:4], v[97:98]
	v_mul_f64 v[97:98], v[1:2], v[97:98]
	v_fma_f64 v[1:2], v[1:2], v[95:96], -v[100:101]
	v_fma_f64 v[3:4], v[3:4], v[95:96], v[97:98]
	buffer_store_dword v2, off, s[0:3], 0 offset:180
	buffer_store_dword v1, off, s[0:3], 0 offset:176
	;; [unrolled: 1-line block ×4, first 2 shown]
.LBB107_259:
	s_or_b32 exec_lo, exec_lo, s6
	v_mov_b32_e32 v4, s42
	v_cmp_lt_u32_e64 s4, 10, v0
	s_clause 0x3
	buffer_load_dword v1, v4, s[0:3], 0 offen
	buffer_load_dword v2, v4, s[0:3], 0 offen offset:4
	buffer_load_dword v3, v4, s[0:3], 0 offen offset:8
	;; [unrolled: 1-line block ×3, first 2 shown]
	s_waitcnt vmcnt(0)
	ds_write_b128 v94, v[1:4]
	s_waitcnt lgkmcnt(0)
	s_waitcnt_vscnt null, 0x0
	s_barrier
	buffer_gl0_inv
	s_and_saveexec_b32 s6, s4
	s_cbranch_execz .LBB107_267
; %bb.260:
	ds_read_b128 v[1:4], v94
	s_andn2_b32 vcc_lo, exec_lo, s52
	s_cbranch_vccnz .LBB107_262
; %bb.261:
	s_clause 0x3
	buffer_load_dword v95, v93, s[0:3], 0 offen offset:8
	buffer_load_dword v96, v93, s[0:3], 0 offen offset:12
	buffer_load_dword v97, v93, s[0:3], 0 offen
	buffer_load_dword v98, v93, s[0:3], 0 offen offset:4
	s_waitcnt vmcnt(2) lgkmcnt(0)
	v_mul_f64 v[100:101], v[3:4], v[95:96]
	v_mul_f64 v[95:96], v[1:2], v[95:96]
	s_waitcnt vmcnt(0)
	v_fma_f64 v[1:2], v[1:2], v[97:98], -v[100:101]
	v_fma_f64 v[3:4], v[3:4], v[97:98], v[95:96]
.LBB107_262:
	s_and_saveexec_b32 s8, s5
	s_cbranch_execz .LBB107_266
; %bb.263:
	v_add_nc_u32_e32 v95, -11, v0
	s_movk_i32 s53, 0x370
	s_mov_b32 s5, 0
	s_mov_b32 s54, s41
	.p2align	6
.LBB107_264:                            ; =>This Inner Loop Header: Depth=1
	v_mov_b32_e32 v98, s54
	v_add_nc_u32_e32 v95, -1, v95
	s_add_i32 s54, s54, 16
	s_clause 0x3
	buffer_load_dword v96, v98, s[0:3], 0 offen offset:8
	buffer_load_dword v97, v98, s[0:3], 0 offen offset:12
	buffer_load_dword v104, v98, s[0:3], 0 offen
	buffer_load_dword v105, v98, s[0:3], 0 offen offset:4
	v_mov_b32_e32 v98, s53
	v_cmp_eq_u32_e32 vcc_lo, 0, v95
	s_add_i32 s53, s53, 16
	ds_read_b128 v[100:103], v98
	s_or_b32 s5, vcc_lo, s5
	s_waitcnt vmcnt(2) lgkmcnt(0)
	v_mul_f64 v[106:107], v[102:103], v[96:97]
	v_mul_f64 v[96:97], v[100:101], v[96:97]
	s_waitcnt vmcnt(0)
	v_fma_f64 v[100:101], v[100:101], v[104:105], -v[106:107]
	v_fma_f64 v[96:97], v[102:103], v[104:105], v[96:97]
	v_add_f64 v[1:2], v[1:2], v[100:101]
	v_add_f64 v[3:4], v[3:4], v[96:97]
	s_andn2_b32 exec_lo, exec_lo, s5
	s_cbranch_execnz .LBB107_264
; %bb.265:
	s_or_b32 exec_lo, exec_lo, s5
.LBB107_266:
	s_or_b32 exec_lo, exec_lo, s8
	v_mov_b32_e32 v95, 0
	ds_read_b128 v[95:98], v95 offset:160
	s_waitcnt lgkmcnt(0)
	v_mul_f64 v[100:101], v[3:4], v[97:98]
	v_mul_f64 v[97:98], v[1:2], v[97:98]
	v_fma_f64 v[1:2], v[1:2], v[95:96], -v[100:101]
	v_fma_f64 v[3:4], v[3:4], v[95:96], v[97:98]
	buffer_store_dword v2, off, s[0:3], 0 offset:164
	buffer_store_dword v1, off, s[0:3], 0 offset:160
	;; [unrolled: 1-line block ×4, first 2 shown]
.LBB107_267:
	s_or_b32 exec_lo, exec_lo, s6
	v_mov_b32_e32 v4, s43
	v_cmp_lt_u32_e64 s5, 9, v0
	s_clause 0x3
	buffer_load_dword v1, v4, s[0:3], 0 offen
	buffer_load_dword v2, v4, s[0:3], 0 offen offset:4
	buffer_load_dword v3, v4, s[0:3], 0 offen offset:8
	;; [unrolled: 1-line block ×3, first 2 shown]
	s_waitcnt vmcnt(0)
	ds_write_b128 v94, v[1:4]
	s_waitcnt lgkmcnt(0)
	s_waitcnt_vscnt null, 0x0
	s_barrier
	buffer_gl0_inv
	s_and_saveexec_b32 s6, s5
	s_cbranch_execz .LBB107_275
; %bb.268:
	ds_read_b128 v[1:4], v94
	s_andn2_b32 vcc_lo, exec_lo, s52
	s_cbranch_vccnz .LBB107_270
; %bb.269:
	s_clause 0x3
	buffer_load_dword v95, v93, s[0:3], 0 offen offset:8
	buffer_load_dword v96, v93, s[0:3], 0 offen offset:12
	buffer_load_dword v97, v93, s[0:3], 0 offen
	buffer_load_dword v98, v93, s[0:3], 0 offen offset:4
	s_waitcnt vmcnt(2) lgkmcnt(0)
	v_mul_f64 v[100:101], v[3:4], v[95:96]
	v_mul_f64 v[95:96], v[1:2], v[95:96]
	s_waitcnt vmcnt(0)
	v_fma_f64 v[1:2], v[1:2], v[97:98], -v[100:101]
	v_fma_f64 v[3:4], v[3:4], v[97:98], v[95:96]
.LBB107_270:
	s_and_saveexec_b32 s8, s4
	s_cbranch_execz .LBB107_274
; %bb.271:
	v_add_nc_u32_e32 v95, -10, v0
	s_movk_i32 s53, 0x360
	s_mov_b32 s4, 0
	s_mov_b32 s54, s42
	.p2align	6
.LBB107_272:                            ; =>This Inner Loop Header: Depth=1
	v_mov_b32_e32 v98, s54
	v_add_nc_u32_e32 v95, -1, v95
	s_add_i32 s54, s54, 16
	s_clause 0x3
	buffer_load_dword v96, v98, s[0:3], 0 offen offset:8
	buffer_load_dword v97, v98, s[0:3], 0 offen offset:12
	buffer_load_dword v104, v98, s[0:3], 0 offen
	buffer_load_dword v105, v98, s[0:3], 0 offen offset:4
	v_mov_b32_e32 v98, s53
	v_cmp_eq_u32_e32 vcc_lo, 0, v95
	s_add_i32 s53, s53, 16
	ds_read_b128 v[100:103], v98
	s_or_b32 s4, vcc_lo, s4
	s_waitcnt vmcnt(2) lgkmcnt(0)
	v_mul_f64 v[106:107], v[102:103], v[96:97]
	v_mul_f64 v[96:97], v[100:101], v[96:97]
	s_waitcnt vmcnt(0)
	v_fma_f64 v[100:101], v[100:101], v[104:105], -v[106:107]
	v_fma_f64 v[96:97], v[102:103], v[104:105], v[96:97]
	v_add_f64 v[1:2], v[1:2], v[100:101]
	v_add_f64 v[3:4], v[3:4], v[96:97]
	s_andn2_b32 exec_lo, exec_lo, s4
	s_cbranch_execnz .LBB107_272
; %bb.273:
	s_or_b32 exec_lo, exec_lo, s4
.LBB107_274:
	s_or_b32 exec_lo, exec_lo, s8
	v_mov_b32_e32 v95, 0
	ds_read_b128 v[95:98], v95 offset:144
	s_waitcnt lgkmcnt(0)
	v_mul_f64 v[100:101], v[3:4], v[97:98]
	v_mul_f64 v[97:98], v[1:2], v[97:98]
	v_fma_f64 v[1:2], v[1:2], v[95:96], -v[100:101]
	v_fma_f64 v[3:4], v[3:4], v[95:96], v[97:98]
	buffer_store_dword v2, off, s[0:3], 0 offset:148
	buffer_store_dword v1, off, s[0:3], 0 offset:144
	;; [unrolled: 1-line block ×4, first 2 shown]
.LBB107_275:
	s_or_b32 exec_lo, exec_lo, s6
	v_mov_b32_e32 v4, s44
	v_cmp_lt_u32_e64 s4, 8, v0
	s_clause 0x3
	buffer_load_dword v1, v4, s[0:3], 0 offen
	buffer_load_dword v2, v4, s[0:3], 0 offen offset:4
	buffer_load_dword v3, v4, s[0:3], 0 offen offset:8
	;; [unrolled: 1-line block ×3, first 2 shown]
	s_waitcnt vmcnt(0)
	ds_write_b128 v94, v[1:4]
	s_waitcnt lgkmcnt(0)
	s_waitcnt_vscnt null, 0x0
	s_barrier
	buffer_gl0_inv
	s_and_saveexec_b32 s6, s4
	s_cbranch_execz .LBB107_283
; %bb.276:
	ds_read_b128 v[1:4], v94
	s_andn2_b32 vcc_lo, exec_lo, s52
	s_cbranch_vccnz .LBB107_278
; %bb.277:
	s_clause 0x3
	buffer_load_dword v95, v93, s[0:3], 0 offen offset:8
	buffer_load_dword v96, v93, s[0:3], 0 offen offset:12
	buffer_load_dword v97, v93, s[0:3], 0 offen
	buffer_load_dword v98, v93, s[0:3], 0 offen offset:4
	s_waitcnt vmcnt(2) lgkmcnt(0)
	v_mul_f64 v[100:101], v[3:4], v[95:96]
	v_mul_f64 v[95:96], v[1:2], v[95:96]
	s_waitcnt vmcnt(0)
	v_fma_f64 v[1:2], v[1:2], v[97:98], -v[100:101]
	v_fma_f64 v[3:4], v[3:4], v[97:98], v[95:96]
.LBB107_278:
	s_and_saveexec_b32 s8, s5
	s_cbranch_execz .LBB107_282
; %bb.279:
	v_add_nc_u32_e32 v95, -9, v0
	s_movk_i32 s53, 0x350
	s_mov_b32 s5, 0
	s_mov_b32 s54, s43
	.p2align	6
.LBB107_280:                            ; =>This Inner Loop Header: Depth=1
	v_mov_b32_e32 v98, s54
	v_add_nc_u32_e32 v95, -1, v95
	s_add_i32 s54, s54, 16
	s_clause 0x3
	buffer_load_dword v96, v98, s[0:3], 0 offen offset:8
	buffer_load_dword v97, v98, s[0:3], 0 offen offset:12
	buffer_load_dword v104, v98, s[0:3], 0 offen
	buffer_load_dword v105, v98, s[0:3], 0 offen offset:4
	v_mov_b32_e32 v98, s53
	v_cmp_eq_u32_e32 vcc_lo, 0, v95
	s_add_i32 s53, s53, 16
	ds_read_b128 v[100:103], v98
	s_or_b32 s5, vcc_lo, s5
	s_waitcnt vmcnt(2) lgkmcnt(0)
	v_mul_f64 v[106:107], v[102:103], v[96:97]
	v_mul_f64 v[96:97], v[100:101], v[96:97]
	s_waitcnt vmcnt(0)
	v_fma_f64 v[100:101], v[100:101], v[104:105], -v[106:107]
	v_fma_f64 v[96:97], v[102:103], v[104:105], v[96:97]
	v_add_f64 v[1:2], v[1:2], v[100:101]
	v_add_f64 v[3:4], v[3:4], v[96:97]
	s_andn2_b32 exec_lo, exec_lo, s5
	s_cbranch_execnz .LBB107_280
; %bb.281:
	s_or_b32 exec_lo, exec_lo, s5
.LBB107_282:
	s_or_b32 exec_lo, exec_lo, s8
	v_mov_b32_e32 v95, 0
	ds_read_b128 v[95:98], v95 offset:128
	s_waitcnt lgkmcnt(0)
	v_mul_f64 v[100:101], v[3:4], v[97:98]
	v_mul_f64 v[97:98], v[1:2], v[97:98]
	v_fma_f64 v[1:2], v[1:2], v[95:96], -v[100:101]
	v_fma_f64 v[3:4], v[3:4], v[95:96], v[97:98]
	buffer_store_dword v2, off, s[0:3], 0 offset:132
	buffer_store_dword v1, off, s[0:3], 0 offset:128
	;; [unrolled: 1-line block ×4, first 2 shown]
.LBB107_283:
	s_or_b32 exec_lo, exec_lo, s6
	v_mov_b32_e32 v4, s45
	v_cmp_lt_u32_e64 s5, 7, v0
	s_clause 0x3
	buffer_load_dword v1, v4, s[0:3], 0 offen
	buffer_load_dword v2, v4, s[0:3], 0 offen offset:4
	buffer_load_dword v3, v4, s[0:3], 0 offen offset:8
	;; [unrolled: 1-line block ×3, first 2 shown]
	s_waitcnt vmcnt(0)
	ds_write_b128 v94, v[1:4]
	s_waitcnt lgkmcnt(0)
	s_waitcnt_vscnt null, 0x0
	s_barrier
	buffer_gl0_inv
	s_and_saveexec_b32 s6, s5
	s_cbranch_execz .LBB107_291
; %bb.284:
	ds_read_b128 v[1:4], v94
	s_andn2_b32 vcc_lo, exec_lo, s52
	s_cbranch_vccnz .LBB107_286
; %bb.285:
	s_clause 0x3
	buffer_load_dword v95, v93, s[0:3], 0 offen offset:8
	buffer_load_dword v96, v93, s[0:3], 0 offen offset:12
	buffer_load_dword v97, v93, s[0:3], 0 offen
	buffer_load_dword v98, v93, s[0:3], 0 offen offset:4
	s_waitcnt vmcnt(2) lgkmcnt(0)
	v_mul_f64 v[100:101], v[3:4], v[95:96]
	v_mul_f64 v[95:96], v[1:2], v[95:96]
	s_waitcnt vmcnt(0)
	v_fma_f64 v[1:2], v[1:2], v[97:98], -v[100:101]
	v_fma_f64 v[3:4], v[3:4], v[97:98], v[95:96]
.LBB107_286:
	s_and_saveexec_b32 s8, s4
	s_cbranch_execz .LBB107_290
; %bb.287:
	v_add_nc_u32_e32 v95, -8, v0
	s_movk_i32 s53, 0x340
	s_mov_b32 s4, 0
	s_mov_b32 s54, s44
	.p2align	6
.LBB107_288:                            ; =>This Inner Loop Header: Depth=1
	v_mov_b32_e32 v98, s54
	v_add_nc_u32_e32 v95, -1, v95
	s_add_i32 s54, s54, 16
	s_clause 0x3
	buffer_load_dword v96, v98, s[0:3], 0 offen offset:8
	buffer_load_dword v97, v98, s[0:3], 0 offen offset:12
	buffer_load_dword v104, v98, s[0:3], 0 offen
	buffer_load_dword v105, v98, s[0:3], 0 offen offset:4
	v_mov_b32_e32 v98, s53
	v_cmp_eq_u32_e32 vcc_lo, 0, v95
	s_add_i32 s53, s53, 16
	ds_read_b128 v[100:103], v98
	s_or_b32 s4, vcc_lo, s4
	s_waitcnt vmcnt(2) lgkmcnt(0)
	v_mul_f64 v[106:107], v[102:103], v[96:97]
	v_mul_f64 v[96:97], v[100:101], v[96:97]
	s_waitcnt vmcnt(0)
	v_fma_f64 v[100:101], v[100:101], v[104:105], -v[106:107]
	v_fma_f64 v[96:97], v[102:103], v[104:105], v[96:97]
	v_add_f64 v[1:2], v[1:2], v[100:101]
	v_add_f64 v[3:4], v[3:4], v[96:97]
	s_andn2_b32 exec_lo, exec_lo, s4
	s_cbranch_execnz .LBB107_288
; %bb.289:
	s_or_b32 exec_lo, exec_lo, s4
.LBB107_290:
	s_or_b32 exec_lo, exec_lo, s8
	v_mov_b32_e32 v95, 0
	ds_read_b128 v[95:98], v95 offset:112
	s_waitcnt lgkmcnt(0)
	v_mul_f64 v[100:101], v[3:4], v[97:98]
	v_mul_f64 v[97:98], v[1:2], v[97:98]
	v_fma_f64 v[1:2], v[1:2], v[95:96], -v[100:101]
	v_fma_f64 v[3:4], v[3:4], v[95:96], v[97:98]
	buffer_store_dword v2, off, s[0:3], 0 offset:116
	buffer_store_dword v1, off, s[0:3], 0 offset:112
	;; [unrolled: 1-line block ×4, first 2 shown]
.LBB107_291:
	s_or_b32 exec_lo, exec_lo, s6
	v_mov_b32_e32 v4, s46
	v_cmp_lt_u32_e64 s4, 6, v0
	s_clause 0x3
	buffer_load_dword v1, v4, s[0:3], 0 offen
	buffer_load_dword v2, v4, s[0:3], 0 offen offset:4
	buffer_load_dword v3, v4, s[0:3], 0 offen offset:8
	;; [unrolled: 1-line block ×3, first 2 shown]
	s_waitcnt vmcnt(0)
	ds_write_b128 v94, v[1:4]
	s_waitcnt lgkmcnt(0)
	s_waitcnt_vscnt null, 0x0
	s_barrier
	buffer_gl0_inv
	s_and_saveexec_b32 s6, s4
	s_cbranch_execz .LBB107_299
; %bb.292:
	ds_read_b128 v[1:4], v94
	s_andn2_b32 vcc_lo, exec_lo, s52
	s_cbranch_vccnz .LBB107_294
; %bb.293:
	s_clause 0x3
	buffer_load_dword v95, v93, s[0:3], 0 offen offset:8
	buffer_load_dword v96, v93, s[0:3], 0 offen offset:12
	buffer_load_dword v97, v93, s[0:3], 0 offen
	buffer_load_dword v98, v93, s[0:3], 0 offen offset:4
	s_waitcnt vmcnt(2) lgkmcnt(0)
	v_mul_f64 v[100:101], v[3:4], v[95:96]
	v_mul_f64 v[95:96], v[1:2], v[95:96]
	s_waitcnt vmcnt(0)
	v_fma_f64 v[1:2], v[1:2], v[97:98], -v[100:101]
	v_fma_f64 v[3:4], v[3:4], v[97:98], v[95:96]
.LBB107_294:
	s_and_saveexec_b32 s8, s5
	s_cbranch_execz .LBB107_298
; %bb.295:
	v_add_nc_u32_e32 v95, -7, v0
	s_movk_i32 s53, 0x330
	s_mov_b32 s5, 0
	s_mov_b32 s54, s45
	.p2align	6
.LBB107_296:                            ; =>This Inner Loop Header: Depth=1
	v_mov_b32_e32 v98, s54
	v_add_nc_u32_e32 v95, -1, v95
	s_add_i32 s54, s54, 16
	s_clause 0x3
	buffer_load_dword v96, v98, s[0:3], 0 offen offset:8
	buffer_load_dword v97, v98, s[0:3], 0 offen offset:12
	buffer_load_dword v104, v98, s[0:3], 0 offen
	buffer_load_dword v105, v98, s[0:3], 0 offen offset:4
	v_mov_b32_e32 v98, s53
	v_cmp_eq_u32_e32 vcc_lo, 0, v95
	s_add_i32 s53, s53, 16
	ds_read_b128 v[100:103], v98
	s_or_b32 s5, vcc_lo, s5
	s_waitcnt vmcnt(2) lgkmcnt(0)
	v_mul_f64 v[106:107], v[102:103], v[96:97]
	v_mul_f64 v[96:97], v[100:101], v[96:97]
	s_waitcnt vmcnt(0)
	v_fma_f64 v[100:101], v[100:101], v[104:105], -v[106:107]
	v_fma_f64 v[96:97], v[102:103], v[104:105], v[96:97]
	v_add_f64 v[1:2], v[1:2], v[100:101]
	v_add_f64 v[3:4], v[3:4], v[96:97]
	s_andn2_b32 exec_lo, exec_lo, s5
	s_cbranch_execnz .LBB107_296
; %bb.297:
	s_or_b32 exec_lo, exec_lo, s5
.LBB107_298:
	s_or_b32 exec_lo, exec_lo, s8
	v_mov_b32_e32 v95, 0
	ds_read_b128 v[95:98], v95 offset:96
	s_waitcnt lgkmcnt(0)
	v_mul_f64 v[100:101], v[3:4], v[97:98]
	v_mul_f64 v[97:98], v[1:2], v[97:98]
	v_fma_f64 v[1:2], v[1:2], v[95:96], -v[100:101]
	v_fma_f64 v[3:4], v[3:4], v[95:96], v[97:98]
	buffer_store_dword v2, off, s[0:3], 0 offset:100
	buffer_store_dword v1, off, s[0:3], 0 offset:96
	;; [unrolled: 1-line block ×4, first 2 shown]
.LBB107_299:
	s_or_b32 exec_lo, exec_lo, s6
	v_mov_b32_e32 v4, s47
	v_cmp_lt_u32_e64 s5, 5, v0
	s_clause 0x3
	buffer_load_dword v1, v4, s[0:3], 0 offen
	buffer_load_dword v2, v4, s[0:3], 0 offen offset:4
	buffer_load_dword v3, v4, s[0:3], 0 offen offset:8
	;; [unrolled: 1-line block ×3, first 2 shown]
	s_waitcnt vmcnt(0)
	ds_write_b128 v94, v[1:4]
	s_waitcnt lgkmcnt(0)
	s_waitcnt_vscnt null, 0x0
	s_barrier
	buffer_gl0_inv
	s_and_saveexec_b32 s6, s5
	s_cbranch_execz .LBB107_307
; %bb.300:
	ds_read_b128 v[1:4], v94
	s_andn2_b32 vcc_lo, exec_lo, s52
	s_cbranch_vccnz .LBB107_302
; %bb.301:
	s_clause 0x3
	buffer_load_dword v95, v93, s[0:3], 0 offen offset:8
	buffer_load_dword v96, v93, s[0:3], 0 offen offset:12
	buffer_load_dword v97, v93, s[0:3], 0 offen
	buffer_load_dword v98, v93, s[0:3], 0 offen offset:4
	s_waitcnt vmcnt(2) lgkmcnt(0)
	v_mul_f64 v[100:101], v[3:4], v[95:96]
	v_mul_f64 v[95:96], v[1:2], v[95:96]
	s_waitcnt vmcnt(0)
	v_fma_f64 v[1:2], v[1:2], v[97:98], -v[100:101]
	v_fma_f64 v[3:4], v[3:4], v[97:98], v[95:96]
.LBB107_302:
	s_and_saveexec_b32 s8, s4
	s_cbranch_execz .LBB107_306
; %bb.303:
	v_add_nc_u32_e32 v95, -6, v0
	s_movk_i32 s53, 0x320
	s_mov_b32 s4, 0
	s_mov_b32 s54, s46
	.p2align	6
.LBB107_304:                            ; =>This Inner Loop Header: Depth=1
	v_mov_b32_e32 v98, s54
	v_add_nc_u32_e32 v95, -1, v95
	s_add_i32 s54, s54, 16
	s_clause 0x3
	buffer_load_dword v96, v98, s[0:3], 0 offen offset:8
	buffer_load_dword v97, v98, s[0:3], 0 offen offset:12
	buffer_load_dword v104, v98, s[0:3], 0 offen
	buffer_load_dword v105, v98, s[0:3], 0 offen offset:4
	v_mov_b32_e32 v98, s53
	v_cmp_eq_u32_e32 vcc_lo, 0, v95
	s_add_i32 s53, s53, 16
	ds_read_b128 v[100:103], v98
	s_or_b32 s4, vcc_lo, s4
	s_waitcnt vmcnt(2) lgkmcnt(0)
	v_mul_f64 v[106:107], v[102:103], v[96:97]
	v_mul_f64 v[96:97], v[100:101], v[96:97]
	s_waitcnt vmcnt(0)
	v_fma_f64 v[100:101], v[100:101], v[104:105], -v[106:107]
	v_fma_f64 v[96:97], v[102:103], v[104:105], v[96:97]
	v_add_f64 v[1:2], v[1:2], v[100:101]
	v_add_f64 v[3:4], v[3:4], v[96:97]
	s_andn2_b32 exec_lo, exec_lo, s4
	s_cbranch_execnz .LBB107_304
; %bb.305:
	s_or_b32 exec_lo, exec_lo, s4
.LBB107_306:
	s_or_b32 exec_lo, exec_lo, s8
	v_mov_b32_e32 v95, 0
	ds_read_b128 v[95:98], v95 offset:80
	s_waitcnt lgkmcnt(0)
	v_mul_f64 v[100:101], v[3:4], v[97:98]
	v_mul_f64 v[97:98], v[1:2], v[97:98]
	v_fma_f64 v[1:2], v[1:2], v[95:96], -v[100:101]
	v_fma_f64 v[3:4], v[3:4], v[95:96], v[97:98]
	buffer_store_dword v2, off, s[0:3], 0 offset:84
	buffer_store_dword v1, off, s[0:3], 0 offset:80
	;; [unrolled: 1-line block ×4, first 2 shown]
.LBB107_307:
	s_or_b32 exec_lo, exec_lo, s6
	v_mov_b32_e32 v4, s48
	v_cmp_lt_u32_e64 s4, 4, v0
	s_clause 0x3
	buffer_load_dword v1, v4, s[0:3], 0 offen
	buffer_load_dword v2, v4, s[0:3], 0 offen offset:4
	buffer_load_dword v3, v4, s[0:3], 0 offen offset:8
	;; [unrolled: 1-line block ×3, first 2 shown]
	s_waitcnt vmcnt(0)
	ds_write_b128 v94, v[1:4]
	s_waitcnt lgkmcnt(0)
	s_waitcnt_vscnt null, 0x0
	s_barrier
	buffer_gl0_inv
	s_and_saveexec_b32 s6, s4
	s_cbranch_execz .LBB107_315
; %bb.308:
	ds_read_b128 v[1:4], v94
	s_andn2_b32 vcc_lo, exec_lo, s52
	s_cbranch_vccnz .LBB107_310
; %bb.309:
	s_clause 0x3
	buffer_load_dword v95, v93, s[0:3], 0 offen offset:8
	buffer_load_dword v96, v93, s[0:3], 0 offen offset:12
	buffer_load_dword v97, v93, s[0:3], 0 offen
	buffer_load_dword v98, v93, s[0:3], 0 offen offset:4
	s_waitcnt vmcnt(2) lgkmcnt(0)
	v_mul_f64 v[100:101], v[3:4], v[95:96]
	v_mul_f64 v[95:96], v[1:2], v[95:96]
	s_waitcnt vmcnt(0)
	v_fma_f64 v[1:2], v[1:2], v[97:98], -v[100:101]
	v_fma_f64 v[3:4], v[3:4], v[97:98], v[95:96]
.LBB107_310:
	s_and_saveexec_b32 s8, s5
	s_cbranch_execz .LBB107_314
; %bb.311:
	v_add_nc_u32_e32 v95, -5, v0
	s_movk_i32 s53, 0x310
	s_mov_b32 s5, 0
	s_mov_b32 s54, s47
	.p2align	6
.LBB107_312:                            ; =>This Inner Loop Header: Depth=1
	v_mov_b32_e32 v98, s54
	v_add_nc_u32_e32 v95, -1, v95
	s_add_i32 s54, s54, 16
	s_clause 0x3
	buffer_load_dword v96, v98, s[0:3], 0 offen offset:8
	buffer_load_dword v97, v98, s[0:3], 0 offen offset:12
	buffer_load_dword v104, v98, s[0:3], 0 offen
	buffer_load_dword v105, v98, s[0:3], 0 offen offset:4
	v_mov_b32_e32 v98, s53
	v_cmp_eq_u32_e32 vcc_lo, 0, v95
	s_add_i32 s53, s53, 16
	ds_read_b128 v[100:103], v98
	s_or_b32 s5, vcc_lo, s5
	s_waitcnt vmcnt(2) lgkmcnt(0)
	v_mul_f64 v[106:107], v[102:103], v[96:97]
	v_mul_f64 v[96:97], v[100:101], v[96:97]
	s_waitcnt vmcnt(0)
	v_fma_f64 v[100:101], v[100:101], v[104:105], -v[106:107]
	v_fma_f64 v[96:97], v[102:103], v[104:105], v[96:97]
	v_add_f64 v[1:2], v[1:2], v[100:101]
	v_add_f64 v[3:4], v[3:4], v[96:97]
	s_andn2_b32 exec_lo, exec_lo, s5
	s_cbranch_execnz .LBB107_312
; %bb.313:
	s_or_b32 exec_lo, exec_lo, s5
.LBB107_314:
	s_or_b32 exec_lo, exec_lo, s8
	v_mov_b32_e32 v95, 0
	ds_read_b128 v[95:98], v95 offset:64
	s_waitcnt lgkmcnt(0)
	v_mul_f64 v[100:101], v[3:4], v[97:98]
	v_mul_f64 v[97:98], v[1:2], v[97:98]
	v_fma_f64 v[1:2], v[1:2], v[95:96], -v[100:101]
	v_fma_f64 v[3:4], v[3:4], v[95:96], v[97:98]
	buffer_store_dword v2, off, s[0:3], 0 offset:68
	buffer_store_dword v1, off, s[0:3], 0 offset:64
	;; [unrolled: 1-line block ×4, first 2 shown]
.LBB107_315:
	s_or_b32 exec_lo, exec_lo, s6
	v_mov_b32_e32 v4, s49
	v_cmp_lt_u32_e64 s5, 3, v0
	s_clause 0x3
	buffer_load_dword v1, v4, s[0:3], 0 offen
	buffer_load_dword v2, v4, s[0:3], 0 offen offset:4
	buffer_load_dword v3, v4, s[0:3], 0 offen offset:8
	;; [unrolled: 1-line block ×3, first 2 shown]
	s_waitcnt vmcnt(0)
	ds_write_b128 v94, v[1:4]
	s_waitcnt lgkmcnt(0)
	s_waitcnt_vscnt null, 0x0
	s_barrier
	buffer_gl0_inv
	s_and_saveexec_b32 s6, s5
	s_cbranch_execz .LBB107_323
; %bb.316:
	ds_read_b128 v[1:4], v94
	s_andn2_b32 vcc_lo, exec_lo, s52
	s_cbranch_vccnz .LBB107_318
; %bb.317:
	s_clause 0x3
	buffer_load_dword v95, v93, s[0:3], 0 offen offset:8
	buffer_load_dword v96, v93, s[0:3], 0 offen offset:12
	buffer_load_dword v97, v93, s[0:3], 0 offen
	buffer_load_dword v98, v93, s[0:3], 0 offen offset:4
	s_waitcnt vmcnt(2) lgkmcnt(0)
	v_mul_f64 v[100:101], v[3:4], v[95:96]
	v_mul_f64 v[95:96], v[1:2], v[95:96]
	s_waitcnt vmcnt(0)
	v_fma_f64 v[1:2], v[1:2], v[97:98], -v[100:101]
	v_fma_f64 v[3:4], v[3:4], v[97:98], v[95:96]
.LBB107_318:
	s_and_saveexec_b32 s8, s4
	s_cbranch_execz .LBB107_322
; %bb.319:
	v_add_nc_u32_e32 v95, -4, v0
	s_movk_i32 s53, 0x300
	s_mov_b32 s4, 0
	s_mov_b32 s54, s48
	.p2align	6
.LBB107_320:                            ; =>This Inner Loop Header: Depth=1
	v_mov_b32_e32 v98, s54
	v_add_nc_u32_e32 v95, -1, v95
	s_add_i32 s54, s54, 16
	s_clause 0x3
	buffer_load_dword v96, v98, s[0:3], 0 offen offset:8
	buffer_load_dword v97, v98, s[0:3], 0 offen offset:12
	buffer_load_dword v104, v98, s[0:3], 0 offen
	buffer_load_dword v105, v98, s[0:3], 0 offen offset:4
	v_mov_b32_e32 v98, s53
	v_cmp_eq_u32_e32 vcc_lo, 0, v95
	s_add_i32 s53, s53, 16
	ds_read_b128 v[100:103], v98
	s_or_b32 s4, vcc_lo, s4
	s_waitcnt vmcnt(2) lgkmcnt(0)
	v_mul_f64 v[106:107], v[102:103], v[96:97]
	v_mul_f64 v[96:97], v[100:101], v[96:97]
	s_waitcnt vmcnt(0)
	v_fma_f64 v[100:101], v[100:101], v[104:105], -v[106:107]
	v_fma_f64 v[96:97], v[102:103], v[104:105], v[96:97]
	v_add_f64 v[1:2], v[1:2], v[100:101]
	v_add_f64 v[3:4], v[3:4], v[96:97]
	s_andn2_b32 exec_lo, exec_lo, s4
	s_cbranch_execnz .LBB107_320
; %bb.321:
	s_or_b32 exec_lo, exec_lo, s4
.LBB107_322:
	s_or_b32 exec_lo, exec_lo, s8
	v_mov_b32_e32 v95, 0
	ds_read_b128 v[95:98], v95 offset:48
	s_waitcnt lgkmcnt(0)
	v_mul_f64 v[100:101], v[3:4], v[97:98]
	v_mul_f64 v[97:98], v[1:2], v[97:98]
	v_fma_f64 v[1:2], v[1:2], v[95:96], -v[100:101]
	v_fma_f64 v[3:4], v[3:4], v[95:96], v[97:98]
	buffer_store_dword v2, off, s[0:3], 0 offset:52
	buffer_store_dword v1, off, s[0:3], 0 offset:48
	;; [unrolled: 1-line block ×4, first 2 shown]
.LBB107_323:
	s_or_b32 exec_lo, exec_lo, s6
	v_mov_b32_e32 v4, s50
	v_cmp_lt_u32_e64 s6, 2, v0
	s_clause 0x3
	buffer_load_dword v1, v4, s[0:3], 0 offen
	buffer_load_dword v2, v4, s[0:3], 0 offen offset:4
	buffer_load_dword v3, v4, s[0:3], 0 offen offset:8
	;; [unrolled: 1-line block ×3, first 2 shown]
	s_waitcnt vmcnt(0)
	ds_write_b128 v94, v[1:4]
	s_waitcnt lgkmcnt(0)
	s_waitcnt_vscnt null, 0x0
	s_barrier
	buffer_gl0_inv
	s_and_saveexec_b32 s4, s6
	s_cbranch_execz .LBB107_331
; %bb.324:
	ds_read_b128 v[1:4], v94
	s_andn2_b32 vcc_lo, exec_lo, s52
	s_cbranch_vccnz .LBB107_326
; %bb.325:
	s_clause 0x3
	buffer_load_dword v95, v93, s[0:3], 0 offen offset:8
	buffer_load_dword v96, v93, s[0:3], 0 offen offset:12
	buffer_load_dword v97, v93, s[0:3], 0 offen
	buffer_load_dword v98, v93, s[0:3], 0 offen offset:4
	s_waitcnt vmcnt(2) lgkmcnt(0)
	v_mul_f64 v[100:101], v[3:4], v[95:96]
	v_mul_f64 v[95:96], v[1:2], v[95:96]
	s_waitcnt vmcnt(0)
	v_fma_f64 v[1:2], v[1:2], v[97:98], -v[100:101]
	v_fma_f64 v[3:4], v[3:4], v[97:98], v[95:96]
.LBB107_326:
	s_and_saveexec_b32 s8, s5
	s_cbranch_execz .LBB107_330
; %bb.327:
	v_add_nc_u32_e32 v95, -3, v0
	s_movk_i32 s53, 0x2f0
	s_mov_b32 s5, 0
	s_mov_b32 s54, s49
	.p2align	6
.LBB107_328:                            ; =>This Inner Loop Header: Depth=1
	v_mov_b32_e32 v98, s54
	v_add_nc_u32_e32 v95, -1, v95
	s_add_i32 s54, s54, 16
	s_clause 0x3
	buffer_load_dword v96, v98, s[0:3], 0 offen offset:8
	buffer_load_dword v97, v98, s[0:3], 0 offen offset:12
	buffer_load_dword v104, v98, s[0:3], 0 offen
	buffer_load_dword v105, v98, s[0:3], 0 offen offset:4
	v_mov_b32_e32 v98, s53
	v_cmp_eq_u32_e32 vcc_lo, 0, v95
	s_add_i32 s53, s53, 16
	ds_read_b128 v[100:103], v98
	s_or_b32 s5, vcc_lo, s5
	s_waitcnt vmcnt(2) lgkmcnt(0)
	v_mul_f64 v[106:107], v[102:103], v[96:97]
	v_mul_f64 v[96:97], v[100:101], v[96:97]
	s_waitcnt vmcnt(0)
	v_fma_f64 v[100:101], v[100:101], v[104:105], -v[106:107]
	v_fma_f64 v[96:97], v[102:103], v[104:105], v[96:97]
	v_add_f64 v[1:2], v[1:2], v[100:101]
	v_add_f64 v[3:4], v[3:4], v[96:97]
	s_andn2_b32 exec_lo, exec_lo, s5
	s_cbranch_execnz .LBB107_328
; %bb.329:
	s_or_b32 exec_lo, exec_lo, s5
.LBB107_330:
	s_or_b32 exec_lo, exec_lo, s8
	v_mov_b32_e32 v95, 0
	ds_read_b128 v[95:98], v95 offset:32
	s_waitcnt lgkmcnt(0)
	v_mul_f64 v[100:101], v[3:4], v[97:98]
	v_mul_f64 v[97:98], v[1:2], v[97:98]
	v_fma_f64 v[1:2], v[1:2], v[95:96], -v[100:101]
	v_fma_f64 v[3:4], v[3:4], v[95:96], v[97:98]
	buffer_store_dword v2, off, s[0:3], 0 offset:36
	buffer_store_dword v1, off, s[0:3], 0 offset:32
	;; [unrolled: 1-line block ×4, first 2 shown]
.LBB107_331:
	s_or_b32 exec_lo, exec_lo, s4
	v_mov_b32_e32 v4, s51
	v_cmp_lt_u32_e64 s4, 1, v0
	s_clause 0x3
	buffer_load_dword v1, v4, s[0:3], 0 offen
	buffer_load_dword v2, v4, s[0:3], 0 offen offset:4
	buffer_load_dword v3, v4, s[0:3], 0 offen offset:8
	;; [unrolled: 1-line block ×3, first 2 shown]
	s_waitcnt vmcnt(0)
	ds_write_b128 v94, v[1:4]
	s_waitcnt lgkmcnt(0)
	s_waitcnt_vscnt null, 0x0
	s_barrier
	buffer_gl0_inv
	s_and_saveexec_b32 s5, s4
	s_cbranch_execz .LBB107_339
; %bb.332:
	ds_read_b128 v[1:4], v94
	s_andn2_b32 vcc_lo, exec_lo, s52
	s_cbranch_vccnz .LBB107_334
; %bb.333:
	s_clause 0x3
	buffer_load_dword v95, v93, s[0:3], 0 offen offset:8
	buffer_load_dword v96, v93, s[0:3], 0 offen offset:12
	buffer_load_dword v97, v93, s[0:3], 0 offen
	buffer_load_dword v98, v93, s[0:3], 0 offen offset:4
	s_waitcnt vmcnt(2) lgkmcnt(0)
	v_mul_f64 v[100:101], v[3:4], v[95:96]
	v_mul_f64 v[95:96], v[1:2], v[95:96]
	s_waitcnt vmcnt(0)
	v_fma_f64 v[1:2], v[1:2], v[97:98], -v[100:101]
	v_fma_f64 v[3:4], v[3:4], v[97:98], v[95:96]
.LBB107_334:
	s_and_saveexec_b32 s8, s6
	s_cbranch_execz .LBB107_338
; %bb.335:
	v_add_nc_u32_e32 v95, -2, v0
	s_movk_i32 s53, 0x2e0
	s_mov_b32 s6, 0
	s_mov_b32 s54, s50
	.p2align	6
.LBB107_336:                            ; =>This Inner Loop Header: Depth=1
	v_mov_b32_e32 v98, s54
	v_add_nc_u32_e32 v95, -1, v95
	s_add_i32 s54, s54, 16
	s_clause 0x3
	buffer_load_dword v96, v98, s[0:3], 0 offen offset:8
	buffer_load_dword v97, v98, s[0:3], 0 offen offset:12
	buffer_load_dword v104, v98, s[0:3], 0 offen
	buffer_load_dword v105, v98, s[0:3], 0 offen offset:4
	v_mov_b32_e32 v98, s53
	v_cmp_eq_u32_e32 vcc_lo, 0, v95
	s_add_i32 s53, s53, 16
	ds_read_b128 v[100:103], v98
	s_or_b32 s6, vcc_lo, s6
	s_waitcnt vmcnt(2) lgkmcnt(0)
	v_mul_f64 v[106:107], v[102:103], v[96:97]
	v_mul_f64 v[96:97], v[100:101], v[96:97]
	s_waitcnt vmcnt(0)
	v_fma_f64 v[100:101], v[100:101], v[104:105], -v[106:107]
	v_fma_f64 v[96:97], v[102:103], v[104:105], v[96:97]
	v_add_f64 v[1:2], v[1:2], v[100:101]
	v_add_f64 v[3:4], v[3:4], v[96:97]
	s_andn2_b32 exec_lo, exec_lo, s6
	s_cbranch_execnz .LBB107_336
; %bb.337:
	s_or_b32 exec_lo, exec_lo, s6
.LBB107_338:
	s_or_b32 exec_lo, exec_lo, s8
	v_mov_b32_e32 v95, 0
	ds_read_b128 v[95:98], v95 offset:16
	s_waitcnt lgkmcnt(0)
	v_mul_f64 v[100:101], v[3:4], v[97:98]
	v_mul_f64 v[97:98], v[1:2], v[97:98]
	v_fma_f64 v[1:2], v[1:2], v[95:96], -v[100:101]
	v_fma_f64 v[3:4], v[3:4], v[95:96], v[97:98]
	buffer_store_dword v2, off, s[0:3], 0 offset:20
	buffer_store_dword v1, off, s[0:3], 0 offset:16
	;; [unrolled: 1-line block ×4, first 2 shown]
.LBB107_339:
	s_or_b32 exec_lo, exec_lo, s5
	s_clause 0x3
	buffer_load_dword v1, off, s[0:3], 0
	buffer_load_dword v2, off, s[0:3], 0 offset:4
	buffer_load_dword v3, off, s[0:3], 0 offset:8
	;; [unrolled: 1-line block ×3, first 2 shown]
	s_mov_b32 s6, 0
	s_mov_b32 s5, 0
	s_mov_b32 s8, exec_lo
                                        ; implicit-def: $sgpr53
	s_waitcnt vmcnt(0)
	ds_write_b128 v94, v[1:4]
	s_waitcnt lgkmcnt(0)
	s_waitcnt_vscnt null, 0x0
	s_barrier
	buffer_gl0_inv
                                        ; implicit-def: $vgpr1_vgpr2
	v_cmpx_ne_u32_e32 0, v0
	s_cbranch_execz .LBB107_347
; %bb.340:
	ds_read_b128 v[1:4], v94
	s_andn2_b32 vcc_lo, exec_lo, s52
	s_cbranch_vccnz .LBB107_342
; %bb.341:
	s_clause 0x3
	buffer_load_dword v95, v93, s[0:3], 0 offen offset:8
	buffer_load_dword v96, v93, s[0:3], 0 offen offset:12
	buffer_load_dword v97, v93, s[0:3], 0 offen
	buffer_load_dword v98, v93, s[0:3], 0 offen offset:4
	s_waitcnt vmcnt(2) lgkmcnt(0)
	v_mul_f64 v[100:101], v[3:4], v[95:96]
	v_mul_f64 v[95:96], v[1:2], v[95:96]
	s_waitcnt vmcnt(0)
	v_fma_f64 v[1:2], v[1:2], v[97:98], -v[100:101]
	v_fma_f64 v[3:4], v[3:4], v[97:98], v[95:96]
.LBB107_342:
	s_and_saveexec_b32 s5, s4
	s_cbranch_execz .LBB107_346
; %bb.343:
	v_add_nc_u32_e32 v95, -1, v0
	s_movk_i32 s53, 0x2d0
	s_mov_b32 s4, 0
	s_mov_b32 s54, s51
	.p2align	6
.LBB107_344:                            ; =>This Inner Loop Header: Depth=1
	v_mov_b32_e32 v98, s54
	v_add_nc_u32_e32 v95, -1, v95
	s_add_i32 s54, s54, 16
	s_clause 0x3
	buffer_load_dword v96, v98, s[0:3], 0 offen offset:8
	buffer_load_dword v97, v98, s[0:3], 0 offen offset:12
	buffer_load_dword v104, v98, s[0:3], 0 offen
	buffer_load_dword v105, v98, s[0:3], 0 offen offset:4
	v_mov_b32_e32 v98, s53
	v_cmp_eq_u32_e32 vcc_lo, 0, v95
	s_add_i32 s53, s53, 16
	ds_read_b128 v[100:103], v98
	s_or_b32 s4, vcc_lo, s4
	s_waitcnt vmcnt(2) lgkmcnt(0)
	v_mul_f64 v[106:107], v[102:103], v[96:97]
	v_mul_f64 v[96:97], v[100:101], v[96:97]
	s_waitcnt vmcnt(0)
	v_fma_f64 v[100:101], v[100:101], v[104:105], -v[106:107]
	v_fma_f64 v[96:97], v[102:103], v[104:105], v[96:97]
	v_add_f64 v[1:2], v[1:2], v[100:101]
	v_add_f64 v[3:4], v[3:4], v[96:97]
	s_andn2_b32 exec_lo, exec_lo, s4
	s_cbranch_execnz .LBB107_344
; %bb.345:
	s_or_b32 exec_lo, exec_lo, s4
.LBB107_346:
	s_or_b32 exec_lo, exec_lo, s5
	v_mov_b32_e32 v95, 0
	s_mov_b32 s5, exec_lo
	s_or_b32 s53, 0, 8
	ds_read_b128 v[95:98], v95
	s_waitcnt lgkmcnt(0)
	v_mul_f64 v[100:101], v[3:4], v[97:98]
	v_mul_f64 v[97:98], v[1:2], v[97:98]
	v_fma_f64 v[100:101], v[1:2], v[95:96], -v[100:101]
	v_fma_f64 v[1:2], v[3:4], v[95:96], v[97:98]
	buffer_store_dword v101, off, s[0:3], 0 offset:4
	buffer_store_dword v100, off, s[0:3], 0
.LBB107_347:
	s_or_b32 exec_lo, exec_lo, s8
	s_and_b32 vcc_lo, exec_lo, s6
	s_cbranch_vccnz .LBB107_349
	s_branch .LBB107_688
.LBB107_348:
	s_mov_b32 s5, 0
                                        ; implicit-def: $vgpr1_vgpr2
                                        ; implicit-def: $sgpr53
	s_cbranch_execz .LBB107_688
.LBB107_349:
	v_mov_b32_e32 v4, s51
	v_cmp_eq_u32_e64 s4, 0, v0
	v_cndmask_b32_e64 v95, 0, 1, s52
	s_clause 0x3
	buffer_load_dword v1, v4, s[0:3], 0 offen
	buffer_load_dword v2, v4, s[0:3], 0 offen offset:4
	buffer_load_dword v3, v4, s[0:3], 0 offen offset:8
	;; [unrolled: 1-line block ×3, first 2 shown]
	s_waitcnt vmcnt(0)
	ds_write_b128 v94, v[1:4]
	s_waitcnt lgkmcnt(0)
	s_waitcnt_vscnt null, 0x0
	s_barrier
	buffer_gl0_inv
	s_and_saveexec_b32 s6, s4
	s_cbranch_execz .LBB107_353
; %bb.350:
	ds_read_b128 v[1:4], v94
	s_andn2_b32 vcc_lo, exec_lo, s52
	s_cbranch_vccnz .LBB107_352
; %bb.351:
	s_clause 0x3
	buffer_load_dword v96, v93, s[0:3], 0 offen offset:8
	buffer_load_dword v97, v93, s[0:3], 0 offen offset:12
	buffer_load_dword v100, v93, s[0:3], 0 offen
	buffer_load_dword v101, v93, s[0:3], 0 offen offset:4
	s_waitcnt vmcnt(2) lgkmcnt(0)
	v_mul_f64 v[102:103], v[3:4], v[96:97]
	v_mul_f64 v[96:97], v[1:2], v[96:97]
	s_waitcnt vmcnt(0)
	v_fma_f64 v[1:2], v[1:2], v[100:101], -v[102:103]
	v_fma_f64 v[3:4], v[3:4], v[100:101], v[96:97]
.LBB107_352:
	v_mov_b32_e32 v96, 0
	ds_read_b128 v[100:103], v96 offset:16
	s_waitcnt lgkmcnt(0)
	v_mul_f64 v[96:97], v[3:4], v[102:103]
	v_mul_f64 v[102:103], v[1:2], v[102:103]
	v_fma_f64 v[1:2], v[1:2], v[100:101], -v[96:97]
	v_fma_f64 v[3:4], v[3:4], v[100:101], v[102:103]
	buffer_store_dword v2, off, s[0:3], 0 offset:20
	buffer_store_dword v1, off, s[0:3], 0 offset:16
	;; [unrolled: 1-line block ×4, first 2 shown]
.LBB107_353:
	s_or_b32 exec_lo, exec_lo, s6
	v_mov_b32_e32 v4, s50
	s_mov_b32 s6, exec_lo
	s_clause 0x3
	buffer_load_dword v1, v4, s[0:3], 0 offen
	buffer_load_dword v2, v4, s[0:3], 0 offen offset:4
	buffer_load_dword v3, v4, s[0:3], 0 offen offset:8
	;; [unrolled: 1-line block ×3, first 2 shown]
	s_waitcnt vmcnt(0)
	ds_write_b128 v94, v[1:4]
	s_waitcnt lgkmcnt(0)
	s_waitcnt_vscnt null, 0x0
	s_barrier
	buffer_gl0_inv
	v_cmpx_gt_u32_e32 2, v0
	s_cbranch_execz .LBB107_359
; %bb.354:
	ds_read_b128 v[1:4], v94
	v_cmp_ne_u32_e32 vcc_lo, 1, v95
	s_cbranch_vccnz .LBB107_356
; %bb.355:
	s_clause 0x3
	buffer_load_dword v96, v93, s[0:3], 0 offen offset:8
	buffer_load_dword v97, v93, s[0:3], 0 offen offset:12
	buffer_load_dword v100, v93, s[0:3], 0 offen
	buffer_load_dword v101, v93, s[0:3], 0 offen offset:4
	s_waitcnt vmcnt(2) lgkmcnt(0)
	v_mul_f64 v[102:103], v[3:4], v[96:97]
	v_mul_f64 v[96:97], v[1:2], v[96:97]
	s_waitcnt vmcnt(0)
	v_fma_f64 v[1:2], v[1:2], v[100:101], -v[102:103]
	v_fma_f64 v[3:4], v[3:4], v[100:101], v[96:97]
.LBB107_356:
	s_and_saveexec_b32 s8, s4
	s_cbranch_execz .LBB107_358
; %bb.357:
	s_clause 0x3
	buffer_load_dword v96, off, s[0:3], 0 offset:24
	buffer_load_dword v97, off, s[0:3], 0 offset:28
	;; [unrolled: 1-line block ×4, first 2 shown]
	v_mov_b32_e32 v98, 0
	ds_read_b128 v[100:103], v98 offset:720
	s_waitcnt vmcnt(2) lgkmcnt(0)
	v_mul_f64 v[106:107], v[102:103], v[96:97]
	v_mul_f64 v[96:97], v[100:101], v[96:97]
	s_waitcnt vmcnt(0)
	v_fma_f64 v[100:101], v[100:101], v[104:105], -v[106:107]
	v_fma_f64 v[96:97], v[102:103], v[104:105], v[96:97]
	v_add_f64 v[1:2], v[1:2], v[100:101]
	v_add_f64 v[3:4], v[3:4], v[96:97]
.LBB107_358:
	s_or_b32 exec_lo, exec_lo, s8
	v_mov_b32_e32 v96, 0
	ds_read_b128 v[100:103], v96 offset:32
	s_waitcnt lgkmcnt(0)
	v_mul_f64 v[96:97], v[3:4], v[102:103]
	v_mul_f64 v[102:103], v[1:2], v[102:103]
	v_fma_f64 v[1:2], v[1:2], v[100:101], -v[96:97]
	v_fma_f64 v[3:4], v[3:4], v[100:101], v[102:103]
	buffer_store_dword v2, off, s[0:3], 0 offset:36
	buffer_store_dword v1, off, s[0:3], 0 offset:32
	;; [unrolled: 1-line block ×4, first 2 shown]
.LBB107_359:
	s_or_b32 exec_lo, exec_lo, s6
	v_mov_b32_e32 v4, s49
	s_mov_b32 s6, exec_lo
	s_clause 0x3
	buffer_load_dword v1, v4, s[0:3], 0 offen
	buffer_load_dword v2, v4, s[0:3], 0 offen offset:4
	buffer_load_dword v3, v4, s[0:3], 0 offen offset:8
	;; [unrolled: 1-line block ×3, first 2 shown]
	s_waitcnt vmcnt(0)
	ds_write_b128 v94, v[1:4]
	s_waitcnt lgkmcnt(0)
	s_waitcnt_vscnt null, 0x0
	s_barrier
	buffer_gl0_inv
	v_cmpx_gt_u32_e32 3, v0
	s_cbranch_execz .LBB107_367
; %bb.360:
	ds_read_b128 v[1:4], v94
	v_cmp_ne_u32_e32 vcc_lo, 1, v95
	s_cbranch_vccnz .LBB107_362
; %bb.361:
	s_clause 0x3
	buffer_load_dword v96, v93, s[0:3], 0 offen offset:8
	buffer_load_dword v97, v93, s[0:3], 0 offen offset:12
	buffer_load_dword v100, v93, s[0:3], 0 offen
	buffer_load_dword v101, v93, s[0:3], 0 offen offset:4
	s_waitcnt vmcnt(2) lgkmcnt(0)
	v_mul_f64 v[102:103], v[3:4], v[96:97]
	v_mul_f64 v[96:97], v[1:2], v[96:97]
	s_waitcnt vmcnt(0)
	v_fma_f64 v[1:2], v[1:2], v[100:101], -v[102:103]
	v_fma_f64 v[3:4], v[3:4], v[100:101], v[96:97]
.LBB107_362:
	s_mov_b32 s8, exec_lo
	v_cmpx_ne_u32_e32 2, v0
	s_cbranch_execz .LBB107_366
; %bb.363:
	s_clause 0x3
	buffer_load_dword v96, v93, s[0:3], 0 offen offset:24
	buffer_load_dword v97, v93, s[0:3], 0 offen offset:28
	;; [unrolled: 1-line block ×4, first 2 shown]
	ds_read_b128 v[100:103], v94 offset:16
	s_waitcnt vmcnt(2) lgkmcnt(0)
	v_mul_f64 v[106:107], v[102:103], v[96:97]
	v_mul_f64 v[96:97], v[100:101], v[96:97]
	s_waitcnt vmcnt(0)
	v_fma_f64 v[100:101], v[100:101], v[104:105], -v[106:107]
	v_fma_f64 v[96:97], v[102:103], v[104:105], v[96:97]
	v_add_f64 v[1:2], v[1:2], v[100:101]
	v_add_f64 v[3:4], v[3:4], v[96:97]
	s_and_saveexec_b32 s52, s4
	s_cbranch_execz .LBB107_365
; %bb.364:
	s_clause 0x3
	buffer_load_dword v96, off, s[0:3], 0 offset:40
	buffer_load_dword v97, off, s[0:3], 0 offset:44
	buffer_load_dword v104, off, s[0:3], 0 offset:32
	buffer_load_dword v105, off, s[0:3], 0 offset:36
	v_mov_b32_e32 v98, 0
	ds_read_b128 v[100:103], v98 offset:736
	s_waitcnt vmcnt(2) lgkmcnt(0)
	v_mul_f64 v[106:107], v[100:101], v[96:97]
	v_mul_f64 v[96:97], v[102:103], v[96:97]
	s_waitcnt vmcnt(0)
	v_fma_f64 v[102:103], v[102:103], v[104:105], v[106:107]
	v_fma_f64 v[96:97], v[100:101], v[104:105], -v[96:97]
	v_add_f64 v[3:4], v[3:4], v[102:103]
	v_add_f64 v[1:2], v[1:2], v[96:97]
.LBB107_365:
	s_or_b32 exec_lo, exec_lo, s52
.LBB107_366:
	s_or_b32 exec_lo, exec_lo, s8
	v_mov_b32_e32 v96, 0
	ds_read_b128 v[100:103], v96 offset:48
	s_waitcnt lgkmcnt(0)
	v_mul_f64 v[96:97], v[3:4], v[102:103]
	v_mul_f64 v[102:103], v[1:2], v[102:103]
	v_fma_f64 v[1:2], v[1:2], v[100:101], -v[96:97]
	v_fma_f64 v[3:4], v[3:4], v[100:101], v[102:103]
	buffer_store_dword v2, off, s[0:3], 0 offset:52
	buffer_store_dword v1, off, s[0:3], 0 offset:48
	;; [unrolled: 1-line block ×4, first 2 shown]
.LBB107_367:
	s_or_b32 exec_lo, exec_lo, s6
	v_mov_b32_e32 v4, s48
	s_mov_b32 s4, exec_lo
	s_clause 0x3
	buffer_load_dword v1, v4, s[0:3], 0 offen
	buffer_load_dword v2, v4, s[0:3], 0 offen offset:4
	buffer_load_dword v3, v4, s[0:3], 0 offen offset:8
	;; [unrolled: 1-line block ×3, first 2 shown]
	s_waitcnt vmcnt(0)
	ds_write_b128 v94, v[1:4]
	s_waitcnt lgkmcnt(0)
	s_waitcnt_vscnt null, 0x0
	s_barrier
	buffer_gl0_inv
	v_cmpx_gt_u32_e32 4, v0
	s_cbranch_execz .LBB107_375
; %bb.368:
	ds_read_b128 v[1:4], v94
	v_cmp_ne_u32_e32 vcc_lo, 1, v95
	s_cbranch_vccnz .LBB107_370
; %bb.369:
	s_clause 0x3
	buffer_load_dword v96, v93, s[0:3], 0 offen offset:8
	buffer_load_dword v97, v93, s[0:3], 0 offen offset:12
	buffer_load_dword v100, v93, s[0:3], 0 offen
	buffer_load_dword v101, v93, s[0:3], 0 offen offset:4
	s_waitcnt vmcnt(2) lgkmcnt(0)
	v_mul_f64 v[102:103], v[3:4], v[96:97]
	v_mul_f64 v[96:97], v[1:2], v[96:97]
	s_waitcnt vmcnt(0)
	v_fma_f64 v[1:2], v[1:2], v[100:101], -v[102:103]
	v_fma_f64 v[3:4], v[3:4], v[100:101], v[96:97]
.LBB107_370:
	s_mov_b32 s6, exec_lo
	v_cmpx_ne_u32_e32 3, v0
	s_cbranch_execz .LBB107_374
; %bb.371:
	v_add_nc_u32_e32 v96, 0x2d0, v99
	v_add3_u32 v97, 0, v99, 16
	v_mov_b32_e32 v98, v0
	s_mov_b32 s8, 0
	.p2align	6
.LBB107_372:                            ; =>This Inner Loop Header: Depth=1
	s_clause 0x3
	buffer_load_dword v104, v97, s[0:3], 0 offen offset:8
	buffer_load_dword v105, v97, s[0:3], 0 offen offset:12
	buffer_load_dword v106, v97, s[0:3], 0 offen
	buffer_load_dword v107, v97, s[0:3], 0 offen offset:4
	ds_read_b128 v[100:103], v96
	v_add_nc_u32_e32 v98, 1, v98
	v_add_nc_u32_e32 v96, 16, v96
	;; [unrolled: 1-line block ×3, first 2 shown]
	v_cmp_lt_u32_e32 vcc_lo, 2, v98
	s_or_b32 s8, vcc_lo, s8
	s_waitcnt vmcnt(2) lgkmcnt(0)
	v_mul_f64 v[108:109], v[102:103], v[104:105]
	v_mul_f64 v[104:105], v[100:101], v[104:105]
	s_waitcnt vmcnt(0)
	v_fma_f64 v[100:101], v[100:101], v[106:107], -v[108:109]
	v_fma_f64 v[102:103], v[102:103], v[106:107], v[104:105]
	v_add_f64 v[1:2], v[1:2], v[100:101]
	v_add_f64 v[3:4], v[3:4], v[102:103]
	s_andn2_b32 exec_lo, exec_lo, s8
	s_cbranch_execnz .LBB107_372
; %bb.373:
	s_or_b32 exec_lo, exec_lo, s8
.LBB107_374:
	s_or_b32 exec_lo, exec_lo, s6
	v_mov_b32_e32 v96, 0
	ds_read_b128 v[100:103], v96 offset:64
	s_waitcnt lgkmcnt(0)
	v_mul_f64 v[96:97], v[3:4], v[102:103]
	v_mul_f64 v[102:103], v[1:2], v[102:103]
	v_fma_f64 v[1:2], v[1:2], v[100:101], -v[96:97]
	v_fma_f64 v[3:4], v[3:4], v[100:101], v[102:103]
	buffer_store_dword v2, off, s[0:3], 0 offset:68
	buffer_store_dword v1, off, s[0:3], 0 offset:64
	;; [unrolled: 1-line block ×4, first 2 shown]
.LBB107_375:
	s_or_b32 exec_lo, exec_lo, s4
	v_mov_b32_e32 v4, s47
	s_mov_b32 s4, exec_lo
	s_clause 0x3
	buffer_load_dword v1, v4, s[0:3], 0 offen
	buffer_load_dword v2, v4, s[0:3], 0 offen offset:4
	buffer_load_dword v3, v4, s[0:3], 0 offen offset:8
	;; [unrolled: 1-line block ×3, first 2 shown]
	s_waitcnt vmcnt(0)
	ds_write_b128 v94, v[1:4]
	s_waitcnt lgkmcnt(0)
	s_waitcnt_vscnt null, 0x0
	s_barrier
	buffer_gl0_inv
	v_cmpx_gt_u32_e32 5, v0
	s_cbranch_execz .LBB107_383
; %bb.376:
	ds_read_b128 v[1:4], v94
	v_cmp_ne_u32_e32 vcc_lo, 1, v95
	s_cbranch_vccnz .LBB107_378
; %bb.377:
	s_clause 0x3
	buffer_load_dword v96, v93, s[0:3], 0 offen offset:8
	buffer_load_dword v97, v93, s[0:3], 0 offen offset:12
	buffer_load_dword v100, v93, s[0:3], 0 offen
	buffer_load_dword v101, v93, s[0:3], 0 offen offset:4
	s_waitcnt vmcnt(2) lgkmcnt(0)
	v_mul_f64 v[102:103], v[3:4], v[96:97]
	v_mul_f64 v[96:97], v[1:2], v[96:97]
	s_waitcnt vmcnt(0)
	v_fma_f64 v[1:2], v[1:2], v[100:101], -v[102:103]
	v_fma_f64 v[3:4], v[3:4], v[100:101], v[96:97]
.LBB107_378:
	s_mov_b32 s6, exec_lo
	v_cmpx_ne_u32_e32 4, v0
	s_cbranch_execz .LBB107_382
; %bb.379:
	v_add_nc_u32_e32 v96, 0x2d0, v99
	v_add3_u32 v97, 0, v99, 16
	v_mov_b32_e32 v98, v0
	s_mov_b32 s8, 0
	.p2align	6
.LBB107_380:                            ; =>This Inner Loop Header: Depth=1
	s_clause 0x3
	buffer_load_dword v104, v97, s[0:3], 0 offen offset:8
	buffer_load_dword v105, v97, s[0:3], 0 offen offset:12
	buffer_load_dword v106, v97, s[0:3], 0 offen
	buffer_load_dword v107, v97, s[0:3], 0 offen offset:4
	ds_read_b128 v[100:103], v96
	v_add_nc_u32_e32 v98, 1, v98
	v_add_nc_u32_e32 v96, 16, v96
	;; [unrolled: 1-line block ×3, first 2 shown]
	v_cmp_lt_u32_e32 vcc_lo, 3, v98
	s_or_b32 s8, vcc_lo, s8
	s_waitcnt vmcnt(2) lgkmcnt(0)
	v_mul_f64 v[108:109], v[102:103], v[104:105]
	v_mul_f64 v[104:105], v[100:101], v[104:105]
	s_waitcnt vmcnt(0)
	v_fma_f64 v[100:101], v[100:101], v[106:107], -v[108:109]
	v_fma_f64 v[102:103], v[102:103], v[106:107], v[104:105]
	v_add_f64 v[1:2], v[1:2], v[100:101]
	v_add_f64 v[3:4], v[3:4], v[102:103]
	s_andn2_b32 exec_lo, exec_lo, s8
	s_cbranch_execnz .LBB107_380
; %bb.381:
	s_or_b32 exec_lo, exec_lo, s8
.LBB107_382:
	s_or_b32 exec_lo, exec_lo, s6
	v_mov_b32_e32 v96, 0
	ds_read_b128 v[100:103], v96 offset:80
	s_waitcnt lgkmcnt(0)
	v_mul_f64 v[96:97], v[3:4], v[102:103]
	v_mul_f64 v[102:103], v[1:2], v[102:103]
	v_fma_f64 v[1:2], v[1:2], v[100:101], -v[96:97]
	v_fma_f64 v[3:4], v[3:4], v[100:101], v[102:103]
	buffer_store_dword v2, off, s[0:3], 0 offset:84
	buffer_store_dword v1, off, s[0:3], 0 offset:80
	;; [unrolled: 1-line block ×4, first 2 shown]
.LBB107_383:
	s_or_b32 exec_lo, exec_lo, s4
	v_mov_b32_e32 v4, s46
	s_mov_b32 s4, exec_lo
	s_clause 0x3
	buffer_load_dword v1, v4, s[0:3], 0 offen
	buffer_load_dword v2, v4, s[0:3], 0 offen offset:4
	buffer_load_dword v3, v4, s[0:3], 0 offen offset:8
	;; [unrolled: 1-line block ×3, first 2 shown]
	s_waitcnt vmcnt(0)
	ds_write_b128 v94, v[1:4]
	s_waitcnt lgkmcnt(0)
	s_waitcnt_vscnt null, 0x0
	s_barrier
	buffer_gl0_inv
	v_cmpx_gt_u32_e32 6, v0
	s_cbranch_execz .LBB107_391
; %bb.384:
	ds_read_b128 v[1:4], v94
	v_cmp_ne_u32_e32 vcc_lo, 1, v95
	s_cbranch_vccnz .LBB107_386
; %bb.385:
	s_clause 0x3
	buffer_load_dword v96, v93, s[0:3], 0 offen offset:8
	buffer_load_dword v97, v93, s[0:3], 0 offen offset:12
	buffer_load_dword v100, v93, s[0:3], 0 offen
	buffer_load_dword v101, v93, s[0:3], 0 offen offset:4
	s_waitcnt vmcnt(2) lgkmcnt(0)
	v_mul_f64 v[102:103], v[3:4], v[96:97]
	v_mul_f64 v[96:97], v[1:2], v[96:97]
	s_waitcnt vmcnt(0)
	v_fma_f64 v[1:2], v[1:2], v[100:101], -v[102:103]
	v_fma_f64 v[3:4], v[3:4], v[100:101], v[96:97]
.LBB107_386:
	s_mov_b32 s6, exec_lo
	v_cmpx_ne_u32_e32 5, v0
	s_cbranch_execz .LBB107_390
; %bb.387:
	v_add_nc_u32_e32 v96, 0x2d0, v99
	v_add3_u32 v97, 0, v99, 16
	v_mov_b32_e32 v98, v0
	s_mov_b32 s8, 0
	.p2align	6
.LBB107_388:                            ; =>This Inner Loop Header: Depth=1
	s_clause 0x3
	buffer_load_dword v104, v97, s[0:3], 0 offen offset:8
	buffer_load_dword v105, v97, s[0:3], 0 offen offset:12
	buffer_load_dword v106, v97, s[0:3], 0 offen
	buffer_load_dword v107, v97, s[0:3], 0 offen offset:4
	ds_read_b128 v[100:103], v96
	v_add_nc_u32_e32 v98, 1, v98
	v_add_nc_u32_e32 v96, 16, v96
	;; [unrolled: 1-line block ×3, first 2 shown]
	v_cmp_lt_u32_e32 vcc_lo, 4, v98
	s_or_b32 s8, vcc_lo, s8
	s_waitcnt vmcnt(2) lgkmcnt(0)
	v_mul_f64 v[108:109], v[102:103], v[104:105]
	v_mul_f64 v[104:105], v[100:101], v[104:105]
	s_waitcnt vmcnt(0)
	v_fma_f64 v[100:101], v[100:101], v[106:107], -v[108:109]
	v_fma_f64 v[102:103], v[102:103], v[106:107], v[104:105]
	v_add_f64 v[1:2], v[1:2], v[100:101]
	v_add_f64 v[3:4], v[3:4], v[102:103]
	s_andn2_b32 exec_lo, exec_lo, s8
	s_cbranch_execnz .LBB107_388
; %bb.389:
	s_or_b32 exec_lo, exec_lo, s8
.LBB107_390:
	s_or_b32 exec_lo, exec_lo, s6
	v_mov_b32_e32 v96, 0
	ds_read_b128 v[100:103], v96 offset:96
	s_waitcnt lgkmcnt(0)
	v_mul_f64 v[96:97], v[3:4], v[102:103]
	v_mul_f64 v[102:103], v[1:2], v[102:103]
	v_fma_f64 v[1:2], v[1:2], v[100:101], -v[96:97]
	v_fma_f64 v[3:4], v[3:4], v[100:101], v[102:103]
	buffer_store_dword v2, off, s[0:3], 0 offset:100
	buffer_store_dword v1, off, s[0:3], 0 offset:96
	;; [unrolled: 1-line block ×4, first 2 shown]
.LBB107_391:
	s_or_b32 exec_lo, exec_lo, s4
	v_mov_b32_e32 v4, s45
	s_mov_b32 s4, exec_lo
	s_clause 0x3
	buffer_load_dword v1, v4, s[0:3], 0 offen
	buffer_load_dword v2, v4, s[0:3], 0 offen offset:4
	buffer_load_dword v3, v4, s[0:3], 0 offen offset:8
	;; [unrolled: 1-line block ×3, first 2 shown]
	s_waitcnt vmcnt(0)
	ds_write_b128 v94, v[1:4]
	s_waitcnt lgkmcnt(0)
	s_waitcnt_vscnt null, 0x0
	s_barrier
	buffer_gl0_inv
	v_cmpx_gt_u32_e32 7, v0
	s_cbranch_execz .LBB107_399
; %bb.392:
	ds_read_b128 v[1:4], v94
	v_cmp_ne_u32_e32 vcc_lo, 1, v95
	s_cbranch_vccnz .LBB107_394
; %bb.393:
	s_clause 0x3
	buffer_load_dword v96, v93, s[0:3], 0 offen offset:8
	buffer_load_dword v97, v93, s[0:3], 0 offen offset:12
	buffer_load_dword v100, v93, s[0:3], 0 offen
	buffer_load_dword v101, v93, s[0:3], 0 offen offset:4
	s_waitcnt vmcnt(2) lgkmcnt(0)
	v_mul_f64 v[102:103], v[3:4], v[96:97]
	v_mul_f64 v[96:97], v[1:2], v[96:97]
	s_waitcnt vmcnt(0)
	v_fma_f64 v[1:2], v[1:2], v[100:101], -v[102:103]
	v_fma_f64 v[3:4], v[3:4], v[100:101], v[96:97]
.LBB107_394:
	s_mov_b32 s6, exec_lo
	v_cmpx_ne_u32_e32 6, v0
	s_cbranch_execz .LBB107_398
; %bb.395:
	v_add_nc_u32_e32 v96, 0x2d0, v99
	v_add3_u32 v97, 0, v99, 16
	v_mov_b32_e32 v98, v0
	s_mov_b32 s8, 0
	.p2align	6
.LBB107_396:                            ; =>This Inner Loop Header: Depth=1
	s_clause 0x3
	buffer_load_dword v104, v97, s[0:3], 0 offen offset:8
	buffer_load_dword v105, v97, s[0:3], 0 offen offset:12
	buffer_load_dword v106, v97, s[0:3], 0 offen
	buffer_load_dword v107, v97, s[0:3], 0 offen offset:4
	ds_read_b128 v[100:103], v96
	v_add_nc_u32_e32 v98, 1, v98
	v_add_nc_u32_e32 v96, 16, v96
	;; [unrolled: 1-line block ×3, first 2 shown]
	v_cmp_lt_u32_e32 vcc_lo, 5, v98
	s_or_b32 s8, vcc_lo, s8
	s_waitcnt vmcnt(2) lgkmcnt(0)
	v_mul_f64 v[108:109], v[102:103], v[104:105]
	v_mul_f64 v[104:105], v[100:101], v[104:105]
	s_waitcnt vmcnt(0)
	v_fma_f64 v[100:101], v[100:101], v[106:107], -v[108:109]
	v_fma_f64 v[102:103], v[102:103], v[106:107], v[104:105]
	v_add_f64 v[1:2], v[1:2], v[100:101]
	v_add_f64 v[3:4], v[3:4], v[102:103]
	s_andn2_b32 exec_lo, exec_lo, s8
	s_cbranch_execnz .LBB107_396
; %bb.397:
	s_or_b32 exec_lo, exec_lo, s8
.LBB107_398:
	s_or_b32 exec_lo, exec_lo, s6
	v_mov_b32_e32 v96, 0
	ds_read_b128 v[100:103], v96 offset:112
	s_waitcnt lgkmcnt(0)
	v_mul_f64 v[96:97], v[3:4], v[102:103]
	v_mul_f64 v[102:103], v[1:2], v[102:103]
	v_fma_f64 v[1:2], v[1:2], v[100:101], -v[96:97]
	v_fma_f64 v[3:4], v[3:4], v[100:101], v[102:103]
	buffer_store_dword v2, off, s[0:3], 0 offset:116
	buffer_store_dword v1, off, s[0:3], 0 offset:112
	;; [unrolled: 1-line block ×4, first 2 shown]
.LBB107_399:
	s_or_b32 exec_lo, exec_lo, s4
	v_mov_b32_e32 v4, s44
	s_mov_b32 s4, exec_lo
	s_clause 0x3
	buffer_load_dword v1, v4, s[0:3], 0 offen
	buffer_load_dword v2, v4, s[0:3], 0 offen offset:4
	buffer_load_dword v3, v4, s[0:3], 0 offen offset:8
	;; [unrolled: 1-line block ×3, first 2 shown]
	s_waitcnt vmcnt(0)
	ds_write_b128 v94, v[1:4]
	s_waitcnt lgkmcnt(0)
	s_waitcnt_vscnt null, 0x0
	s_barrier
	buffer_gl0_inv
	v_cmpx_gt_u32_e32 8, v0
	s_cbranch_execz .LBB107_407
; %bb.400:
	ds_read_b128 v[1:4], v94
	v_cmp_ne_u32_e32 vcc_lo, 1, v95
	s_cbranch_vccnz .LBB107_402
; %bb.401:
	s_clause 0x3
	buffer_load_dword v96, v93, s[0:3], 0 offen offset:8
	buffer_load_dword v97, v93, s[0:3], 0 offen offset:12
	buffer_load_dword v100, v93, s[0:3], 0 offen
	buffer_load_dword v101, v93, s[0:3], 0 offen offset:4
	s_waitcnt vmcnt(2) lgkmcnt(0)
	v_mul_f64 v[102:103], v[3:4], v[96:97]
	v_mul_f64 v[96:97], v[1:2], v[96:97]
	s_waitcnt vmcnt(0)
	v_fma_f64 v[1:2], v[1:2], v[100:101], -v[102:103]
	v_fma_f64 v[3:4], v[3:4], v[100:101], v[96:97]
.LBB107_402:
	s_mov_b32 s6, exec_lo
	v_cmpx_ne_u32_e32 7, v0
	s_cbranch_execz .LBB107_406
; %bb.403:
	v_add_nc_u32_e32 v96, 0x2d0, v99
	v_add3_u32 v97, 0, v99, 16
	v_mov_b32_e32 v98, v0
	s_mov_b32 s8, 0
	.p2align	6
.LBB107_404:                            ; =>This Inner Loop Header: Depth=1
	s_clause 0x3
	buffer_load_dword v104, v97, s[0:3], 0 offen offset:8
	buffer_load_dword v105, v97, s[0:3], 0 offen offset:12
	buffer_load_dword v106, v97, s[0:3], 0 offen
	buffer_load_dword v107, v97, s[0:3], 0 offen offset:4
	ds_read_b128 v[100:103], v96
	v_add_nc_u32_e32 v98, 1, v98
	v_add_nc_u32_e32 v96, 16, v96
	;; [unrolled: 1-line block ×3, first 2 shown]
	v_cmp_lt_u32_e32 vcc_lo, 6, v98
	s_or_b32 s8, vcc_lo, s8
	s_waitcnt vmcnt(2) lgkmcnt(0)
	v_mul_f64 v[108:109], v[102:103], v[104:105]
	v_mul_f64 v[104:105], v[100:101], v[104:105]
	s_waitcnt vmcnt(0)
	v_fma_f64 v[100:101], v[100:101], v[106:107], -v[108:109]
	v_fma_f64 v[102:103], v[102:103], v[106:107], v[104:105]
	v_add_f64 v[1:2], v[1:2], v[100:101]
	v_add_f64 v[3:4], v[3:4], v[102:103]
	s_andn2_b32 exec_lo, exec_lo, s8
	s_cbranch_execnz .LBB107_404
; %bb.405:
	s_or_b32 exec_lo, exec_lo, s8
.LBB107_406:
	s_or_b32 exec_lo, exec_lo, s6
	v_mov_b32_e32 v96, 0
	ds_read_b128 v[100:103], v96 offset:128
	s_waitcnt lgkmcnt(0)
	v_mul_f64 v[96:97], v[3:4], v[102:103]
	v_mul_f64 v[102:103], v[1:2], v[102:103]
	v_fma_f64 v[1:2], v[1:2], v[100:101], -v[96:97]
	v_fma_f64 v[3:4], v[3:4], v[100:101], v[102:103]
	buffer_store_dword v2, off, s[0:3], 0 offset:132
	buffer_store_dword v1, off, s[0:3], 0 offset:128
	;; [unrolled: 1-line block ×4, first 2 shown]
.LBB107_407:
	s_or_b32 exec_lo, exec_lo, s4
	v_mov_b32_e32 v4, s43
	s_mov_b32 s4, exec_lo
	s_clause 0x3
	buffer_load_dword v1, v4, s[0:3], 0 offen
	buffer_load_dword v2, v4, s[0:3], 0 offen offset:4
	buffer_load_dword v3, v4, s[0:3], 0 offen offset:8
	;; [unrolled: 1-line block ×3, first 2 shown]
	s_waitcnt vmcnt(0)
	ds_write_b128 v94, v[1:4]
	s_waitcnt lgkmcnt(0)
	s_waitcnt_vscnt null, 0x0
	s_barrier
	buffer_gl0_inv
	v_cmpx_gt_u32_e32 9, v0
	s_cbranch_execz .LBB107_415
; %bb.408:
	ds_read_b128 v[1:4], v94
	v_cmp_ne_u32_e32 vcc_lo, 1, v95
	s_cbranch_vccnz .LBB107_410
; %bb.409:
	s_clause 0x3
	buffer_load_dword v96, v93, s[0:3], 0 offen offset:8
	buffer_load_dword v97, v93, s[0:3], 0 offen offset:12
	buffer_load_dword v100, v93, s[0:3], 0 offen
	buffer_load_dword v101, v93, s[0:3], 0 offen offset:4
	s_waitcnt vmcnt(2) lgkmcnt(0)
	v_mul_f64 v[102:103], v[3:4], v[96:97]
	v_mul_f64 v[96:97], v[1:2], v[96:97]
	s_waitcnt vmcnt(0)
	v_fma_f64 v[1:2], v[1:2], v[100:101], -v[102:103]
	v_fma_f64 v[3:4], v[3:4], v[100:101], v[96:97]
.LBB107_410:
	s_mov_b32 s6, exec_lo
	v_cmpx_ne_u32_e32 8, v0
	s_cbranch_execz .LBB107_414
; %bb.411:
	v_add_nc_u32_e32 v96, 0x2d0, v99
	v_add3_u32 v97, 0, v99, 16
	v_mov_b32_e32 v98, v0
	s_mov_b32 s8, 0
	.p2align	6
.LBB107_412:                            ; =>This Inner Loop Header: Depth=1
	s_clause 0x3
	buffer_load_dword v104, v97, s[0:3], 0 offen offset:8
	buffer_load_dword v105, v97, s[0:3], 0 offen offset:12
	buffer_load_dword v106, v97, s[0:3], 0 offen
	buffer_load_dword v107, v97, s[0:3], 0 offen offset:4
	ds_read_b128 v[100:103], v96
	v_add_nc_u32_e32 v98, 1, v98
	v_add_nc_u32_e32 v96, 16, v96
	;; [unrolled: 1-line block ×3, first 2 shown]
	v_cmp_lt_u32_e32 vcc_lo, 7, v98
	s_or_b32 s8, vcc_lo, s8
	s_waitcnt vmcnt(2) lgkmcnt(0)
	v_mul_f64 v[108:109], v[102:103], v[104:105]
	v_mul_f64 v[104:105], v[100:101], v[104:105]
	s_waitcnt vmcnt(0)
	v_fma_f64 v[100:101], v[100:101], v[106:107], -v[108:109]
	v_fma_f64 v[102:103], v[102:103], v[106:107], v[104:105]
	v_add_f64 v[1:2], v[1:2], v[100:101]
	v_add_f64 v[3:4], v[3:4], v[102:103]
	s_andn2_b32 exec_lo, exec_lo, s8
	s_cbranch_execnz .LBB107_412
; %bb.413:
	s_or_b32 exec_lo, exec_lo, s8
.LBB107_414:
	s_or_b32 exec_lo, exec_lo, s6
	v_mov_b32_e32 v96, 0
	ds_read_b128 v[100:103], v96 offset:144
	s_waitcnt lgkmcnt(0)
	v_mul_f64 v[96:97], v[3:4], v[102:103]
	v_mul_f64 v[102:103], v[1:2], v[102:103]
	v_fma_f64 v[1:2], v[1:2], v[100:101], -v[96:97]
	v_fma_f64 v[3:4], v[3:4], v[100:101], v[102:103]
	buffer_store_dword v2, off, s[0:3], 0 offset:148
	buffer_store_dword v1, off, s[0:3], 0 offset:144
	;; [unrolled: 1-line block ×4, first 2 shown]
.LBB107_415:
	s_or_b32 exec_lo, exec_lo, s4
	v_mov_b32_e32 v4, s42
	s_mov_b32 s4, exec_lo
	s_clause 0x3
	buffer_load_dword v1, v4, s[0:3], 0 offen
	buffer_load_dword v2, v4, s[0:3], 0 offen offset:4
	buffer_load_dword v3, v4, s[0:3], 0 offen offset:8
	;; [unrolled: 1-line block ×3, first 2 shown]
	s_waitcnt vmcnt(0)
	ds_write_b128 v94, v[1:4]
	s_waitcnt lgkmcnt(0)
	s_waitcnt_vscnt null, 0x0
	s_barrier
	buffer_gl0_inv
	v_cmpx_gt_u32_e32 10, v0
	s_cbranch_execz .LBB107_423
; %bb.416:
	ds_read_b128 v[1:4], v94
	v_cmp_ne_u32_e32 vcc_lo, 1, v95
	s_cbranch_vccnz .LBB107_418
; %bb.417:
	s_clause 0x3
	buffer_load_dword v96, v93, s[0:3], 0 offen offset:8
	buffer_load_dword v97, v93, s[0:3], 0 offen offset:12
	buffer_load_dword v100, v93, s[0:3], 0 offen
	buffer_load_dword v101, v93, s[0:3], 0 offen offset:4
	s_waitcnt vmcnt(2) lgkmcnt(0)
	v_mul_f64 v[102:103], v[3:4], v[96:97]
	v_mul_f64 v[96:97], v[1:2], v[96:97]
	s_waitcnt vmcnt(0)
	v_fma_f64 v[1:2], v[1:2], v[100:101], -v[102:103]
	v_fma_f64 v[3:4], v[3:4], v[100:101], v[96:97]
.LBB107_418:
	s_mov_b32 s6, exec_lo
	v_cmpx_ne_u32_e32 9, v0
	s_cbranch_execz .LBB107_422
; %bb.419:
	v_add_nc_u32_e32 v96, 0x2d0, v99
	v_add3_u32 v97, 0, v99, 16
	v_mov_b32_e32 v98, v0
	s_mov_b32 s8, 0
	.p2align	6
.LBB107_420:                            ; =>This Inner Loop Header: Depth=1
	s_clause 0x3
	buffer_load_dword v104, v97, s[0:3], 0 offen offset:8
	buffer_load_dword v105, v97, s[0:3], 0 offen offset:12
	buffer_load_dword v106, v97, s[0:3], 0 offen
	buffer_load_dword v107, v97, s[0:3], 0 offen offset:4
	ds_read_b128 v[100:103], v96
	v_add_nc_u32_e32 v98, 1, v98
	v_add_nc_u32_e32 v96, 16, v96
	;; [unrolled: 1-line block ×3, first 2 shown]
	v_cmp_lt_u32_e32 vcc_lo, 8, v98
	s_or_b32 s8, vcc_lo, s8
	s_waitcnt vmcnt(2) lgkmcnt(0)
	v_mul_f64 v[108:109], v[102:103], v[104:105]
	v_mul_f64 v[104:105], v[100:101], v[104:105]
	s_waitcnt vmcnt(0)
	v_fma_f64 v[100:101], v[100:101], v[106:107], -v[108:109]
	v_fma_f64 v[102:103], v[102:103], v[106:107], v[104:105]
	v_add_f64 v[1:2], v[1:2], v[100:101]
	v_add_f64 v[3:4], v[3:4], v[102:103]
	s_andn2_b32 exec_lo, exec_lo, s8
	s_cbranch_execnz .LBB107_420
; %bb.421:
	s_or_b32 exec_lo, exec_lo, s8
.LBB107_422:
	s_or_b32 exec_lo, exec_lo, s6
	v_mov_b32_e32 v96, 0
	ds_read_b128 v[100:103], v96 offset:160
	s_waitcnt lgkmcnt(0)
	v_mul_f64 v[96:97], v[3:4], v[102:103]
	v_mul_f64 v[102:103], v[1:2], v[102:103]
	v_fma_f64 v[1:2], v[1:2], v[100:101], -v[96:97]
	v_fma_f64 v[3:4], v[3:4], v[100:101], v[102:103]
	buffer_store_dword v2, off, s[0:3], 0 offset:164
	buffer_store_dword v1, off, s[0:3], 0 offset:160
	;; [unrolled: 1-line block ×4, first 2 shown]
.LBB107_423:
	s_or_b32 exec_lo, exec_lo, s4
	v_mov_b32_e32 v4, s41
	s_mov_b32 s4, exec_lo
	s_clause 0x3
	buffer_load_dword v1, v4, s[0:3], 0 offen
	buffer_load_dword v2, v4, s[0:3], 0 offen offset:4
	buffer_load_dword v3, v4, s[0:3], 0 offen offset:8
	;; [unrolled: 1-line block ×3, first 2 shown]
	s_waitcnt vmcnt(0)
	ds_write_b128 v94, v[1:4]
	s_waitcnt lgkmcnt(0)
	s_waitcnt_vscnt null, 0x0
	s_barrier
	buffer_gl0_inv
	v_cmpx_gt_u32_e32 11, v0
	s_cbranch_execz .LBB107_431
; %bb.424:
	ds_read_b128 v[1:4], v94
	v_cmp_ne_u32_e32 vcc_lo, 1, v95
	s_cbranch_vccnz .LBB107_426
; %bb.425:
	s_clause 0x3
	buffer_load_dword v96, v93, s[0:3], 0 offen offset:8
	buffer_load_dword v97, v93, s[0:3], 0 offen offset:12
	buffer_load_dword v100, v93, s[0:3], 0 offen
	buffer_load_dword v101, v93, s[0:3], 0 offen offset:4
	s_waitcnt vmcnt(2) lgkmcnt(0)
	v_mul_f64 v[102:103], v[3:4], v[96:97]
	v_mul_f64 v[96:97], v[1:2], v[96:97]
	s_waitcnt vmcnt(0)
	v_fma_f64 v[1:2], v[1:2], v[100:101], -v[102:103]
	v_fma_f64 v[3:4], v[3:4], v[100:101], v[96:97]
.LBB107_426:
	s_mov_b32 s6, exec_lo
	v_cmpx_ne_u32_e32 10, v0
	s_cbranch_execz .LBB107_430
; %bb.427:
	v_add_nc_u32_e32 v96, 0x2d0, v99
	v_add3_u32 v97, 0, v99, 16
	v_mov_b32_e32 v98, v0
	s_mov_b32 s8, 0
	.p2align	6
.LBB107_428:                            ; =>This Inner Loop Header: Depth=1
	s_clause 0x3
	buffer_load_dword v104, v97, s[0:3], 0 offen offset:8
	buffer_load_dword v105, v97, s[0:3], 0 offen offset:12
	buffer_load_dword v106, v97, s[0:3], 0 offen
	buffer_load_dword v107, v97, s[0:3], 0 offen offset:4
	ds_read_b128 v[100:103], v96
	v_add_nc_u32_e32 v98, 1, v98
	v_add_nc_u32_e32 v96, 16, v96
	;; [unrolled: 1-line block ×3, first 2 shown]
	v_cmp_lt_u32_e32 vcc_lo, 9, v98
	s_or_b32 s8, vcc_lo, s8
	s_waitcnt vmcnt(2) lgkmcnt(0)
	v_mul_f64 v[108:109], v[102:103], v[104:105]
	v_mul_f64 v[104:105], v[100:101], v[104:105]
	s_waitcnt vmcnt(0)
	v_fma_f64 v[100:101], v[100:101], v[106:107], -v[108:109]
	v_fma_f64 v[102:103], v[102:103], v[106:107], v[104:105]
	v_add_f64 v[1:2], v[1:2], v[100:101]
	v_add_f64 v[3:4], v[3:4], v[102:103]
	s_andn2_b32 exec_lo, exec_lo, s8
	s_cbranch_execnz .LBB107_428
; %bb.429:
	s_or_b32 exec_lo, exec_lo, s8
.LBB107_430:
	s_or_b32 exec_lo, exec_lo, s6
	v_mov_b32_e32 v96, 0
	ds_read_b128 v[100:103], v96 offset:176
	s_waitcnt lgkmcnt(0)
	v_mul_f64 v[96:97], v[3:4], v[102:103]
	v_mul_f64 v[102:103], v[1:2], v[102:103]
	v_fma_f64 v[1:2], v[1:2], v[100:101], -v[96:97]
	v_fma_f64 v[3:4], v[3:4], v[100:101], v[102:103]
	buffer_store_dword v2, off, s[0:3], 0 offset:180
	buffer_store_dword v1, off, s[0:3], 0 offset:176
	;; [unrolled: 1-line block ×4, first 2 shown]
.LBB107_431:
	s_or_b32 exec_lo, exec_lo, s4
	v_mov_b32_e32 v4, s40
	s_mov_b32 s4, exec_lo
	s_clause 0x3
	buffer_load_dword v1, v4, s[0:3], 0 offen
	buffer_load_dword v2, v4, s[0:3], 0 offen offset:4
	buffer_load_dword v3, v4, s[0:3], 0 offen offset:8
	buffer_load_dword v4, v4, s[0:3], 0 offen offset:12
	s_waitcnt vmcnt(0)
	ds_write_b128 v94, v[1:4]
	s_waitcnt lgkmcnt(0)
	s_waitcnt_vscnt null, 0x0
	s_barrier
	buffer_gl0_inv
	v_cmpx_gt_u32_e32 12, v0
	s_cbranch_execz .LBB107_439
; %bb.432:
	ds_read_b128 v[1:4], v94
	v_cmp_ne_u32_e32 vcc_lo, 1, v95
	s_cbranch_vccnz .LBB107_434
; %bb.433:
	s_clause 0x3
	buffer_load_dword v96, v93, s[0:3], 0 offen offset:8
	buffer_load_dword v97, v93, s[0:3], 0 offen offset:12
	buffer_load_dword v100, v93, s[0:3], 0 offen
	buffer_load_dword v101, v93, s[0:3], 0 offen offset:4
	s_waitcnt vmcnt(2) lgkmcnt(0)
	v_mul_f64 v[102:103], v[3:4], v[96:97]
	v_mul_f64 v[96:97], v[1:2], v[96:97]
	s_waitcnt vmcnt(0)
	v_fma_f64 v[1:2], v[1:2], v[100:101], -v[102:103]
	v_fma_f64 v[3:4], v[3:4], v[100:101], v[96:97]
.LBB107_434:
	s_mov_b32 s6, exec_lo
	v_cmpx_ne_u32_e32 11, v0
	s_cbranch_execz .LBB107_438
; %bb.435:
	v_add_nc_u32_e32 v96, 0x2d0, v99
	v_add3_u32 v97, 0, v99, 16
	v_mov_b32_e32 v98, v0
	s_mov_b32 s8, 0
	.p2align	6
.LBB107_436:                            ; =>This Inner Loop Header: Depth=1
	s_clause 0x3
	buffer_load_dword v104, v97, s[0:3], 0 offen offset:8
	buffer_load_dword v105, v97, s[0:3], 0 offen offset:12
	buffer_load_dword v106, v97, s[0:3], 0 offen
	buffer_load_dword v107, v97, s[0:3], 0 offen offset:4
	ds_read_b128 v[100:103], v96
	v_add_nc_u32_e32 v98, 1, v98
	v_add_nc_u32_e32 v96, 16, v96
	;; [unrolled: 1-line block ×3, first 2 shown]
	v_cmp_lt_u32_e32 vcc_lo, 10, v98
	s_or_b32 s8, vcc_lo, s8
	s_waitcnt vmcnt(2) lgkmcnt(0)
	v_mul_f64 v[108:109], v[102:103], v[104:105]
	v_mul_f64 v[104:105], v[100:101], v[104:105]
	s_waitcnt vmcnt(0)
	v_fma_f64 v[100:101], v[100:101], v[106:107], -v[108:109]
	v_fma_f64 v[102:103], v[102:103], v[106:107], v[104:105]
	v_add_f64 v[1:2], v[1:2], v[100:101]
	v_add_f64 v[3:4], v[3:4], v[102:103]
	s_andn2_b32 exec_lo, exec_lo, s8
	s_cbranch_execnz .LBB107_436
; %bb.437:
	s_or_b32 exec_lo, exec_lo, s8
.LBB107_438:
	s_or_b32 exec_lo, exec_lo, s6
	v_mov_b32_e32 v96, 0
	ds_read_b128 v[100:103], v96 offset:192
	s_waitcnt lgkmcnt(0)
	v_mul_f64 v[96:97], v[3:4], v[102:103]
	v_mul_f64 v[102:103], v[1:2], v[102:103]
	v_fma_f64 v[1:2], v[1:2], v[100:101], -v[96:97]
	v_fma_f64 v[3:4], v[3:4], v[100:101], v[102:103]
	buffer_store_dword v2, off, s[0:3], 0 offset:196
	buffer_store_dword v1, off, s[0:3], 0 offset:192
	;; [unrolled: 1-line block ×4, first 2 shown]
.LBB107_439:
	s_or_b32 exec_lo, exec_lo, s4
	v_mov_b32_e32 v4, s39
	s_mov_b32 s4, exec_lo
	s_clause 0x3
	buffer_load_dword v1, v4, s[0:3], 0 offen
	buffer_load_dword v2, v4, s[0:3], 0 offen offset:4
	buffer_load_dword v3, v4, s[0:3], 0 offen offset:8
	;; [unrolled: 1-line block ×3, first 2 shown]
	s_waitcnt vmcnt(0)
	ds_write_b128 v94, v[1:4]
	s_waitcnt lgkmcnt(0)
	s_waitcnt_vscnt null, 0x0
	s_barrier
	buffer_gl0_inv
	v_cmpx_gt_u32_e32 13, v0
	s_cbranch_execz .LBB107_447
; %bb.440:
	ds_read_b128 v[1:4], v94
	v_cmp_ne_u32_e32 vcc_lo, 1, v95
	s_cbranch_vccnz .LBB107_442
; %bb.441:
	s_clause 0x3
	buffer_load_dword v96, v93, s[0:3], 0 offen offset:8
	buffer_load_dword v97, v93, s[0:3], 0 offen offset:12
	buffer_load_dword v100, v93, s[0:3], 0 offen
	buffer_load_dword v101, v93, s[0:3], 0 offen offset:4
	s_waitcnt vmcnt(2) lgkmcnt(0)
	v_mul_f64 v[102:103], v[3:4], v[96:97]
	v_mul_f64 v[96:97], v[1:2], v[96:97]
	s_waitcnt vmcnt(0)
	v_fma_f64 v[1:2], v[1:2], v[100:101], -v[102:103]
	v_fma_f64 v[3:4], v[3:4], v[100:101], v[96:97]
.LBB107_442:
	s_mov_b32 s6, exec_lo
	v_cmpx_ne_u32_e32 12, v0
	s_cbranch_execz .LBB107_446
; %bb.443:
	v_add_nc_u32_e32 v96, 0x2d0, v99
	v_add3_u32 v97, 0, v99, 16
	v_mov_b32_e32 v98, v0
	s_mov_b32 s8, 0
	.p2align	6
.LBB107_444:                            ; =>This Inner Loop Header: Depth=1
	s_clause 0x3
	buffer_load_dword v104, v97, s[0:3], 0 offen offset:8
	buffer_load_dword v105, v97, s[0:3], 0 offen offset:12
	buffer_load_dword v106, v97, s[0:3], 0 offen
	buffer_load_dword v107, v97, s[0:3], 0 offen offset:4
	ds_read_b128 v[100:103], v96
	v_add_nc_u32_e32 v98, 1, v98
	v_add_nc_u32_e32 v96, 16, v96
	;; [unrolled: 1-line block ×3, first 2 shown]
	v_cmp_lt_u32_e32 vcc_lo, 11, v98
	s_or_b32 s8, vcc_lo, s8
	s_waitcnt vmcnt(2) lgkmcnt(0)
	v_mul_f64 v[108:109], v[102:103], v[104:105]
	v_mul_f64 v[104:105], v[100:101], v[104:105]
	s_waitcnt vmcnt(0)
	v_fma_f64 v[100:101], v[100:101], v[106:107], -v[108:109]
	v_fma_f64 v[102:103], v[102:103], v[106:107], v[104:105]
	v_add_f64 v[1:2], v[1:2], v[100:101]
	v_add_f64 v[3:4], v[3:4], v[102:103]
	s_andn2_b32 exec_lo, exec_lo, s8
	s_cbranch_execnz .LBB107_444
; %bb.445:
	s_or_b32 exec_lo, exec_lo, s8
.LBB107_446:
	s_or_b32 exec_lo, exec_lo, s6
	v_mov_b32_e32 v96, 0
	ds_read_b128 v[100:103], v96 offset:208
	s_waitcnt lgkmcnt(0)
	v_mul_f64 v[96:97], v[3:4], v[102:103]
	v_mul_f64 v[102:103], v[1:2], v[102:103]
	v_fma_f64 v[1:2], v[1:2], v[100:101], -v[96:97]
	v_fma_f64 v[3:4], v[3:4], v[100:101], v[102:103]
	buffer_store_dword v2, off, s[0:3], 0 offset:212
	buffer_store_dword v1, off, s[0:3], 0 offset:208
	;; [unrolled: 1-line block ×4, first 2 shown]
.LBB107_447:
	s_or_b32 exec_lo, exec_lo, s4
	v_mov_b32_e32 v4, s38
	s_mov_b32 s4, exec_lo
	s_clause 0x3
	buffer_load_dword v1, v4, s[0:3], 0 offen
	buffer_load_dword v2, v4, s[0:3], 0 offen offset:4
	buffer_load_dword v3, v4, s[0:3], 0 offen offset:8
	;; [unrolled: 1-line block ×3, first 2 shown]
	s_waitcnt vmcnt(0)
	ds_write_b128 v94, v[1:4]
	s_waitcnt lgkmcnt(0)
	s_waitcnt_vscnt null, 0x0
	s_barrier
	buffer_gl0_inv
	v_cmpx_gt_u32_e32 14, v0
	s_cbranch_execz .LBB107_455
; %bb.448:
	ds_read_b128 v[1:4], v94
	v_cmp_ne_u32_e32 vcc_lo, 1, v95
	s_cbranch_vccnz .LBB107_450
; %bb.449:
	s_clause 0x3
	buffer_load_dword v96, v93, s[0:3], 0 offen offset:8
	buffer_load_dword v97, v93, s[0:3], 0 offen offset:12
	buffer_load_dword v100, v93, s[0:3], 0 offen
	buffer_load_dword v101, v93, s[0:3], 0 offen offset:4
	s_waitcnt vmcnt(2) lgkmcnt(0)
	v_mul_f64 v[102:103], v[3:4], v[96:97]
	v_mul_f64 v[96:97], v[1:2], v[96:97]
	s_waitcnt vmcnt(0)
	v_fma_f64 v[1:2], v[1:2], v[100:101], -v[102:103]
	v_fma_f64 v[3:4], v[3:4], v[100:101], v[96:97]
.LBB107_450:
	s_mov_b32 s6, exec_lo
	v_cmpx_ne_u32_e32 13, v0
	s_cbranch_execz .LBB107_454
; %bb.451:
	v_add_nc_u32_e32 v96, 0x2d0, v99
	v_add3_u32 v97, 0, v99, 16
	v_mov_b32_e32 v98, v0
	s_mov_b32 s8, 0
	.p2align	6
.LBB107_452:                            ; =>This Inner Loop Header: Depth=1
	s_clause 0x3
	buffer_load_dword v104, v97, s[0:3], 0 offen offset:8
	buffer_load_dword v105, v97, s[0:3], 0 offen offset:12
	buffer_load_dword v106, v97, s[0:3], 0 offen
	buffer_load_dword v107, v97, s[0:3], 0 offen offset:4
	ds_read_b128 v[100:103], v96
	v_add_nc_u32_e32 v98, 1, v98
	v_add_nc_u32_e32 v96, 16, v96
	;; [unrolled: 1-line block ×3, first 2 shown]
	v_cmp_lt_u32_e32 vcc_lo, 12, v98
	s_or_b32 s8, vcc_lo, s8
	s_waitcnt vmcnt(2) lgkmcnt(0)
	v_mul_f64 v[108:109], v[102:103], v[104:105]
	v_mul_f64 v[104:105], v[100:101], v[104:105]
	s_waitcnt vmcnt(0)
	v_fma_f64 v[100:101], v[100:101], v[106:107], -v[108:109]
	v_fma_f64 v[102:103], v[102:103], v[106:107], v[104:105]
	v_add_f64 v[1:2], v[1:2], v[100:101]
	v_add_f64 v[3:4], v[3:4], v[102:103]
	s_andn2_b32 exec_lo, exec_lo, s8
	s_cbranch_execnz .LBB107_452
; %bb.453:
	s_or_b32 exec_lo, exec_lo, s8
.LBB107_454:
	s_or_b32 exec_lo, exec_lo, s6
	v_mov_b32_e32 v96, 0
	ds_read_b128 v[100:103], v96 offset:224
	s_waitcnt lgkmcnt(0)
	v_mul_f64 v[96:97], v[3:4], v[102:103]
	v_mul_f64 v[102:103], v[1:2], v[102:103]
	v_fma_f64 v[1:2], v[1:2], v[100:101], -v[96:97]
	v_fma_f64 v[3:4], v[3:4], v[100:101], v[102:103]
	buffer_store_dword v2, off, s[0:3], 0 offset:228
	buffer_store_dword v1, off, s[0:3], 0 offset:224
	;; [unrolled: 1-line block ×4, first 2 shown]
.LBB107_455:
	s_or_b32 exec_lo, exec_lo, s4
	v_mov_b32_e32 v4, s37
	s_mov_b32 s4, exec_lo
	s_clause 0x3
	buffer_load_dword v1, v4, s[0:3], 0 offen
	buffer_load_dword v2, v4, s[0:3], 0 offen offset:4
	buffer_load_dword v3, v4, s[0:3], 0 offen offset:8
	;; [unrolled: 1-line block ×3, first 2 shown]
	s_waitcnt vmcnt(0)
	ds_write_b128 v94, v[1:4]
	s_waitcnt lgkmcnt(0)
	s_waitcnt_vscnt null, 0x0
	s_barrier
	buffer_gl0_inv
	v_cmpx_gt_u32_e32 15, v0
	s_cbranch_execz .LBB107_463
; %bb.456:
	ds_read_b128 v[1:4], v94
	v_cmp_ne_u32_e32 vcc_lo, 1, v95
	s_cbranch_vccnz .LBB107_458
; %bb.457:
	s_clause 0x3
	buffer_load_dword v96, v93, s[0:3], 0 offen offset:8
	buffer_load_dword v97, v93, s[0:3], 0 offen offset:12
	buffer_load_dword v100, v93, s[0:3], 0 offen
	buffer_load_dword v101, v93, s[0:3], 0 offen offset:4
	s_waitcnt vmcnt(2) lgkmcnt(0)
	v_mul_f64 v[102:103], v[3:4], v[96:97]
	v_mul_f64 v[96:97], v[1:2], v[96:97]
	s_waitcnt vmcnt(0)
	v_fma_f64 v[1:2], v[1:2], v[100:101], -v[102:103]
	v_fma_f64 v[3:4], v[3:4], v[100:101], v[96:97]
.LBB107_458:
	s_mov_b32 s6, exec_lo
	v_cmpx_ne_u32_e32 14, v0
	s_cbranch_execz .LBB107_462
; %bb.459:
	v_add_nc_u32_e32 v96, 0x2d0, v99
	v_add3_u32 v97, 0, v99, 16
	v_mov_b32_e32 v98, v0
	s_mov_b32 s8, 0
	.p2align	6
.LBB107_460:                            ; =>This Inner Loop Header: Depth=1
	s_clause 0x3
	buffer_load_dword v104, v97, s[0:3], 0 offen offset:8
	buffer_load_dword v105, v97, s[0:3], 0 offen offset:12
	buffer_load_dword v106, v97, s[0:3], 0 offen
	buffer_load_dword v107, v97, s[0:3], 0 offen offset:4
	ds_read_b128 v[100:103], v96
	v_add_nc_u32_e32 v98, 1, v98
	v_add_nc_u32_e32 v96, 16, v96
	;; [unrolled: 1-line block ×3, first 2 shown]
	v_cmp_lt_u32_e32 vcc_lo, 13, v98
	s_or_b32 s8, vcc_lo, s8
	s_waitcnt vmcnt(2) lgkmcnt(0)
	v_mul_f64 v[108:109], v[102:103], v[104:105]
	v_mul_f64 v[104:105], v[100:101], v[104:105]
	s_waitcnt vmcnt(0)
	v_fma_f64 v[100:101], v[100:101], v[106:107], -v[108:109]
	v_fma_f64 v[102:103], v[102:103], v[106:107], v[104:105]
	v_add_f64 v[1:2], v[1:2], v[100:101]
	v_add_f64 v[3:4], v[3:4], v[102:103]
	s_andn2_b32 exec_lo, exec_lo, s8
	s_cbranch_execnz .LBB107_460
; %bb.461:
	s_or_b32 exec_lo, exec_lo, s8
.LBB107_462:
	s_or_b32 exec_lo, exec_lo, s6
	v_mov_b32_e32 v96, 0
	ds_read_b128 v[100:103], v96 offset:240
	s_waitcnt lgkmcnt(0)
	v_mul_f64 v[96:97], v[3:4], v[102:103]
	v_mul_f64 v[102:103], v[1:2], v[102:103]
	v_fma_f64 v[1:2], v[1:2], v[100:101], -v[96:97]
	v_fma_f64 v[3:4], v[3:4], v[100:101], v[102:103]
	buffer_store_dword v2, off, s[0:3], 0 offset:244
	buffer_store_dword v1, off, s[0:3], 0 offset:240
	;; [unrolled: 1-line block ×4, first 2 shown]
.LBB107_463:
	s_or_b32 exec_lo, exec_lo, s4
	v_mov_b32_e32 v4, s36
	s_mov_b32 s4, exec_lo
	s_clause 0x3
	buffer_load_dword v1, v4, s[0:3], 0 offen
	buffer_load_dword v2, v4, s[0:3], 0 offen offset:4
	buffer_load_dword v3, v4, s[0:3], 0 offen offset:8
	;; [unrolled: 1-line block ×3, first 2 shown]
	s_waitcnt vmcnt(0)
	ds_write_b128 v94, v[1:4]
	s_waitcnt lgkmcnt(0)
	s_waitcnt_vscnt null, 0x0
	s_barrier
	buffer_gl0_inv
	v_cmpx_gt_u32_e32 16, v0
	s_cbranch_execz .LBB107_471
; %bb.464:
	ds_read_b128 v[1:4], v94
	v_cmp_ne_u32_e32 vcc_lo, 1, v95
	s_cbranch_vccnz .LBB107_466
; %bb.465:
	s_clause 0x3
	buffer_load_dword v96, v93, s[0:3], 0 offen offset:8
	buffer_load_dword v97, v93, s[0:3], 0 offen offset:12
	buffer_load_dword v100, v93, s[0:3], 0 offen
	buffer_load_dword v101, v93, s[0:3], 0 offen offset:4
	s_waitcnt vmcnt(2) lgkmcnt(0)
	v_mul_f64 v[102:103], v[3:4], v[96:97]
	v_mul_f64 v[96:97], v[1:2], v[96:97]
	s_waitcnt vmcnt(0)
	v_fma_f64 v[1:2], v[1:2], v[100:101], -v[102:103]
	v_fma_f64 v[3:4], v[3:4], v[100:101], v[96:97]
.LBB107_466:
	s_mov_b32 s6, exec_lo
	v_cmpx_ne_u32_e32 15, v0
	s_cbranch_execz .LBB107_470
; %bb.467:
	v_add_nc_u32_e32 v96, 0x2d0, v99
	v_add3_u32 v97, 0, v99, 16
	v_mov_b32_e32 v98, v0
	s_mov_b32 s8, 0
	.p2align	6
.LBB107_468:                            ; =>This Inner Loop Header: Depth=1
	s_clause 0x3
	buffer_load_dword v104, v97, s[0:3], 0 offen offset:8
	buffer_load_dword v105, v97, s[0:3], 0 offen offset:12
	buffer_load_dword v106, v97, s[0:3], 0 offen
	buffer_load_dword v107, v97, s[0:3], 0 offen offset:4
	ds_read_b128 v[100:103], v96
	v_add_nc_u32_e32 v98, 1, v98
	v_add_nc_u32_e32 v96, 16, v96
	;; [unrolled: 1-line block ×3, first 2 shown]
	v_cmp_lt_u32_e32 vcc_lo, 14, v98
	s_or_b32 s8, vcc_lo, s8
	s_waitcnt vmcnt(2) lgkmcnt(0)
	v_mul_f64 v[108:109], v[102:103], v[104:105]
	v_mul_f64 v[104:105], v[100:101], v[104:105]
	s_waitcnt vmcnt(0)
	v_fma_f64 v[100:101], v[100:101], v[106:107], -v[108:109]
	v_fma_f64 v[102:103], v[102:103], v[106:107], v[104:105]
	v_add_f64 v[1:2], v[1:2], v[100:101]
	v_add_f64 v[3:4], v[3:4], v[102:103]
	s_andn2_b32 exec_lo, exec_lo, s8
	s_cbranch_execnz .LBB107_468
; %bb.469:
	s_or_b32 exec_lo, exec_lo, s8
.LBB107_470:
	s_or_b32 exec_lo, exec_lo, s6
	v_mov_b32_e32 v96, 0
	ds_read_b128 v[100:103], v96 offset:256
	s_waitcnt lgkmcnt(0)
	v_mul_f64 v[96:97], v[3:4], v[102:103]
	v_mul_f64 v[102:103], v[1:2], v[102:103]
	v_fma_f64 v[1:2], v[1:2], v[100:101], -v[96:97]
	v_fma_f64 v[3:4], v[3:4], v[100:101], v[102:103]
	buffer_store_dword v2, off, s[0:3], 0 offset:260
	buffer_store_dword v1, off, s[0:3], 0 offset:256
	;; [unrolled: 1-line block ×4, first 2 shown]
.LBB107_471:
	s_or_b32 exec_lo, exec_lo, s4
	v_mov_b32_e32 v4, s35
	s_mov_b32 s4, exec_lo
	s_clause 0x3
	buffer_load_dword v1, v4, s[0:3], 0 offen
	buffer_load_dword v2, v4, s[0:3], 0 offen offset:4
	buffer_load_dword v3, v4, s[0:3], 0 offen offset:8
	;; [unrolled: 1-line block ×3, first 2 shown]
	s_waitcnt vmcnt(0)
	ds_write_b128 v94, v[1:4]
	s_waitcnt lgkmcnt(0)
	s_waitcnt_vscnt null, 0x0
	s_barrier
	buffer_gl0_inv
	v_cmpx_gt_u32_e32 17, v0
	s_cbranch_execz .LBB107_479
; %bb.472:
	ds_read_b128 v[1:4], v94
	v_cmp_ne_u32_e32 vcc_lo, 1, v95
	s_cbranch_vccnz .LBB107_474
; %bb.473:
	s_clause 0x3
	buffer_load_dword v96, v93, s[0:3], 0 offen offset:8
	buffer_load_dword v97, v93, s[0:3], 0 offen offset:12
	buffer_load_dword v100, v93, s[0:3], 0 offen
	buffer_load_dword v101, v93, s[0:3], 0 offen offset:4
	s_waitcnt vmcnt(2) lgkmcnt(0)
	v_mul_f64 v[102:103], v[3:4], v[96:97]
	v_mul_f64 v[96:97], v[1:2], v[96:97]
	s_waitcnt vmcnt(0)
	v_fma_f64 v[1:2], v[1:2], v[100:101], -v[102:103]
	v_fma_f64 v[3:4], v[3:4], v[100:101], v[96:97]
.LBB107_474:
	s_mov_b32 s6, exec_lo
	v_cmpx_ne_u32_e32 16, v0
	s_cbranch_execz .LBB107_478
; %bb.475:
	v_add_nc_u32_e32 v96, 0x2d0, v99
	v_add3_u32 v97, 0, v99, 16
	v_mov_b32_e32 v98, v0
	s_mov_b32 s8, 0
	.p2align	6
.LBB107_476:                            ; =>This Inner Loop Header: Depth=1
	s_clause 0x3
	buffer_load_dword v104, v97, s[0:3], 0 offen offset:8
	buffer_load_dword v105, v97, s[0:3], 0 offen offset:12
	buffer_load_dword v106, v97, s[0:3], 0 offen
	buffer_load_dword v107, v97, s[0:3], 0 offen offset:4
	ds_read_b128 v[100:103], v96
	v_add_nc_u32_e32 v98, 1, v98
	v_add_nc_u32_e32 v96, 16, v96
	;; [unrolled: 1-line block ×3, first 2 shown]
	v_cmp_lt_u32_e32 vcc_lo, 15, v98
	s_or_b32 s8, vcc_lo, s8
	s_waitcnt vmcnt(2) lgkmcnt(0)
	v_mul_f64 v[108:109], v[102:103], v[104:105]
	v_mul_f64 v[104:105], v[100:101], v[104:105]
	s_waitcnt vmcnt(0)
	v_fma_f64 v[100:101], v[100:101], v[106:107], -v[108:109]
	v_fma_f64 v[102:103], v[102:103], v[106:107], v[104:105]
	v_add_f64 v[1:2], v[1:2], v[100:101]
	v_add_f64 v[3:4], v[3:4], v[102:103]
	s_andn2_b32 exec_lo, exec_lo, s8
	s_cbranch_execnz .LBB107_476
; %bb.477:
	s_or_b32 exec_lo, exec_lo, s8
.LBB107_478:
	s_or_b32 exec_lo, exec_lo, s6
	v_mov_b32_e32 v96, 0
	ds_read_b128 v[100:103], v96 offset:272
	s_waitcnt lgkmcnt(0)
	v_mul_f64 v[96:97], v[3:4], v[102:103]
	v_mul_f64 v[102:103], v[1:2], v[102:103]
	v_fma_f64 v[1:2], v[1:2], v[100:101], -v[96:97]
	v_fma_f64 v[3:4], v[3:4], v[100:101], v[102:103]
	buffer_store_dword v2, off, s[0:3], 0 offset:276
	buffer_store_dword v1, off, s[0:3], 0 offset:272
	;; [unrolled: 1-line block ×4, first 2 shown]
.LBB107_479:
	s_or_b32 exec_lo, exec_lo, s4
	v_mov_b32_e32 v4, s34
	s_mov_b32 s4, exec_lo
	s_clause 0x3
	buffer_load_dword v1, v4, s[0:3], 0 offen
	buffer_load_dword v2, v4, s[0:3], 0 offen offset:4
	buffer_load_dword v3, v4, s[0:3], 0 offen offset:8
	;; [unrolled: 1-line block ×3, first 2 shown]
	s_waitcnt vmcnt(0)
	ds_write_b128 v94, v[1:4]
	s_waitcnt lgkmcnt(0)
	s_waitcnt_vscnt null, 0x0
	s_barrier
	buffer_gl0_inv
	v_cmpx_gt_u32_e32 18, v0
	s_cbranch_execz .LBB107_487
; %bb.480:
	ds_read_b128 v[1:4], v94
	v_cmp_ne_u32_e32 vcc_lo, 1, v95
	s_cbranch_vccnz .LBB107_482
; %bb.481:
	s_clause 0x3
	buffer_load_dword v96, v93, s[0:3], 0 offen offset:8
	buffer_load_dword v97, v93, s[0:3], 0 offen offset:12
	buffer_load_dword v100, v93, s[0:3], 0 offen
	buffer_load_dword v101, v93, s[0:3], 0 offen offset:4
	s_waitcnt vmcnt(2) lgkmcnt(0)
	v_mul_f64 v[102:103], v[3:4], v[96:97]
	v_mul_f64 v[96:97], v[1:2], v[96:97]
	s_waitcnt vmcnt(0)
	v_fma_f64 v[1:2], v[1:2], v[100:101], -v[102:103]
	v_fma_f64 v[3:4], v[3:4], v[100:101], v[96:97]
.LBB107_482:
	s_mov_b32 s6, exec_lo
	v_cmpx_ne_u32_e32 17, v0
	s_cbranch_execz .LBB107_486
; %bb.483:
	v_add_nc_u32_e32 v96, 0x2d0, v99
	v_add3_u32 v97, 0, v99, 16
	v_mov_b32_e32 v98, v0
	s_mov_b32 s8, 0
	.p2align	6
.LBB107_484:                            ; =>This Inner Loop Header: Depth=1
	s_clause 0x3
	buffer_load_dword v104, v97, s[0:3], 0 offen offset:8
	buffer_load_dword v105, v97, s[0:3], 0 offen offset:12
	buffer_load_dword v106, v97, s[0:3], 0 offen
	buffer_load_dword v107, v97, s[0:3], 0 offen offset:4
	ds_read_b128 v[100:103], v96
	v_add_nc_u32_e32 v98, 1, v98
	v_add_nc_u32_e32 v96, 16, v96
	;; [unrolled: 1-line block ×3, first 2 shown]
	v_cmp_lt_u32_e32 vcc_lo, 16, v98
	s_or_b32 s8, vcc_lo, s8
	s_waitcnt vmcnt(2) lgkmcnt(0)
	v_mul_f64 v[108:109], v[102:103], v[104:105]
	v_mul_f64 v[104:105], v[100:101], v[104:105]
	s_waitcnt vmcnt(0)
	v_fma_f64 v[100:101], v[100:101], v[106:107], -v[108:109]
	v_fma_f64 v[102:103], v[102:103], v[106:107], v[104:105]
	v_add_f64 v[1:2], v[1:2], v[100:101]
	v_add_f64 v[3:4], v[3:4], v[102:103]
	s_andn2_b32 exec_lo, exec_lo, s8
	s_cbranch_execnz .LBB107_484
; %bb.485:
	s_or_b32 exec_lo, exec_lo, s8
.LBB107_486:
	s_or_b32 exec_lo, exec_lo, s6
	v_mov_b32_e32 v96, 0
	ds_read_b128 v[100:103], v96 offset:288
	s_waitcnt lgkmcnt(0)
	v_mul_f64 v[96:97], v[3:4], v[102:103]
	v_mul_f64 v[102:103], v[1:2], v[102:103]
	v_fma_f64 v[1:2], v[1:2], v[100:101], -v[96:97]
	v_fma_f64 v[3:4], v[3:4], v[100:101], v[102:103]
	buffer_store_dword v2, off, s[0:3], 0 offset:292
	buffer_store_dword v1, off, s[0:3], 0 offset:288
	;; [unrolled: 1-line block ×4, first 2 shown]
.LBB107_487:
	s_or_b32 exec_lo, exec_lo, s4
	v_mov_b32_e32 v4, s33
	s_mov_b32 s4, exec_lo
	s_clause 0x3
	buffer_load_dword v1, v4, s[0:3], 0 offen
	buffer_load_dword v2, v4, s[0:3], 0 offen offset:4
	buffer_load_dword v3, v4, s[0:3], 0 offen offset:8
	;; [unrolled: 1-line block ×3, first 2 shown]
	s_waitcnt vmcnt(0)
	ds_write_b128 v94, v[1:4]
	s_waitcnt lgkmcnt(0)
	s_waitcnt_vscnt null, 0x0
	s_barrier
	buffer_gl0_inv
	v_cmpx_gt_u32_e32 19, v0
	s_cbranch_execz .LBB107_495
; %bb.488:
	ds_read_b128 v[1:4], v94
	v_cmp_ne_u32_e32 vcc_lo, 1, v95
	s_cbranch_vccnz .LBB107_490
; %bb.489:
	s_clause 0x3
	buffer_load_dword v96, v93, s[0:3], 0 offen offset:8
	buffer_load_dword v97, v93, s[0:3], 0 offen offset:12
	buffer_load_dword v100, v93, s[0:3], 0 offen
	buffer_load_dword v101, v93, s[0:3], 0 offen offset:4
	s_waitcnt vmcnt(2) lgkmcnt(0)
	v_mul_f64 v[102:103], v[3:4], v[96:97]
	v_mul_f64 v[96:97], v[1:2], v[96:97]
	s_waitcnt vmcnt(0)
	v_fma_f64 v[1:2], v[1:2], v[100:101], -v[102:103]
	v_fma_f64 v[3:4], v[3:4], v[100:101], v[96:97]
.LBB107_490:
	s_mov_b32 s6, exec_lo
	v_cmpx_ne_u32_e32 18, v0
	s_cbranch_execz .LBB107_494
; %bb.491:
	v_add_nc_u32_e32 v96, 0x2d0, v99
	v_add3_u32 v97, 0, v99, 16
	v_mov_b32_e32 v98, v0
	s_mov_b32 s8, 0
	.p2align	6
.LBB107_492:                            ; =>This Inner Loop Header: Depth=1
	s_clause 0x3
	buffer_load_dword v104, v97, s[0:3], 0 offen offset:8
	buffer_load_dword v105, v97, s[0:3], 0 offen offset:12
	buffer_load_dword v106, v97, s[0:3], 0 offen
	buffer_load_dword v107, v97, s[0:3], 0 offen offset:4
	ds_read_b128 v[100:103], v96
	v_add_nc_u32_e32 v98, 1, v98
	v_add_nc_u32_e32 v96, 16, v96
	;; [unrolled: 1-line block ×3, first 2 shown]
	v_cmp_lt_u32_e32 vcc_lo, 17, v98
	s_or_b32 s8, vcc_lo, s8
	s_waitcnt vmcnt(2) lgkmcnt(0)
	v_mul_f64 v[108:109], v[102:103], v[104:105]
	v_mul_f64 v[104:105], v[100:101], v[104:105]
	s_waitcnt vmcnt(0)
	v_fma_f64 v[100:101], v[100:101], v[106:107], -v[108:109]
	v_fma_f64 v[102:103], v[102:103], v[106:107], v[104:105]
	v_add_f64 v[1:2], v[1:2], v[100:101]
	v_add_f64 v[3:4], v[3:4], v[102:103]
	s_andn2_b32 exec_lo, exec_lo, s8
	s_cbranch_execnz .LBB107_492
; %bb.493:
	s_or_b32 exec_lo, exec_lo, s8
.LBB107_494:
	s_or_b32 exec_lo, exec_lo, s6
	v_mov_b32_e32 v96, 0
	ds_read_b128 v[100:103], v96 offset:304
	s_waitcnt lgkmcnt(0)
	v_mul_f64 v[96:97], v[3:4], v[102:103]
	v_mul_f64 v[102:103], v[1:2], v[102:103]
	v_fma_f64 v[1:2], v[1:2], v[100:101], -v[96:97]
	v_fma_f64 v[3:4], v[3:4], v[100:101], v[102:103]
	buffer_store_dword v2, off, s[0:3], 0 offset:308
	buffer_store_dword v1, off, s[0:3], 0 offset:304
	;; [unrolled: 1-line block ×4, first 2 shown]
.LBB107_495:
	s_or_b32 exec_lo, exec_lo, s4
	v_mov_b32_e32 v4, s31
	s_mov_b32 s4, exec_lo
	s_clause 0x3
	buffer_load_dword v1, v4, s[0:3], 0 offen
	buffer_load_dword v2, v4, s[0:3], 0 offen offset:4
	buffer_load_dword v3, v4, s[0:3], 0 offen offset:8
	;; [unrolled: 1-line block ×3, first 2 shown]
	s_waitcnt vmcnt(0)
	ds_write_b128 v94, v[1:4]
	s_waitcnt lgkmcnt(0)
	s_waitcnt_vscnt null, 0x0
	s_barrier
	buffer_gl0_inv
	v_cmpx_gt_u32_e32 20, v0
	s_cbranch_execz .LBB107_503
; %bb.496:
	ds_read_b128 v[1:4], v94
	v_cmp_ne_u32_e32 vcc_lo, 1, v95
	s_cbranch_vccnz .LBB107_498
; %bb.497:
	s_clause 0x3
	buffer_load_dword v96, v93, s[0:3], 0 offen offset:8
	buffer_load_dword v97, v93, s[0:3], 0 offen offset:12
	buffer_load_dword v100, v93, s[0:3], 0 offen
	buffer_load_dword v101, v93, s[0:3], 0 offen offset:4
	s_waitcnt vmcnt(2) lgkmcnt(0)
	v_mul_f64 v[102:103], v[3:4], v[96:97]
	v_mul_f64 v[96:97], v[1:2], v[96:97]
	s_waitcnt vmcnt(0)
	v_fma_f64 v[1:2], v[1:2], v[100:101], -v[102:103]
	v_fma_f64 v[3:4], v[3:4], v[100:101], v[96:97]
.LBB107_498:
	s_mov_b32 s6, exec_lo
	v_cmpx_ne_u32_e32 19, v0
	s_cbranch_execz .LBB107_502
; %bb.499:
	v_add_nc_u32_e32 v96, 0x2d0, v99
	v_add3_u32 v97, 0, v99, 16
	v_mov_b32_e32 v98, v0
	s_mov_b32 s8, 0
	.p2align	6
.LBB107_500:                            ; =>This Inner Loop Header: Depth=1
	s_clause 0x3
	buffer_load_dword v104, v97, s[0:3], 0 offen offset:8
	buffer_load_dword v105, v97, s[0:3], 0 offen offset:12
	buffer_load_dword v106, v97, s[0:3], 0 offen
	buffer_load_dword v107, v97, s[0:3], 0 offen offset:4
	ds_read_b128 v[100:103], v96
	v_add_nc_u32_e32 v98, 1, v98
	v_add_nc_u32_e32 v96, 16, v96
	;; [unrolled: 1-line block ×3, first 2 shown]
	v_cmp_lt_u32_e32 vcc_lo, 18, v98
	s_or_b32 s8, vcc_lo, s8
	s_waitcnt vmcnt(2) lgkmcnt(0)
	v_mul_f64 v[108:109], v[102:103], v[104:105]
	v_mul_f64 v[104:105], v[100:101], v[104:105]
	s_waitcnt vmcnt(0)
	v_fma_f64 v[100:101], v[100:101], v[106:107], -v[108:109]
	v_fma_f64 v[102:103], v[102:103], v[106:107], v[104:105]
	v_add_f64 v[1:2], v[1:2], v[100:101]
	v_add_f64 v[3:4], v[3:4], v[102:103]
	s_andn2_b32 exec_lo, exec_lo, s8
	s_cbranch_execnz .LBB107_500
; %bb.501:
	s_or_b32 exec_lo, exec_lo, s8
.LBB107_502:
	s_or_b32 exec_lo, exec_lo, s6
	v_mov_b32_e32 v96, 0
	ds_read_b128 v[100:103], v96 offset:320
	s_waitcnt lgkmcnt(0)
	v_mul_f64 v[96:97], v[3:4], v[102:103]
	v_mul_f64 v[102:103], v[1:2], v[102:103]
	v_fma_f64 v[1:2], v[1:2], v[100:101], -v[96:97]
	v_fma_f64 v[3:4], v[3:4], v[100:101], v[102:103]
	buffer_store_dword v2, off, s[0:3], 0 offset:324
	buffer_store_dword v1, off, s[0:3], 0 offset:320
	;; [unrolled: 1-line block ×4, first 2 shown]
.LBB107_503:
	s_or_b32 exec_lo, exec_lo, s4
	v_mov_b32_e32 v4, s30
	s_mov_b32 s4, exec_lo
	s_clause 0x3
	buffer_load_dword v1, v4, s[0:3], 0 offen
	buffer_load_dword v2, v4, s[0:3], 0 offen offset:4
	buffer_load_dword v3, v4, s[0:3], 0 offen offset:8
	;; [unrolled: 1-line block ×3, first 2 shown]
	s_waitcnt vmcnt(0)
	ds_write_b128 v94, v[1:4]
	s_waitcnt lgkmcnt(0)
	s_waitcnt_vscnt null, 0x0
	s_barrier
	buffer_gl0_inv
	v_cmpx_gt_u32_e32 21, v0
	s_cbranch_execz .LBB107_511
; %bb.504:
	ds_read_b128 v[1:4], v94
	v_cmp_ne_u32_e32 vcc_lo, 1, v95
	s_cbranch_vccnz .LBB107_506
; %bb.505:
	s_clause 0x3
	buffer_load_dword v96, v93, s[0:3], 0 offen offset:8
	buffer_load_dword v97, v93, s[0:3], 0 offen offset:12
	buffer_load_dword v100, v93, s[0:3], 0 offen
	buffer_load_dword v101, v93, s[0:3], 0 offen offset:4
	s_waitcnt vmcnt(2) lgkmcnt(0)
	v_mul_f64 v[102:103], v[3:4], v[96:97]
	v_mul_f64 v[96:97], v[1:2], v[96:97]
	s_waitcnt vmcnt(0)
	v_fma_f64 v[1:2], v[1:2], v[100:101], -v[102:103]
	v_fma_f64 v[3:4], v[3:4], v[100:101], v[96:97]
.LBB107_506:
	s_mov_b32 s6, exec_lo
	v_cmpx_ne_u32_e32 20, v0
	s_cbranch_execz .LBB107_510
; %bb.507:
	v_add_nc_u32_e32 v96, 0x2d0, v99
	v_add3_u32 v97, 0, v99, 16
	v_mov_b32_e32 v98, v0
	s_mov_b32 s8, 0
	.p2align	6
.LBB107_508:                            ; =>This Inner Loop Header: Depth=1
	s_clause 0x3
	buffer_load_dword v104, v97, s[0:3], 0 offen offset:8
	buffer_load_dword v105, v97, s[0:3], 0 offen offset:12
	buffer_load_dword v106, v97, s[0:3], 0 offen
	buffer_load_dword v107, v97, s[0:3], 0 offen offset:4
	ds_read_b128 v[100:103], v96
	v_add_nc_u32_e32 v98, 1, v98
	v_add_nc_u32_e32 v96, 16, v96
	;; [unrolled: 1-line block ×3, first 2 shown]
	v_cmp_lt_u32_e32 vcc_lo, 19, v98
	s_or_b32 s8, vcc_lo, s8
	s_waitcnt vmcnt(2) lgkmcnt(0)
	v_mul_f64 v[108:109], v[102:103], v[104:105]
	v_mul_f64 v[104:105], v[100:101], v[104:105]
	s_waitcnt vmcnt(0)
	v_fma_f64 v[100:101], v[100:101], v[106:107], -v[108:109]
	v_fma_f64 v[102:103], v[102:103], v[106:107], v[104:105]
	v_add_f64 v[1:2], v[1:2], v[100:101]
	v_add_f64 v[3:4], v[3:4], v[102:103]
	s_andn2_b32 exec_lo, exec_lo, s8
	s_cbranch_execnz .LBB107_508
; %bb.509:
	s_or_b32 exec_lo, exec_lo, s8
.LBB107_510:
	s_or_b32 exec_lo, exec_lo, s6
	v_mov_b32_e32 v96, 0
	ds_read_b128 v[100:103], v96 offset:336
	s_waitcnt lgkmcnt(0)
	v_mul_f64 v[96:97], v[3:4], v[102:103]
	v_mul_f64 v[102:103], v[1:2], v[102:103]
	v_fma_f64 v[1:2], v[1:2], v[100:101], -v[96:97]
	v_fma_f64 v[3:4], v[3:4], v[100:101], v[102:103]
	buffer_store_dword v2, off, s[0:3], 0 offset:340
	buffer_store_dword v1, off, s[0:3], 0 offset:336
	;; [unrolled: 1-line block ×4, first 2 shown]
.LBB107_511:
	s_or_b32 exec_lo, exec_lo, s4
	v_mov_b32_e32 v4, s29
	s_mov_b32 s4, exec_lo
	s_clause 0x3
	buffer_load_dword v1, v4, s[0:3], 0 offen
	buffer_load_dword v2, v4, s[0:3], 0 offen offset:4
	buffer_load_dword v3, v4, s[0:3], 0 offen offset:8
	;; [unrolled: 1-line block ×3, first 2 shown]
	s_waitcnt vmcnt(0)
	ds_write_b128 v94, v[1:4]
	s_waitcnt lgkmcnt(0)
	s_waitcnt_vscnt null, 0x0
	s_barrier
	buffer_gl0_inv
	v_cmpx_gt_u32_e32 22, v0
	s_cbranch_execz .LBB107_519
; %bb.512:
	ds_read_b128 v[1:4], v94
	v_cmp_ne_u32_e32 vcc_lo, 1, v95
	s_cbranch_vccnz .LBB107_514
; %bb.513:
	s_clause 0x3
	buffer_load_dword v96, v93, s[0:3], 0 offen offset:8
	buffer_load_dword v97, v93, s[0:3], 0 offen offset:12
	buffer_load_dword v100, v93, s[0:3], 0 offen
	buffer_load_dword v101, v93, s[0:3], 0 offen offset:4
	s_waitcnt vmcnt(2) lgkmcnt(0)
	v_mul_f64 v[102:103], v[3:4], v[96:97]
	v_mul_f64 v[96:97], v[1:2], v[96:97]
	s_waitcnt vmcnt(0)
	v_fma_f64 v[1:2], v[1:2], v[100:101], -v[102:103]
	v_fma_f64 v[3:4], v[3:4], v[100:101], v[96:97]
.LBB107_514:
	s_mov_b32 s6, exec_lo
	v_cmpx_ne_u32_e32 21, v0
	s_cbranch_execz .LBB107_518
; %bb.515:
	v_add_nc_u32_e32 v96, 0x2d0, v99
	v_add3_u32 v97, 0, v99, 16
	v_mov_b32_e32 v98, v0
	s_mov_b32 s8, 0
	.p2align	6
.LBB107_516:                            ; =>This Inner Loop Header: Depth=1
	s_clause 0x3
	buffer_load_dword v104, v97, s[0:3], 0 offen offset:8
	buffer_load_dword v105, v97, s[0:3], 0 offen offset:12
	buffer_load_dword v106, v97, s[0:3], 0 offen
	buffer_load_dword v107, v97, s[0:3], 0 offen offset:4
	ds_read_b128 v[100:103], v96
	v_add_nc_u32_e32 v98, 1, v98
	v_add_nc_u32_e32 v96, 16, v96
	;; [unrolled: 1-line block ×3, first 2 shown]
	v_cmp_lt_u32_e32 vcc_lo, 20, v98
	s_or_b32 s8, vcc_lo, s8
	s_waitcnt vmcnt(2) lgkmcnt(0)
	v_mul_f64 v[108:109], v[102:103], v[104:105]
	v_mul_f64 v[104:105], v[100:101], v[104:105]
	s_waitcnt vmcnt(0)
	v_fma_f64 v[100:101], v[100:101], v[106:107], -v[108:109]
	v_fma_f64 v[102:103], v[102:103], v[106:107], v[104:105]
	v_add_f64 v[1:2], v[1:2], v[100:101]
	v_add_f64 v[3:4], v[3:4], v[102:103]
	s_andn2_b32 exec_lo, exec_lo, s8
	s_cbranch_execnz .LBB107_516
; %bb.517:
	s_or_b32 exec_lo, exec_lo, s8
.LBB107_518:
	s_or_b32 exec_lo, exec_lo, s6
	v_mov_b32_e32 v96, 0
	ds_read_b128 v[100:103], v96 offset:352
	s_waitcnt lgkmcnt(0)
	v_mul_f64 v[96:97], v[3:4], v[102:103]
	v_mul_f64 v[102:103], v[1:2], v[102:103]
	v_fma_f64 v[1:2], v[1:2], v[100:101], -v[96:97]
	v_fma_f64 v[3:4], v[3:4], v[100:101], v[102:103]
	buffer_store_dword v2, off, s[0:3], 0 offset:356
	buffer_store_dword v1, off, s[0:3], 0 offset:352
	;; [unrolled: 1-line block ×4, first 2 shown]
.LBB107_519:
	s_or_b32 exec_lo, exec_lo, s4
	v_mov_b32_e32 v4, s28
	s_mov_b32 s4, exec_lo
	s_clause 0x3
	buffer_load_dword v1, v4, s[0:3], 0 offen
	buffer_load_dword v2, v4, s[0:3], 0 offen offset:4
	buffer_load_dword v3, v4, s[0:3], 0 offen offset:8
	;; [unrolled: 1-line block ×3, first 2 shown]
	s_waitcnt vmcnt(0)
	ds_write_b128 v94, v[1:4]
	s_waitcnt lgkmcnt(0)
	s_waitcnt_vscnt null, 0x0
	s_barrier
	buffer_gl0_inv
	v_cmpx_gt_u32_e32 23, v0
	s_cbranch_execz .LBB107_527
; %bb.520:
	ds_read_b128 v[1:4], v94
	v_cmp_ne_u32_e32 vcc_lo, 1, v95
	s_cbranch_vccnz .LBB107_522
; %bb.521:
	s_clause 0x3
	buffer_load_dword v96, v93, s[0:3], 0 offen offset:8
	buffer_load_dword v97, v93, s[0:3], 0 offen offset:12
	buffer_load_dword v100, v93, s[0:3], 0 offen
	buffer_load_dword v101, v93, s[0:3], 0 offen offset:4
	s_waitcnt vmcnt(2) lgkmcnt(0)
	v_mul_f64 v[102:103], v[3:4], v[96:97]
	v_mul_f64 v[96:97], v[1:2], v[96:97]
	s_waitcnt vmcnt(0)
	v_fma_f64 v[1:2], v[1:2], v[100:101], -v[102:103]
	v_fma_f64 v[3:4], v[3:4], v[100:101], v[96:97]
.LBB107_522:
	s_mov_b32 s6, exec_lo
	v_cmpx_ne_u32_e32 22, v0
	s_cbranch_execz .LBB107_526
; %bb.523:
	v_add_nc_u32_e32 v96, 0x2d0, v99
	v_add3_u32 v97, 0, v99, 16
	v_mov_b32_e32 v98, v0
	s_mov_b32 s8, 0
	.p2align	6
.LBB107_524:                            ; =>This Inner Loop Header: Depth=1
	s_clause 0x3
	buffer_load_dword v104, v97, s[0:3], 0 offen offset:8
	buffer_load_dword v105, v97, s[0:3], 0 offen offset:12
	buffer_load_dword v106, v97, s[0:3], 0 offen
	buffer_load_dword v107, v97, s[0:3], 0 offen offset:4
	ds_read_b128 v[100:103], v96
	v_add_nc_u32_e32 v98, 1, v98
	v_add_nc_u32_e32 v96, 16, v96
	;; [unrolled: 1-line block ×3, first 2 shown]
	v_cmp_lt_u32_e32 vcc_lo, 21, v98
	s_or_b32 s8, vcc_lo, s8
	s_waitcnt vmcnt(2) lgkmcnt(0)
	v_mul_f64 v[108:109], v[102:103], v[104:105]
	v_mul_f64 v[104:105], v[100:101], v[104:105]
	s_waitcnt vmcnt(0)
	v_fma_f64 v[100:101], v[100:101], v[106:107], -v[108:109]
	v_fma_f64 v[102:103], v[102:103], v[106:107], v[104:105]
	v_add_f64 v[1:2], v[1:2], v[100:101]
	v_add_f64 v[3:4], v[3:4], v[102:103]
	s_andn2_b32 exec_lo, exec_lo, s8
	s_cbranch_execnz .LBB107_524
; %bb.525:
	s_or_b32 exec_lo, exec_lo, s8
.LBB107_526:
	s_or_b32 exec_lo, exec_lo, s6
	v_mov_b32_e32 v96, 0
	ds_read_b128 v[100:103], v96 offset:368
	s_waitcnt lgkmcnt(0)
	v_mul_f64 v[96:97], v[3:4], v[102:103]
	v_mul_f64 v[102:103], v[1:2], v[102:103]
	v_fma_f64 v[1:2], v[1:2], v[100:101], -v[96:97]
	v_fma_f64 v[3:4], v[3:4], v[100:101], v[102:103]
	buffer_store_dword v2, off, s[0:3], 0 offset:372
	buffer_store_dword v1, off, s[0:3], 0 offset:368
	;; [unrolled: 1-line block ×4, first 2 shown]
.LBB107_527:
	s_or_b32 exec_lo, exec_lo, s4
	v_mov_b32_e32 v4, s27
	s_mov_b32 s4, exec_lo
	s_clause 0x3
	buffer_load_dword v1, v4, s[0:3], 0 offen
	buffer_load_dword v2, v4, s[0:3], 0 offen offset:4
	buffer_load_dword v3, v4, s[0:3], 0 offen offset:8
	;; [unrolled: 1-line block ×3, first 2 shown]
	s_waitcnt vmcnt(0)
	ds_write_b128 v94, v[1:4]
	s_waitcnt lgkmcnt(0)
	s_waitcnt_vscnt null, 0x0
	s_barrier
	buffer_gl0_inv
	v_cmpx_gt_u32_e32 24, v0
	s_cbranch_execz .LBB107_535
; %bb.528:
	ds_read_b128 v[1:4], v94
	v_cmp_ne_u32_e32 vcc_lo, 1, v95
	s_cbranch_vccnz .LBB107_530
; %bb.529:
	s_clause 0x3
	buffer_load_dword v96, v93, s[0:3], 0 offen offset:8
	buffer_load_dword v97, v93, s[0:3], 0 offen offset:12
	buffer_load_dword v100, v93, s[0:3], 0 offen
	buffer_load_dword v101, v93, s[0:3], 0 offen offset:4
	s_waitcnt vmcnt(2) lgkmcnt(0)
	v_mul_f64 v[102:103], v[3:4], v[96:97]
	v_mul_f64 v[96:97], v[1:2], v[96:97]
	s_waitcnt vmcnt(0)
	v_fma_f64 v[1:2], v[1:2], v[100:101], -v[102:103]
	v_fma_f64 v[3:4], v[3:4], v[100:101], v[96:97]
.LBB107_530:
	s_mov_b32 s6, exec_lo
	v_cmpx_ne_u32_e32 23, v0
	s_cbranch_execz .LBB107_534
; %bb.531:
	v_add_nc_u32_e32 v96, 0x2d0, v99
	v_add3_u32 v97, 0, v99, 16
	v_mov_b32_e32 v98, v0
	s_mov_b32 s8, 0
	.p2align	6
.LBB107_532:                            ; =>This Inner Loop Header: Depth=1
	s_clause 0x3
	buffer_load_dword v104, v97, s[0:3], 0 offen offset:8
	buffer_load_dword v105, v97, s[0:3], 0 offen offset:12
	buffer_load_dword v106, v97, s[0:3], 0 offen
	buffer_load_dword v107, v97, s[0:3], 0 offen offset:4
	ds_read_b128 v[100:103], v96
	v_add_nc_u32_e32 v98, 1, v98
	v_add_nc_u32_e32 v96, 16, v96
	;; [unrolled: 1-line block ×3, first 2 shown]
	v_cmp_lt_u32_e32 vcc_lo, 22, v98
	s_or_b32 s8, vcc_lo, s8
	s_waitcnt vmcnt(2) lgkmcnt(0)
	v_mul_f64 v[108:109], v[102:103], v[104:105]
	v_mul_f64 v[104:105], v[100:101], v[104:105]
	s_waitcnt vmcnt(0)
	v_fma_f64 v[100:101], v[100:101], v[106:107], -v[108:109]
	v_fma_f64 v[102:103], v[102:103], v[106:107], v[104:105]
	v_add_f64 v[1:2], v[1:2], v[100:101]
	v_add_f64 v[3:4], v[3:4], v[102:103]
	s_andn2_b32 exec_lo, exec_lo, s8
	s_cbranch_execnz .LBB107_532
; %bb.533:
	s_or_b32 exec_lo, exec_lo, s8
.LBB107_534:
	s_or_b32 exec_lo, exec_lo, s6
	v_mov_b32_e32 v96, 0
	ds_read_b128 v[100:103], v96 offset:384
	s_waitcnt lgkmcnt(0)
	v_mul_f64 v[96:97], v[3:4], v[102:103]
	v_mul_f64 v[102:103], v[1:2], v[102:103]
	v_fma_f64 v[1:2], v[1:2], v[100:101], -v[96:97]
	v_fma_f64 v[3:4], v[3:4], v[100:101], v[102:103]
	buffer_store_dword v2, off, s[0:3], 0 offset:388
	buffer_store_dword v1, off, s[0:3], 0 offset:384
	;; [unrolled: 1-line block ×4, first 2 shown]
.LBB107_535:
	s_or_b32 exec_lo, exec_lo, s4
	v_mov_b32_e32 v4, s26
	s_mov_b32 s4, exec_lo
	s_clause 0x3
	buffer_load_dword v1, v4, s[0:3], 0 offen
	buffer_load_dword v2, v4, s[0:3], 0 offen offset:4
	buffer_load_dword v3, v4, s[0:3], 0 offen offset:8
	;; [unrolled: 1-line block ×3, first 2 shown]
	s_waitcnt vmcnt(0)
	ds_write_b128 v94, v[1:4]
	s_waitcnt lgkmcnt(0)
	s_waitcnt_vscnt null, 0x0
	s_barrier
	buffer_gl0_inv
	v_cmpx_gt_u32_e32 25, v0
	s_cbranch_execz .LBB107_543
; %bb.536:
	ds_read_b128 v[1:4], v94
	v_cmp_ne_u32_e32 vcc_lo, 1, v95
	s_cbranch_vccnz .LBB107_538
; %bb.537:
	s_clause 0x3
	buffer_load_dword v96, v93, s[0:3], 0 offen offset:8
	buffer_load_dword v97, v93, s[0:3], 0 offen offset:12
	buffer_load_dword v100, v93, s[0:3], 0 offen
	buffer_load_dword v101, v93, s[0:3], 0 offen offset:4
	s_waitcnt vmcnt(2) lgkmcnt(0)
	v_mul_f64 v[102:103], v[3:4], v[96:97]
	v_mul_f64 v[96:97], v[1:2], v[96:97]
	s_waitcnt vmcnt(0)
	v_fma_f64 v[1:2], v[1:2], v[100:101], -v[102:103]
	v_fma_f64 v[3:4], v[3:4], v[100:101], v[96:97]
.LBB107_538:
	s_mov_b32 s6, exec_lo
	v_cmpx_ne_u32_e32 24, v0
	s_cbranch_execz .LBB107_542
; %bb.539:
	v_add_nc_u32_e32 v96, 0x2d0, v99
	v_add3_u32 v97, 0, v99, 16
	v_mov_b32_e32 v98, v0
	s_mov_b32 s8, 0
	.p2align	6
.LBB107_540:                            ; =>This Inner Loop Header: Depth=1
	s_clause 0x3
	buffer_load_dword v104, v97, s[0:3], 0 offen offset:8
	buffer_load_dword v105, v97, s[0:3], 0 offen offset:12
	buffer_load_dword v106, v97, s[0:3], 0 offen
	buffer_load_dword v107, v97, s[0:3], 0 offen offset:4
	ds_read_b128 v[100:103], v96
	v_add_nc_u32_e32 v98, 1, v98
	v_add_nc_u32_e32 v96, 16, v96
	;; [unrolled: 1-line block ×3, first 2 shown]
	v_cmp_lt_u32_e32 vcc_lo, 23, v98
	s_or_b32 s8, vcc_lo, s8
	s_waitcnt vmcnt(2) lgkmcnt(0)
	v_mul_f64 v[108:109], v[102:103], v[104:105]
	v_mul_f64 v[104:105], v[100:101], v[104:105]
	s_waitcnt vmcnt(0)
	v_fma_f64 v[100:101], v[100:101], v[106:107], -v[108:109]
	v_fma_f64 v[102:103], v[102:103], v[106:107], v[104:105]
	v_add_f64 v[1:2], v[1:2], v[100:101]
	v_add_f64 v[3:4], v[3:4], v[102:103]
	s_andn2_b32 exec_lo, exec_lo, s8
	s_cbranch_execnz .LBB107_540
; %bb.541:
	s_or_b32 exec_lo, exec_lo, s8
.LBB107_542:
	s_or_b32 exec_lo, exec_lo, s6
	v_mov_b32_e32 v96, 0
	ds_read_b128 v[100:103], v96 offset:400
	s_waitcnt lgkmcnt(0)
	v_mul_f64 v[96:97], v[3:4], v[102:103]
	v_mul_f64 v[102:103], v[1:2], v[102:103]
	v_fma_f64 v[1:2], v[1:2], v[100:101], -v[96:97]
	v_fma_f64 v[3:4], v[3:4], v[100:101], v[102:103]
	buffer_store_dword v2, off, s[0:3], 0 offset:404
	buffer_store_dword v1, off, s[0:3], 0 offset:400
	;; [unrolled: 1-line block ×4, first 2 shown]
.LBB107_543:
	s_or_b32 exec_lo, exec_lo, s4
	v_mov_b32_e32 v4, s25
	s_mov_b32 s4, exec_lo
	s_clause 0x3
	buffer_load_dword v1, v4, s[0:3], 0 offen
	buffer_load_dword v2, v4, s[0:3], 0 offen offset:4
	buffer_load_dword v3, v4, s[0:3], 0 offen offset:8
	;; [unrolled: 1-line block ×3, first 2 shown]
	s_waitcnt vmcnt(0)
	ds_write_b128 v94, v[1:4]
	s_waitcnt lgkmcnt(0)
	s_waitcnt_vscnt null, 0x0
	s_barrier
	buffer_gl0_inv
	v_cmpx_gt_u32_e32 26, v0
	s_cbranch_execz .LBB107_551
; %bb.544:
	ds_read_b128 v[1:4], v94
	v_cmp_ne_u32_e32 vcc_lo, 1, v95
	s_cbranch_vccnz .LBB107_546
; %bb.545:
	s_clause 0x3
	buffer_load_dword v96, v93, s[0:3], 0 offen offset:8
	buffer_load_dword v97, v93, s[0:3], 0 offen offset:12
	buffer_load_dword v100, v93, s[0:3], 0 offen
	buffer_load_dword v101, v93, s[0:3], 0 offen offset:4
	s_waitcnt vmcnt(2) lgkmcnt(0)
	v_mul_f64 v[102:103], v[3:4], v[96:97]
	v_mul_f64 v[96:97], v[1:2], v[96:97]
	s_waitcnt vmcnt(0)
	v_fma_f64 v[1:2], v[1:2], v[100:101], -v[102:103]
	v_fma_f64 v[3:4], v[3:4], v[100:101], v[96:97]
.LBB107_546:
	s_mov_b32 s6, exec_lo
	v_cmpx_ne_u32_e32 25, v0
	s_cbranch_execz .LBB107_550
; %bb.547:
	v_add_nc_u32_e32 v96, 0x2d0, v99
	v_add3_u32 v97, 0, v99, 16
	v_mov_b32_e32 v98, v0
	s_mov_b32 s8, 0
	.p2align	6
.LBB107_548:                            ; =>This Inner Loop Header: Depth=1
	s_clause 0x3
	buffer_load_dword v104, v97, s[0:3], 0 offen offset:8
	buffer_load_dword v105, v97, s[0:3], 0 offen offset:12
	buffer_load_dword v106, v97, s[0:3], 0 offen
	buffer_load_dword v107, v97, s[0:3], 0 offen offset:4
	ds_read_b128 v[100:103], v96
	v_add_nc_u32_e32 v98, 1, v98
	v_add_nc_u32_e32 v96, 16, v96
	;; [unrolled: 1-line block ×3, first 2 shown]
	v_cmp_lt_u32_e32 vcc_lo, 24, v98
	s_or_b32 s8, vcc_lo, s8
	s_waitcnt vmcnt(2) lgkmcnt(0)
	v_mul_f64 v[108:109], v[102:103], v[104:105]
	v_mul_f64 v[104:105], v[100:101], v[104:105]
	s_waitcnt vmcnt(0)
	v_fma_f64 v[100:101], v[100:101], v[106:107], -v[108:109]
	v_fma_f64 v[102:103], v[102:103], v[106:107], v[104:105]
	v_add_f64 v[1:2], v[1:2], v[100:101]
	v_add_f64 v[3:4], v[3:4], v[102:103]
	s_andn2_b32 exec_lo, exec_lo, s8
	s_cbranch_execnz .LBB107_548
; %bb.549:
	s_or_b32 exec_lo, exec_lo, s8
.LBB107_550:
	s_or_b32 exec_lo, exec_lo, s6
	v_mov_b32_e32 v96, 0
	ds_read_b128 v[100:103], v96 offset:416
	s_waitcnt lgkmcnt(0)
	v_mul_f64 v[96:97], v[3:4], v[102:103]
	v_mul_f64 v[102:103], v[1:2], v[102:103]
	v_fma_f64 v[1:2], v[1:2], v[100:101], -v[96:97]
	v_fma_f64 v[3:4], v[3:4], v[100:101], v[102:103]
	buffer_store_dword v2, off, s[0:3], 0 offset:420
	buffer_store_dword v1, off, s[0:3], 0 offset:416
	;; [unrolled: 1-line block ×4, first 2 shown]
.LBB107_551:
	s_or_b32 exec_lo, exec_lo, s4
	v_mov_b32_e32 v4, s24
	s_mov_b32 s4, exec_lo
	s_clause 0x3
	buffer_load_dword v1, v4, s[0:3], 0 offen
	buffer_load_dword v2, v4, s[0:3], 0 offen offset:4
	buffer_load_dword v3, v4, s[0:3], 0 offen offset:8
	;; [unrolled: 1-line block ×3, first 2 shown]
	s_waitcnt vmcnt(0)
	ds_write_b128 v94, v[1:4]
	s_waitcnt lgkmcnt(0)
	s_waitcnt_vscnt null, 0x0
	s_barrier
	buffer_gl0_inv
	v_cmpx_gt_u32_e32 27, v0
	s_cbranch_execz .LBB107_559
; %bb.552:
	ds_read_b128 v[1:4], v94
	v_cmp_ne_u32_e32 vcc_lo, 1, v95
	s_cbranch_vccnz .LBB107_554
; %bb.553:
	s_clause 0x3
	buffer_load_dword v96, v93, s[0:3], 0 offen offset:8
	buffer_load_dword v97, v93, s[0:3], 0 offen offset:12
	buffer_load_dword v100, v93, s[0:3], 0 offen
	buffer_load_dword v101, v93, s[0:3], 0 offen offset:4
	s_waitcnt vmcnt(2) lgkmcnt(0)
	v_mul_f64 v[102:103], v[3:4], v[96:97]
	v_mul_f64 v[96:97], v[1:2], v[96:97]
	s_waitcnt vmcnt(0)
	v_fma_f64 v[1:2], v[1:2], v[100:101], -v[102:103]
	v_fma_f64 v[3:4], v[3:4], v[100:101], v[96:97]
.LBB107_554:
	s_mov_b32 s6, exec_lo
	v_cmpx_ne_u32_e32 26, v0
	s_cbranch_execz .LBB107_558
; %bb.555:
	v_add_nc_u32_e32 v96, 0x2d0, v99
	v_add3_u32 v97, 0, v99, 16
	v_mov_b32_e32 v98, v0
	s_mov_b32 s8, 0
	.p2align	6
.LBB107_556:                            ; =>This Inner Loop Header: Depth=1
	s_clause 0x3
	buffer_load_dword v104, v97, s[0:3], 0 offen offset:8
	buffer_load_dword v105, v97, s[0:3], 0 offen offset:12
	buffer_load_dword v106, v97, s[0:3], 0 offen
	buffer_load_dword v107, v97, s[0:3], 0 offen offset:4
	ds_read_b128 v[100:103], v96
	v_add_nc_u32_e32 v98, 1, v98
	v_add_nc_u32_e32 v96, 16, v96
	;; [unrolled: 1-line block ×3, first 2 shown]
	v_cmp_lt_u32_e32 vcc_lo, 25, v98
	s_or_b32 s8, vcc_lo, s8
	s_waitcnt vmcnt(2) lgkmcnt(0)
	v_mul_f64 v[108:109], v[102:103], v[104:105]
	v_mul_f64 v[104:105], v[100:101], v[104:105]
	s_waitcnt vmcnt(0)
	v_fma_f64 v[100:101], v[100:101], v[106:107], -v[108:109]
	v_fma_f64 v[102:103], v[102:103], v[106:107], v[104:105]
	v_add_f64 v[1:2], v[1:2], v[100:101]
	v_add_f64 v[3:4], v[3:4], v[102:103]
	s_andn2_b32 exec_lo, exec_lo, s8
	s_cbranch_execnz .LBB107_556
; %bb.557:
	s_or_b32 exec_lo, exec_lo, s8
.LBB107_558:
	s_or_b32 exec_lo, exec_lo, s6
	v_mov_b32_e32 v96, 0
	ds_read_b128 v[100:103], v96 offset:432
	s_waitcnt lgkmcnt(0)
	v_mul_f64 v[96:97], v[3:4], v[102:103]
	v_mul_f64 v[102:103], v[1:2], v[102:103]
	v_fma_f64 v[1:2], v[1:2], v[100:101], -v[96:97]
	v_fma_f64 v[3:4], v[3:4], v[100:101], v[102:103]
	buffer_store_dword v2, off, s[0:3], 0 offset:436
	buffer_store_dword v1, off, s[0:3], 0 offset:432
	;; [unrolled: 1-line block ×4, first 2 shown]
.LBB107_559:
	s_or_b32 exec_lo, exec_lo, s4
	v_mov_b32_e32 v4, s23
	s_mov_b32 s4, exec_lo
	s_clause 0x3
	buffer_load_dword v1, v4, s[0:3], 0 offen
	buffer_load_dword v2, v4, s[0:3], 0 offen offset:4
	buffer_load_dword v3, v4, s[0:3], 0 offen offset:8
	;; [unrolled: 1-line block ×3, first 2 shown]
	s_waitcnt vmcnt(0)
	ds_write_b128 v94, v[1:4]
	s_waitcnt lgkmcnt(0)
	s_waitcnt_vscnt null, 0x0
	s_barrier
	buffer_gl0_inv
	v_cmpx_gt_u32_e32 28, v0
	s_cbranch_execz .LBB107_567
; %bb.560:
	ds_read_b128 v[1:4], v94
	v_cmp_ne_u32_e32 vcc_lo, 1, v95
	s_cbranch_vccnz .LBB107_562
; %bb.561:
	s_clause 0x3
	buffer_load_dword v96, v93, s[0:3], 0 offen offset:8
	buffer_load_dword v97, v93, s[0:3], 0 offen offset:12
	buffer_load_dword v100, v93, s[0:3], 0 offen
	buffer_load_dword v101, v93, s[0:3], 0 offen offset:4
	s_waitcnt vmcnt(2) lgkmcnt(0)
	v_mul_f64 v[102:103], v[3:4], v[96:97]
	v_mul_f64 v[96:97], v[1:2], v[96:97]
	s_waitcnt vmcnt(0)
	v_fma_f64 v[1:2], v[1:2], v[100:101], -v[102:103]
	v_fma_f64 v[3:4], v[3:4], v[100:101], v[96:97]
.LBB107_562:
	s_mov_b32 s6, exec_lo
	v_cmpx_ne_u32_e32 27, v0
	s_cbranch_execz .LBB107_566
; %bb.563:
	v_add_nc_u32_e32 v96, 0x2d0, v99
	v_add3_u32 v97, 0, v99, 16
	v_mov_b32_e32 v98, v0
	s_mov_b32 s8, 0
	.p2align	6
.LBB107_564:                            ; =>This Inner Loop Header: Depth=1
	s_clause 0x3
	buffer_load_dword v104, v97, s[0:3], 0 offen offset:8
	buffer_load_dword v105, v97, s[0:3], 0 offen offset:12
	buffer_load_dword v106, v97, s[0:3], 0 offen
	buffer_load_dword v107, v97, s[0:3], 0 offen offset:4
	ds_read_b128 v[100:103], v96
	v_add_nc_u32_e32 v98, 1, v98
	v_add_nc_u32_e32 v96, 16, v96
	;; [unrolled: 1-line block ×3, first 2 shown]
	v_cmp_lt_u32_e32 vcc_lo, 26, v98
	s_or_b32 s8, vcc_lo, s8
	s_waitcnt vmcnt(2) lgkmcnt(0)
	v_mul_f64 v[108:109], v[102:103], v[104:105]
	v_mul_f64 v[104:105], v[100:101], v[104:105]
	s_waitcnt vmcnt(0)
	v_fma_f64 v[100:101], v[100:101], v[106:107], -v[108:109]
	v_fma_f64 v[102:103], v[102:103], v[106:107], v[104:105]
	v_add_f64 v[1:2], v[1:2], v[100:101]
	v_add_f64 v[3:4], v[3:4], v[102:103]
	s_andn2_b32 exec_lo, exec_lo, s8
	s_cbranch_execnz .LBB107_564
; %bb.565:
	s_or_b32 exec_lo, exec_lo, s8
.LBB107_566:
	s_or_b32 exec_lo, exec_lo, s6
	v_mov_b32_e32 v96, 0
	ds_read_b128 v[100:103], v96 offset:448
	s_waitcnt lgkmcnt(0)
	v_mul_f64 v[96:97], v[3:4], v[102:103]
	v_mul_f64 v[102:103], v[1:2], v[102:103]
	v_fma_f64 v[1:2], v[1:2], v[100:101], -v[96:97]
	v_fma_f64 v[3:4], v[3:4], v[100:101], v[102:103]
	buffer_store_dword v2, off, s[0:3], 0 offset:452
	buffer_store_dword v1, off, s[0:3], 0 offset:448
	;; [unrolled: 1-line block ×4, first 2 shown]
.LBB107_567:
	s_or_b32 exec_lo, exec_lo, s4
	v_mov_b32_e32 v4, s22
	s_mov_b32 s4, exec_lo
	s_clause 0x3
	buffer_load_dword v1, v4, s[0:3], 0 offen
	buffer_load_dword v2, v4, s[0:3], 0 offen offset:4
	buffer_load_dword v3, v4, s[0:3], 0 offen offset:8
	;; [unrolled: 1-line block ×3, first 2 shown]
	s_waitcnt vmcnt(0)
	ds_write_b128 v94, v[1:4]
	s_waitcnt lgkmcnt(0)
	s_waitcnt_vscnt null, 0x0
	s_barrier
	buffer_gl0_inv
	v_cmpx_gt_u32_e32 29, v0
	s_cbranch_execz .LBB107_575
; %bb.568:
	ds_read_b128 v[1:4], v94
	v_cmp_ne_u32_e32 vcc_lo, 1, v95
	s_cbranch_vccnz .LBB107_570
; %bb.569:
	s_clause 0x3
	buffer_load_dword v96, v93, s[0:3], 0 offen offset:8
	buffer_load_dword v97, v93, s[0:3], 0 offen offset:12
	buffer_load_dword v100, v93, s[0:3], 0 offen
	buffer_load_dword v101, v93, s[0:3], 0 offen offset:4
	s_waitcnt vmcnt(2) lgkmcnt(0)
	v_mul_f64 v[102:103], v[3:4], v[96:97]
	v_mul_f64 v[96:97], v[1:2], v[96:97]
	s_waitcnt vmcnt(0)
	v_fma_f64 v[1:2], v[1:2], v[100:101], -v[102:103]
	v_fma_f64 v[3:4], v[3:4], v[100:101], v[96:97]
.LBB107_570:
	s_mov_b32 s6, exec_lo
	v_cmpx_ne_u32_e32 28, v0
	s_cbranch_execz .LBB107_574
; %bb.571:
	v_add_nc_u32_e32 v96, 0x2d0, v99
	v_add3_u32 v97, 0, v99, 16
	v_mov_b32_e32 v98, v0
	s_mov_b32 s8, 0
	.p2align	6
.LBB107_572:                            ; =>This Inner Loop Header: Depth=1
	s_clause 0x3
	buffer_load_dword v104, v97, s[0:3], 0 offen offset:8
	buffer_load_dword v105, v97, s[0:3], 0 offen offset:12
	buffer_load_dword v106, v97, s[0:3], 0 offen
	buffer_load_dword v107, v97, s[0:3], 0 offen offset:4
	ds_read_b128 v[100:103], v96
	v_add_nc_u32_e32 v98, 1, v98
	v_add_nc_u32_e32 v96, 16, v96
	;; [unrolled: 1-line block ×3, first 2 shown]
	v_cmp_lt_u32_e32 vcc_lo, 27, v98
	s_or_b32 s8, vcc_lo, s8
	s_waitcnt vmcnt(2) lgkmcnt(0)
	v_mul_f64 v[108:109], v[102:103], v[104:105]
	v_mul_f64 v[104:105], v[100:101], v[104:105]
	s_waitcnt vmcnt(0)
	v_fma_f64 v[100:101], v[100:101], v[106:107], -v[108:109]
	v_fma_f64 v[102:103], v[102:103], v[106:107], v[104:105]
	v_add_f64 v[1:2], v[1:2], v[100:101]
	v_add_f64 v[3:4], v[3:4], v[102:103]
	s_andn2_b32 exec_lo, exec_lo, s8
	s_cbranch_execnz .LBB107_572
; %bb.573:
	s_or_b32 exec_lo, exec_lo, s8
.LBB107_574:
	s_or_b32 exec_lo, exec_lo, s6
	v_mov_b32_e32 v96, 0
	ds_read_b128 v[100:103], v96 offset:464
	s_waitcnt lgkmcnt(0)
	v_mul_f64 v[96:97], v[3:4], v[102:103]
	v_mul_f64 v[102:103], v[1:2], v[102:103]
	v_fma_f64 v[1:2], v[1:2], v[100:101], -v[96:97]
	v_fma_f64 v[3:4], v[3:4], v[100:101], v[102:103]
	buffer_store_dword v2, off, s[0:3], 0 offset:468
	buffer_store_dword v1, off, s[0:3], 0 offset:464
	;; [unrolled: 1-line block ×4, first 2 shown]
.LBB107_575:
	s_or_b32 exec_lo, exec_lo, s4
	v_mov_b32_e32 v4, s21
	s_mov_b32 s4, exec_lo
	s_clause 0x3
	buffer_load_dword v1, v4, s[0:3], 0 offen
	buffer_load_dword v2, v4, s[0:3], 0 offen offset:4
	buffer_load_dword v3, v4, s[0:3], 0 offen offset:8
	;; [unrolled: 1-line block ×3, first 2 shown]
	s_waitcnt vmcnt(0)
	ds_write_b128 v94, v[1:4]
	s_waitcnt lgkmcnt(0)
	s_waitcnt_vscnt null, 0x0
	s_barrier
	buffer_gl0_inv
	v_cmpx_gt_u32_e32 30, v0
	s_cbranch_execz .LBB107_583
; %bb.576:
	ds_read_b128 v[1:4], v94
	v_cmp_ne_u32_e32 vcc_lo, 1, v95
	s_cbranch_vccnz .LBB107_578
; %bb.577:
	s_clause 0x3
	buffer_load_dword v96, v93, s[0:3], 0 offen offset:8
	buffer_load_dword v97, v93, s[0:3], 0 offen offset:12
	buffer_load_dword v100, v93, s[0:3], 0 offen
	buffer_load_dword v101, v93, s[0:3], 0 offen offset:4
	s_waitcnt vmcnt(2) lgkmcnt(0)
	v_mul_f64 v[102:103], v[3:4], v[96:97]
	v_mul_f64 v[96:97], v[1:2], v[96:97]
	s_waitcnt vmcnt(0)
	v_fma_f64 v[1:2], v[1:2], v[100:101], -v[102:103]
	v_fma_f64 v[3:4], v[3:4], v[100:101], v[96:97]
.LBB107_578:
	s_mov_b32 s6, exec_lo
	v_cmpx_ne_u32_e32 29, v0
	s_cbranch_execz .LBB107_582
; %bb.579:
	v_add_nc_u32_e32 v96, 0x2d0, v99
	v_add3_u32 v97, 0, v99, 16
	v_mov_b32_e32 v98, v0
	s_mov_b32 s8, 0
	.p2align	6
.LBB107_580:                            ; =>This Inner Loop Header: Depth=1
	s_clause 0x3
	buffer_load_dword v104, v97, s[0:3], 0 offen offset:8
	buffer_load_dword v105, v97, s[0:3], 0 offen offset:12
	buffer_load_dword v106, v97, s[0:3], 0 offen
	buffer_load_dword v107, v97, s[0:3], 0 offen offset:4
	ds_read_b128 v[100:103], v96
	v_add_nc_u32_e32 v98, 1, v98
	v_add_nc_u32_e32 v96, 16, v96
	;; [unrolled: 1-line block ×3, first 2 shown]
	v_cmp_lt_u32_e32 vcc_lo, 28, v98
	s_or_b32 s8, vcc_lo, s8
	s_waitcnt vmcnt(2) lgkmcnt(0)
	v_mul_f64 v[108:109], v[102:103], v[104:105]
	v_mul_f64 v[104:105], v[100:101], v[104:105]
	s_waitcnt vmcnt(0)
	v_fma_f64 v[100:101], v[100:101], v[106:107], -v[108:109]
	v_fma_f64 v[102:103], v[102:103], v[106:107], v[104:105]
	v_add_f64 v[1:2], v[1:2], v[100:101]
	v_add_f64 v[3:4], v[3:4], v[102:103]
	s_andn2_b32 exec_lo, exec_lo, s8
	s_cbranch_execnz .LBB107_580
; %bb.581:
	s_or_b32 exec_lo, exec_lo, s8
.LBB107_582:
	s_or_b32 exec_lo, exec_lo, s6
	v_mov_b32_e32 v96, 0
	ds_read_b128 v[100:103], v96 offset:480
	s_waitcnt lgkmcnt(0)
	v_mul_f64 v[96:97], v[3:4], v[102:103]
	v_mul_f64 v[102:103], v[1:2], v[102:103]
	v_fma_f64 v[1:2], v[1:2], v[100:101], -v[96:97]
	v_fma_f64 v[3:4], v[3:4], v[100:101], v[102:103]
	buffer_store_dword v2, off, s[0:3], 0 offset:484
	buffer_store_dword v1, off, s[0:3], 0 offset:480
	buffer_store_dword v4, off, s[0:3], 0 offset:492
	buffer_store_dword v3, off, s[0:3], 0 offset:488
.LBB107_583:
	s_or_b32 exec_lo, exec_lo, s4
	v_mov_b32_e32 v4, s20
	s_mov_b32 s4, exec_lo
	s_clause 0x3
	buffer_load_dword v1, v4, s[0:3], 0 offen
	buffer_load_dword v2, v4, s[0:3], 0 offen offset:4
	buffer_load_dword v3, v4, s[0:3], 0 offen offset:8
	buffer_load_dword v4, v4, s[0:3], 0 offen offset:12
	s_waitcnt vmcnt(0)
	ds_write_b128 v94, v[1:4]
	s_waitcnt lgkmcnt(0)
	s_waitcnt_vscnt null, 0x0
	s_barrier
	buffer_gl0_inv
	v_cmpx_gt_u32_e32 31, v0
	s_cbranch_execz .LBB107_591
; %bb.584:
	ds_read_b128 v[1:4], v94
	v_cmp_ne_u32_e32 vcc_lo, 1, v95
	s_cbranch_vccnz .LBB107_586
; %bb.585:
	s_clause 0x3
	buffer_load_dword v96, v93, s[0:3], 0 offen offset:8
	buffer_load_dword v97, v93, s[0:3], 0 offen offset:12
	buffer_load_dword v100, v93, s[0:3], 0 offen
	buffer_load_dword v101, v93, s[0:3], 0 offen offset:4
	s_waitcnt vmcnt(2) lgkmcnt(0)
	v_mul_f64 v[102:103], v[3:4], v[96:97]
	v_mul_f64 v[96:97], v[1:2], v[96:97]
	s_waitcnt vmcnt(0)
	v_fma_f64 v[1:2], v[1:2], v[100:101], -v[102:103]
	v_fma_f64 v[3:4], v[3:4], v[100:101], v[96:97]
.LBB107_586:
	s_mov_b32 s6, exec_lo
	v_cmpx_ne_u32_e32 30, v0
	s_cbranch_execz .LBB107_590
; %bb.587:
	v_add_nc_u32_e32 v96, 0x2d0, v99
	v_add3_u32 v97, 0, v99, 16
	v_mov_b32_e32 v98, v0
	s_mov_b32 s8, 0
	.p2align	6
.LBB107_588:                            ; =>This Inner Loop Header: Depth=1
	s_clause 0x3
	buffer_load_dword v104, v97, s[0:3], 0 offen offset:8
	buffer_load_dword v105, v97, s[0:3], 0 offen offset:12
	buffer_load_dword v106, v97, s[0:3], 0 offen
	buffer_load_dword v107, v97, s[0:3], 0 offen offset:4
	ds_read_b128 v[100:103], v96
	v_add_nc_u32_e32 v98, 1, v98
	v_add_nc_u32_e32 v96, 16, v96
	;; [unrolled: 1-line block ×3, first 2 shown]
	v_cmp_lt_u32_e32 vcc_lo, 29, v98
	s_or_b32 s8, vcc_lo, s8
	s_waitcnt vmcnt(2) lgkmcnt(0)
	v_mul_f64 v[108:109], v[102:103], v[104:105]
	v_mul_f64 v[104:105], v[100:101], v[104:105]
	s_waitcnt vmcnt(0)
	v_fma_f64 v[100:101], v[100:101], v[106:107], -v[108:109]
	v_fma_f64 v[102:103], v[102:103], v[106:107], v[104:105]
	v_add_f64 v[1:2], v[1:2], v[100:101]
	v_add_f64 v[3:4], v[3:4], v[102:103]
	s_andn2_b32 exec_lo, exec_lo, s8
	s_cbranch_execnz .LBB107_588
; %bb.589:
	s_or_b32 exec_lo, exec_lo, s8
.LBB107_590:
	s_or_b32 exec_lo, exec_lo, s6
	v_mov_b32_e32 v96, 0
	ds_read_b128 v[100:103], v96 offset:496
	s_waitcnt lgkmcnt(0)
	v_mul_f64 v[96:97], v[3:4], v[102:103]
	v_mul_f64 v[102:103], v[1:2], v[102:103]
	v_fma_f64 v[1:2], v[1:2], v[100:101], -v[96:97]
	v_fma_f64 v[3:4], v[3:4], v[100:101], v[102:103]
	buffer_store_dword v2, off, s[0:3], 0 offset:500
	buffer_store_dword v1, off, s[0:3], 0 offset:496
	;; [unrolled: 1-line block ×4, first 2 shown]
.LBB107_591:
	s_or_b32 exec_lo, exec_lo, s4
	v_mov_b32_e32 v4, s19
	s_mov_b32 s4, exec_lo
	s_clause 0x3
	buffer_load_dword v1, v4, s[0:3], 0 offen
	buffer_load_dword v2, v4, s[0:3], 0 offen offset:4
	buffer_load_dword v3, v4, s[0:3], 0 offen offset:8
	buffer_load_dword v4, v4, s[0:3], 0 offen offset:12
	s_waitcnt vmcnt(0)
	ds_write_b128 v94, v[1:4]
	s_waitcnt lgkmcnt(0)
	s_waitcnt_vscnt null, 0x0
	s_barrier
	buffer_gl0_inv
	v_cmpx_gt_u32_e32 32, v0
	s_cbranch_execz .LBB107_599
; %bb.592:
	ds_read_b128 v[1:4], v94
	v_cmp_ne_u32_e32 vcc_lo, 1, v95
	s_cbranch_vccnz .LBB107_594
; %bb.593:
	s_clause 0x3
	buffer_load_dword v96, v93, s[0:3], 0 offen offset:8
	buffer_load_dword v97, v93, s[0:3], 0 offen offset:12
	buffer_load_dword v100, v93, s[0:3], 0 offen
	buffer_load_dword v101, v93, s[0:3], 0 offen offset:4
	s_waitcnt vmcnt(2) lgkmcnt(0)
	v_mul_f64 v[102:103], v[3:4], v[96:97]
	v_mul_f64 v[96:97], v[1:2], v[96:97]
	s_waitcnt vmcnt(0)
	v_fma_f64 v[1:2], v[1:2], v[100:101], -v[102:103]
	v_fma_f64 v[3:4], v[3:4], v[100:101], v[96:97]
.LBB107_594:
	s_mov_b32 s6, exec_lo
	v_cmpx_ne_u32_e32 31, v0
	s_cbranch_execz .LBB107_598
; %bb.595:
	v_add_nc_u32_e32 v96, 0x2d0, v99
	v_add3_u32 v97, 0, v99, 16
	v_mov_b32_e32 v98, v0
	s_mov_b32 s8, 0
	.p2align	6
.LBB107_596:                            ; =>This Inner Loop Header: Depth=1
	s_clause 0x3
	buffer_load_dword v104, v97, s[0:3], 0 offen offset:8
	buffer_load_dword v105, v97, s[0:3], 0 offen offset:12
	buffer_load_dword v106, v97, s[0:3], 0 offen
	buffer_load_dword v107, v97, s[0:3], 0 offen offset:4
	ds_read_b128 v[100:103], v96
	v_add_nc_u32_e32 v98, 1, v98
	v_add_nc_u32_e32 v96, 16, v96
	v_add_nc_u32_e32 v97, 16, v97
	v_cmp_lt_u32_e32 vcc_lo, 30, v98
	s_or_b32 s8, vcc_lo, s8
	s_waitcnt vmcnt(2) lgkmcnt(0)
	v_mul_f64 v[108:109], v[102:103], v[104:105]
	v_mul_f64 v[104:105], v[100:101], v[104:105]
	s_waitcnt vmcnt(0)
	v_fma_f64 v[100:101], v[100:101], v[106:107], -v[108:109]
	v_fma_f64 v[102:103], v[102:103], v[106:107], v[104:105]
	v_add_f64 v[1:2], v[1:2], v[100:101]
	v_add_f64 v[3:4], v[3:4], v[102:103]
	s_andn2_b32 exec_lo, exec_lo, s8
	s_cbranch_execnz .LBB107_596
; %bb.597:
	s_or_b32 exec_lo, exec_lo, s8
.LBB107_598:
	s_or_b32 exec_lo, exec_lo, s6
	v_mov_b32_e32 v96, 0
	ds_read_b128 v[100:103], v96 offset:512
	s_waitcnt lgkmcnt(0)
	v_mul_f64 v[96:97], v[3:4], v[102:103]
	v_mul_f64 v[102:103], v[1:2], v[102:103]
	v_fma_f64 v[1:2], v[1:2], v[100:101], -v[96:97]
	v_fma_f64 v[3:4], v[3:4], v[100:101], v[102:103]
	buffer_store_dword v2, off, s[0:3], 0 offset:516
	buffer_store_dword v1, off, s[0:3], 0 offset:512
	;; [unrolled: 1-line block ×4, first 2 shown]
.LBB107_599:
	s_or_b32 exec_lo, exec_lo, s4
	v_mov_b32_e32 v4, s18
	s_mov_b32 s4, exec_lo
	s_clause 0x3
	buffer_load_dword v1, v4, s[0:3], 0 offen
	buffer_load_dword v2, v4, s[0:3], 0 offen offset:4
	buffer_load_dword v3, v4, s[0:3], 0 offen offset:8
	;; [unrolled: 1-line block ×3, first 2 shown]
	s_waitcnt vmcnt(0)
	ds_write_b128 v94, v[1:4]
	s_waitcnt lgkmcnt(0)
	s_waitcnt_vscnt null, 0x0
	s_barrier
	buffer_gl0_inv
	v_cmpx_gt_u32_e32 33, v0
	s_cbranch_execz .LBB107_607
; %bb.600:
	ds_read_b128 v[1:4], v94
	v_cmp_ne_u32_e32 vcc_lo, 1, v95
	s_cbranch_vccnz .LBB107_602
; %bb.601:
	s_clause 0x3
	buffer_load_dword v96, v93, s[0:3], 0 offen offset:8
	buffer_load_dword v97, v93, s[0:3], 0 offen offset:12
	buffer_load_dword v100, v93, s[0:3], 0 offen
	buffer_load_dword v101, v93, s[0:3], 0 offen offset:4
	s_waitcnt vmcnt(2) lgkmcnt(0)
	v_mul_f64 v[102:103], v[3:4], v[96:97]
	v_mul_f64 v[96:97], v[1:2], v[96:97]
	s_waitcnt vmcnt(0)
	v_fma_f64 v[1:2], v[1:2], v[100:101], -v[102:103]
	v_fma_f64 v[3:4], v[3:4], v[100:101], v[96:97]
.LBB107_602:
	s_mov_b32 s6, exec_lo
	v_cmpx_ne_u32_e32 32, v0
	s_cbranch_execz .LBB107_606
; %bb.603:
	v_add_nc_u32_e32 v96, 0x2d0, v99
	v_add3_u32 v97, 0, v99, 16
	v_mov_b32_e32 v98, v0
	s_mov_b32 s8, 0
	.p2align	6
.LBB107_604:                            ; =>This Inner Loop Header: Depth=1
	s_clause 0x3
	buffer_load_dword v104, v97, s[0:3], 0 offen offset:8
	buffer_load_dword v105, v97, s[0:3], 0 offen offset:12
	buffer_load_dword v106, v97, s[0:3], 0 offen
	buffer_load_dword v107, v97, s[0:3], 0 offen offset:4
	ds_read_b128 v[100:103], v96
	v_add_nc_u32_e32 v98, 1, v98
	v_add_nc_u32_e32 v96, 16, v96
	v_add_nc_u32_e32 v97, 16, v97
	v_cmp_lt_u32_e32 vcc_lo, 31, v98
	s_or_b32 s8, vcc_lo, s8
	s_waitcnt vmcnt(2) lgkmcnt(0)
	v_mul_f64 v[108:109], v[102:103], v[104:105]
	v_mul_f64 v[104:105], v[100:101], v[104:105]
	s_waitcnt vmcnt(0)
	v_fma_f64 v[100:101], v[100:101], v[106:107], -v[108:109]
	v_fma_f64 v[102:103], v[102:103], v[106:107], v[104:105]
	v_add_f64 v[1:2], v[1:2], v[100:101]
	v_add_f64 v[3:4], v[3:4], v[102:103]
	s_andn2_b32 exec_lo, exec_lo, s8
	s_cbranch_execnz .LBB107_604
; %bb.605:
	s_or_b32 exec_lo, exec_lo, s8
.LBB107_606:
	s_or_b32 exec_lo, exec_lo, s6
	v_mov_b32_e32 v96, 0
	ds_read_b128 v[100:103], v96 offset:528
	s_waitcnt lgkmcnt(0)
	v_mul_f64 v[96:97], v[3:4], v[102:103]
	v_mul_f64 v[102:103], v[1:2], v[102:103]
	v_fma_f64 v[1:2], v[1:2], v[100:101], -v[96:97]
	v_fma_f64 v[3:4], v[3:4], v[100:101], v[102:103]
	buffer_store_dword v2, off, s[0:3], 0 offset:532
	buffer_store_dword v1, off, s[0:3], 0 offset:528
	;; [unrolled: 1-line block ×4, first 2 shown]
.LBB107_607:
	s_or_b32 exec_lo, exec_lo, s4
	v_mov_b32_e32 v4, s17
	s_mov_b32 s4, exec_lo
	s_clause 0x3
	buffer_load_dword v1, v4, s[0:3], 0 offen
	buffer_load_dword v2, v4, s[0:3], 0 offen offset:4
	buffer_load_dword v3, v4, s[0:3], 0 offen offset:8
	;; [unrolled: 1-line block ×3, first 2 shown]
	s_waitcnt vmcnt(0)
	ds_write_b128 v94, v[1:4]
	s_waitcnt lgkmcnt(0)
	s_waitcnt_vscnt null, 0x0
	s_barrier
	buffer_gl0_inv
	v_cmpx_gt_u32_e32 34, v0
	s_cbranch_execz .LBB107_615
; %bb.608:
	ds_read_b128 v[1:4], v94
	v_cmp_ne_u32_e32 vcc_lo, 1, v95
	s_cbranch_vccnz .LBB107_610
; %bb.609:
	s_clause 0x3
	buffer_load_dword v96, v93, s[0:3], 0 offen offset:8
	buffer_load_dword v97, v93, s[0:3], 0 offen offset:12
	buffer_load_dword v100, v93, s[0:3], 0 offen
	buffer_load_dword v101, v93, s[0:3], 0 offen offset:4
	s_waitcnt vmcnt(2) lgkmcnt(0)
	v_mul_f64 v[102:103], v[3:4], v[96:97]
	v_mul_f64 v[96:97], v[1:2], v[96:97]
	s_waitcnt vmcnt(0)
	v_fma_f64 v[1:2], v[1:2], v[100:101], -v[102:103]
	v_fma_f64 v[3:4], v[3:4], v[100:101], v[96:97]
.LBB107_610:
	s_mov_b32 s6, exec_lo
	v_cmpx_ne_u32_e32 33, v0
	s_cbranch_execz .LBB107_614
; %bb.611:
	v_add_nc_u32_e32 v96, 0x2d0, v99
	v_add3_u32 v97, 0, v99, 16
	v_mov_b32_e32 v98, v0
	s_mov_b32 s8, 0
	.p2align	6
.LBB107_612:                            ; =>This Inner Loop Header: Depth=1
	s_clause 0x3
	buffer_load_dword v104, v97, s[0:3], 0 offen offset:8
	buffer_load_dword v105, v97, s[0:3], 0 offen offset:12
	buffer_load_dword v106, v97, s[0:3], 0 offen
	buffer_load_dword v107, v97, s[0:3], 0 offen offset:4
	ds_read_b128 v[100:103], v96
	v_add_nc_u32_e32 v98, 1, v98
	v_add_nc_u32_e32 v96, 16, v96
	;; [unrolled: 1-line block ×3, first 2 shown]
	v_cmp_lt_u32_e32 vcc_lo, 32, v98
	s_or_b32 s8, vcc_lo, s8
	s_waitcnt vmcnt(2) lgkmcnt(0)
	v_mul_f64 v[108:109], v[102:103], v[104:105]
	v_mul_f64 v[104:105], v[100:101], v[104:105]
	s_waitcnt vmcnt(0)
	v_fma_f64 v[100:101], v[100:101], v[106:107], -v[108:109]
	v_fma_f64 v[102:103], v[102:103], v[106:107], v[104:105]
	v_add_f64 v[1:2], v[1:2], v[100:101]
	v_add_f64 v[3:4], v[3:4], v[102:103]
	s_andn2_b32 exec_lo, exec_lo, s8
	s_cbranch_execnz .LBB107_612
; %bb.613:
	s_or_b32 exec_lo, exec_lo, s8
.LBB107_614:
	s_or_b32 exec_lo, exec_lo, s6
	v_mov_b32_e32 v96, 0
	ds_read_b128 v[100:103], v96 offset:544
	s_waitcnt lgkmcnt(0)
	v_mul_f64 v[96:97], v[3:4], v[102:103]
	v_mul_f64 v[102:103], v[1:2], v[102:103]
	v_fma_f64 v[1:2], v[1:2], v[100:101], -v[96:97]
	v_fma_f64 v[3:4], v[3:4], v[100:101], v[102:103]
	buffer_store_dword v2, off, s[0:3], 0 offset:548
	buffer_store_dword v1, off, s[0:3], 0 offset:544
	;; [unrolled: 1-line block ×4, first 2 shown]
.LBB107_615:
	s_or_b32 exec_lo, exec_lo, s4
	v_mov_b32_e32 v4, s16
	s_mov_b32 s4, exec_lo
	s_clause 0x3
	buffer_load_dword v1, v4, s[0:3], 0 offen
	buffer_load_dword v2, v4, s[0:3], 0 offen offset:4
	buffer_load_dword v3, v4, s[0:3], 0 offen offset:8
	;; [unrolled: 1-line block ×3, first 2 shown]
	s_waitcnt vmcnt(0)
	ds_write_b128 v94, v[1:4]
	s_waitcnt lgkmcnt(0)
	s_waitcnt_vscnt null, 0x0
	s_barrier
	buffer_gl0_inv
	v_cmpx_gt_u32_e32 35, v0
	s_cbranch_execz .LBB107_623
; %bb.616:
	ds_read_b128 v[1:4], v94
	v_cmp_ne_u32_e32 vcc_lo, 1, v95
	s_cbranch_vccnz .LBB107_618
; %bb.617:
	s_clause 0x3
	buffer_load_dword v96, v93, s[0:3], 0 offen offset:8
	buffer_load_dword v97, v93, s[0:3], 0 offen offset:12
	buffer_load_dword v100, v93, s[0:3], 0 offen
	buffer_load_dword v101, v93, s[0:3], 0 offen offset:4
	s_waitcnt vmcnt(2) lgkmcnt(0)
	v_mul_f64 v[102:103], v[3:4], v[96:97]
	v_mul_f64 v[96:97], v[1:2], v[96:97]
	s_waitcnt vmcnt(0)
	v_fma_f64 v[1:2], v[1:2], v[100:101], -v[102:103]
	v_fma_f64 v[3:4], v[3:4], v[100:101], v[96:97]
.LBB107_618:
	s_mov_b32 s6, exec_lo
	v_cmpx_ne_u32_e32 34, v0
	s_cbranch_execz .LBB107_622
; %bb.619:
	v_add_nc_u32_e32 v96, 0x2d0, v99
	v_add3_u32 v97, 0, v99, 16
	v_mov_b32_e32 v98, v0
	s_mov_b32 s8, 0
	.p2align	6
.LBB107_620:                            ; =>This Inner Loop Header: Depth=1
	s_clause 0x3
	buffer_load_dword v104, v97, s[0:3], 0 offen offset:8
	buffer_load_dword v105, v97, s[0:3], 0 offen offset:12
	buffer_load_dword v106, v97, s[0:3], 0 offen
	buffer_load_dword v107, v97, s[0:3], 0 offen offset:4
	ds_read_b128 v[100:103], v96
	v_add_nc_u32_e32 v98, 1, v98
	v_add_nc_u32_e32 v96, 16, v96
	;; [unrolled: 1-line block ×3, first 2 shown]
	v_cmp_lt_u32_e32 vcc_lo, 33, v98
	s_or_b32 s8, vcc_lo, s8
	s_waitcnt vmcnt(2) lgkmcnt(0)
	v_mul_f64 v[108:109], v[102:103], v[104:105]
	v_mul_f64 v[104:105], v[100:101], v[104:105]
	s_waitcnt vmcnt(0)
	v_fma_f64 v[100:101], v[100:101], v[106:107], -v[108:109]
	v_fma_f64 v[102:103], v[102:103], v[106:107], v[104:105]
	v_add_f64 v[1:2], v[1:2], v[100:101]
	v_add_f64 v[3:4], v[3:4], v[102:103]
	s_andn2_b32 exec_lo, exec_lo, s8
	s_cbranch_execnz .LBB107_620
; %bb.621:
	s_or_b32 exec_lo, exec_lo, s8
.LBB107_622:
	s_or_b32 exec_lo, exec_lo, s6
	v_mov_b32_e32 v96, 0
	ds_read_b128 v[100:103], v96 offset:560
	s_waitcnt lgkmcnt(0)
	v_mul_f64 v[96:97], v[3:4], v[102:103]
	v_mul_f64 v[102:103], v[1:2], v[102:103]
	v_fma_f64 v[1:2], v[1:2], v[100:101], -v[96:97]
	v_fma_f64 v[3:4], v[3:4], v[100:101], v[102:103]
	buffer_store_dword v2, off, s[0:3], 0 offset:564
	buffer_store_dword v1, off, s[0:3], 0 offset:560
	;; [unrolled: 1-line block ×4, first 2 shown]
.LBB107_623:
	s_or_b32 exec_lo, exec_lo, s4
	v_mov_b32_e32 v4, s15
	s_mov_b32 s4, exec_lo
	s_clause 0x3
	buffer_load_dword v1, v4, s[0:3], 0 offen
	buffer_load_dword v2, v4, s[0:3], 0 offen offset:4
	buffer_load_dword v3, v4, s[0:3], 0 offen offset:8
	;; [unrolled: 1-line block ×3, first 2 shown]
	s_waitcnt vmcnt(0)
	ds_write_b128 v94, v[1:4]
	s_waitcnt lgkmcnt(0)
	s_waitcnt_vscnt null, 0x0
	s_barrier
	buffer_gl0_inv
	v_cmpx_gt_u32_e32 36, v0
	s_cbranch_execz .LBB107_631
; %bb.624:
	ds_read_b128 v[1:4], v94
	v_cmp_ne_u32_e32 vcc_lo, 1, v95
	s_cbranch_vccnz .LBB107_626
; %bb.625:
	s_clause 0x3
	buffer_load_dword v96, v93, s[0:3], 0 offen offset:8
	buffer_load_dword v97, v93, s[0:3], 0 offen offset:12
	buffer_load_dword v100, v93, s[0:3], 0 offen
	buffer_load_dword v101, v93, s[0:3], 0 offen offset:4
	s_waitcnt vmcnt(2) lgkmcnt(0)
	v_mul_f64 v[102:103], v[3:4], v[96:97]
	v_mul_f64 v[96:97], v[1:2], v[96:97]
	s_waitcnt vmcnt(0)
	v_fma_f64 v[1:2], v[1:2], v[100:101], -v[102:103]
	v_fma_f64 v[3:4], v[3:4], v[100:101], v[96:97]
.LBB107_626:
	s_mov_b32 s6, exec_lo
	v_cmpx_ne_u32_e32 35, v0
	s_cbranch_execz .LBB107_630
; %bb.627:
	v_add_nc_u32_e32 v96, 0x2d0, v99
	v_add3_u32 v97, 0, v99, 16
	v_mov_b32_e32 v98, v0
	s_mov_b32 s8, 0
	.p2align	6
.LBB107_628:                            ; =>This Inner Loop Header: Depth=1
	s_clause 0x3
	buffer_load_dword v104, v97, s[0:3], 0 offen offset:8
	buffer_load_dword v105, v97, s[0:3], 0 offen offset:12
	buffer_load_dword v106, v97, s[0:3], 0 offen
	buffer_load_dword v107, v97, s[0:3], 0 offen offset:4
	ds_read_b128 v[100:103], v96
	v_add_nc_u32_e32 v98, 1, v98
	v_add_nc_u32_e32 v96, 16, v96
	;; [unrolled: 1-line block ×3, first 2 shown]
	v_cmp_lt_u32_e32 vcc_lo, 34, v98
	s_or_b32 s8, vcc_lo, s8
	s_waitcnt vmcnt(2) lgkmcnt(0)
	v_mul_f64 v[108:109], v[102:103], v[104:105]
	v_mul_f64 v[104:105], v[100:101], v[104:105]
	s_waitcnt vmcnt(0)
	v_fma_f64 v[100:101], v[100:101], v[106:107], -v[108:109]
	v_fma_f64 v[102:103], v[102:103], v[106:107], v[104:105]
	v_add_f64 v[1:2], v[1:2], v[100:101]
	v_add_f64 v[3:4], v[3:4], v[102:103]
	s_andn2_b32 exec_lo, exec_lo, s8
	s_cbranch_execnz .LBB107_628
; %bb.629:
	s_or_b32 exec_lo, exec_lo, s8
.LBB107_630:
	s_or_b32 exec_lo, exec_lo, s6
	v_mov_b32_e32 v96, 0
	ds_read_b128 v[100:103], v96 offset:576
	s_waitcnt lgkmcnt(0)
	v_mul_f64 v[96:97], v[3:4], v[102:103]
	v_mul_f64 v[102:103], v[1:2], v[102:103]
	v_fma_f64 v[1:2], v[1:2], v[100:101], -v[96:97]
	v_fma_f64 v[3:4], v[3:4], v[100:101], v[102:103]
	buffer_store_dword v2, off, s[0:3], 0 offset:580
	buffer_store_dword v1, off, s[0:3], 0 offset:576
	;; [unrolled: 1-line block ×4, first 2 shown]
.LBB107_631:
	s_or_b32 exec_lo, exec_lo, s4
	v_mov_b32_e32 v4, s14
	s_mov_b32 s4, exec_lo
	s_clause 0x3
	buffer_load_dword v1, v4, s[0:3], 0 offen
	buffer_load_dword v2, v4, s[0:3], 0 offen offset:4
	buffer_load_dword v3, v4, s[0:3], 0 offen offset:8
	;; [unrolled: 1-line block ×3, first 2 shown]
	s_waitcnt vmcnt(0)
	ds_write_b128 v94, v[1:4]
	s_waitcnt lgkmcnt(0)
	s_waitcnt_vscnt null, 0x0
	s_barrier
	buffer_gl0_inv
	v_cmpx_gt_u32_e32 37, v0
	s_cbranch_execz .LBB107_639
; %bb.632:
	ds_read_b128 v[1:4], v94
	v_cmp_ne_u32_e32 vcc_lo, 1, v95
	s_cbranch_vccnz .LBB107_634
; %bb.633:
	s_clause 0x3
	buffer_load_dword v96, v93, s[0:3], 0 offen offset:8
	buffer_load_dword v97, v93, s[0:3], 0 offen offset:12
	buffer_load_dword v100, v93, s[0:3], 0 offen
	buffer_load_dword v101, v93, s[0:3], 0 offen offset:4
	s_waitcnt vmcnt(2) lgkmcnt(0)
	v_mul_f64 v[102:103], v[3:4], v[96:97]
	v_mul_f64 v[96:97], v[1:2], v[96:97]
	s_waitcnt vmcnt(0)
	v_fma_f64 v[1:2], v[1:2], v[100:101], -v[102:103]
	v_fma_f64 v[3:4], v[3:4], v[100:101], v[96:97]
.LBB107_634:
	s_mov_b32 s6, exec_lo
	v_cmpx_ne_u32_e32 36, v0
	s_cbranch_execz .LBB107_638
; %bb.635:
	v_add_nc_u32_e32 v96, 0x2d0, v99
	v_add3_u32 v97, 0, v99, 16
	v_mov_b32_e32 v98, v0
	s_mov_b32 s8, 0
	.p2align	6
.LBB107_636:                            ; =>This Inner Loop Header: Depth=1
	s_clause 0x3
	buffer_load_dword v104, v97, s[0:3], 0 offen offset:8
	buffer_load_dword v105, v97, s[0:3], 0 offen offset:12
	buffer_load_dword v106, v97, s[0:3], 0 offen
	buffer_load_dword v107, v97, s[0:3], 0 offen offset:4
	ds_read_b128 v[100:103], v96
	v_add_nc_u32_e32 v98, 1, v98
	v_add_nc_u32_e32 v96, 16, v96
	;; [unrolled: 1-line block ×3, first 2 shown]
	v_cmp_lt_u32_e32 vcc_lo, 35, v98
	s_or_b32 s8, vcc_lo, s8
	s_waitcnt vmcnt(2) lgkmcnt(0)
	v_mul_f64 v[108:109], v[102:103], v[104:105]
	v_mul_f64 v[104:105], v[100:101], v[104:105]
	s_waitcnt vmcnt(0)
	v_fma_f64 v[100:101], v[100:101], v[106:107], -v[108:109]
	v_fma_f64 v[102:103], v[102:103], v[106:107], v[104:105]
	v_add_f64 v[1:2], v[1:2], v[100:101]
	v_add_f64 v[3:4], v[3:4], v[102:103]
	s_andn2_b32 exec_lo, exec_lo, s8
	s_cbranch_execnz .LBB107_636
; %bb.637:
	s_or_b32 exec_lo, exec_lo, s8
.LBB107_638:
	s_or_b32 exec_lo, exec_lo, s6
	v_mov_b32_e32 v96, 0
	ds_read_b128 v[100:103], v96 offset:592
	s_waitcnt lgkmcnt(0)
	v_mul_f64 v[96:97], v[3:4], v[102:103]
	v_mul_f64 v[102:103], v[1:2], v[102:103]
	v_fma_f64 v[1:2], v[1:2], v[100:101], -v[96:97]
	v_fma_f64 v[3:4], v[3:4], v[100:101], v[102:103]
	buffer_store_dword v2, off, s[0:3], 0 offset:596
	buffer_store_dword v1, off, s[0:3], 0 offset:592
	;; [unrolled: 1-line block ×4, first 2 shown]
.LBB107_639:
	s_or_b32 exec_lo, exec_lo, s4
	v_mov_b32_e32 v4, s13
	s_mov_b32 s4, exec_lo
	s_clause 0x3
	buffer_load_dword v1, v4, s[0:3], 0 offen
	buffer_load_dword v2, v4, s[0:3], 0 offen offset:4
	buffer_load_dword v3, v4, s[0:3], 0 offen offset:8
	;; [unrolled: 1-line block ×3, first 2 shown]
	s_waitcnt vmcnt(0)
	ds_write_b128 v94, v[1:4]
	s_waitcnt lgkmcnt(0)
	s_waitcnt_vscnt null, 0x0
	s_barrier
	buffer_gl0_inv
	v_cmpx_gt_u32_e32 38, v0
	s_cbranch_execz .LBB107_647
; %bb.640:
	ds_read_b128 v[1:4], v94
	v_cmp_ne_u32_e32 vcc_lo, 1, v95
	s_cbranch_vccnz .LBB107_642
; %bb.641:
	s_clause 0x3
	buffer_load_dword v96, v93, s[0:3], 0 offen offset:8
	buffer_load_dword v97, v93, s[0:3], 0 offen offset:12
	buffer_load_dword v100, v93, s[0:3], 0 offen
	buffer_load_dword v101, v93, s[0:3], 0 offen offset:4
	s_waitcnt vmcnt(2) lgkmcnt(0)
	v_mul_f64 v[102:103], v[3:4], v[96:97]
	v_mul_f64 v[96:97], v[1:2], v[96:97]
	s_waitcnt vmcnt(0)
	v_fma_f64 v[1:2], v[1:2], v[100:101], -v[102:103]
	v_fma_f64 v[3:4], v[3:4], v[100:101], v[96:97]
.LBB107_642:
	s_mov_b32 s6, exec_lo
	v_cmpx_ne_u32_e32 37, v0
	s_cbranch_execz .LBB107_646
; %bb.643:
	v_add_nc_u32_e32 v96, 0x2d0, v99
	v_add3_u32 v97, 0, v99, 16
	v_mov_b32_e32 v98, v0
	s_mov_b32 s8, 0
	.p2align	6
.LBB107_644:                            ; =>This Inner Loop Header: Depth=1
	s_clause 0x3
	buffer_load_dword v104, v97, s[0:3], 0 offen offset:8
	buffer_load_dword v105, v97, s[0:3], 0 offen offset:12
	buffer_load_dword v106, v97, s[0:3], 0 offen
	buffer_load_dword v107, v97, s[0:3], 0 offen offset:4
	ds_read_b128 v[100:103], v96
	v_add_nc_u32_e32 v98, 1, v98
	v_add_nc_u32_e32 v96, 16, v96
	;; [unrolled: 1-line block ×3, first 2 shown]
	v_cmp_lt_u32_e32 vcc_lo, 36, v98
	s_or_b32 s8, vcc_lo, s8
	s_waitcnt vmcnt(2) lgkmcnt(0)
	v_mul_f64 v[108:109], v[102:103], v[104:105]
	v_mul_f64 v[104:105], v[100:101], v[104:105]
	s_waitcnt vmcnt(0)
	v_fma_f64 v[100:101], v[100:101], v[106:107], -v[108:109]
	v_fma_f64 v[102:103], v[102:103], v[106:107], v[104:105]
	v_add_f64 v[1:2], v[1:2], v[100:101]
	v_add_f64 v[3:4], v[3:4], v[102:103]
	s_andn2_b32 exec_lo, exec_lo, s8
	s_cbranch_execnz .LBB107_644
; %bb.645:
	s_or_b32 exec_lo, exec_lo, s8
.LBB107_646:
	s_or_b32 exec_lo, exec_lo, s6
	v_mov_b32_e32 v96, 0
	ds_read_b128 v[100:103], v96 offset:608
	s_waitcnt lgkmcnt(0)
	v_mul_f64 v[96:97], v[3:4], v[102:103]
	v_mul_f64 v[102:103], v[1:2], v[102:103]
	v_fma_f64 v[1:2], v[1:2], v[100:101], -v[96:97]
	v_fma_f64 v[3:4], v[3:4], v[100:101], v[102:103]
	buffer_store_dword v2, off, s[0:3], 0 offset:612
	buffer_store_dword v1, off, s[0:3], 0 offset:608
	;; [unrolled: 1-line block ×4, first 2 shown]
.LBB107_647:
	s_or_b32 exec_lo, exec_lo, s4
	v_mov_b32_e32 v4, s12
	s_mov_b32 s4, exec_lo
	s_clause 0x3
	buffer_load_dword v1, v4, s[0:3], 0 offen
	buffer_load_dword v2, v4, s[0:3], 0 offen offset:4
	buffer_load_dword v3, v4, s[0:3], 0 offen offset:8
	;; [unrolled: 1-line block ×3, first 2 shown]
	s_waitcnt vmcnt(0)
	ds_write_b128 v94, v[1:4]
	s_waitcnt lgkmcnt(0)
	s_waitcnt_vscnt null, 0x0
	s_barrier
	buffer_gl0_inv
	v_cmpx_gt_u32_e32 39, v0
	s_cbranch_execz .LBB107_655
; %bb.648:
	ds_read_b128 v[1:4], v94
	v_cmp_ne_u32_e32 vcc_lo, 1, v95
	s_cbranch_vccnz .LBB107_650
; %bb.649:
	s_clause 0x3
	buffer_load_dword v96, v93, s[0:3], 0 offen offset:8
	buffer_load_dword v97, v93, s[0:3], 0 offen offset:12
	buffer_load_dword v100, v93, s[0:3], 0 offen
	buffer_load_dword v101, v93, s[0:3], 0 offen offset:4
	s_waitcnt vmcnt(2) lgkmcnt(0)
	v_mul_f64 v[102:103], v[3:4], v[96:97]
	v_mul_f64 v[96:97], v[1:2], v[96:97]
	s_waitcnt vmcnt(0)
	v_fma_f64 v[1:2], v[1:2], v[100:101], -v[102:103]
	v_fma_f64 v[3:4], v[3:4], v[100:101], v[96:97]
.LBB107_650:
	s_mov_b32 s6, exec_lo
	v_cmpx_ne_u32_e32 38, v0
	s_cbranch_execz .LBB107_654
; %bb.651:
	v_add_nc_u32_e32 v96, 0x2d0, v99
	v_add3_u32 v97, 0, v99, 16
	v_mov_b32_e32 v98, v0
	s_mov_b32 s8, 0
	.p2align	6
.LBB107_652:                            ; =>This Inner Loop Header: Depth=1
	s_clause 0x3
	buffer_load_dword v104, v97, s[0:3], 0 offen offset:8
	buffer_load_dword v105, v97, s[0:3], 0 offen offset:12
	buffer_load_dword v106, v97, s[0:3], 0 offen
	buffer_load_dword v107, v97, s[0:3], 0 offen offset:4
	ds_read_b128 v[100:103], v96
	v_add_nc_u32_e32 v98, 1, v98
	v_add_nc_u32_e32 v96, 16, v96
	;; [unrolled: 1-line block ×3, first 2 shown]
	v_cmp_lt_u32_e32 vcc_lo, 37, v98
	s_or_b32 s8, vcc_lo, s8
	s_waitcnt vmcnt(2) lgkmcnt(0)
	v_mul_f64 v[108:109], v[102:103], v[104:105]
	v_mul_f64 v[104:105], v[100:101], v[104:105]
	s_waitcnt vmcnt(0)
	v_fma_f64 v[100:101], v[100:101], v[106:107], -v[108:109]
	v_fma_f64 v[102:103], v[102:103], v[106:107], v[104:105]
	v_add_f64 v[1:2], v[1:2], v[100:101]
	v_add_f64 v[3:4], v[3:4], v[102:103]
	s_andn2_b32 exec_lo, exec_lo, s8
	s_cbranch_execnz .LBB107_652
; %bb.653:
	s_or_b32 exec_lo, exec_lo, s8
.LBB107_654:
	s_or_b32 exec_lo, exec_lo, s6
	v_mov_b32_e32 v96, 0
	ds_read_b128 v[100:103], v96 offset:624
	s_waitcnt lgkmcnt(0)
	v_mul_f64 v[96:97], v[3:4], v[102:103]
	v_mul_f64 v[102:103], v[1:2], v[102:103]
	v_fma_f64 v[1:2], v[1:2], v[100:101], -v[96:97]
	v_fma_f64 v[3:4], v[3:4], v[100:101], v[102:103]
	buffer_store_dword v2, off, s[0:3], 0 offset:628
	buffer_store_dword v1, off, s[0:3], 0 offset:624
	;; [unrolled: 1-line block ×4, first 2 shown]
.LBB107_655:
	s_or_b32 exec_lo, exec_lo, s4
	v_mov_b32_e32 v4, s11
	s_mov_b32 s4, exec_lo
	s_clause 0x3
	buffer_load_dword v1, v4, s[0:3], 0 offen
	buffer_load_dword v2, v4, s[0:3], 0 offen offset:4
	buffer_load_dword v3, v4, s[0:3], 0 offen offset:8
	;; [unrolled: 1-line block ×3, first 2 shown]
	s_waitcnt vmcnt(0)
	ds_write_b128 v94, v[1:4]
	s_waitcnt lgkmcnt(0)
	s_waitcnt_vscnt null, 0x0
	s_barrier
	buffer_gl0_inv
	v_cmpx_gt_u32_e32 40, v0
	s_cbranch_execz .LBB107_663
; %bb.656:
	ds_read_b128 v[1:4], v94
	v_cmp_ne_u32_e32 vcc_lo, 1, v95
	s_cbranch_vccnz .LBB107_658
; %bb.657:
	s_clause 0x3
	buffer_load_dword v96, v93, s[0:3], 0 offen offset:8
	buffer_load_dword v97, v93, s[0:3], 0 offen offset:12
	buffer_load_dword v100, v93, s[0:3], 0 offen
	buffer_load_dword v101, v93, s[0:3], 0 offen offset:4
	s_waitcnt vmcnt(2) lgkmcnt(0)
	v_mul_f64 v[102:103], v[3:4], v[96:97]
	v_mul_f64 v[96:97], v[1:2], v[96:97]
	s_waitcnt vmcnt(0)
	v_fma_f64 v[1:2], v[1:2], v[100:101], -v[102:103]
	v_fma_f64 v[3:4], v[3:4], v[100:101], v[96:97]
.LBB107_658:
	s_mov_b32 s6, exec_lo
	v_cmpx_ne_u32_e32 39, v0
	s_cbranch_execz .LBB107_662
; %bb.659:
	v_add_nc_u32_e32 v96, 0x2d0, v99
	v_add3_u32 v97, 0, v99, 16
	v_mov_b32_e32 v98, v0
	s_mov_b32 s8, 0
	.p2align	6
.LBB107_660:                            ; =>This Inner Loop Header: Depth=1
	s_clause 0x3
	buffer_load_dword v104, v97, s[0:3], 0 offen offset:8
	buffer_load_dword v105, v97, s[0:3], 0 offen offset:12
	buffer_load_dword v106, v97, s[0:3], 0 offen
	buffer_load_dword v107, v97, s[0:3], 0 offen offset:4
	ds_read_b128 v[100:103], v96
	v_add_nc_u32_e32 v98, 1, v98
	v_add_nc_u32_e32 v96, 16, v96
	;; [unrolled: 1-line block ×3, first 2 shown]
	v_cmp_lt_u32_e32 vcc_lo, 38, v98
	s_or_b32 s8, vcc_lo, s8
	s_waitcnt vmcnt(2) lgkmcnt(0)
	v_mul_f64 v[108:109], v[102:103], v[104:105]
	v_mul_f64 v[104:105], v[100:101], v[104:105]
	s_waitcnt vmcnt(0)
	v_fma_f64 v[100:101], v[100:101], v[106:107], -v[108:109]
	v_fma_f64 v[102:103], v[102:103], v[106:107], v[104:105]
	v_add_f64 v[1:2], v[1:2], v[100:101]
	v_add_f64 v[3:4], v[3:4], v[102:103]
	s_andn2_b32 exec_lo, exec_lo, s8
	s_cbranch_execnz .LBB107_660
; %bb.661:
	s_or_b32 exec_lo, exec_lo, s8
.LBB107_662:
	s_or_b32 exec_lo, exec_lo, s6
	v_mov_b32_e32 v96, 0
	ds_read_b128 v[100:103], v96 offset:640
	s_waitcnt lgkmcnt(0)
	v_mul_f64 v[96:97], v[3:4], v[102:103]
	v_mul_f64 v[102:103], v[1:2], v[102:103]
	v_fma_f64 v[1:2], v[1:2], v[100:101], -v[96:97]
	v_fma_f64 v[3:4], v[3:4], v[100:101], v[102:103]
	buffer_store_dword v2, off, s[0:3], 0 offset:644
	buffer_store_dword v1, off, s[0:3], 0 offset:640
	;; [unrolled: 1-line block ×4, first 2 shown]
.LBB107_663:
	s_or_b32 exec_lo, exec_lo, s4
	v_mov_b32_e32 v4, s10
	s_mov_b32 s4, exec_lo
	s_clause 0x3
	buffer_load_dword v1, v4, s[0:3], 0 offen
	buffer_load_dword v2, v4, s[0:3], 0 offen offset:4
	buffer_load_dword v3, v4, s[0:3], 0 offen offset:8
	;; [unrolled: 1-line block ×3, first 2 shown]
	s_waitcnt vmcnt(0)
	ds_write_b128 v94, v[1:4]
	s_waitcnt lgkmcnt(0)
	s_waitcnt_vscnt null, 0x0
	s_barrier
	buffer_gl0_inv
	v_cmpx_gt_u32_e32 41, v0
	s_cbranch_execz .LBB107_671
; %bb.664:
	ds_read_b128 v[1:4], v94
	v_cmp_ne_u32_e32 vcc_lo, 1, v95
	s_cbranch_vccnz .LBB107_666
; %bb.665:
	s_clause 0x3
	buffer_load_dword v96, v93, s[0:3], 0 offen offset:8
	buffer_load_dword v97, v93, s[0:3], 0 offen offset:12
	buffer_load_dword v100, v93, s[0:3], 0 offen
	buffer_load_dword v101, v93, s[0:3], 0 offen offset:4
	s_waitcnt vmcnt(2) lgkmcnt(0)
	v_mul_f64 v[102:103], v[3:4], v[96:97]
	v_mul_f64 v[96:97], v[1:2], v[96:97]
	s_waitcnt vmcnt(0)
	v_fma_f64 v[1:2], v[1:2], v[100:101], -v[102:103]
	v_fma_f64 v[3:4], v[3:4], v[100:101], v[96:97]
.LBB107_666:
	s_mov_b32 s6, exec_lo
	v_cmpx_ne_u32_e32 40, v0
	s_cbranch_execz .LBB107_670
; %bb.667:
	v_add_nc_u32_e32 v96, 0x2d0, v99
	v_add3_u32 v97, 0, v99, 16
	v_mov_b32_e32 v98, v0
	s_mov_b32 s8, 0
	.p2align	6
.LBB107_668:                            ; =>This Inner Loop Header: Depth=1
	s_clause 0x3
	buffer_load_dword v104, v97, s[0:3], 0 offen offset:8
	buffer_load_dword v105, v97, s[0:3], 0 offen offset:12
	buffer_load_dword v106, v97, s[0:3], 0 offen
	buffer_load_dword v107, v97, s[0:3], 0 offen offset:4
	ds_read_b128 v[100:103], v96
	v_add_nc_u32_e32 v98, 1, v98
	v_add_nc_u32_e32 v96, 16, v96
	;; [unrolled: 1-line block ×3, first 2 shown]
	v_cmp_lt_u32_e32 vcc_lo, 39, v98
	s_or_b32 s8, vcc_lo, s8
	s_waitcnt vmcnt(2) lgkmcnt(0)
	v_mul_f64 v[108:109], v[102:103], v[104:105]
	v_mul_f64 v[104:105], v[100:101], v[104:105]
	s_waitcnt vmcnt(0)
	v_fma_f64 v[100:101], v[100:101], v[106:107], -v[108:109]
	v_fma_f64 v[102:103], v[102:103], v[106:107], v[104:105]
	v_add_f64 v[1:2], v[1:2], v[100:101]
	v_add_f64 v[3:4], v[3:4], v[102:103]
	s_andn2_b32 exec_lo, exec_lo, s8
	s_cbranch_execnz .LBB107_668
; %bb.669:
	s_or_b32 exec_lo, exec_lo, s8
.LBB107_670:
	s_or_b32 exec_lo, exec_lo, s6
	v_mov_b32_e32 v96, 0
	ds_read_b128 v[100:103], v96 offset:656
	s_waitcnt lgkmcnt(0)
	v_mul_f64 v[96:97], v[3:4], v[102:103]
	v_mul_f64 v[102:103], v[1:2], v[102:103]
	v_fma_f64 v[1:2], v[1:2], v[100:101], -v[96:97]
	v_fma_f64 v[3:4], v[3:4], v[100:101], v[102:103]
	buffer_store_dword v2, off, s[0:3], 0 offset:660
	buffer_store_dword v1, off, s[0:3], 0 offset:656
	;; [unrolled: 1-line block ×4, first 2 shown]
.LBB107_671:
	s_or_b32 exec_lo, exec_lo, s4
	v_mov_b32_e32 v4, s9
	v_cmp_gt_u32_e64 s4, 42, v0
	s_clause 0x3
	buffer_load_dword v1, v4, s[0:3], 0 offen
	buffer_load_dword v2, v4, s[0:3], 0 offen offset:4
	buffer_load_dword v3, v4, s[0:3], 0 offen offset:8
	;; [unrolled: 1-line block ×3, first 2 shown]
	s_waitcnt vmcnt(0)
	ds_write_b128 v94, v[1:4]
	s_waitcnt lgkmcnt(0)
	s_waitcnt_vscnt null, 0x0
	s_barrier
	buffer_gl0_inv
	s_and_saveexec_b32 s6, s4
	s_cbranch_execz .LBB107_679
; %bb.672:
	ds_read_b128 v[1:4], v94
	v_cmp_ne_u32_e32 vcc_lo, 1, v95
	s_cbranch_vccnz .LBB107_674
; %bb.673:
	s_clause 0x3
	buffer_load_dword v96, v93, s[0:3], 0 offen offset:8
	buffer_load_dword v97, v93, s[0:3], 0 offen offset:12
	buffer_load_dword v100, v93, s[0:3], 0 offen
	buffer_load_dword v101, v93, s[0:3], 0 offen offset:4
	s_waitcnt vmcnt(2) lgkmcnt(0)
	v_mul_f64 v[102:103], v[3:4], v[96:97]
	v_mul_f64 v[96:97], v[1:2], v[96:97]
	s_waitcnt vmcnt(0)
	v_fma_f64 v[1:2], v[1:2], v[100:101], -v[102:103]
	v_fma_f64 v[3:4], v[3:4], v[100:101], v[96:97]
.LBB107_674:
	s_mov_b32 s8, exec_lo
	v_cmpx_ne_u32_e32 41, v0
	s_cbranch_execz .LBB107_678
; %bb.675:
	v_add_nc_u32_e32 v96, 0x2d0, v99
	v_add3_u32 v97, 0, v99, 16
	v_mov_b32_e32 v98, v0
	s_mov_b32 s52, 0
	.p2align	6
.LBB107_676:                            ; =>This Inner Loop Header: Depth=1
	s_clause 0x3
	buffer_load_dword v104, v97, s[0:3], 0 offen offset:8
	buffer_load_dword v105, v97, s[0:3], 0 offen offset:12
	buffer_load_dword v106, v97, s[0:3], 0 offen
	buffer_load_dword v107, v97, s[0:3], 0 offen offset:4
	ds_read_b128 v[100:103], v96
	v_add_nc_u32_e32 v98, 1, v98
	v_add_nc_u32_e32 v96, 16, v96
	;; [unrolled: 1-line block ×3, first 2 shown]
	v_cmp_lt_u32_e32 vcc_lo, 40, v98
	s_or_b32 s52, vcc_lo, s52
	s_waitcnt vmcnt(2) lgkmcnt(0)
	v_mul_f64 v[108:109], v[102:103], v[104:105]
	v_mul_f64 v[104:105], v[100:101], v[104:105]
	s_waitcnt vmcnt(0)
	v_fma_f64 v[100:101], v[100:101], v[106:107], -v[108:109]
	v_fma_f64 v[102:103], v[102:103], v[106:107], v[104:105]
	v_add_f64 v[1:2], v[1:2], v[100:101]
	v_add_f64 v[3:4], v[3:4], v[102:103]
	s_andn2_b32 exec_lo, exec_lo, s52
	s_cbranch_execnz .LBB107_676
; %bb.677:
	s_or_b32 exec_lo, exec_lo, s52
.LBB107_678:
	s_or_b32 exec_lo, exec_lo, s8
	v_mov_b32_e32 v96, 0
	ds_read_b128 v[100:103], v96 offset:672
	s_waitcnt lgkmcnt(0)
	v_mul_f64 v[96:97], v[3:4], v[102:103]
	v_mul_f64 v[102:103], v[1:2], v[102:103]
	v_fma_f64 v[1:2], v[1:2], v[100:101], -v[96:97]
	v_fma_f64 v[3:4], v[3:4], v[100:101], v[102:103]
	buffer_store_dword v2, off, s[0:3], 0 offset:676
	buffer_store_dword v1, off, s[0:3], 0 offset:672
	;; [unrolled: 1-line block ×4, first 2 shown]
.LBB107_679:
	s_or_b32 exec_lo, exec_lo, s6
	v_mov_b32_e32 v4, s7
	s_mov_b32 s6, exec_lo
                                        ; implicit-def: $sgpr53
	s_clause 0x3
	buffer_load_dword v1, v4, s[0:3], 0 offen
	buffer_load_dword v2, v4, s[0:3], 0 offen offset:4
	buffer_load_dword v3, v4, s[0:3], 0 offen offset:8
	buffer_load_dword v4, v4, s[0:3], 0 offen offset:12
	s_waitcnt vmcnt(0)
	ds_write_b128 v94, v[1:4]
	s_waitcnt lgkmcnt(0)
	s_waitcnt_vscnt null, 0x0
	s_barrier
	buffer_gl0_inv
                                        ; implicit-def: $vgpr1_vgpr2
	v_cmpx_ne_u32_e32 43, v0
	s_cbranch_execz .LBB107_687
; %bb.680:
	ds_read_b128 v[1:4], v94
	v_cmp_ne_u32_e32 vcc_lo, 1, v95
	s_cbranch_vccnz .LBB107_682
; %bb.681:
	s_clause 0x3
	buffer_load_dword v94, v93, s[0:3], 0 offen offset:8
	buffer_load_dword v95, v93, s[0:3], 0 offen offset:12
	buffer_load_dword v96, v93, s[0:3], 0 offen
	buffer_load_dword v97, v93, s[0:3], 0 offen offset:4
	s_waitcnt vmcnt(2) lgkmcnt(0)
	v_mul_f64 v[100:101], v[3:4], v[94:95]
	v_mul_f64 v[93:94], v[1:2], v[94:95]
	s_waitcnt vmcnt(0)
	v_fma_f64 v[1:2], v[1:2], v[96:97], -v[100:101]
	v_fma_f64 v[3:4], v[3:4], v[96:97], v[93:94]
.LBB107_682:
	s_and_saveexec_b32 s8, s4
	s_cbranch_execz .LBB107_686
; %bb.683:
	v_add_nc_u32_e32 v93, 0x2d0, v99
	v_add3_u32 v94, 0, v99, 16
	s_mov_b32 s4, 0
	.p2align	6
.LBB107_684:                            ; =>This Inner Loop Header: Depth=1
	s_clause 0x3
	buffer_load_dword v99, v94, s[0:3], 0 offen offset:8
	buffer_load_dword v100, v94, s[0:3], 0 offen offset:12
	buffer_load_dword v101, v94, s[0:3], 0 offen
	buffer_load_dword v102, v94, s[0:3], 0 offen offset:4
	ds_read_b128 v[95:98], v93
	v_add_nc_u32_e32 v0, 1, v0
	v_add_nc_u32_e32 v93, 16, v93
	;; [unrolled: 1-line block ×3, first 2 shown]
	v_cmp_lt_u32_e32 vcc_lo, 41, v0
	s_or_b32 s4, vcc_lo, s4
	s_waitcnt vmcnt(2) lgkmcnt(0)
	v_mul_f64 v[103:104], v[97:98], v[99:100]
	v_mul_f64 v[99:100], v[95:96], v[99:100]
	s_waitcnt vmcnt(0)
	v_fma_f64 v[95:96], v[95:96], v[101:102], -v[103:104]
	v_fma_f64 v[97:98], v[97:98], v[101:102], v[99:100]
	v_add_f64 v[1:2], v[1:2], v[95:96]
	v_add_f64 v[3:4], v[3:4], v[97:98]
	s_andn2_b32 exec_lo, exec_lo, s4
	s_cbranch_execnz .LBB107_684
; %bb.685:
	s_or_b32 exec_lo, exec_lo, s4
.LBB107_686:
	s_or_b32 exec_lo, exec_lo, s8
	v_mov_b32_e32 v0, 0
	s_movk_i32 s53, 0x2b8
	s_or_b32 s5, s5, exec_lo
	ds_read_b128 v[93:96], v0 offset:688
	s_waitcnt lgkmcnt(0)
	v_mul_f64 v[97:98], v[3:4], v[95:96]
	v_mul_f64 v[95:96], v[1:2], v[95:96]
	v_fma_f64 v[97:98], v[1:2], v[93:94], -v[97:98]
	v_fma_f64 v[1:2], v[3:4], v[93:94], v[95:96]
	buffer_store_dword v98, off, s[0:3], 0 offset:692
	buffer_store_dword v97, off, s[0:3], 0 offset:688
.LBB107_687:
	s_or_b32 exec_lo, exec_lo, s6
.LBB107_688:
	s_and_saveexec_b32 s4, s5
	s_cbranch_execz .LBB107_690
; %bb.689:
	v_mov_b32_e32 v0, s53
	buffer_store_dword v2, v0, s[0:3], 0 offen offset:4
	buffer_store_dword v1, v0, s[0:3], 0 offen
.LBB107_690:
	s_or_b32 exec_lo, exec_lo, s4
	s_clause 0x3
	buffer_load_dword v0, off, s[0:3], 0
	buffer_load_dword v1, off, s[0:3], 0 offset:4
	buffer_load_dword v2, off, s[0:3], 0 offset:8
	;; [unrolled: 1-line block ×3, first 2 shown]
	v_mov_b32_e32 v4, s51
	s_waitcnt vmcnt(0)
	flat_store_dwordx4 v[5:6], v[0:3]
	s_clause 0x3
	buffer_load_dword v0, v4, s[0:3], 0 offen
	buffer_load_dword v1, v4, s[0:3], 0 offen offset:4
	buffer_load_dword v2, v4, s[0:3], 0 offen offset:8
	buffer_load_dword v3, v4, s[0:3], 0 offen offset:12
	v_mov_b32_e32 v4, s50
	s_waitcnt vmcnt(0)
	flat_store_dwordx4 v[59:60], v[0:3]
	s_clause 0x3
	buffer_load_dword v0, v4, s[0:3], 0 offen
	buffer_load_dword v1, v4, s[0:3], 0 offen offset:4
	buffer_load_dword v2, v4, s[0:3], 0 offen offset:8
	buffer_load_dword v3, v4, s[0:3], 0 offen offset:12
	v_mov_b32_e32 v4, s49
	s_waitcnt vmcnt(0)
	flat_store_dwordx4 v[57:58], v[0:3]
	s_clause 0x3
	buffer_load_dword v0, v4, s[0:3], 0 offen
	buffer_load_dword v1, v4, s[0:3], 0 offen offset:4
	buffer_load_dword v2, v4, s[0:3], 0 offen offset:8
	buffer_load_dword v3, v4, s[0:3], 0 offen offset:12
	v_mov_b32_e32 v4, s48
	s_waitcnt vmcnt(0)
	flat_store_dwordx4 v[55:56], v[0:3]
	s_clause 0x3
	buffer_load_dword v0, v4, s[0:3], 0 offen
	buffer_load_dword v1, v4, s[0:3], 0 offen offset:4
	buffer_load_dword v2, v4, s[0:3], 0 offen offset:8
	buffer_load_dword v3, v4, s[0:3], 0 offen offset:12
	v_mov_b32_e32 v4, s47
	s_waitcnt vmcnt(0)
	flat_store_dwordx4 v[53:54], v[0:3]
	s_clause 0x3
	buffer_load_dword v0, v4, s[0:3], 0 offen
	buffer_load_dword v1, v4, s[0:3], 0 offen offset:4
	buffer_load_dword v2, v4, s[0:3], 0 offen offset:8
	buffer_load_dword v3, v4, s[0:3], 0 offen offset:12
	v_mov_b32_e32 v4, s46
	s_waitcnt vmcnt(0)
	flat_store_dwordx4 v[49:50], v[0:3]
	s_clause 0x3
	buffer_load_dword v0, v4, s[0:3], 0 offen
	buffer_load_dword v1, v4, s[0:3], 0 offen offset:4
	buffer_load_dword v2, v4, s[0:3], 0 offen offset:8
	buffer_load_dword v3, v4, s[0:3], 0 offen offset:12
	v_mov_b32_e32 v4, s45
	s_waitcnt vmcnt(0)
	flat_store_dwordx4 v[47:48], v[0:3]
	s_clause 0x3
	buffer_load_dword v0, v4, s[0:3], 0 offen
	buffer_load_dword v1, v4, s[0:3], 0 offen offset:4
	buffer_load_dword v2, v4, s[0:3], 0 offen offset:8
	buffer_load_dword v3, v4, s[0:3], 0 offen offset:12
	v_mov_b32_e32 v4, s44
	s_waitcnt vmcnt(0)
	flat_store_dwordx4 v[45:46], v[0:3]
	s_clause 0x3
	buffer_load_dword v0, v4, s[0:3], 0 offen
	buffer_load_dword v1, v4, s[0:3], 0 offen offset:4
	buffer_load_dword v2, v4, s[0:3], 0 offen offset:8
	buffer_load_dword v3, v4, s[0:3], 0 offen offset:12
	v_mov_b32_e32 v4, s43
	s_waitcnt vmcnt(0)
	flat_store_dwordx4 v[43:44], v[0:3]
	s_clause 0x3
	buffer_load_dword v0, v4, s[0:3], 0 offen
	buffer_load_dword v1, v4, s[0:3], 0 offen offset:4
	buffer_load_dword v2, v4, s[0:3], 0 offen offset:8
	buffer_load_dword v3, v4, s[0:3], 0 offen offset:12
	v_mov_b32_e32 v4, s42
	s_waitcnt vmcnt(0)
	flat_store_dwordx4 v[41:42], v[0:3]
	s_clause 0x3
	buffer_load_dword v0, v4, s[0:3], 0 offen
	buffer_load_dword v1, v4, s[0:3], 0 offen offset:4
	buffer_load_dword v2, v4, s[0:3], 0 offen offset:8
	buffer_load_dword v3, v4, s[0:3], 0 offen offset:12
	v_mov_b32_e32 v4, s41
	s_waitcnt vmcnt(0)
	flat_store_dwordx4 v[39:40], v[0:3]
	s_clause 0x3
	buffer_load_dword v0, v4, s[0:3], 0 offen
	buffer_load_dword v1, v4, s[0:3], 0 offen offset:4
	buffer_load_dword v2, v4, s[0:3], 0 offen offset:8
	buffer_load_dword v3, v4, s[0:3], 0 offen offset:12
	v_mov_b32_e32 v4, s40
	s_waitcnt vmcnt(0)
	flat_store_dwordx4 v[37:38], v[0:3]
	s_clause 0x3
	buffer_load_dword v0, v4, s[0:3], 0 offen
	buffer_load_dword v1, v4, s[0:3], 0 offen offset:4
	buffer_load_dword v2, v4, s[0:3], 0 offen offset:8
	buffer_load_dword v3, v4, s[0:3], 0 offen offset:12
	v_mov_b32_e32 v4, s39
	s_waitcnt vmcnt(0)
	flat_store_dwordx4 v[35:36], v[0:3]
	s_clause 0x3
	buffer_load_dword v0, v4, s[0:3], 0 offen
	buffer_load_dword v1, v4, s[0:3], 0 offen offset:4
	buffer_load_dword v2, v4, s[0:3], 0 offen offset:8
	buffer_load_dword v3, v4, s[0:3], 0 offen offset:12
	v_mov_b32_e32 v4, s38
	s_waitcnt vmcnt(0)
	flat_store_dwordx4 v[31:32], v[0:3]
	s_clause 0x3
	buffer_load_dword v0, v4, s[0:3], 0 offen
	buffer_load_dword v1, v4, s[0:3], 0 offen offset:4
	buffer_load_dword v2, v4, s[0:3], 0 offen offset:8
	buffer_load_dword v3, v4, s[0:3], 0 offen offset:12
	v_mov_b32_e32 v4, s37
	s_waitcnt vmcnt(0)
	flat_store_dwordx4 v[29:30], v[0:3]
	s_clause 0x3
	buffer_load_dword v0, v4, s[0:3], 0 offen
	buffer_load_dword v1, v4, s[0:3], 0 offen offset:4
	buffer_load_dword v2, v4, s[0:3], 0 offen offset:8
	buffer_load_dword v3, v4, s[0:3], 0 offen offset:12
	v_mov_b32_e32 v4, s36
	s_waitcnt vmcnt(0)
	flat_store_dwordx4 v[27:28], v[0:3]
	s_clause 0x3
	buffer_load_dword v0, v4, s[0:3], 0 offen
	buffer_load_dword v1, v4, s[0:3], 0 offen offset:4
	buffer_load_dword v2, v4, s[0:3], 0 offen offset:8
	buffer_load_dword v3, v4, s[0:3], 0 offen offset:12
	v_mov_b32_e32 v4, s35
	s_waitcnt vmcnt(0)
	flat_store_dwordx4 v[25:26], v[0:3]
	s_clause 0x3
	buffer_load_dword v0, v4, s[0:3], 0 offen
	buffer_load_dword v1, v4, s[0:3], 0 offen offset:4
	buffer_load_dword v2, v4, s[0:3], 0 offen offset:8
	buffer_load_dword v3, v4, s[0:3], 0 offen offset:12
	v_mov_b32_e32 v4, s34
	s_waitcnt vmcnt(0)
	flat_store_dwordx4 v[23:24], v[0:3]
	s_clause 0x3
	buffer_load_dword v0, v4, s[0:3], 0 offen
	buffer_load_dword v1, v4, s[0:3], 0 offen offset:4
	buffer_load_dword v2, v4, s[0:3], 0 offen offset:8
	buffer_load_dword v3, v4, s[0:3], 0 offen offset:12
	v_mov_b32_e32 v4, s33
	s_waitcnt vmcnt(0)
	flat_store_dwordx4 v[21:22], v[0:3]
	s_clause 0x3
	buffer_load_dword v0, v4, s[0:3], 0 offen
	buffer_load_dword v1, v4, s[0:3], 0 offen offset:4
	buffer_load_dword v2, v4, s[0:3], 0 offen offset:8
	buffer_load_dword v3, v4, s[0:3], 0 offen offset:12
	v_mov_b32_e32 v4, s31
	s_waitcnt vmcnt(0)
	flat_store_dwordx4 v[19:20], v[0:3]
	s_clause 0x3
	buffer_load_dword v0, v4, s[0:3], 0 offen
	buffer_load_dword v1, v4, s[0:3], 0 offen offset:4
	buffer_load_dword v2, v4, s[0:3], 0 offen offset:8
	buffer_load_dword v3, v4, s[0:3], 0 offen offset:12
	v_mov_b32_e32 v4, s30
	s_waitcnt vmcnt(0)
	flat_store_dwordx4 v[17:18], v[0:3]
	s_clause 0x3
	buffer_load_dword v0, v4, s[0:3], 0 offen
	buffer_load_dword v1, v4, s[0:3], 0 offen offset:4
	buffer_load_dword v2, v4, s[0:3], 0 offen offset:8
	buffer_load_dword v3, v4, s[0:3], 0 offen offset:12
	v_mov_b32_e32 v4, s29
	s_waitcnt vmcnt(0)
	flat_store_dwordx4 v[15:16], v[0:3]
	s_clause 0x3
	buffer_load_dword v0, v4, s[0:3], 0 offen
	buffer_load_dword v1, v4, s[0:3], 0 offen offset:4
	buffer_load_dword v2, v4, s[0:3], 0 offen offset:8
	buffer_load_dword v3, v4, s[0:3], 0 offen offset:12
	v_mov_b32_e32 v4, s28
	s_waitcnt vmcnt(0)
	flat_store_dwordx4 v[13:14], v[0:3]
	s_clause 0x3
	buffer_load_dword v0, v4, s[0:3], 0 offen
	buffer_load_dword v1, v4, s[0:3], 0 offen offset:4
	buffer_load_dword v2, v4, s[0:3], 0 offen offset:8
	buffer_load_dword v3, v4, s[0:3], 0 offen offset:12
	v_mov_b32_e32 v4, s27
	s_waitcnt vmcnt(0)
	flat_store_dwordx4 v[11:12], v[0:3]
	s_clause 0x3
	buffer_load_dword v0, v4, s[0:3], 0 offen
	buffer_load_dword v1, v4, s[0:3], 0 offen offset:4
	buffer_load_dword v2, v4, s[0:3], 0 offen offset:8
	buffer_load_dword v3, v4, s[0:3], 0 offen offset:12
	v_mov_b32_e32 v4, s26
	s_waitcnt vmcnt(0)
	flat_store_dwordx4 v[9:10], v[0:3]
	s_clause 0x3
	buffer_load_dword v0, v4, s[0:3], 0 offen
	buffer_load_dword v1, v4, s[0:3], 0 offen offset:4
	buffer_load_dword v2, v4, s[0:3], 0 offen offset:8
	buffer_load_dword v3, v4, s[0:3], 0 offen offset:12
	v_mov_b32_e32 v4, s25
	s_waitcnt vmcnt(0)
	flat_store_dwordx4 v[7:8], v[0:3]
	s_clause 0x3
	buffer_load_dword v0, v4, s[0:3], 0 offen
	buffer_load_dword v1, v4, s[0:3], 0 offen offset:4
	buffer_load_dword v2, v4, s[0:3], 0 offen offset:8
	buffer_load_dword v3, v4, s[0:3], 0 offen offset:12
	v_mov_b32_e32 v4, s24
	s_waitcnt vmcnt(0)
	flat_store_dwordx4 v[33:34], v[0:3]
	s_clause 0x3
	buffer_load_dword v0, v4, s[0:3], 0 offen
	buffer_load_dword v1, v4, s[0:3], 0 offen offset:4
	buffer_load_dword v2, v4, s[0:3], 0 offen offset:8
	buffer_load_dword v3, v4, s[0:3], 0 offen offset:12
	v_mov_b32_e32 v4, s23
	s_waitcnt vmcnt(0)
	flat_store_dwordx4 v[51:52], v[0:3]
	s_clause 0x3
	buffer_load_dword v0, v4, s[0:3], 0 offen
	buffer_load_dword v1, v4, s[0:3], 0 offen offset:4
	buffer_load_dword v2, v4, s[0:3], 0 offen offset:8
	buffer_load_dword v3, v4, s[0:3], 0 offen offset:12
	v_mov_b32_e32 v4, s22
	s_waitcnt vmcnt(0)
	flat_store_dwordx4 v[61:62], v[0:3]
	s_clause 0x3
	buffer_load_dword v0, v4, s[0:3], 0 offen
	buffer_load_dword v1, v4, s[0:3], 0 offen offset:4
	buffer_load_dword v2, v4, s[0:3], 0 offen offset:8
	buffer_load_dword v3, v4, s[0:3], 0 offen offset:12
	v_mov_b32_e32 v4, s21
	s_waitcnt vmcnt(0)
	flat_store_dwordx4 v[63:64], v[0:3]
	s_clause 0x3
	buffer_load_dword v0, v4, s[0:3], 0 offen
	buffer_load_dword v1, v4, s[0:3], 0 offen offset:4
	buffer_load_dword v2, v4, s[0:3], 0 offen offset:8
	buffer_load_dword v3, v4, s[0:3], 0 offen offset:12
	v_mov_b32_e32 v4, s20
	s_waitcnt vmcnt(0)
	flat_store_dwordx4 v[65:66], v[0:3]
	s_clause 0x3
	buffer_load_dword v0, v4, s[0:3], 0 offen
	buffer_load_dword v1, v4, s[0:3], 0 offen offset:4
	buffer_load_dword v2, v4, s[0:3], 0 offen offset:8
	buffer_load_dword v3, v4, s[0:3], 0 offen offset:12
	v_mov_b32_e32 v4, s19
	s_waitcnt vmcnt(0)
	flat_store_dwordx4 v[67:68], v[0:3]
	s_clause 0x3
	buffer_load_dword v0, v4, s[0:3], 0 offen
	buffer_load_dword v1, v4, s[0:3], 0 offen offset:4
	buffer_load_dword v2, v4, s[0:3], 0 offen offset:8
	buffer_load_dword v3, v4, s[0:3], 0 offen offset:12
	v_mov_b32_e32 v4, s18
	s_waitcnt vmcnt(0)
	flat_store_dwordx4 v[69:70], v[0:3]
	s_clause 0x3
	buffer_load_dword v0, v4, s[0:3], 0 offen
	buffer_load_dword v1, v4, s[0:3], 0 offen offset:4
	buffer_load_dword v2, v4, s[0:3], 0 offen offset:8
	buffer_load_dword v3, v4, s[0:3], 0 offen offset:12
	v_mov_b32_e32 v4, s17
	s_waitcnt vmcnt(0)
	flat_store_dwordx4 v[71:72], v[0:3]
	s_clause 0x3
	buffer_load_dword v0, v4, s[0:3], 0 offen
	buffer_load_dword v1, v4, s[0:3], 0 offen offset:4
	buffer_load_dword v2, v4, s[0:3], 0 offen offset:8
	buffer_load_dword v3, v4, s[0:3], 0 offen offset:12
	v_mov_b32_e32 v4, s16
	s_waitcnt vmcnt(0)
	flat_store_dwordx4 v[73:74], v[0:3]
	s_clause 0x3
	buffer_load_dword v0, v4, s[0:3], 0 offen
	buffer_load_dword v1, v4, s[0:3], 0 offen offset:4
	buffer_load_dword v2, v4, s[0:3], 0 offen offset:8
	buffer_load_dword v3, v4, s[0:3], 0 offen offset:12
	v_mov_b32_e32 v4, s15
	s_waitcnt vmcnt(0)
	flat_store_dwordx4 v[75:76], v[0:3]
	s_clause 0x3
	buffer_load_dword v0, v4, s[0:3], 0 offen
	buffer_load_dword v1, v4, s[0:3], 0 offen offset:4
	buffer_load_dword v2, v4, s[0:3], 0 offen offset:8
	buffer_load_dword v3, v4, s[0:3], 0 offen offset:12
	v_mov_b32_e32 v4, s14
	s_waitcnt vmcnt(0)
	flat_store_dwordx4 v[77:78], v[0:3]
	s_clause 0x3
	buffer_load_dword v0, v4, s[0:3], 0 offen
	buffer_load_dword v1, v4, s[0:3], 0 offen offset:4
	buffer_load_dword v2, v4, s[0:3], 0 offen offset:8
	buffer_load_dword v3, v4, s[0:3], 0 offen offset:12
	v_mov_b32_e32 v4, s13
	s_waitcnt vmcnt(0)
	flat_store_dwordx4 v[79:80], v[0:3]
	s_clause 0x3
	buffer_load_dword v0, v4, s[0:3], 0 offen
	buffer_load_dword v1, v4, s[0:3], 0 offen offset:4
	buffer_load_dword v2, v4, s[0:3], 0 offen offset:8
	buffer_load_dword v3, v4, s[0:3], 0 offen offset:12
	v_mov_b32_e32 v4, s12
	s_waitcnt vmcnt(0)
	flat_store_dwordx4 v[81:82], v[0:3]
	s_clause 0x3
	buffer_load_dword v0, v4, s[0:3], 0 offen
	buffer_load_dword v1, v4, s[0:3], 0 offen offset:4
	buffer_load_dword v2, v4, s[0:3], 0 offen offset:8
	buffer_load_dword v3, v4, s[0:3], 0 offen offset:12
	v_mov_b32_e32 v4, s11
	s_waitcnt vmcnt(0)
	flat_store_dwordx4 v[83:84], v[0:3]
	s_clause 0x3
	buffer_load_dword v0, v4, s[0:3], 0 offen
	buffer_load_dword v1, v4, s[0:3], 0 offen offset:4
	buffer_load_dword v2, v4, s[0:3], 0 offen offset:8
	buffer_load_dword v3, v4, s[0:3], 0 offen offset:12
	v_mov_b32_e32 v4, s10
	s_waitcnt vmcnt(0)
	flat_store_dwordx4 v[85:86], v[0:3]
	s_clause 0x3
	buffer_load_dword v0, v4, s[0:3], 0 offen
	buffer_load_dword v1, v4, s[0:3], 0 offen offset:4
	buffer_load_dword v2, v4, s[0:3], 0 offen offset:8
	buffer_load_dword v3, v4, s[0:3], 0 offen offset:12
	v_mov_b32_e32 v4, s9
	s_waitcnt vmcnt(0)
	flat_store_dwordx4 v[87:88], v[0:3]
	s_clause 0x3
	buffer_load_dword v0, v4, s[0:3], 0 offen
	buffer_load_dword v1, v4, s[0:3], 0 offen offset:4
	buffer_load_dword v2, v4, s[0:3], 0 offen offset:8
	buffer_load_dword v3, v4, s[0:3], 0 offen offset:12
	v_mov_b32_e32 v4, s7
	s_waitcnt vmcnt(0)
	flat_store_dwordx4 v[89:90], v[0:3]
	s_clause 0x3
	buffer_load_dword v0, v4, s[0:3], 0 offen
	buffer_load_dword v1, v4, s[0:3], 0 offen offset:4
	buffer_load_dword v2, v4, s[0:3], 0 offen offset:8
	buffer_load_dword v3, v4, s[0:3], 0 offen offset:12
	s_waitcnt vmcnt(0)
	flat_store_dwordx4 v[91:92], v[0:3]
.LBB107_691:
	s_endpgm
	.section	.rodata,"a",@progbits
	.p2align	6, 0x0
	.amdhsa_kernel _ZN9rocsolver6v33100L18trti2_kernel_smallILi44E19rocblas_complex_numIdEPKPS3_EEv13rocblas_fill_17rocblas_diagonal_T1_iil
		.amdhsa_group_segment_fixed_size 1408
		.amdhsa_private_segment_fixed_size 720
		.amdhsa_kernarg_size 32
		.amdhsa_user_sgpr_count 6
		.amdhsa_user_sgpr_private_segment_buffer 1
		.amdhsa_user_sgpr_dispatch_ptr 0
		.amdhsa_user_sgpr_queue_ptr 0
		.amdhsa_user_sgpr_kernarg_segment_ptr 1
		.amdhsa_user_sgpr_dispatch_id 0
		.amdhsa_user_sgpr_flat_scratch_init 0
		.amdhsa_user_sgpr_private_segment_size 0
		.amdhsa_wavefront_size32 1
		.amdhsa_uses_dynamic_stack 0
		.amdhsa_system_sgpr_private_segment_wavefront_offset 1
		.amdhsa_system_sgpr_workgroup_id_x 1
		.amdhsa_system_sgpr_workgroup_id_y 0
		.amdhsa_system_sgpr_workgroup_id_z 0
		.amdhsa_system_sgpr_workgroup_info 0
		.amdhsa_system_vgpr_workitem_id 0
		.amdhsa_next_free_vgpr 110
		.amdhsa_next_free_sgpr 71
		.amdhsa_reserve_vcc 1
		.amdhsa_reserve_flat_scratch 0
		.amdhsa_float_round_mode_32 0
		.amdhsa_float_round_mode_16_64 0
		.amdhsa_float_denorm_mode_32 3
		.amdhsa_float_denorm_mode_16_64 3
		.amdhsa_dx10_clamp 1
		.amdhsa_ieee_mode 1
		.amdhsa_fp16_overflow 0
		.amdhsa_workgroup_processor_mode 1
		.amdhsa_memory_ordered 1
		.amdhsa_forward_progress 1
		.amdhsa_shared_vgpr_count 0
		.amdhsa_exception_fp_ieee_invalid_op 0
		.amdhsa_exception_fp_denorm_src 0
		.amdhsa_exception_fp_ieee_div_zero 0
		.amdhsa_exception_fp_ieee_overflow 0
		.amdhsa_exception_fp_ieee_underflow 0
		.amdhsa_exception_fp_ieee_inexact 0
		.amdhsa_exception_int_div_zero 0
	.end_amdhsa_kernel
	.section	.text._ZN9rocsolver6v33100L18trti2_kernel_smallILi44E19rocblas_complex_numIdEPKPS3_EEv13rocblas_fill_17rocblas_diagonal_T1_iil,"axG",@progbits,_ZN9rocsolver6v33100L18trti2_kernel_smallILi44E19rocblas_complex_numIdEPKPS3_EEv13rocblas_fill_17rocblas_diagonal_T1_iil,comdat
.Lfunc_end107:
	.size	_ZN9rocsolver6v33100L18trti2_kernel_smallILi44E19rocblas_complex_numIdEPKPS3_EEv13rocblas_fill_17rocblas_diagonal_T1_iil, .Lfunc_end107-_ZN9rocsolver6v33100L18trti2_kernel_smallILi44E19rocblas_complex_numIdEPKPS3_EEv13rocblas_fill_17rocblas_diagonal_T1_iil
                                        ; -- End function
	.set _ZN9rocsolver6v33100L18trti2_kernel_smallILi44E19rocblas_complex_numIdEPKPS3_EEv13rocblas_fill_17rocblas_diagonal_T1_iil.num_vgpr, 110
	.set _ZN9rocsolver6v33100L18trti2_kernel_smallILi44E19rocblas_complex_numIdEPKPS3_EEv13rocblas_fill_17rocblas_diagonal_T1_iil.num_agpr, 0
	.set _ZN9rocsolver6v33100L18trti2_kernel_smallILi44E19rocblas_complex_numIdEPKPS3_EEv13rocblas_fill_17rocblas_diagonal_T1_iil.numbered_sgpr, 71
	.set _ZN9rocsolver6v33100L18trti2_kernel_smallILi44E19rocblas_complex_numIdEPKPS3_EEv13rocblas_fill_17rocblas_diagonal_T1_iil.num_named_barrier, 0
	.set _ZN9rocsolver6v33100L18trti2_kernel_smallILi44E19rocblas_complex_numIdEPKPS3_EEv13rocblas_fill_17rocblas_diagonal_T1_iil.private_seg_size, 720
	.set _ZN9rocsolver6v33100L18trti2_kernel_smallILi44E19rocblas_complex_numIdEPKPS3_EEv13rocblas_fill_17rocblas_diagonal_T1_iil.uses_vcc, 1
	.set _ZN9rocsolver6v33100L18trti2_kernel_smallILi44E19rocblas_complex_numIdEPKPS3_EEv13rocblas_fill_17rocblas_diagonal_T1_iil.uses_flat_scratch, 0
	.set _ZN9rocsolver6v33100L18trti2_kernel_smallILi44E19rocblas_complex_numIdEPKPS3_EEv13rocblas_fill_17rocblas_diagonal_T1_iil.has_dyn_sized_stack, 0
	.set _ZN9rocsolver6v33100L18trti2_kernel_smallILi44E19rocblas_complex_numIdEPKPS3_EEv13rocblas_fill_17rocblas_diagonal_T1_iil.has_recursion, 0
	.set _ZN9rocsolver6v33100L18trti2_kernel_smallILi44E19rocblas_complex_numIdEPKPS3_EEv13rocblas_fill_17rocblas_diagonal_T1_iil.has_indirect_call, 0
	.section	.AMDGPU.csdata,"",@progbits
; Kernel info:
; codeLenInByte = 44708
; TotalNumSgprs: 73
; NumVgprs: 110
; ScratchSize: 720
; MemoryBound: 0
; FloatMode: 240
; IeeeMode: 1
; LDSByteSize: 1408 bytes/workgroup (compile time only)
; SGPRBlocks: 0
; VGPRBlocks: 13
; NumSGPRsForWavesPerEU: 73
; NumVGPRsForWavesPerEU: 110
; Occupancy: 9
; WaveLimiterHint : 1
; COMPUTE_PGM_RSRC2:SCRATCH_EN: 1
; COMPUTE_PGM_RSRC2:USER_SGPR: 6
; COMPUTE_PGM_RSRC2:TRAP_HANDLER: 0
; COMPUTE_PGM_RSRC2:TGID_X_EN: 1
; COMPUTE_PGM_RSRC2:TGID_Y_EN: 0
; COMPUTE_PGM_RSRC2:TGID_Z_EN: 0
; COMPUTE_PGM_RSRC2:TIDIG_COMP_CNT: 0
	.section	.text._ZN9rocsolver6v33100L18trti2_kernel_smallILi45E19rocblas_complex_numIdEPKPS3_EEv13rocblas_fill_17rocblas_diagonal_T1_iil,"axG",@progbits,_ZN9rocsolver6v33100L18trti2_kernel_smallILi45E19rocblas_complex_numIdEPKPS3_EEv13rocblas_fill_17rocblas_diagonal_T1_iil,comdat
	.globl	_ZN9rocsolver6v33100L18trti2_kernel_smallILi45E19rocblas_complex_numIdEPKPS3_EEv13rocblas_fill_17rocblas_diagonal_T1_iil ; -- Begin function _ZN9rocsolver6v33100L18trti2_kernel_smallILi45E19rocblas_complex_numIdEPKPS3_EEv13rocblas_fill_17rocblas_diagonal_T1_iil
	.p2align	8
	.type	_ZN9rocsolver6v33100L18trti2_kernel_smallILi45E19rocblas_complex_numIdEPKPS3_EEv13rocblas_fill_17rocblas_diagonal_T1_iil,@function
_ZN9rocsolver6v33100L18trti2_kernel_smallILi45E19rocblas_complex_numIdEPKPS3_EEv13rocblas_fill_17rocblas_diagonal_T1_iil: ; @_ZN9rocsolver6v33100L18trti2_kernel_smallILi45E19rocblas_complex_numIdEPKPS3_EEv13rocblas_fill_17rocblas_diagonal_T1_iil
; %bb.0:
	s_add_u32 s0, s0, s7
	s_addc_u32 s1, s1, 0
	s_mov_b32 s7, exec_lo
	v_cmpx_gt_u32_e32 45, v0
	s_cbranch_execz .LBB108_707
; %bb.1:
	s_clause 0x1
	s_load_dwordx2 s[12:13], s[4:5], 0x10
	s_load_dwordx4 s[8:11], s[4:5], 0x0
	s_ashr_i32 s7, s6, 31
	v_lshlrev_b32_e32 v101, 4, v0
	s_lshl_b64 s[4:5], s[6:7], 3
	s_movk_i32 s14, 0xd0
	s_movk_i32 s15, 0xe0
	;; [unrolled: 1-line block ×15, first 2 shown]
	s_waitcnt lgkmcnt(0)
	s_ashr_i32 s7, s12, 31
	s_add_u32 s4, s10, s4
	s_addc_u32 s5, s11, s5
	s_mov_b32 s6, s12
	s_load_dwordx2 s[4:5], s[4:5], 0x0
	s_lshl_b64 s[6:7], s[6:7], 4
	v_add3_u32 v7, s13, s13, v0
	s_movk_i32 s10, 0x90
	s_movk_i32 s11, 0xa0
	;; [unrolled: 1-line block ×4, first 2 shown]
	v_ashrrev_i32_e32 v8, 31, v7
	s_movk_i32 s56, 0x1d0
	s_movk_i32 s57, 0x1e0
	;; [unrolled: 1-line block ×4, first 2 shown]
	v_lshlrev_b64 v[8:9], 4, v[7:8]
	v_add_nc_u32_e32 v7, s13, v7
	s_movk_i32 s60, 0x210
	s_movk_i32 s61, 0x220
	;; [unrolled: 1-line block ×6, first 2 shown]
	s_waitcnt lgkmcnt(0)
	s_add_u32 s6, s4, s6
	s_addc_u32 s7, s5, s7
	v_add_co_u32 v5, s4, s6, v101
	v_add_co_ci_u32_e64 v6, null, s7, 0, s4
	s_mov_b32 s4, s13
	s_ashr_i32 s5, s13, 31
	s_movk_i32 s66, 0x270
	flat_load_dwordx4 v[1:4], v[5:6]
	s_lshl_b64 s[4:5], s[4:5], 4
	s_cmpk_lg_i32 s9, 0x84
	v_add_co_u32 v59, vcc_lo, v5, s4
	v_add_co_ci_u32_e64 v60, null, s5, v6, vcc_lo
	v_add_co_u32 v57, vcc_lo, s6, v8
	v_add_co_ci_u32_e64 v58, null, s7, v9, vcc_lo
	v_ashrrev_i32_e32 v8, 31, v7
	s_movk_i32 s4, 0x50
	s_movk_i32 s5, 0x60
	;; [unrolled: 1-line block ×4, first 2 shown]
	v_lshlrev_b64 v[8:9], 4, v[7:8]
	v_add_nc_u32_e32 v7, s13, v7
	s_movk_i32 s69, 0x2a0
	s_movk_i32 s70, 0x2b0
	;; [unrolled: 1-line block ×3, first 2 shown]
	s_cselect_b32 s52, -1, 0
	v_add_co_u32 v55, vcc_lo, s6, v8
	v_add_co_ci_u32_e64 v56, null, s7, v9, vcc_lo
	v_ashrrev_i32_e32 v8, 31, v7
	s_cmpk_eq_i32 s9, 0x84
	s_waitcnt vmcnt(0) lgkmcnt(0)
	buffer_store_dword v4, off, s[0:3], 0 offset:12
	buffer_store_dword v3, off, s[0:3], 0 offset:8
	buffer_store_dword v2, off, s[0:3], 0 offset:4
	buffer_store_dword v1, off, s[0:3], 0
	flat_load_dwordx4 v[1:4], v[59:60]
	v_lshlrev_b64 v[8:9], 4, v[7:8]
	v_add_nc_u32_e32 v7, s13, v7
	s_waitcnt vmcnt(0) lgkmcnt(0)
	buffer_store_dword v4, off, s[0:3], 0 offset:28
	buffer_store_dword v3, off, s[0:3], 0 offset:24
	;; [unrolled: 1-line block ×4, first 2 shown]
	flat_load_dwordx4 v[1:4], v[57:58]
	v_add_co_u32 v53, vcc_lo, s6, v8
	v_add_co_ci_u32_e64 v54, null, s7, v9, vcc_lo
	v_ashrrev_i32_e32 v8, 31, v7
	s_waitcnt vmcnt(0) lgkmcnt(0)
	buffer_store_dword v4, off, s[0:3], 0 offset:44
	buffer_store_dword v3, off, s[0:3], 0 offset:40
	;; [unrolled: 1-line block ×4, first 2 shown]
	flat_load_dwordx4 v[1:4], v[55:56]
	v_lshlrev_b64 v[8:9], 4, v[7:8]
	v_add_nc_u32_e32 v7, s13, v7
	s_waitcnt vmcnt(0) lgkmcnt(0)
	buffer_store_dword v4, off, s[0:3], 0 offset:60
	buffer_store_dword v3, off, s[0:3], 0 offset:56
	;; [unrolled: 1-line block ×4, first 2 shown]
	flat_load_dwordx4 v[1:4], v[53:54]
	v_add_co_u32 v49, vcc_lo, s6, v8
	v_add_co_ci_u32_e64 v50, null, s7, v9, vcc_lo
	v_ashrrev_i32_e32 v8, 31, v7
	s_waitcnt vmcnt(0) lgkmcnt(0)
	buffer_store_dword v4, off, s[0:3], 0 offset:76
	buffer_store_dword v3, off, s[0:3], 0 offset:72
	;; [unrolled: 1-line block ×4, first 2 shown]
	flat_load_dwordx4 v[1:4], v[49:50]
	v_lshlrev_b64 v[8:9], 4, v[7:8]
	v_add_nc_u32_e32 v7, s13, v7
	s_waitcnt vmcnt(0) lgkmcnt(0)
	buffer_store_dword v4, off, s[0:3], 0 offset:92
	buffer_store_dword v3, off, s[0:3], 0 offset:88
	;; [unrolled: 1-line block ×4, first 2 shown]
	v_add_co_u32 v47, vcc_lo, s6, v8
	v_add_co_ci_u32_e64 v48, null, s7, v9, vcc_lo
	v_ashrrev_i32_e32 v8, 31, v7
	flat_load_dwordx4 v[1:4], v[47:48]
	s_waitcnt vmcnt(0) lgkmcnt(0)
	buffer_store_dword v4, off, s[0:3], 0 offset:108
	buffer_store_dword v3, off, s[0:3], 0 offset:104
	buffer_store_dword v2, off, s[0:3], 0 offset:100
	buffer_store_dword v1, off, s[0:3], 0 offset:96
	v_lshlrev_b64 v[8:9], 4, v[7:8]
	v_add_nc_u32_e32 v7, s13, v7
	v_add_co_u32 v45, vcc_lo, s6, v8
	v_add_co_ci_u32_e64 v46, null, s7, v9, vcc_lo
	v_ashrrev_i32_e32 v8, 31, v7
	flat_load_dwordx4 v[1:4], v[45:46]
	s_waitcnt vmcnt(0) lgkmcnt(0)
	buffer_store_dword v4, off, s[0:3], 0 offset:124
	buffer_store_dword v3, off, s[0:3], 0 offset:120
	buffer_store_dword v2, off, s[0:3], 0 offset:116
	buffer_store_dword v1, off, s[0:3], 0 offset:112
	v_lshlrev_b64 v[8:9], 4, v[7:8]
	v_add_nc_u32_e32 v7, s13, v7
	;; [unrolled: 11-line block ×17, first 2 shown]
	v_add_co_u32 v11, vcc_lo, s6, v8
	v_add_co_ci_u32_e64 v12, null, s7, v9, vcc_lo
	v_ashrrev_i32_e32 v8, 31, v7
	v_add_nc_u32_e32 v33, s13, v7
	flat_load_dwordx4 v[1:4], v[11:12]
	s_waitcnt vmcnt(0) lgkmcnt(0)
	buffer_store_dword v4, off, s[0:3], 0 offset:380
	buffer_store_dword v3, off, s[0:3], 0 offset:376
	;; [unrolled: 1-line block ×4, first 2 shown]
	v_lshlrev_b64 v[9:10], 4, v[7:8]
	v_ashrrev_i32_e32 v34, 31, v33
	v_add_nc_u32_e32 v51, s13, v33
	v_add_co_u32 v9, vcc_lo, s6, v9
	v_add_co_ci_u32_e64 v10, null, s7, v10, vcc_lo
	v_lshlrev_b64 v[7:8], 4, v[33:34]
	v_ashrrev_i32_e32 v52, 31, v51
	v_add_nc_u32_e32 v61, s13, v51
	flat_load_dwordx4 v[1:4], v[9:10]
	s_waitcnt vmcnt(0) lgkmcnt(0)
	buffer_store_dword v4, off, s[0:3], 0 offset:396
	buffer_store_dword v3, off, s[0:3], 0 offset:392
	buffer_store_dword v2, off, s[0:3], 0 offset:388
	buffer_store_dword v1, off, s[0:3], 0 offset:384
	v_add_co_u32 v7, vcc_lo, s6, v7
	v_add_co_ci_u32_e64 v8, null, s7, v8, vcc_lo
	v_lshlrev_b64 v[33:34], 4, v[51:52]
	v_ashrrev_i32_e32 v62, 31, v61
	v_add_nc_u32_e32 v63, s13, v61
	flat_load_dwordx4 v[1:4], v[7:8]
	s_waitcnt vmcnt(0) lgkmcnt(0)
	buffer_store_dword v4, off, s[0:3], 0 offset:412
	buffer_store_dword v3, off, s[0:3], 0 offset:408
	buffer_store_dword v2, off, s[0:3], 0 offset:404
	buffer_store_dword v1, off, s[0:3], 0 offset:400
	v_add_co_u32 v33, vcc_lo, s6, v33
	v_add_co_ci_u32_e64 v34, null, s7, v34, vcc_lo
	v_lshlrev_b64 v[51:52], 4, v[61:62]
	v_ashrrev_i32_e32 v64, 31, v63
	v_add_nc_u32_e32 v65, s13, v63
	flat_load_dwordx4 v[1:4], v[33:34]
	s_waitcnt vmcnt(0) lgkmcnt(0)
	buffer_store_dword v4, off, s[0:3], 0 offset:428
	buffer_store_dword v3, off, s[0:3], 0 offset:424
	buffer_store_dword v2, off, s[0:3], 0 offset:420
	buffer_store_dword v1, off, s[0:3], 0 offset:416
	v_add_co_u32 v51, vcc_lo, s6, v51
	v_add_co_ci_u32_e64 v52, null, s7, v52, vcc_lo
	v_lshlrev_b64 v[61:62], 4, v[63:64]
	v_ashrrev_i32_e32 v66, 31, v65
	v_add_nc_u32_e32 v67, s13, v65
	flat_load_dwordx4 v[1:4], v[51:52]
	s_waitcnt vmcnt(0) lgkmcnt(0)
	buffer_store_dword v4, off, s[0:3], 0 offset:444
	buffer_store_dword v3, off, s[0:3], 0 offset:440
	buffer_store_dword v2, off, s[0:3], 0 offset:436
	buffer_store_dword v1, off, s[0:3], 0 offset:432
	v_add_co_u32 v61, vcc_lo, s6, v61
	v_add_co_ci_u32_e64 v62, null, s7, v62, vcc_lo
	v_lshlrev_b64 v[63:64], 4, v[65:66]
	v_ashrrev_i32_e32 v68, 31, v67
	v_add_nc_u32_e32 v69, s13, v67
	flat_load_dwordx4 v[1:4], v[61:62]
	s_waitcnt vmcnt(0) lgkmcnt(0)
	buffer_store_dword v4, off, s[0:3], 0 offset:460
	buffer_store_dword v3, off, s[0:3], 0 offset:456
	buffer_store_dword v2, off, s[0:3], 0 offset:452
	buffer_store_dword v1, off, s[0:3], 0 offset:448
	v_add_co_u32 v63, vcc_lo, s6, v63
	v_add_co_ci_u32_e64 v64, null, s7, v64, vcc_lo
	v_lshlrev_b64 v[65:66], 4, v[67:68]
	v_ashrrev_i32_e32 v70, 31, v69
	v_add_nc_u32_e32 v71, s13, v69
	flat_load_dwordx4 v[1:4], v[63:64]
	s_waitcnt vmcnt(0) lgkmcnt(0)
	buffer_store_dword v4, off, s[0:3], 0 offset:476
	buffer_store_dword v3, off, s[0:3], 0 offset:472
	buffer_store_dword v2, off, s[0:3], 0 offset:468
	buffer_store_dword v1, off, s[0:3], 0 offset:464
	v_add_co_u32 v65, vcc_lo, s6, v65
	v_add_co_ci_u32_e64 v66, null, s7, v66, vcc_lo
	v_lshlrev_b64 v[67:68], 4, v[69:70]
	v_ashrrev_i32_e32 v72, 31, v71
	v_add_nc_u32_e32 v73, s13, v71
	flat_load_dwordx4 v[1:4], v[65:66]
	s_waitcnt vmcnt(0) lgkmcnt(0)
	buffer_store_dword v4, off, s[0:3], 0 offset:492
	buffer_store_dword v3, off, s[0:3], 0 offset:488
	buffer_store_dword v2, off, s[0:3], 0 offset:484
	buffer_store_dword v1, off, s[0:3], 0 offset:480
	v_add_co_u32 v67, vcc_lo, s6, v67
	v_add_co_ci_u32_e64 v68, null, s7, v68, vcc_lo
	v_lshlrev_b64 v[69:70], 4, v[71:72]
	v_ashrrev_i32_e32 v74, 31, v73
	v_add_nc_u32_e32 v75, s13, v73
	flat_load_dwordx4 v[1:4], v[67:68]
	s_waitcnt vmcnt(0) lgkmcnt(0)
	buffer_store_dword v4, off, s[0:3], 0 offset:508
	buffer_store_dword v3, off, s[0:3], 0 offset:504
	buffer_store_dword v2, off, s[0:3], 0 offset:500
	buffer_store_dword v1, off, s[0:3], 0 offset:496
	v_add_co_u32 v69, vcc_lo, s6, v69
	v_add_co_ci_u32_e64 v70, null, s7, v70, vcc_lo
	v_lshlrev_b64 v[71:72], 4, v[73:74]
	v_ashrrev_i32_e32 v76, 31, v75
	v_add_nc_u32_e32 v77, s13, v75
	flat_load_dwordx4 v[1:4], v[69:70]
	s_waitcnt vmcnt(0) lgkmcnt(0)
	buffer_store_dword v4, off, s[0:3], 0 offset:524
	buffer_store_dword v3, off, s[0:3], 0 offset:520
	buffer_store_dword v2, off, s[0:3], 0 offset:516
	buffer_store_dword v1, off, s[0:3], 0 offset:512
	v_add_co_u32 v71, vcc_lo, s6, v71
	v_add_co_ci_u32_e64 v72, null, s7, v72, vcc_lo
	v_lshlrev_b64 v[73:74], 4, v[75:76]
	v_ashrrev_i32_e32 v78, 31, v77
	v_add_nc_u32_e32 v79, s13, v77
	flat_load_dwordx4 v[1:4], v[71:72]
	s_waitcnt vmcnt(0) lgkmcnt(0)
	buffer_store_dword v4, off, s[0:3], 0 offset:540
	buffer_store_dword v3, off, s[0:3], 0 offset:536
	buffer_store_dword v2, off, s[0:3], 0 offset:532
	buffer_store_dword v1, off, s[0:3], 0 offset:528
	v_add_co_u32 v73, vcc_lo, s6, v73
	v_add_co_ci_u32_e64 v74, null, s7, v74, vcc_lo
	v_lshlrev_b64 v[75:76], 4, v[77:78]
	v_ashrrev_i32_e32 v80, 31, v79
	v_add_nc_u32_e32 v81, s13, v79
	flat_load_dwordx4 v[1:4], v[73:74]
	s_waitcnt vmcnt(0) lgkmcnt(0)
	buffer_store_dword v4, off, s[0:3], 0 offset:556
	buffer_store_dword v3, off, s[0:3], 0 offset:552
	buffer_store_dword v2, off, s[0:3], 0 offset:548
	buffer_store_dword v1, off, s[0:3], 0 offset:544
	v_add_co_u32 v75, vcc_lo, s6, v75
	v_add_co_ci_u32_e64 v76, null, s7, v76, vcc_lo
	v_lshlrev_b64 v[77:78], 4, v[79:80]
	v_ashrrev_i32_e32 v82, 31, v81
	v_add_nc_u32_e32 v83, s13, v81
	flat_load_dwordx4 v[1:4], v[75:76]
	s_waitcnt vmcnt(0) lgkmcnt(0)
	buffer_store_dword v4, off, s[0:3], 0 offset:572
	buffer_store_dword v3, off, s[0:3], 0 offset:568
	buffer_store_dword v2, off, s[0:3], 0 offset:564
	buffer_store_dword v1, off, s[0:3], 0 offset:560
	v_add_co_u32 v77, vcc_lo, s6, v77
	v_add_co_ci_u32_e64 v78, null, s7, v78, vcc_lo
	v_lshlrev_b64 v[79:80], 4, v[81:82]
	v_ashrrev_i32_e32 v84, 31, v83
	v_add_nc_u32_e32 v85, s13, v83
	flat_load_dwordx4 v[1:4], v[77:78]
	s_waitcnt vmcnt(0) lgkmcnt(0)
	buffer_store_dword v4, off, s[0:3], 0 offset:588
	buffer_store_dword v3, off, s[0:3], 0 offset:584
	buffer_store_dword v2, off, s[0:3], 0 offset:580
	buffer_store_dword v1, off, s[0:3], 0 offset:576
	v_add_co_u32 v79, vcc_lo, s6, v79
	v_add_co_ci_u32_e64 v80, null, s7, v80, vcc_lo
	v_lshlrev_b64 v[81:82], 4, v[83:84]
	v_ashrrev_i32_e32 v86, 31, v85
	v_add_nc_u32_e32 v87, s13, v85
	flat_load_dwordx4 v[1:4], v[79:80]
	s_waitcnt vmcnt(0) lgkmcnt(0)
	buffer_store_dword v4, off, s[0:3], 0 offset:604
	buffer_store_dword v3, off, s[0:3], 0 offset:600
	buffer_store_dword v2, off, s[0:3], 0 offset:596
	buffer_store_dword v1, off, s[0:3], 0 offset:592
	v_add_co_u32 v81, vcc_lo, s6, v81
	v_add_co_ci_u32_e64 v82, null, s7, v82, vcc_lo
	v_lshlrev_b64 v[83:84], 4, v[85:86]
	v_ashrrev_i32_e32 v88, 31, v87
	v_add_nc_u32_e32 v89, s13, v87
	flat_load_dwordx4 v[1:4], v[81:82]
	s_waitcnt vmcnt(0) lgkmcnt(0)
	buffer_store_dword v4, off, s[0:3], 0 offset:620
	buffer_store_dword v3, off, s[0:3], 0 offset:616
	buffer_store_dword v2, off, s[0:3], 0 offset:612
	buffer_store_dword v1, off, s[0:3], 0 offset:608
	v_add_co_u32 v83, vcc_lo, s6, v83
	v_add_co_ci_u32_e64 v84, null, s7, v84, vcc_lo
	v_lshlrev_b64 v[85:86], 4, v[87:88]
	v_ashrrev_i32_e32 v90, 31, v89
	v_add_nc_u32_e32 v91, s13, v89
	flat_load_dwordx4 v[1:4], v[83:84]
	s_waitcnt vmcnt(0) lgkmcnt(0)
	buffer_store_dword v4, off, s[0:3], 0 offset:636
	buffer_store_dword v3, off, s[0:3], 0 offset:632
	buffer_store_dword v2, off, s[0:3], 0 offset:628
	buffer_store_dword v1, off, s[0:3], 0 offset:624
	v_add_co_u32 v85, vcc_lo, s6, v85
	v_add_co_ci_u32_e64 v86, null, s7, v86, vcc_lo
	v_lshlrev_b64 v[87:88], 4, v[89:90]
	v_ashrrev_i32_e32 v92, 31, v91
	v_add_nc_u32_e32 v93, s13, v91
	flat_load_dwordx4 v[1:4], v[85:86]
	s_waitcnt vmcnt(0) lgkmcnt(0)
	buffer_store_dword v4, off, s[0:3], 0 offset:652
	buffer_store_dword v3, off, s[0:3], 0 offset:648
	buffer_store_dword v2, off, s[0:3], 0 offset:644
	buffer_store_dword v1, off, s[0:3], 0 offset:640
	v_add_co_u32 v87, vcc_lo, s6, v87
	v_add_co_ci_u32_e64 v88, null, s7, v88, vcc_lo
	v_lshlrev_b64 v[89:90], 4, v[91:92]
	v_ashrrev_i32_e32 v94, 31, v93
	flat_load_dwordx4 v[1:4], v[87:88]
	s_waitcnt vmcnt(0) lgkmcnt(0)
	buffer_store_dword v4, off, s[0:3], 0 offset:668
	buffer_store_dword v3, off, s[0:3], 0 offset:664
	;; [unrolled: 1-line block ×4, first 2 shown]
	v_add_co_u32 v89, vcc_lo, s6, v89
	v_add_co_ci_u32_e64 v90, null, s7, v90, vcc_lo
	v_lshlrev_b64 v[91:92], 4, v[93:94]
	v_add_nc_u32_e32 v93, s13, v93
	s_movk_i32 s13, 0xc0
	flat_load_dwordx4 v[1:4], v[89:90]
	s_waitcnt vmcnt(0) lgkmcnt(0)
	buffer_store_dword v4, off, s[0:3], 0 offset:684
	buffer_store_dword v3, off, s[0:3], 0 offset:680
	;; [unrolled: 1-line block ×4, first 2 shown]
	v_add_co_u32 v91, vcc_lo, s6, v91
	v_add_co_ci_u32_e64 v92, null, s7, v92, vcc_lo
	v_ashrrev_i32_e32 v94, 31, v93
	flat_load_dwordx4 v[1:4], v[91:92]
	s_waitcnt vmcnt(0) lgkmcnt(0)
	buffer_store_dword v4, off, s[0:3], 0 offset:700
	buffer_store_dword v3, off, s[0:3], 0 offset:696
	;; [unrolled: 1-line block ×4, first 2 shown]
	v_lshlrev_b64 v[93:94], 4, v[93:94]
	v_add_co_u32 v93, vcc_lo, s6, v93
	v_add_co_ci_u32_e64 v94, null, s7, v94, vcc_lo
	s_movk_i32 s6, 0x70
	s_movk_i32 s7, 0x80
	flat_load_dwordx4 v[1:4], v[93:94]
	s_waitcnt vmcnt(0) lgkmcnt(0)
	buffer_store_dword v4, off, s[0:3], 0 offset:716
	buffer_store_dword v3, off, s[0:3], 0 offset:712
	;; [unrolled: 1-line block ×4, first 2 shown]
	s_cbranch_scc1 .LBB108_7
; %bb.2:
	v_lshl_add_u32 v102, v0, 4, 0
                                        ; implicit-def: $vgpr97_vgpr98
                                        ; implicit-def: $vgpr3_vgpr4
	s_clause 0x3
	buffer_load_dword v95, v102, s[0:3], 0 offen
	buffer_load_dword v96, v102, s[0:3], 0 offen offset:4
	buffer_load_dword v99, v102, s[0:3], 0 offen offset:8
	;; [unrolled: 1-line block ×3, first 2 shown]
	s_waitcnt vmcnt(0)
	v_cmp_ngt_f64_e64 s9, |v[95:96]|, |v[99:100]|
	s_and_saveexec_b32 s27, s9
	s_xor_b32 s9, exec_lo, s27
	s_cbranch_execz .LBB108_4
; %bb.3:
	v_div_scale_f64 v[1:2], null, v[99:100], v[99:100], v[95:96]
	v_div_scale_f64 v[103:104], vcc_lo, v[95:96], v[99:100], v[95:96]
	v_rcp_f64_e32 v[3:4], v[1:2]
	v_fma_f64 v[97:98], -v[1:2], v[3:4], 1.0
	v_fma_f64 v[3:4], v[3:4], v[97:98], v[3:4]
	v_fma_f64 v[97:98], -v[1:2], v[3:4], 1.0
	v_fma_f64 v[3:4], v[3:4], v[97:98], v[3:4]
	v_mul_f64 v[97:98], v[103:104], v[3:4]
	v_fma_f64 v[1:2], -v[1:2], v[97:98], v[103:104]
	v_div_fmas_f64 v[1:2], v[1:2], v[3:4], v[97:98]
	v_div_fixup_f64 v[1:2], v[1:2], v[99:100], v[95:96]
	v_fma_f64 v[3:4], v[95:96], v[1:2], v[99:100]
	v_div_scale_f64 v[95:96], null, v[3:4], v[3:4], 1.0
	v_div_scale_f64 v[103:104], vcc_lo, 1.0, v[3:4], 1.0
	v_rcp_f64_e32 v[97:98], v[95:96]
	v_fma_f64 v[99:100], -v[95:96], v[97:98], 1.0
	v_fma_f64 v[97:98], v[97:98], v[99:100], v[97:98]
	v_fma_f64 v[99:100], -v[95:96], v[97:98], 1.0
	v_fma_f64 v[97:98], v[97:98], v[99:100], v[97:98]
	v_mul_f64 v[99:100], v[103:104], v[97:98]
	v_fma_f64 v[95:96], -v[95:96], v[99:100], v[103:104]
	v_div_fmas_f64 v[95:96], v[95:96], v[97:98], v[99:100]
                                        ; implicit-def: $vgpr99_vgpr100
	v_div_fixup_f64 v[3:4], v[95:96], v[3:4], 1.0
                                        ; implicit-def: $vgpr95_vgpr96
	v_mul_f64 v[97:98], v[1:2], v[3:4]
	v_xor_b32_e32 v4, 0x80000000, v4
	v_xor_b32_e32 v2, 0x80000000, v98
	v_mov_b32_e32 v1, v97
.LBB108_4:
	s_andn2_saveexec_b32 s9, s9
	s_cbranch_execz .LBB108_6
; %bb.5:
	v_div_scale_f64 v[1:2], null, v[95:96], v[95:96], v[99:100]
	v_div_scale_f64 v[103:104], vcc_lo, v[99:100], v[95:96], v[99:100]
	v_rcp_f64_e32 v[3:4], v[1:2]
	v_fma_f64 v[97:98], -v[1:2], v[3:4], 1.0
	v_fma_f64 v[3:4], v[3:4], v[97:98], v[3:4]
	v_fma_f64 v[97:98], -v[1:2], v[3:4], 1.0
	v_fma_f64 v[3:4], v[3:4], v[97:98], v[3:4]
	v_mul_f64 v[97:98], v[103:104], v[3:4]
	v_fma_f64 v[1:2], -v[1:2], v[97:98], v[103:104]
	v_div_fmas_f64 v[1:2], v[1:2], v[3:4], v[97:98]
	v_div_fixup_f64 v[1:2], v[1:2], v[95:96], v[99:100]
	v_fma_f64 v[3:4], v[99:100], v[1:2], v[95:96]
	v_div_scale_f64 v[95:96], null, v[3:4], v[3:4], 1.0
	v_rcp_f64_e32 v[97:98], v[95:96]
	v_fma_f64 v[99:100], -v[95:96], v[97:98], 1.0
	v_fma_f64 v[97:98], v[97:98], v[99:100], v[97:98]
	v_fma_f64 v[99:100], -v[95:96], v[97:98], 1.0
	v_fma_f64 v[97:98], v[97:98], v[99:100], v[97:98]
	v_div_scale_f64 v[99:100], vcc_lo, 1.0, v[3:4], 1.0
	v_mul_f64 v[103:104], v[99:100], v[97:98]
	v_fma_f64 v[95:96], -v[95:96], v[103:104], v[99:100]
	v_div_fmas_f64 v[95:96], v[95:96], v[97:98], v[103:104]
	v_div_fixup_f64 v[97:98], v[95:96], v[3:4], 1.0
	v_mul_f64 v[3:4], v[1:2], -v[97:98]
	v_xor_b32_e32 v2, 0x80000000, v98
	v_mov_b32_e32 v1, v97
.LBB108_6:
	s_or_b32 exec_lo, exec_lo, s9
	buffer_store_dword v4, v102, s[0:3], 0 offen offset:12
	v_xor_b32_e32 v4, 0x80000000, v4
	buffer_store_dword v98, v102, s[0:3], 0 offen offset:4
	buffer_store_dword v97, v102, s[0:3], 0 offen
	buffer_store_dword v3, v102, s[0:3], 0 offen offset:8
	s_branch .LBB108_8
.LBB108_7:
	v_mov_b32_e32 v1, 0
	v_mov_b32_e32 v3, 0
	;; [unrolled: 1-line block ×4, first 2 shown]
.LBB108_8:
	v_add_nc_u32_e32 v96, 0x2d0, v101
	v_mov_b32_e32 v95, v101
	s_mov_b32 s51, 16
	s_mov_b32 s50, 32
	;; [unrolled: 1-line block ×43, first 2 shown]
	s_cmpk_eq_i32 s8, 0x79
	ds_write_b128 v101, v[1:4]
	s_cbranch_scc1 .LBB108_356
; %bb.9:
	v_mov_b32_e32 v4, s7
	v_cmp_eq_u32_e64 s4, 44, v0
	s_clause 0x3
	buffer_load_dword v1, v4, s[0:3], 0 offen
	buffer_load_dword v2, v4, s[0:3], 0 offen offset:4
	buffer_load_dword v3, v4, s[0:3], 0 offen offset:8
	;; [unrolled: 1-line block ×3, first 2 shown]
	s_waitcnt vmcnt(0)
	ds_write_b128 v96, v[1:4]
	s_waitcnt lgkmcnt(0)
	s_waitcnt_vscnt null, 0x0
	s_barrier
	buffer_gl0_inv
	s_and_saveexec_b32 s5, s4
	s_cbranch_execz .LBB108_13
; %bb.10:
	ds_read_b128 v[1:4], v96
	s_andn2_b32 vcc_lo, exec_lo, s52
	s_cbranch_vccnz .LBB108_12
; %bb.11:
	s_clause 0x3
	buffer_load_dword v97, v95, s[0:3], 0 offen offset:8
	buffer_load_dword v98, v95, s[0:3], 0 offen offset:12
	buffer_load_dword v99, v95, s[0:3], 0 offen
	buffer_load_dword v100, v95, s[0:3], 0 offen offset:4
	s_waitcnt vmcnt(2) lgkmcnt(0)
	v_mul_f64 v[102:103], v[3:4], v[97:98]
	v_mul_f64 v[97:98], v[1:2], v[97:98]
	s_waitcnt vmcnt(0)
	v_fma_f64 v[1:2], v[1:2], v[99:100], -v[102:103]
	v_fma_f64 v[3:4], v[3:4], v[99:100], v[97:98]
.LBB108_12:
	v_mov_b32_e32 v97, 0
	ds_read_b128 v[97:100], v97 offset:688
	s_waitcnt lgkmcnt(0)
	v_mul_f64 v[102:103], v[3:4], v[99:100]
	v_mul_f64 v[99:100], v[1:2], v[99:100]
	v_fma_f64 v[1:2], v[1:2], v[97:98], -v[102:103]
	v_fma_f64 v[3:4], v[3:4], v[97:98], v[99:100]
	buffer_store_dword v2, off, s[0:3], 0 offset:692
	buffer_store_dword v1, off, s[0:3], 0 offset:688
	buffer_store_dword v4, off, s[0:3], 0 offset:700
	buffer_store_dword v3, off, s[0:3], 0 offset:696
.LBB108_13:
	s_or_b32 exec_lo, exec_lo, s5
	v_mov_b32_e32 v4, s9
	v_cmp_lt_u32_e64 s5, 42, v0
	s_clause 0x3
	buffer_load_dword v1, v4, s[0:3], 0 offen
	buffer_load_dword v2, v4, s[0:3], 0 offen offset:4
	buffer_load_dword v3, v4, s[0:3], 0 offen offset:8
	;; [unrolled: 1-line block ×3, first 2 shown]
	s_waitcnt vmcnt(0)
	ds_write_b128 v96, v[1:4]
	s_waitcnt lgkmcnt(0)
	s_waitcnt_vscnt null, 0x0
	s_barrier
	buffer_gl0_inv
	s_and_saveexec_b32 s8, s5
	s_cbranch_execz .LBB108_19
; %bb.14:
	ds_read_b128 v[1:4], v96
	s_andn2_b32 vcc_lo, exec_lo, s52
	s_cbranch_vccnz .LBB108_16
; %bb.15:
	s_clause 0x3
	buffer_load_dword v97, v95, s[0:3], 0 offen offset:8
	buffer_load_dword v98, v95, s[0:3], 0 offen offset:12
	buffer_load_dword v99, v95, s[0:3], 0 offen
	buffer_load_dword v100, v95, s[0:3], 0 offen offset:4
	s_waitcnt vmcnt(2) lgkmcnt(0)
	v_mul_f64 v[102:103], v[3:4], v[97:98]
	v_mul_f64 v[97:98], v[1:2], v[97:98]
	s_waitcnt vmcnt(0)
	v_fma_f64 v[1:2], v[1:2], v[99:100], -v[102:103]
	v_fma_f64 v[3:4], v[3:4], v[99:100], v[97:98]
.LBB108_16:
	s_and_saveexec_b32 s53, s4
	s_cbranch_execz .LBB108_18
; %bb.17:
	s_clause 0x3
	buffer_load_dword v102, off, s[0:3], 0 offset:696
	buffer_load_dword v103, off, s[0:3], 0 offset:700
	;; [unrolled: 1-line block ×4, first 2 shown]
	v_mov_b32_e32 v97, 0
	ds_read_b128 v[97:100], v97 offset:1408
	s_waitcnt vmcnt(2) lgkmcnt(0)
	v_mul_f64 v[106:107], v[97:98], v[102:103]
	v_mul_f64 v[102:103], v[99:100], v[102:103]
	s_waitcnt vmcnt(0)
	v_fma_f64 v[99:100], v[99:100], v[104:105], v[106:107]
	v_fma_f64 v[97:98], v[97:98], v[104:105], -v[102:103]
	v_add_f64 v[3:4], v[3:4], v[99:100]
	v_add_f64 v[1:2], v[1:2], v[97:98]
.LBB108_18:
	s_or_b32 exec_lo, exec_lo, s53
	v_mov_b32_e32 v97, 0
	ds_read_b128 v[97:100], v97 offset:672
	s_waitcnt lgkmcnt(0)
	v_mul_f64 v[102:103], v[3:4], v[99:100]
	v_mul_f64 v[99:100], v[1:2], v[99:100]
	v_fma_f64 v[1:2], v[1:2], v[97:98], -v[102:103]
	v_fma_f64 v[3:4], v[3:4], v[97:98], v[99:100]
	buffer_store_dword v2, off, s[0:3], 0 offset:676
	buffer_store_dword v1, off, s[0:3], 0 offset:672
	buffer_store_dword v4, off, s[0:3], 0 offset:684
	buffer_store_dword v3, off, s[0:3], 0 offset:680
.LBB108_19:
	s_or_b32 exec_lo, exec_lo, s8
	v_mov_b32_e32 v4, s10
	v_cmp_lt_u32_e64 s4, 41, v0
	s_clause 0x3
	buffer_load_dword v1, v4, s[0:3], 0 offen
	buffer_load_dword v2, v4, s[0:3], 0 offen offset:4
	buffer_load_dword v3, v4, s[0:3], 0 offen offset:8
	buffer_load_dword v4, v4, s[0:3], 0 offen offset:12
	s_waitcnt vmcnt(0)
	ds_write_b128 v96, v[1:4]
	s_waitcnt lgkmcnt(0)
	s_waitcnt_vscnt null, 0x0
	s_barrier
	buffer_gl0_inv
	s_and_saveexec_b32 s8, s4
	s_cbranch_execz .LBB108_27
; %bb.20:
	ds_read_b128 v[1:4], v96
	s_andn2_b32 vcc_lo, exec_lo, s52
	s_cbranch_vccnz .LBB108_22
; %bb.21:
	s_clause 0x3
	buffer_load_dword v97, v95, s[0:3], 0 offen offset:8
	buffer_load_dword v98, v95, s[0:3], 0 offen offset:12
	buffer_load_dword v99, v95, s[0:3], 0 offen
	buffer_load_dword v100, v95, s[0:3], 0 offen offset:4
	s_waitcnt vmcnt(2) lgkmcnt(0)
	v_mul_f64 v[102:103], v[3:4], v[97:98]
	v_mul_f64 v[97:98], v[1:2], v[97:98]
	s_waitcnt vmcnt(0)
	v_fma_f64 v[1:2], v[1:2], v[99:100], -v[102:103]
	v_fma_f64 v[3:4], v[3:4], v[99:100], v[97:98]
.LBB108_22:
	s_and_saveexec_b32 s53, s5
	s_cbranch_execz .LBB108_26
; %bb.23:
	v_subrev_nc_u32_e32 v97, 42, v0
	s_movk_i32 s54, 0x570
	s_mov_b32 s5, 0
	s_mov_b32 s55, s9
	.p2align	6
.LBB108_24:                             ; =>This Inner Loop Header: Depth=1
	v_mov_b32_e32 v100, s55
	v_add_nc_u32_e32 v97, -1, v97
	s_add_i32 s55, s55, 16
	s_clause 0x3
	buffer_load_dword v98, v100, s[0:3], 0 offen offset:8
	buffer_load_dword v99, v100, s[0:3], 0 offen offset:12
	buffer_load_dword v106, v100, s[0:3], 0 offen
	buffer_load_dword v107, v100, s[0:3], 0 offen offset:4
	v_mov_b32_e32 v100, s54
	v_cmp_eq_u32_e32 vcc_lo, 0, v97
	s_add_i32 s54, s54, 16
	ds_read_b128 v[102:105], v100
	s_or_b32 s5, vcc_lo, s5
	s_waitcnt vmcnt(2) lgkmcnt(0)
	v_mul_f64 v[108:109], v[104:105], v[98:99]
	v_mul_f64 v[98:99], v[102:103], v[98:99]
	s_waitcnt vmcnt(0)
	v_fma_f64 v[102:103], v[102:103], v[106:107], -v[108:109]
	v_fma_f64 v[98:99], v[104:105], v[106:107], v[98:99]
	v_add_f64 v[1:2], v[1:2], v[102:103]
	v_add_f64 v[3:4], v[3:4], v[98:99]
	s_andn2_b32 exec_lo, exec_lo, s5
	s_cbranch_execnz .LBB108_24
; %bb.25:
	s_or_b32 exec_lo, exec_lo, s5
.LBB108_26:
	s_or_b32 exec_lo, exec_lo, s53
	v_mov_b32_e32 v97, 0
	ds_read_b128 v[97:100], v97 offset:656
	s_waitcnt lgkmcnt(0)
	v_mul_f64 v[102:103], v[3:4], v[99:100]
	v_mul_f64 v[99:100], v[1:2], v[99:100]
	v_fma_f64 v[1:2], v[1:2], v[97:98], -v[102:103]
	v_fma_f64 v[3:4], v[3:4], v[97:98], v[99:100]
	buffer_store_dword v2, off, s[0:3], 0 offset:660
	buffer_store_dword v1, off, s[0:3], 0 offset:656
	;; [unrolled: 1-line block ×4, first 2 shown]
.LBB108_27:
	s_or_b32 exec_lo, exec_lo, s8
	v_mov_b32_e32 v4, s11
	v_cmp_lt_u32_e64 s5, 40, v0
	s_clause 0x3
	buffer_load_dword v1, v4, s[0:3], 0 offen
	buffer_load_dword v2, v4, s[0:3], 0 offen offset:4
	buffer_load_dword v3, v4, s[0:3], 0 offen offset:8
	;; [unrolled: 1-line block ×3, first 2 shown]
	s_waitcnt vmcnt(0)
	ds_write_b128 v96, v[1:4]
	s_waitcnt lgkmcnt(0)
	s_waitcnt_vscnt null, 0x0
	s_barrier
	buffer_gl0_inv
	s_and_saveexec_b32 s8, s5
	s_cbranch_execz .LBB108_35
; %bb.28:
	ds_read_b128 v[1:4], v96
	s_andn2_b32 vcc_lo, exec_lo, s52
	s_cbranch_vccnz .LBB108_30
; %bb.29:
	s_clause 0x3
	buffer_load_dword v97, v95, s[0:3], 0 offen offset:8
	buffer_load_dword v98, v95, s[0:3], 0 offen offset:12
	buffer_load_dword v99, v95, s[0:3], 0 offen
	buffer_load_dword v100, v95, s[0:3], 0 offen offset:4
	s_waitcnt vmcnt(2) lgkmcnt(0)
	v_mul_f64 v[102:103], v[3:4], v[97:98]
	v_mul_f64 v[97:98], v[1:2], v[97:98]
	s_waitcnt vmcnt(0)
	v_fma_f64 v[1:2], v[1:2], v[99:100], -v[102:103]
	v_fma_f64 v[3:4], v[3:4], v[99:100], v[97:98]
.LBB108_30:
	s_and_saveexec_b32 s53, s4
	s_cbranch_execz .LBB108_34
; %bb.31:
	v_subrev_nc_u32_e32 v97, 41, v0
	s_movk_i32 s54, 0x560
	s_mov_b32 s4, 0
	s_mov_b32 s55, s10
	.p2align	6
.LBB108_32:                             ; =>This Inner Loop Header: Depth=1
	v_mov_b32_e32 v100, s55
	v_add_nc_u32_e32 v97, -1, v97
	s_add_i32 s55, s55, 16
	s_clause 0x3
	buffer_load_dword v98, v100, s[0:3], 0 offen offset:8
	buffer_load_dword v99, v100, s[0:3], 0 offen offset:12
	buffer_load_dword v106, v100, s[0:3], 0 offen
	buffer_load_dword v107, v100, s[0:3], 0 offen offset:4
	v_mov_b32_e32 v100, s54
	v_cmp_eq_u32_e32 vcc_lo, 0, v97
	s_add_i32 s54, s54, 16
	ds_read_b128 v[102:105], v100
	s_or_b32 s4, vcc_lo, s4
	s_waitcnt vmcnt(2) lgkmcnt(0)
	v_mul_f64 v[108:109], v[104:105], v[98:99]
	v_mul_f64 v[98:99], v[102:103], v[98:99]
	s_waitcnt vmcnt(0)
	v_fma_f64 v[102:103], v[102:103], v[106:107], -v[108:109]
	v_fma_f64 v[98:99], v[104:105], v[106:107], v[98:99]
	v_add_f64 v[1:2], v[1:2], v[102:103]
	v_add_f64 v[3:4], v[3:4], v[98:99]
	s_andn2_b32 exec_lo, exec_lo, s4
	s_cbranch_execnz .LBB108_32
; %bb.33:
	s_or_b32 exec_lo, exec_lo, s4
.LBB108_34:
	s_or_b32 exec_lo, exec_lo, s53
	v_mov_b32_e32 v97, 0
	ds_read_b128 v[97:100], v97 offset:640
	s_waitcnt lgkmcnt(0)
	v_mul_f64 v[102:103], v[3:4], v[99:100]
	v_mul_f64 v[99:100], v[1:2], v[99:100]
	v_fma_f64 v[1:2], v[1:2], v[97:98], -v[102:103]
	v_fma_f64 v[3:4], v[3:4], v[97:98], v[99:100]
	buffer_store_dword v2, off, s[0:3], 0 offset:644
	buffer_store_dword v1, off, s[0:3], 0 offset:640
	buffer_store_dword v4, off, s[0:3], 0 offset:652
	buffer_store_dword v3, off, s[0:3], 0 offset:648
.LBB108_35:
	s_or_b32 exec_lo, exec_lo, s8
	v_mov_b32_e32 v4, s12
	v_cmp_lt_u32_e64 s4, 39, v0
	s_clause 0x3
	buffer_load_dword v1, v4, s[0:3], 0 offen
	buffer_load_dword v2, v4, s[0:3], 0 offen offset:4
	buffer_load_dword v3, v4, s[0:3], 0 offen offset:8
	;; [unrolled: 1-line block ×3, first 2 shown]
	s_waitcnt vmcnt(0)
	ds_write_b128 v96, v[1:4]
	s_waitcnt lgkmcnt(0)
	s_waitcnt_vscnt null, 0x0
	s_barrier
	buffer_gl0_inv
	s_and_saveexec_b32 s8, s4
	s_cbranch_execz .LBB108_43
; %bb.36:
	ds_read_b128 v[1:4], v96
	s_andn2_b32 vcc_lo, exec_lo, s52
	s_cbranch_vccnz .LBB108_38
; %bb.37:
	s_clause 0x3
	buffer_load_dword v97, v95, s[0:3], 0 offen offset:8
	buffer_load_dword v98, v95, s[0:3], 0 offen offset:12
	buffer_load_dword v99, v95, s[0:3], 0 offen
	buffer_load_dword v100, v95, s[0:3], 0 offen offset:4
	s_waitcnt vmcnt(2) lgkmcnt(0)
	v_mul_f64 v[102:103], v[3:4], v[97:98]
	v_mul_f64 v[97:98], v[1:2], v[97:98]
	s_waitcnt vmcnt(0)
	v_fma_f64 v[1:2], v[1:2], v[99:100], -v[102:103]
	v_fma_f64 v[3:4], v[3:4], v[99:100], v[97:98]
.LBB108_38:
	s_and_saveexec_b32 s53, s5
	s_cbranch_execz .LBB108_42
; %bb.39:
	v_subrev_nc_u32_e32 v97, 40, v0
	s_movk_i32 s54, 0x550
	s_mov_b32 s5, 0
	s_mov_b32 s55, s11
	.p2align	6
.LBB108_40:                             ; =>This Inner Loop Header: Depth=1
	v_mov_b32_e32 v100, s55
	v_add_nc_u32_e32 v97, -1, v97
	s_add_i32 s55, s55, 16
	s_clause 0x3
	buffer_load_dword v98, v100, s[0:3], 0 offen offset:8
	buffer_load_dword v99, v100, s[0:3], 0 offen offset:12
	buffer_load_dword v106, v100, s[0:3], 0 offen
	buffer_load_dword v107, v100, s[0:3], 0 offen offset:4
	v_mov_b32_e32 v100, s54
	v_cmp_eq_u32_e32 vcc_lo, 0, v97
	s_add_i32 s54, s54, 16
	ds_read_b128 v[102:105], v100
	s_or_b32 s5, vcc_lo, s5
	s_waitcnt vmcnt(2) lgkmcnt(0)
	v_mul_f64 v[108:109], v[104:105], v[98:99]
	v_mul_f64 v[98:99], v[102:103], v[98:99]
	s_waitcnt vmcnt(0)
	v_fma_f64 v[102:103], v[102:103], v[106:107], -v[108:109]
	v_fma_f64 v[98:99], v[104:105], v[106:107], v[98:99]
	v_add_f64 v[1:2], v[1:2], v[102:103]
	v_add_f64 v[3:4], v[3:4], v[98:99]
	s_andn2_b32 exec_lo, exec_lo, s5
	s_cbranch_execnz .LBB108_40
; %bb.41:
	s_or_b32 exec_lo, exec_lo, s5
.LBB108_42:
	s_or_b32 exec_lo, exec_lo, s53
	v_mov_b32_e32 v97, 0
	ds_read_b128 v[97:100], v97 offset:624
	s_waitcnt lgkmcnt(0)
	v_mul_f64 v[102:103], v[3:4], v[99:100]
	v_mul_f64 v[99:100], v[1:2], v[99:100]
	v_fma_f64 v[1:2], v[1:2], v[97:98], -v[102:103]
	v_fma_f64 v[3:4], v[3:4], v[97:98], v[99:100]
	buffer_store_dword v2, off, s[0:3], 0 offset:628
	buffer_store_dword v1, off, s[0:3], 0 offset:624
	;; [unrolled: 1-line block ×4, first 2 shown]
.LBB108_43:
	s_or_b32 exec_lo, exec_lo, s8
	v_mov_b32_e32 v4, s13
	v_cmp_lt_u32_e64 s5, 38, v0
	s_clause 0x3
	buffer_load_dword v1, v4, s[0:3], 0 offen
	buffer_load_dword v2, v4, s[0:3], 0 offen offset:4
	buffer_load_dword v3, v4, s[0:3], 0 offen offset:8
	;; [unrolled: 1-line block ×3, first 2 shown]
	s_waitcnt vmcnt(0)
	ds_write_b128 v96, v[1:4]
	s_waitcnt lgkmcnt(0)
	s_waitcnt_vscnt null, 0x0
	s_barrier
	buffer_gl0_inv
	s_and_saveexec_b32 s8, s5
	s_cbranch_execz .LBB108_51
; %bb.44:
	ds_read_b128 v[1:4], v96
	s_andn2_b32 vcc_lo, exec_lo, s52
	s_cbranch_vccnz .LBB108_46
; %bb.45:
	s_clause 0x3
	buffer_load_dword v97, v95, s[0:3], 0 offen offset:8
	buffer_load_dword v98, v95, s[0:3], 0 offen offset:12
	buffer_load_dword v99, v95, s[0:3], 0 offen
	buffer_load_dword v100, v95, s[0:3], 0 offen offset:4
	s_waitcnt vmcnt(2) lgkmcnt(0)
	v_mul_f64 v[102:103], v[3:4], v[97:98]
	v_mul_f64 v[97:98], v[1:2], v[97:98]
	s_waitcnt vmcnt(0)
	v_fma_f64 v[1:2], v[1:2], v[99:100], -v[102:103]
	v_fma_f64 v[3:4], v[3:4], v[99:100], v[97:98]
.LBB108_46:
	s_and_saveexec_b32 s53, s4
	s_cbranch_execz .LBB108_50
; %bb.47:
	v_subrev_nc_u32_e32 v97, 39, v0
	s_movk_i32 s54, 0x540
	s_mov_b32 s4, 0
	s_mov_b32 s55, s12
	.p2align	6
.LBB108_48:                             ; =>This Inner Loop Header: Depth=1
	v_mov_b32_e32 v100, s55
	v_add_nc_u32_e32 v97, -1, v97
	s_add_i32 s55, s55, 16
	s_clause 0x3
	buffer_load_dword v98, v100, s[0:3], 0 offen offset:8
	buffer_load_dword v99, v100, s[0:3], 0 offen offset:12
	buffer_load_dword v106, v100, s[0:3], 0 offen
	buffer_load_dword v107, v100, s[0:3], 0 offen offset:4
	v_mov_b32_e32 v100, s54
	v_cmp_eq_u32_e32 vcc_lo, 0, v97
	s_add_i32 s54, s54, 16
	ds_read_b128 v[102:105], v100
	s_or_b32 s4, vcc_lo, s4
	s_waitcnt vmcnt(2) lgkmcnt(0)
	v_mul_f64 v[108:109], v[104:105], v[98:99]
	v_mul_f64 v[98:99], v[102:103], v[98:99]
	s_waitcnt vmcnt(0)
	v_fma_f64 v[102:103], v[102:103], v[106:107], -v[108:109]
	v_fma_f64 v[98:99], v[104:105], v[106:107], v[98:99]
	v_add_f64 v[1:2], v[1:2], v[102:103]
	v_add_f64 v[3:4], v[3:4], v[98:99]
	s_andn2_b32 exec_lo, exec_lo, s4
	s_cbranch_execnz .LBB108_48
; %bb.49:
	s_or_b32 exec_lo, exec_lo, s4
.LBB108_50:
	s_or_b32 exec_lo, exec_lo, s53
	v_mov_b32_e32 v97, 0
	ds_read_b128 v[97:100], v97 offset:608
	s_waitcnt lgkmcnt(0)
	v_mul_f64 v[102:103], v[3:4], v[99:100]
	v_mul_f64 v[99:100], v[1:2], v[99:100]
	v_fma_f64 v[1:2], v[1:2], v[97:98], -v[102:103]
	v_fma_f64 v[3:4], v[3:4], v[97:98], v[99:100]
	buffer_store_dword v2, off, s[0:3], 0 offset:612
	buffer_store_dword v1, off, s[0:3], 0 offset:608
	;; [unrolled: 1-line block ×4, first 2 shown]
.LBB108_51:
	s_or_b32 exec_lo, exec_lo, s8
	v_mov_b32_e32 v4, s14
	v_cmp_lt_u32_e64 s4, 37, v0
	s_clause 0x3
	buffer_load_dword v1, v4, s[0:3], 0 offen
	buffer_load_dword v2, v4, s[0:3], 0 offen offset:4
	buffer_load_dword v3, v4, s[0:3], 0 offen offset:8
	;; [unrolled: 1-line block ×3, first 2 shown]
	s_waitcnt vmcnt(0)
	ds_write_b128 v96, v[1:4]
	s_waitcnt lgkmcnt(0)
	s_waitcnt_vscnt null, 0x0
	s_barrier
	buffer_gl0_inv
	s_and_saveexec_b32 s8, s4
	s_cbranch_execz .LBB108_59
; %bb.52:
	ds_read_b128 v[1:4], v96
	s_andn2_b32 vcc_lo, exec_lo, s52
	s_cbranch_vccnz .LBB108_54
; %bb.53:
	s_clause 0x3
	buffer_load_dword v97, v95, s[0:3], 0 offen offset:8
	buffer_load_dword v98, v95, s[0:3], 0 offen offset:12
	buffer_load_dword v99, v95, s[0:3], 0 offen
	buffer_load_dword v100, v95, s[0:3], 0 offen offset:4
	s_waitcnt vmcnt(2) lgkmcnt(0)
	v_mul_f64 v[102:103], v[3:4], v[97:98]
	v_mul_f64 v[97:98], v[1:2], v[97:98]
	s_waitcnt vmcnt(0)
	v_fma_f64 v[1:2], v[1:2], v[99:100], -v[102:103]
	v_fma_f64 v[3:4], v[3:4], v[99:100], v[97:98]
.LBB108_54:
	s_and_saveexec_b32 s53, s5
	s_cbranch_execz .LBB108_58
; %bb.55:
	v_subrev_nc_u32_e32 v97, 38, v0
	s_movk_i32 s54, 0x530
	s_mov_b32 s5, 0
	s_mov_b32 s55, s13
	.p2align	6
.LBB108_56:                             ; =>This Inner Loop Header: Depth=1
	v_mov_b32_e32 v100, s55
	v_add_nc_u32_e32 v97, -1, v97
	s_add_i32 s55, s55, 16
	s_clause 0x3
	buffer_load_dword v98, v100, s[0:3], 0 offen offset:8
	buffer_load_dword v99, v100, s[0:3], 0 offen offset:12
	buffer_load_dword v106, v100, s[0:3], 0 offen
	buffer_load_dword v107, v100, s[0:3], 0 offen offset:4
	v_mov_b32_e32 v100, s54
	v_cmp_eq_u32_e32 vcc_lo, 0, v97
	s_add_i32 s54, s54, 16
	ds_read_b128 v[102:105], v100
	s_or_b32 s5, vcc_lo, s5
	s_waitcnt vmcnt(2) lgkmcnt(0)
	v_mul_f64 v[108:109], v[104:105], v[98:99]
	v_mul_f64 v[98:99], v[102:103], v[98:99]
	s_waitcnt vmcnt(0)
	v_fma_f64 v[102:103], v[102:103], v[106:107], -v[108:109]
	v_fma_f64 v[98:99], v[104:105], v[106:107], v[98:99]
	v_add_f64 v[1:2], v[1:2], v[102:103]
	v_add_f64 v[3:4], v[3:4], v[98:99]
	s_andn2_b32 exec_lo, exec_lo, s5
	s_cbranch_execnz .LBB108_56
; %bb.57:
	s_or_b32 exec_lo, exec_lo, s5
.LBB108_58:
	s_or_b32 exec_lo, exec_lo, s53
	v_mov_b32_e32 v97, 0
	ds_read_b128 v[97:100], v97 offset:592
	s_waitcnt lgkmcnt(0)
	v_mul_f64 v[102:103], v[3:4], v[99:100]
	v_mul_f64 v[99:100], v[1:2], v[99:100]
	v_fma_f64 v[1:2], v[1:2], v[97:98], -v[102:103]
	v_fma_f64 v[3:4], v[3:4], v[97:98], v[99:100]
	buffer_store_dword v2, off, s[0:3], 0 offset:596
	buffer_store_dword v1, off, s[0:3], 0 offset:592
	;; [unrolled: 1-line block ×4, first 2 shown]
.LBB108_59:
	s_or_b32 exec_lo, exec_lo, s8
	v_mov_b32_e32 v4, s15
	v_cmp_lt_u32_e64 s5, 36, v0
	s_clause 0x3
	buffer_load_dword v1, v4, s[0:3], 0 offen
	buffer_load_dword v2, v4, s[0:3], 0 offen offset:4
	buffer_load_dword v3, v4, s[0:3], 0 offen offset:8
	buffer_load_dword v4, v4, s[0:3], 0 offen offset:12
	s_waitcnt vmcnt(0)
	ds_write_b128 v96, v[1:4]
	s_waitcnt lgkmcnt(0)
	s_waitcnt_vscnt null, 0x0
	s_barrier
	buffer_gl0_inv
	s_and_saveexec_b32 s8, s5
	s_cbranch_execz .LBB108_67
; %bb.60:
	ds_read_b128 v[1:4], v96
	s_andn2_b32 vcc_lo, exec_lo, s52
	s_cbranch_vccnz .LBB108_62
; %bb.61:
	s_clause 0x3
	buffer_load_dword v97, v95, s[0:3], 0 offen offset:8
	buffer_load_dword v98, v95, s[0:3], 0 offen offset:12
	buffer_load_dword v99, v95, s[0:3], 0 offen
	buffer_load_dword v100, v95, s[0:3], 0 offen offset:4
	s_waitcnt vmcnt(2) lgkmcnt(0)
	v_mul_f64 v[102:103], v[3:4], v[97:98]
	v_mul_f64 v[97:98], v[1:2], v[97:98]
	s_waitcnt vmcnt(0)
	v_fma_f64 v[1:2], v[1:2], v[99:100], -v[102:103]
	v_fma_f64 v[3:4], v[3:4], v[99:100], v[97:98]
.LBB108_62:
	s_and_saveexec_b32 s53, s4
	s_cbranch_execz .LBB108_66
; %bb.63:
	v_subrev_nc_u32_e32 v97, 37, v0
	s_movk_i32 s54, 0x520
	s_mov_b32 s4, 0
	s_mov_b32 s55, s14
	.p2align	6
.LBB108_64:                             ; =>This Inner Loop Header: Depth=1
	v_mov_b32_e32 v100, s55
	v_add_nc_u32_e32 v97, -1, v97
	s_add_i32 s55, s55, 16
	s_clause 0x3
	buffer_load_dword v98, v100, s[0:3], 0 offen offset:8
	buffer_load_dword v99, v100, s[0:3], 0 offen offset:12
	buffer_load_dword v106, v100, s[0:3], 0 offen
	buffer_load_dword v107, v100, s[0:3], 0 offen offset:4
	v_mov_b32_e32 v100, s54
	v_cmp_eq_u32_e32 vcc_lo, 0, v97
	s_add_i32 s54, s54, 16
	ds_read_b128 v[102:105], v100
	s_or_b32 s4, vcc_lo, s4
	s_waitcnt vmcnt(2) lgkmcnt(0)
	v_mul_f64 v[108:109], v[104:105], v[98:99]
	v_mul_f64 v[98:99], v[102:103], v[98:99]
	s_waitcnt vmcnt(0)
	v_fma_f64 v[102:103], v[102:103], v[106:107], -v[108:109]
	v_fma_f64 v[98:99], v[104:105], v[106:107], v[98:99]
	v_add_f64 v[1:2], v[1:2], v[102:103]
	v_add_f64 v[3:4], v[3:4], v[98:99]
	s_andn2_b32 exec_lo, exec_lo, s4
	s_cbranch_execnz .LBB108_64
; %bb.65:
	s_or_b32 exec_lo, exec_lo, s4
.LBB108_66:
	s_or_b32 exec_lo, exec_lo, s53
	v_mov_b32_e32 v97, 0
	ds_read_b128 v[97:100], v97 offset:576
	s_waitcnt lgkmcnt(0)
	v_mul_f64 v[102:103], v[3:4], v[99:100]
	v_mul_f64 v[99:100], v[1:2], v[99:100]
	v_fma_f64 v[1:2], v[1:2], v[97:98], -v[102:103]
	v_fma_f64 v[3:4], v[3:4], v[97:98], v[99:100]
	buffer_store_dword v2, off, s[0:3], 0 offset:580
	buffer_store_dword v1, off, s[0:3], 0 offset:576
	;; [unrolled: 1-line block ×4, first 2 shown]
.LBB108_67:
	s_or_b32 exec_lo, exec_lo, s8
	v_mov_b32_e32 v4, s16
	v_cmp_lt_u32_e64 s4, 35, v0
	s_clause 0x3
	buffer_load_dword v1, v4, s[0:3], 0 offen
	buffer_load_dword v2, v4, s[0:3], 0 offen offset:4
	buffer_load_dword v3, v4, s[0:3], 0 offen offset:8
	;; [unrolled: 1-line block ×3, first 2 shown]
	s_waitcnt vmcnt(0)
	ds_write_b128 v96, v[1:4]
	s_waitcnt lgkmcnt(0)
	s_waitcnt_vscnt null, 0x0
	s_barrier
	buffer_gl0_inv
	s_and_saveexec_b32 s8, s4
	s_cbranch_execz .LBB108_75
; %bb.68:
	ds_read_b128 v[1:4], v96
	s_andn2_b32 vcc_lo, exec_lo, s52
	s_cbranch_vccnz .LBB108_70
; %bb.69:
	s_clause 0x3
	buffer_load_dword v97, v95, s[0:3], 0 offen offset:8
	buffer_load_dword v98, v95, s[0:3], 0 offen offset:12
	buffer_load_dword v99, v95, s[0:3], 0 offen
	buffer_load_dword v100, v95, s[0:3], 0 offen offset:4
	s_waitcnt vmcnt(2) lgkmcnt(0)
	v_mul_f64 v[102:103], v[3:4], v[97:98]
	v_mul_f64 v[97:98], v[1:2], v[97:98]
	s_waitcnt vmcnt(0)
	v_fma_f64 v[1:2], v[1:2], v[99:100], -v[102:103]
	v_fma_f64 v[3:4], v[3:4], v[99:100], v[97:98]
.LBB108_70:
	s_and_saveexec_b32 s53, s5
	s_cbranch_execz .LBB108_74
; %bb.71:
	v_subrev_nc_u32_e32 v97, 36, v0
	s_movk_i32 s54, 0x510
	s_mov_b32 s5, 0
	s_mov_b32 s55, s15
	.p2align	6
.LBB108_72:                             ; =>This Inner Loop Header: Depth=1
	v_mov_b32_e32 v100, s55
	v_add_nc_u32_e32 v97, -1, v97
	s_add_i32 s55, s55, 16
	s_clause 0x3
	buffer_load_dword v98, v100, s[0:3], 0 offen offset:8
	buffer_load_dword v99, v100, s[0:3], 0 offen offset:12
	buffer_load_dword v106, v100, s[0:3], 0 offen
	buffer_load_dword v107, v100, s[0:3], 0 offen offset:4
	v_mov_b32_e32 v100, s54
	v_cmp_eq_u32_e32 vcc_lo, 0, v97
	s_add_i32 s54, s54, 16
	ds_read_b128 v[102:105], v100
	s_or_b32 s5, vcc_lo, s5
	s_waitcnt vmcnt(2) lgkmcnt(0)
	v_mul_f64 v[108:109], v[104:105], v[98:99]
	v_mul_f64 v[98:99], v[102:103], v[98:99]
	s_waitcnt vmcnt(0)
	v_fma_f64 v[102:103], v[102:103], v[106:107], -v[108:109]
	v_fma_f64 v[98:99], v[104:105], v[106:107], v[98:99]
	v_add_f64 v[1:2], v[1:2], v[102:103]
	v_add_f64 v[3:4], v[3:4], v[98:99]
	s_andn2_b32 exec_lo, exec_lo, s5
	s_cbranch_execnz .LBB108_72
; %bb.73:
	s_or_b32 exec_lo, exec_lo, s5
.LBB108_74:
	s_or_b32 exec_lo, exec_lo, s53
	v_mov_b32_e32 v97, 0
	ds_read_b128 v[97:100], v97 offset:560
	s_waitcnt lgkmcnt(0)
	v_mul_f64 v[102:103], v[3:4], v[99:100]
	v_mul_f64 v[99:100], v[1:2], v[99:100]
	v_fma_f64 v[1:2], v[1:2], v[97:98], -v[102:103]
	v_fma_f64 v[3:4], v[3:4], v[97:98], v[99:100]
	buffer_store_dword v2, off, s[0:3], 0 offset:564
	buffer_store_dword v1, off, s[0:3], 0 offset:560
	;; [unrolled: 1-line block ×4, first 2 shown]
.LBB108_75:
	s_or_b32 exec_lo, exec_lo, s8
	v_mov_b32_e32 v4, s17
	v_cmp_lt_u32_e64 s5, 34, v0
	s_clause 0x3
	buffer_load_dword v1, v4, s[0:3], 0 offen
	buffer_load_dword v2, v4, s[0:3], 0 offen offset:4
	buffer_load_dword v3, v4, s[0:3], 0 offen offset:8
	;; [unrolled: 1-line block ×3, first 2 shown]
	s_waitcnt vmcnt(0)
	ds_write_b128 v96, v[1:4]
	s_waitcnt lgkmcnt(0)
	s_waitcnt_vscnt null, 0x0
	s_barrier
	buffer_gl0_inv
	s_and_saveexec_b32 s8, s5
	s_cbranch_execz .LBB108_83
; %bb.76:
	ds_read_b128 v[1:4], v96
	s_andn2_b32 vcc_lo, exec_lo, s52
	s_cbranch_vccnz .LBB108_78
; %bb.77:
	s_clause 0x3
	buffer_load_dword v97, v95, s[0:3], 0 offen offset:8
	buffer_load_dword v98, v95, s[0:3], 0 offen offset:12
	buffer_load_dword v99, v95, s[0:3], 0 offen
	buffer_load_dword v100, v95, s[0:3], 0 offen offset:4
	s_waitcnt vmcnt(2) lgkmcnt(0)
	v_mul_f64 v[102:103], v[3:4], v[97:98]
	v_mul_f64 v[97:98], v[1:2], v[97:98]
	s_waitcnt vmcnt(0)
	v_fma_f64 v[1:2], v[1:2], v[99:100], -v[102:103]
	v_fma_f64 v[3:4], v[3:4], v[99:100], v[97:98]
.LBB108_78:
	s_and_saveexec_b32 s53, s4
	s_cbranch_execz .LBB108_82
; %bb.79:
	v_subrev_nc_u32_e32 v97, 35, v0
	s_movk_i32 s54, 0x500
	s_mov_b32 s4, 0
	s_mov_b32 s55, s16
	.p2align	6
.LBB108_80:                             ; =>This Inner Loop Header: Depth=1
	v_mov_b32_e32 v100, s55
	v_add_nc_u32_e32 v97, -1, v97
	s_add_i32 s55, s55, 16
	s_clause 0x3
	buffer_load_dword v98, v100, s[0:3], 0 offen offset:8
	buffer_load_dword v99, v100, s[0:3], 0 offen offset:12
	buffer_load_dword v106, v100, s[0:3], 0 offen
	buffer_load_dword v107, v100, s[0:3], 0 offen offset:4
	v_mov_b32_e32 v100, s54
	v_cmp_eq_u32_e32 vcc_lo, 0, v97
	s_add_i32 s54, s54, 16
	ds_read_b128 v[102:105], v100
	s_or_b32 s4, vcc_lo, s4
	s_waitcnt vmcnt(2) lgkmcnt(0)
	v_mul_f64 v[108:109], v[104:105], v[98:99]
	v_mul_f64 v[98:99], v[102:103], v[98:99]
	s_waitcnt vmcnt(0)
	v_fma_f64 v[102:103], v[102:103], v[106:107], -v[108:109]
	v_fma_f64 v[98:99], v[104:105], v[106:107], v[98:99]
	v_add_f64 v[1:2], v[1:2], v[102:103]
	v_add_f64 v[3:4], v[3:4], v[98:99]
	s_andn2_b32 exec_lo, exec_lo, s4
	s_cbranch_execnz .LBB108_80
; %bb.81:
	s_or_b32 exec_lo, exec_lo, s4
.LBB108_82:
	s_or_b32 exec_lo, exec_lo, s53
	v_mov_b32_e32 v97, 0
	ds_read_b128 v[97:100], v97 offset:544
	s_waitcnt lgkmcnt(0)
	v_mul_f64 v[102:103], v[3:4], v[99:100]
	v_mul_f64 v[99:100], v[1:2], v[99:100]
	v_fma_f64 v[1:2], v[1:2], v[97:98], -v[102:103]
	v_fma_f64 v[3:4], v[3:4], v[97:98], v[99:100]
	buffer_store_dword v2, off, s[0:3], 0 offset:548
	buffer_store_dword v1, off, s[0:3], 0 offset:544
	;; [unrolled: 1-line block ×4, first 2 shown]
.LBB108_83:
	s_or_b32 exec_lo, exec_lo, s8
	v_mov_b32_e32 v4, s18
	v_cmp_lt_u32_e64 s4, 33, v0
	s_clause 0x3
	buffer_load_dword v1, v4, s[0:3], 0 offen
	buffer_load_dword v2, v4, s[0:3], 0 offen offset:4
	buffer_load_dword v3, v4, s[0:3], 0 offen offset:8
	;; [unrolled: 1-line block ×3, first 2 shown]
	s_waitcnt vmcnt(0)
	ds_write_b128 v96, v[1:4]
	s_waitcnt lgkmcnt(0)
	s_waitcnt_vscnt null, 0x0
	s_barrier
	buffer_gl0_inv
	s_and_saveexec_b32 s8, s4
	s_cbranch_execz .LBB108_91
; %bb.84:
	ds_read_b128 v[1:4], v96
	s_andn2_b32 vcc_lo, exec_lo, s52
	s_cbranch_vccnz .LBB108_86
; %bb.85:
	s_clause 0x3
	buffer_load_dword v97, v95, s[0:3], 0 offen offset:8
	buffer_load_dword v98, v95, s[0:3], 0 offen offset:12
	buffer_load_dword v99, v95, s[0:3], 0 offen
	buffer_load_dword v100, v95, s[0:3], 0 offen offset:4
	s_waitcnt vmcnt(2) lgkmcnt(0)
	v_mul_f64 v[102:103], v[3:4], v[97:98]
	v_mul_f64 v[97:98], v[1:2], v[97:98]
	s_waitcnt vmcnt(0)
	v_fma_f64 v[1:2], v[1:2], v[99:100], -v[102:103]
	v_fma_f64 v[3:4], v[3:4], v[99:100], v[97:98]
.LBB108_86:
	s_and_saveexec_b32 s53, s5
	s_cbranch_execz .LBB108_90
; %bb.87:
	v_subrev_nc_u32_e32 v97, 34, v0
	s_movk_i32 s54, 0x4f0
	s_mov_b32 s5, 0
	s_mov_b32 s55, s17
	.p2align	6
.LBB108_88:                             ; =>This Inner Loop Header: Depth=1
	v_mov_b32_e32 v100, s55
	v_add_nc_u32_e32 v97, -1, v97
	s_add_i32 s55, s55, 16
	s_clause 0x3
	buffer_load_dword v98, v100, s[0:3], 0 offen offset:8
	buffer_load_dword v99, v100, s[0:3], 0 offen offset:12
	buffer_load_dword v106, v100, s[0:3], 0 offen
	buffer_load_dword v107, v100, s[0:3], 0 offen offset:4
	v_mov_b32_e32 v100, s54
	v_cmp_eq_u32_e32 vcc_lo, 0, v97
	s_add_i32 s54, s54, 16
	ds_read_b128 v[102:105], v100
	s_or_b32 s5, vcc_lo, s5
	s_waitcnt vmcnt(2) lgkmcnt(0)
	v_mul_f64 v[108:109], v[104:105], v[98:99]
	v_mul_f64 v[98:99], v[102:103], v[98:99]
	s_waitcnt vmcnt(0)
	v_fma_f64 v[102:103], v[102:103], v[106:107], -v[108:109]
	v_fma_f64 v[98:99], v[104:105], v[106:107], v[98:99]
	v_add_f64 v[1:2], v[1:2], v[102:103]
	v_add_f64 v[3:4], v[3:4], v[98:99]
	s_andn2_b32 exec_lo, exec_lo, s5
	s_cbranch_execnz .LBB108_88
; %bb.89:
	s_or_b32 exec_lo, exec_lo, s5
.LBB108_90:
	s_or_b32 exec_lo, exec_lo, s53
	v_mov_b32_e32 v97, 0
	ds_read_b128 v[97:100], v97 offset:528
	s_waitcnt lgkmcnt(0)
	v_mul_f64 v[102:103], v[3:4], v[99:100]
	v_mul_f64 v[99:100], v[1:2], v[99:100]
	v_fma_f64 v[1:2], v[1:2], v[97:98], -v[102:103]
	v_fma_f64 v[3:4], v[3:4], v[97:98], v[99:100]
	buffer_store_dword v2, off, s[0:3], 0 offset:532
	buffer_store_dword v1, off, s[0:3], 0 offset:528
	;; [unrolled: 1-line block ×4, first 2 shown]
.LBB108_91:
	s_or_b32 exec_lo, exec_lo, s8
	v_mov_b32_e32 v4, s19
	v_cmp_lt_u32_e64 s5, 32, v0
	s_clause 0x3
	buffer_load_dword v1, v4, s[0:3], 0 offen
	buffer_load_dword v2, v4, s[0:3], 0 offen offset:4
	buffer_load_dword v3, v4, s[0:3], 0 offen offset:8
	;; [unrolled: 1-line block ×3, first 2 shown]
	s_waitcnt vmcnt(0)
	ds_write_b128 v96, v[1:4]
	s_waitcnt lgkmcnt(0)
	s_waitcnt_vscnt null, 0x0
	s_barrier
	buffer_gl0_inv
	s_and_saveexec_b32 s8, s5
	s_cbranch_execz .LBB108_99
; %bb.92:
	ds_read_b128 v[1:4], v96
	s_andn2_b32 vcc_lo, exec_lo, s52
	s_cbranch_vccnz .LBB108_94
; %bb.93:
	s_clause 0x3
	buffer_load_dword v97, v95, s[0:3], 0 offen offset:8
	buffer_load_dword v98, v95, s[0:3], 0 offen offset:12
	buffer_load_dword v99, v95, s[0:3], 0 offen
	buffer_load_dword v100, v95, s[0:3], 0 offen offset:4
	s_waitcnt vmcnt(2) lgkmcnt(0)
	v_mul_f64 v[102:103], v[3:4], v[97:98]
	v_mul_f64 v[97:98], v[1:2], v[97:98]
	s_waitcnt vmcnt(0)
	v_fma_f64 v[1:2], v[1:2], v[99:100], -v[102:103]
	v_fma_f64 v[3:4], v[3:4], v[99:100], v[97:98]
.LBB108_94:
	s_and_saveexec_b32 s53, s4
	s_cbranch_execz .LBB108_98
; %bb.95:
	v_subrev_nc_u32_e32 v97, 33, v0
	s_movk_i32 s54, 0x4e0
	s_mov_b32 s4, 0
	s_mov_b32 s55, s18
	.p2align	6
.LBB108_96:                             ; =>This Inner Loop Header: Depth=1
	v_mov_b32_e32 v100, s55
	v_add_nc_u32_e32 v97, -1, v97
	s_add_i32 s55, s55, 16
	s_clause 0x3
	buffer_load_dword v98, v100, s[0:3], 0 offen offset:8
	buffer_load_dword v99, v100, s[0:3], 0 offen offset:12
	buffer_load_dword v106, v100, s[0:3], 0 offen
	buffer_load_dword v107, v100, s[0:3], 0 offen offset:4
	v_mov_b32_e32 v100, s54
	v_cmp_eq_u32_e32 vcc_lo, 0, v97
	s_add_i32 s54, s54, 16
	ds_read_b128 v[102:105], v100
	s_or_b32 s4, vcc_lo, s4
	s_waitcnt vmcnt(2) lgkmcnt(0)
	v_mul_f64 v[108:109], v[104:105], v[98:99]
	v_mul_f64 v[98:99], v[102:103], v[98:99]
	s_waitcnt vmcnt(0)
	v_fma_f64 v[102:103], v[102:103], v[106:107], -v[108:109]
	v_fma_f64 v[98:99], v[104:105], v[106:107], v[98:99]
	v_add_f64 v[1:2], v[1:2], v[102:103]
	v_add_f64 v[3:4], v[3:4], v[98:99]
	s_andn2_b32 exec_lo, exec_lo, s4
	s_cbranch_execnz .LBB108_96
; %bb.97:
	s_or_b32 exec_lo, exec_lo, s4
.LBB108_98:
	s_or_b32 exec_lo, exec_lo, s53
	v_mov_b32_e32 v97, 0
	ds_read_b128 v[97:100], v97 offset:512
	s_waitcnt lgkmcnt(0)
	v_mul_f64 v[102:103], v[3:4], v[99:100]
	v_mul_f64 v[99:100], v[1:2], v[99:100]
	v_fma_f64 v[1:2], v[1:2], v[97:98], -v[102:103]
	v_fma_f64 v[3:4], v[3:4], v[97:98], v[99:100]
	buffer_store_dword v2, off, s[0:3], 0 offset:516
	buffer_store_dword v1, off, s[0:3], 0 offset:512
	;; [unrolled: 1-line block ×4, first 2 shown]
.LBB108_99:
	s_or_b32 exec_lo, exec_lo, s8
	v_mov_b32_e32 v4, s20
	v_cmp_lt_u32_e64 s4, 31, v0
	s_clause 0x3
	buffer_load_dword v1, v4, s[0:3], 0 offen
	buffer_load_dword v2, v4, s[0:3], 0 offen offset:4
	buffer_load_dword v3, v4, s[0:3], 0 offen offset:8
	;; [unrolled: 1-line block ×3, first 2 shown]
	s_waitcnt vmcnt(0)
	ds_write_b128 v96, v[1:4]
	s_waitcnt lgkmcnt(0)
	s_waitcnt_vscnt null, 0x0
	s_barrier
	buffer_gl0_inv
	s_and_saveexec_b32 s8, s4
	s_cbranch_execz .LBB108_107
; %bb.100:
	ds_read_b128 v[1:4], v96
	s_andn2_b32 vcc_lo, exec_lo, s52
	s_cbranch_vccnz .LBB108_102
; %bb.101:
	s_clause 0x3
	buffer_load_dword v97, v95, s[0:3], 0 offen offset:8
	buffer_load_dword v98, v95, s[0:3], 0 offen offset:12
	buffer_load_dword v99, v95, s[0:3], 0 offen
	buffer_load_dword v100, v95, s[0:3], 0 offen offset:4
	s_waitcnt vmcnt(2) lgkmcnt(0)
	v_mul_f64 v[102:103], v[3:4], v[97:98]
	v_mul_f64 v[97:98], v[1:2], v[97:98]
	s_waitcnt vmcnt(0)
	v_fma_f64 v[1:2], v[1:2], v[99:100], -v[102:103]
	v_fma_f64 v[3:4], v[3:4], v[99:100], v[97:98]
.LBB108_102:
	s_and_saveexec_b32 s53, s5
	s_cbranch_execz .LBB108_106
; %bb.103:
	v_subrev_nc_u32_e32 v97, 32, v0
	s_movk_i32 s54, 0x4d0
	s_mov_b32 s5, 0
	s_mov_b32 s55, s19
	.p2align	6
.LBB108_104:                            ; =>This Inner Loop Header: Depth=1
	v_mov_b32_e32 v100, s55
	v_add_nc_u32_e32 v97, -1, v97
	s_add_i32 s55, s55, 16
	s_clause 0x3
	buffer_load_dword v98, v100, s[0:3], 0 offen offset:8
	buffer_load_dword v99, v100, s[0:3], 0 offen offset:12
	buffer_load_dword v106, v100, s[0:3], 0 offen
	buffer_load_dword v107, v100, s[0:3], 0 offen offset:4
	v_mov_b32_e32 v100, s54
	v_cmp_eq_u32_e32 vcc_lo, 0, v97
	s_add_i32 s54, s54, 16
	ds_read_b128 v[102:105], v100
	s_or_b32 s5, vcc_lo, s5
	s_waitcnt vmcnt(2) lgkmcnt(0)
	v_mul_f64 v[108:109], v[104:105], v[98:99]
	v_mul_f64 v[98:99], v[102:103], v[98:99]
	s_waitcnt vmcnt(0)
	v_fma_f64 v[102:103], v[102:103], v[106:107], -v[108:109]
	v_fma_f64 v[98:99], v[104:105], v[106:107], v[98:99]
	v_add_f64 v[1:2], v[1:2], v[102:103]
	v_add_f64 v[3:4], v[3:4], v[98:99]
	s_andn2_b32 exec_lo, exec_lo, s5
	s_cbranch_execnz .LBB108_104
; %bb.105:
	s_or_b32 exec_lo, exec_lo, s5
.LBB108_106:
	s_or_b32 exec_lo, exec_lo, s53
	v_mov_b32_e32 v97, 0
	ds_read_b128 v[97:100], v97 offset:496
	s_waitcnt lgkmcnt(0)
	v_mul_f64 v[102:103], v[3:4], v[99:100]
	v_mul_f64 v[99:100], v[1:2], v[99:100]
	v_fma_f64 v[1:2], v[1:2], v[97:98], -v[102:103]
	v_fma_f64 v[3:4], v[3:4], v[97:98], v[99:100]
	buffer_store_dword v2, off, s[0:3], 0 offset:500
	buffer_store_dword v1, off, s[0:3], 0 offset:496
	;; [unrolled: 1-line block ×4, first 2 shown]
.LBB108_107:
	s_or_b32 exec_lo, exec_lo, s8
	v_mov_b32_e32 v4, s21
	v_cmp_lt_u32_e64 s5, 30, v0
	s_clause 0x3
	buffer_load_dword v1, v4, s[0:3], 0 offen
	buffer_load_dword v2, v4, s[0:3], 0 offen offset:4
	buffer_load_dword v3, v4, s[0:3], 0 offen offset:8
	;; [unrolled: 1-line block ×3, first 2 shown]
	s_waitcnt vmcnt(0)
	ds_write_b128 v96, v[1:4]
	s_waitcnt lgkmcnt(0)
	s_waitcnt_vscnt null, 0x0
	s_barrier
	buffer_gl0_inv
	s_and_saveexec_b32 s8, s5
	s_cbranch_execz .LBB108_115
; %bb.108:
	ds_read_b128 v[1:4], v96
	s_andn2_b32 vcc_lo, exec_lo, s52
	s_cbranch_vccnz .LBB108_110
; %bb.109:
	s_clause 0x3
	buffer_load_dword v97, v95, s[0:3], 0 offen offset:8
	buffer_load_dword v98, v95, s[0:3], 0 offen offset:12
	buffer_load_dword v99, v95, s[0:3], 0 offen
	buffer_load_dword v100, v95, s[0:3], 0 offen offset:4
	s_waitcnt vmcnt(2) lgkmcnt(0)
	v_mul_f64 v[102:103], v[3:4], v[97:98]
	v_mul_f64 v[97:98], v[1:2], v[97:98]
	s_waitcnt vmcnt(0)
	v_fma_f64 v[1:2], v[1:2], v[99:100], -v[102:103]
	v_fma_f64 v[3:4], v[3:4], v[99:100], v[97:98]
.LBB108_110:
	s_and_saveexec_b32 s53, s4
	s_cbranch_execz .LBB108_114
; %bb.111:
	v_subrev_nc_u32_e32 v97, 31, v0
	s_movk_i32 s54, 0x4c0
	s_mov_b32 s4, 0
	s_mov_b32 s55, s20
	.p2align	6
.LBB108_112:                            ; =>This Inner Loop Header: Depth=1
	v_mov_b32_e32 v100, s55
	v_add_nc_u32_e32 v97, -1, v97
	s_add_i32 s55, s55, 16
	s_clause 0x3
	buffer_load_dword v98, v100, s[0:3], 0 offen offset:8
	buffer_load_dword v99, v100, s[0:3], 0 offen offset:12
	buffer_load_dword v106, v100, s[0:3], 0 offen
	buffer_load_dword v107, v100, s[0:3], 0 offen offset:4
	v_mov_b32_e32 v100, s54
	v_cmp_eq_u32_e32 vcc_lo, 0, v97
	s_add_i32 s54, s54, 16
	ds_read_b128 v[102:105], v100
	s_or_b32 s4, vcc_lo, s4
	s_waitcnt vmcnt(2) lgkmcnt(0)
	v_mul_f64 v[108:109], v[104:105], v[98:99]
	v_mul_f64 v[98:99], v[102:103], v[98:99]
	s_waitcnt vmcnt(0)
	v_fma_f64 v[102:103], v[102:103], v[106:107], -v[108:109]
	v_fma_f64 v[98:99], v[104:105], v[106:107], v[98:99]
	v_add_f64 v[1:2], v[1:2], v[102:103]
	v_add_f64 v[3:4], v[3:4], v[98:99]
	s_andn2_b32 exec_lo, exec_lo, s4
	s_cbranch_execnz .LBB108_112
; %bb.113:
	s_or_b32 exec_lo, exec_lo, s4
.LBB108_114:
	s_or_b32 exec_lo, exec_lo, s53
	v_mov_b32_e32 v97, 0
	ds_read_b128 v[97:100], v97 offset:480
	s_waitcnt lgkmcnt(0)
	v_mul_f64 v[102:103], v[3:4], v[99:100]
	v_mul_f64 v[99:100], v[1:2], v[99:100]
	v_fma_f64 v[1:2], v[1:2], v[97:98], -v[102:103]
	v_fma_f64 v[3:4], v[3:4], v[97:98], v[99:100]
	buffer_store_dword v2, off, s[0:3], 0 offset:484
	buffer_store_dword v1, off, s[0:3], 0 offset:480
	;; [unrolled: 1-line block ×4, first 2 shown]
.LBB108_115:
	s_or_b32 exec_lo, exec_lo, s8
	v_mov_b32_e32 v4, s22
	v_cmp_lt_u32_e64 s4, 29, v0
	s_clause 0x3
	buffer_load_dword v1, v4, s[0:3], 0 offen
	buffer_load_dword v2, v4, s[0:3], 0 offen offset:4
	buffer_load_dword v3, v4, s[0:3], 0 offen offset:8
	;; [unrolled: 1-line block ×3, first 2 shown]
	s_waitcnt vmcnt(0)
	ds_write_b128 v96, v[1:4]
	s_waitcnt lgkmcnt(0)
	s_waitcnt_vscnt null, 0x0
	s_barrier
	buffer_gl0_inv
	s_and_saveexec_b32 s8, s4
	s_cbranch_execz .LBB108_123
; %bb.116:
	ds_read_b128 v[1:4], v96
	s_andn2_b32 vcc_lo, exec_lo, s52
	s_cbranch_vccnz .LBB108_118
; %bb.117:
	s_clause 0x3
	buffer_load_dword v97, v95, s[0:3], 0 offen offset:8
	buffer_load_dword v98, v95, s[0:3], 0 offen offset:12
	buffer_load_dword v99, v95, s[0:3], 0 offen
	buffer_load_dword v100, v95, s[0:3], 0 offen offset:4
	s_waitcnt vmcnt(2) lgkmcnt(0)
	v_mul_f64 v[102:103], v[3:4], v[97:98]
	v_mul_f64 v[97:98], v[1:2], v[97:98]
	s_waitcnt vmcnt(0)
	v_fma_f64 v[1:2], v[1:2], v[99:100], -v[102:103]
	v_fma_f64 v[3:4], v[3:4], v[99:100], v[97:98]
.LBB108_118:
	s_and_saveexec_b32 s53, s5
	s_cbranch_execz .LBB108_122
; %bb.119:
	v_subrev_nc_u32_e32 v97, 30, v0
	s_movk_i32 s54, 0x4b0
	s_mov_b32 s5, 0
	s_mov_b32 s55, s21
	.p2align	6
.LBB108_120:                            ; =>This Inner Loop Header: Depth=1
	v_mov_b32_e32 v100, s55
	v_add_nc_u32_e32 v97, -1, v97
	s_add_i32 s55, s55, 16
	s_clause 0x3
	buffer_load_dword v98, v100, s[0:3], 0 offen offset:8
	buffer_load_dword v99, v100, s[0:3], 0 offen offset:12
	buffer_load_dword v106, v100, s[0:3], 0 offen
	buffer_load_dword v107, v100, s[0:3], 0 offen offset:4
	v_mov_b32_e32 v100, s54
	v_cmp_eq_u32_e32 vcc_lo, 0, v97
	s_add_i32 s54, s54, 16
	ds_read_b128 v[102:105], v100
	s_or_b32 s5, vcc_lo, s5
	s_waitcnt vmcnt(2) lgkmcnt(0)
	v_mul_f64 v[108:109], v[104:105], v[98:99]
	v_mul_f64 v[98:99], v[102:103], v[98:99]
	s_waitcnt vmcnt(0)
	v_fma_f64 v[102:103], v[102:103], v[106:107], -v[108:109]
	v_fma_f64 v[98:99], v[104:105], v[106:107], v[98:99]
	v_add_f64 v[1:2], v[1:2], v[102:103]
	v_add_f64 v[3:4], v[3:4], v[98:99]
	s_andn2_b32 exec_lo, exec_lo, s5
	s_cbranch_execnz .LBB108_120
; %bb.121:
	s_or_b32 exec_lo, exec_lo, s5
.LBB108_122:
	s_or_b32 exec_lo, exec_lo, s53
	v_mov_b32_e32 v97, 0
	ds_read_b128 v[97:100], v97 offset:464
	s_waitcnt lgkmcnt(0)
	v_mul_f64 v[102:103], v[3:4], v[99:100]
	v_mul_f64 v[99:100], v[1:2], v[99:100]
	v_fma_f64 v[1:2], v[1:2], v[97:98], -v[102:103]
	v_fma_f64 v[3:4], v[3:4], v[97:98], v[99:100]
	buffer_store_dword v2, off, s[0:3], 0 offset:468
	buffer_store_dword v1, off, s[0:3], 0 offset:464
	;; [unrolled: 1-line block ×4, first 2 shown]
.LBB108_123:
	s_or_b32 exec_lo, exec_lo, s8
	v_mov_b32_e32 v4, s23
	v_cmp_lt_u32_e64 s5, 28, v0
	s_clause 0x3
	buffer_load_dword v1, v4, s[0:3], 0 offen
	buffer_load_dword v2, v4, s[0:3], 0 offen offset:4
	buffer_load_dword v3, v4, s[0:3], 0 offen offset:8
	;; [unrolled: 1-line block ×3, first 2 shown]
	s_waitcnt vmcnt(0)
	ds_write_b128 v96, v[1:4]
	s_waitcnt lgkmcnt(0)
	s_waitcnt_vscnt null, 0x0
	s_barrier
	buffer_gl0_inv
	s_and_saveexec_b32 s8, s5
	s_cbranch_execz .LBB108_131
; %bb.124:
	ds_read_b128 v[1:4], v96
	s_andn2_b32 vcc_lo, exec_lo, s52
	s_cbranch_vccnz .LBB108_126
; %bb.125:
	s_clause 0x3
	buffer_load_dword v97, v95, s[0:3], 0 offen offset:8
	buffer_load_dword v98, v95, s[0:3], 0 offen offset:12
	buffer_load_dword v99, v95, s[0:3], 0 offen
	buffer_load_dword v100, v95, s[0:3], 0 offen offset:4
	s_waitcnt vmcnt(2) lgkmcnt(0)
	v_mul_f64 v[102:103], v[3:4], v[97:98]
	v_mul_f64 v[97:98], v[1:2], v[97:98]
	s_waitcnt vmcnt(0)
	v_fma_f64 v[1:2], v[1:2], v[99:100], -v[102:103]
	v_fma_f64 v[3:4], v[3:4], v[99:100], v[97:98]
.LBB108_126:
	s_and_saveexec_b32 s53, s4
	s_cbranch_execz .LBB108_130
; %bb.127:
	v_subrev_nc_u32_e32 v97, 29, v0
	s_movk_i32 s54, 0x4a0
	s_mov_b32 s4, 0
	s_mov_b32 s55, s22
	.p2align	6
.LBB108_128:                            ; =>This Inner Loop Header: Depth=1
	v_mov_b32_e32 v100, s55
	v_add_nc_u32_e32 v97, -1, v97
	s_add_i32 s55, s55, 16
	s_clause 0x3
	buffer_load_dword v98, v100, s[0:3], 0 offen offset:8
	buffer_load_dword v99, v100, s[0:3], 0 offen offset:12
	buffer_load_dword v106, v100, s[0:3], 0 offen
	buffer_load_dword v107, v100, s[0:3], 0 offen offset:4
	v_mov_b32_e32 v100, s54
	v_cmp_eq_u32_e32 vcc_lo, 0, v97
	s_add_i32 s54, s54, 16
	ds_read_b128 v[102:105], v100
	s_or_b32 s4, vcc_lo, s4
	s_waitcnt vmcnt(2) lgkmcnt(0)
	v_mul_f64 v[108:109], v[104:105], v[98:99]
	v_mul_f64 v[98:99], v[102:103], v[98:99]
	s_waitcnt vmcnt(0)
	v_fma_f64 v[102:103], v[102:103], v[106:107], -v[108:109]
	v_fma_f64 v[98:99], v[104:105], v[106:107], v[98:99]
	v_add_f64 v[1:2], v[1:2], v[102:103]
	v_add_f64 v[3:4], v[3:4], v[98:99]
	s_andn2_b32 exec_lo, exec_lo, s4
	s_cbranch_execnz .LBB108_128
; %bb.129:
	s_or_b32 exec_lo, exec_lo, s4
.LBB108_130:
	s_or_b32 exec_lo, exec_lo, s53
	v_mov_b32_e32 v97, 0
	ds_read_b128 v[97:100], v97 offset:448
	s_waitcnt lgkmcnt(0)
	v_mul_f64 v[102:103], v[3:4], v[99:100]
	v_mul_f64 v[99:100], v[1:2], v[99:100]
	v_fma_f64 v[1:2], v[1:2], v[97:98], -v[102:103]
	v_fma_f64 v[3:4], v[3:4], v[97:98], v[99:100]
	buffer_store_dword v2, off, s[0:3], 0 offset:452
	buffer_store_dword v1, off, s[0:3], 0 offset:448
	;; [unrolled: 1-line block ×4, first 2 shown]
.LBB108_131:
	s_or_b32 exec_lo, exec_lo, s8
	v_mov_b32_e32 v4, s24
	v_cmp_lt_u32_e64 s4, 27, v0
	s_clause 0x3
	buffer_load_dword v1, v4, s[0:3], 0 offen
	buffer_load_dword v2, v4, s[0:3], 0 offen offset:4
	buffer_load_dword v3, v4, s[0:3], 0 offen offset:8
	;; [unrolled: 1-line block ×3, first 2 shown]
	s_waitcnt vmcnt(0)
	ds_write_b128 v96, v[1:4]
	s_waitcnt lgkmcnt(0)
	s_waitcnt_vscnt null, 0x0
	s_barrier
	buffer_gl0_inv
	s_and_saveexec_b32 s8, s4
	s_cbranch_execz .LBB108_139
; %bb.132:
	ds_read_b128 v[1:4], v96
	s_andn2_b32 vcc_lo, exec_lo, s52
	s_cbranch_vccnz .LBB108_134
; %bb.133:
	s_clause 0x3
	buffer_load_dword v97, v95, s[0:3], 0 offen offset:8
	buffer_load_dword v98, v95, s[0:3], 0 offen offset:12
	buffer_load_dword v99, v95, s[0:3], 0 offen
	buffer_load_dword v100, v95, s[0:3], 0 offen offset:4
	s_waitcnt vmcnt(2) lgkmcnt(0)
	v_mul_f64 v[102:103], v[3:4], v[97:98]
	v_mul_f64 v[97:98], v[1:2], v[97:98]
	s_waitcnt vmcnt(0)
	v_fma_f64 v[1:2], v[1:2], v[99:100], -v[102:103]
	v_fma_f64 v[3:4], v[3:4], v[99:100], v[97:98]
.LBB108_134:
	s_and_saveexec_b32 s53, s5
	s_cbranch_execz .LBB108_138
; %bb.135:
	v_subrev_nc_u32_e32 v97, 28, v0
	s_movk_i32 s54, 0x490
	s_mov_b32 s5, 0
	s_mov_b32 s55, s23
	.p2align	6
.LBB108_136:                            ; =>This Inner Loop Header: Depth=1
	v_mov_b32_e32 v100, s55
	v_add_nc_u32_e32 v97, -1, v97
	s_add_i32 s55, s55, 16
	s_clause 0x3
	buffer_load_dword v98, v100, s[0:3], 0 offen offset:8
	buffer_load_dword v99, v100, s[0:3], 0 offen offset:12
	buffer_load_dword v106, v100, s[0:3], 0 offen
	buffer_load_dword v107, v100, s[0:3], 0 offen offset:4
	v_mov_b32_e32 v100, s54
	v_cmp_eq_u32_e32 vcc_lo, 0, v97
	s_add_i32 s54, s54, 16
	ds_read_b128 v[102:105], v100
	s_or_b32 s5, vcc_lo, s5
	s_waitcnt vmcnt(2) lgkmcnt(0)
	v_mul_f64 v[108:109], v[104:105], v[98:99]
	v_mul_f64 v[98:99], v[102:103], v[98:99]
	s_waitcnt vmcnt(0)
	v_fma_f64 v[102:103], v[102:103], v[106:107], -v[108:109]
	v_fma_f64 v[98:99], v[104:105], v[106:107], v[98:99]
	v_add_f64 v[1:2], v[1:2], v[102:103]
	v_add_f64 v[3:4], v[3:4], v[98:99]
	s_andn2_b32 exec_lo, exec_lo, s5
	s_cbranch_execnz .LBB108_136
; %bb.137:
	s_or_b32 exec_lo, exec_lo, s5
.LBB108_138:
	s_or_b32 exec_lo, exec_lo, s53
	v_mov_b32_e32 v97, 0
	ds_read_b128 v[97:100], v97 offset:432
	s_waitcnt lgkmcnt(0)
	v_mul_f64 v[102:103], v[3:4], v[99:100]
	v_mul_f64 v[99:100], v[1:2], v[99:100]
	v_fma_f64 v[1:2], v[1:2], v[97:98], -v[102:103]
	v_fma_f64 v[3:4], v[3:4], v[97:98], v[99:100]
	buffer_store_dword v2, off, s[0:3], 0 offset:436
	buffer_store_dword v1, off, s[0:3], 0 offset:432
	;; [unrolled: 1-line block ×4, first 2 shown]
.LBB108_139:
	s_or_b32 exec_lo, exec_lo, s8
	v_mov_b32_e32 v4, s25
	v_cmp_lt_u32_e64 s5, 26, v0
	s_clause 0x3
	buffer_load_dword v1, v4, s[0:3], 0 offen
	buffer_load_dword v2, v4, s[0:3], 0 offen offset:4
	buffer_load_dword v3, v4, s[0:3], 0 offen offset:8
	;; [unrolled: 1-line block ×3, first 2 shown]
	s_waitcnt vmcnt(0)
	ds_write_b128 v96, v[1:4]
	s_waitcnt lgkmcnt(0)
	s_waitcnt_vscnt null, 0x0
	s_barrier
	buffer_gl0_inv
	s_and_saveexec_b32 s8, s5
	s_cbranch_execz .LBB108_147
; %bb.140:
	ds_read_b128 v[1:4], v96
	s_andn2_b32 vcc_lo, exec_lo, s52
	s_cbranch_vccnz .LBB108_142
; %bb.141:
	s_clause 0x3
	buffer_load_dword v97, v95, s[0:3], 0 offen offset:8
	buffer_load_dword v98, v95, s[0:3], 0 offen offset:12
	buffer_load_dword v99, v95, s[0:3], 0 offen
	buffer_load_dword v100, v95, s[0:3], 0 offen offset:4
	s_waitcnt vmcnt(2) lgkmcnt(0)
	v_mul_f64 v[102:103], v[3:4], v[97:98]
	v_mul_f64 v[97:98], v[1:2], v[97:98]
	s_waitcnt vmcnt(0)
	v_fma_f64 v[1:2], v[1:2], v[99:100], -v[102:103]
	v_fma_f64 v[3:4], v[3:4], v[99:100], v[97:98]
.LBB108_142:
	s_and_saveexec_b32 s53, s4
	s_cbranch_execz .LBB108_146
; %bb.143:
	v_subrev_nc_u32_e32 v97, 27, v0
	s_movk_i32 s54, 0x480
	s_mov_b32 s4, 0
	s_mov_b32 s55, s24
	.p2align	6
.LBB108_144:                            ; =>This Inner Loop Header: Depth=1
	v_mov_b32_e32 v100, s55
	v_add_nc_u32_e32 v97, -1, v97
	s_add_i32 s55, s55, 16
	s_clause 0x3
	buffer_load_dword v98, v100, s[0:3], 0 offen offset:8
	buffer_load_dword v99, v100, s[0:3], 0 offen offset:12
	buffer_load_dword v106, v100, s[0:3], 0 offen
	buffer_load_dword v107, v100, s[0:3], 0 offen offset:4
	v_mov_b32_e32 v100, s54
	v_cmp_eq_u32_e32 vcc_lo, 0, v97
	s_add_i32 s54, s54, 16
	ds_read_b128 v[102:105], v100
	s_or_b32 s4, vcc_lo, s4
	s_waitcnt vmcnt(2) lgkmcnt(0)
	v_mul_f64 v[108:109], v[104:105], v[98:99]
	v_mul_f64 v[98:99], v[102:103], v[98:99]
	s_waitcnt vmcnt(0)
	v_fma_f64 v[102:103], v[102:103], v[106:107], -v[108:109]
	v_fma_f64 v[98:99], v[104:105], v[106:107], v[98:99]
	v_add_f64 v[1:2], v[1:2], v[102:103]
	v_add_f64 v[3:4], v[3:4], v[98:99]
	s_andn2_b32 exec_lo, exec_lo, s4
	s_cbranch_execnz .LBB108_144
; %bb.145:
	s_or_b32 exec_lo, exec_lo, s4
.LBB108_146:
	s_or_b32 exec_lo, exec_lo, s53
	v_mov_b32_e32 v97, 0
	ds_read_b128 v[97:100], v97 offset:416
	s_waitcnt lgkmcnt(0)
	v_mul_f64 v[102:103], v[3:4], v[99:100]
	v_mul_f64 v[99:100], v[1:2], v[99:100]
	v_fma_f64 v[1:2], v[1:2], v[97:98], -v[102:103]
	v_fma_f64 v[3:4], v[3:4], v[97:98], v[99:100]
	buffer_store_dword v2, off, s[0:3], 0 offset:420
	buffer_store_dword v1, off, s[0:3], 0 offset:416
	;; [unrolled: 1-line block ×4, first 2 shown]
.LBB108_147:
	s_or_b32 exec_lo, exec_lo, s8
	v_mov_b32_e32 v4, s26
	v_cmp_lt_u32_e64 s4, 25, v0
	s_clause 0x3
	buffer_load_dword v1, v4, s[0:3], 0 offen
	buffer_load_dword v2, v4, s[0:3], 0 offen offset:4
	buffer_load_dword v3, v4, s[0:3], 0 offen offset:8
	;; [unrolled: 1-line block ×3, first 2 shown]
	s_waitcnt vmcnt(0)
	ds_write_b128 v96, v[1:4]
	s_waitcnt lgkmcnt(0)
	s_waitcnt_vscnt null, 0x0
	s_barrier
	buffer_gl0_inv
	s_and_saveexec_b32 s8, s4
	s_cbranch_execz .LBB108_155
; %bb.148:
	ds_read_b128 v[1:4], v96
	s_andn2_b32 vcc_lo, exec_lo, s52
	s_cbranch_vccnz .LBB108_150
; %bb.149:
	s_clause 0x3
	buffer_load_dword v97, v95, s[0:3], 0 offen offset:8
	buffer_load_dword v98, v95, s[0:3], 0 offen offset:12
	buffer_load_dword v99, v95, s[0:3], 0 offen
	buffer_load_dword v100, v95, s[0:3], 0 offen offset:4
	s_waitcnt vmcnt(2) lgkmcnt(0)
	v_mul_f64 v[102:103], v[3:4], v[97:98]
	v_mul_f64 v[97:98], v[1:2], v[97:98]
	s_waitcnt vmcnt(0)
	v_fma_f64 v[1:2], v[1:2], v[99:100], -v[102:103]
	v_fma_f64 v[3:4], v[3:4], v[99:100], v[97:98]
.LBB108_150:
	s_and_saveexec_b32 s53, s5
	s_cbranch_execz .LBB108_154
; %bb.151:
	v_subrev_nc_u32_e32 v97, 26, v0
	s_movk_i32 s54, 0x470
	s_mov_b32 s5, 0
	s_mov_b32 s55, s25
	.p2align	6
.LBB108_152:                            ; =>This Inner Loop Header: Depth=1
	v_mov_b32_e32 v100, s55
	v_add_nc_u32_e32 v97, -1, v97
	s_add_i32 s55, s55, 16
	s_clause 0x3
	buffer_load_dword v98, v100, s[0:3], 0 offen offset:8
	buffer_load_dword v99, v100, s[0:3], 0 offen offset:12
	buffer_load_dword v106, v100, s[0:3], 0 offen
	buffer_load_dword v107, v100, s[0:3], 0 offen offset:4
	v_mov_b32_e32 v100, s54
	v_cmp_eq_u32_e32 vcc_lo, 0, v97
	s_add_i32 s54, s54, 16
	ds_read_b128 v[102:105], v100
	s_or_b32 s5, vcc_lo, s5
	s_waitcnt vmcnt(2) lgkmcnt(0)
	v_mul_f64 v[108:109], v[104:105], v[98:99]
	v_mul_f64 v[98:99], v[102:103], v[98:99]
	s_waitcnt vmcnt(0)
	v_fma_f64 v[102:103], v[102:103], v[106:107], -v[108:109]
	v_fma_f64 v[98:99], v[104:105], v[106:107], v[98:99]
	v_add_f64 v[1:2], v[1:2], v[102:103]
	v_add_f64 v[3:4], v[3:4], v[98:99]
	s_andn2_b32 exec_lo, exec_lo, s5
	s_cbranch_execnz .LBB108_152
; %bb.153:
	s_or_b32 exec_lo, exec_lo, s5
.LBB108_154:
	s_or_b32 exec_lo, exec_lo, s53
	v_mov_b32_e32 v97, 0
	ds_read_b128 v[97:100], v97 offset:400
	s_waitcnt lgkmcnt(0)
	v_mul_f64 v[102:103], v[3:4], v[99:100]
	v_mul_f64 v[99:100], v[1:2], v[99:100]
	v_fma_f64 v[1:2], v[1:2], v[97:98], -v[102:103]
	v_fma_f64 v[3:4], v[3:4], v[97:98], v[99:100]
	buffer_store_dword v2, off, s[0:3], 0 offset:404
	buffer_store_dword v1, off, s[0:3], 0 offset:400
	;; [unrolled: 1-line block ×4, first 2 shown]
.LBB108_155:
	s_or_b32 exec_lo, exec_lo, s8
	v_mov_b32_e32 v4, s27
	v_cmp_lt_u32_e64 s5, 24, v0
	s_clause 0x3
	buffer_load_dword v1, v4, s[0:3], 0 offen
	buffer_load_dword v2, v4, s[0:3], 0 offen offset:4
	buffer_load_dword v3, v4, s[0:3], 0 offen offset:8
	;; [unrolled: 1-line block ×3, first 2 shown]
	s_waitcnt vmcnt(0)
	ds_write_b128 v96, v[1:4]
	s_waitcnt lgkmcnt(0)
	s_waitcnt_vscnt null, 0x0
	s_barrier
	buffer_gl0_inv
	s_and_saveexec_b32 s8, s5
	s_cbranch_execz .LBB108_163
; %bb.156:
	ds_read_b128 v[1:4], v96
	s_andn2_b32 vcc_lo, exec_lo, s52
	s_cbranch_vccnz .LBB108_158
; %bb.157:
	s_clause 0x3
	buffer_load_dword v97, v95, s[0:3], 0 offen offset:8
	buffer_load_dword v98, v95, s[0:3], 0 offen offset:12
	buffer_load_dword v99, v95, s[0:3], 0 offen
	buffer_load_dword v100, v95, s[0:3], 0 offen offset:4
	s_waitcnt vmcnt(2) lgkmcnt(0)
	v_mul_f64 v[102:103], v[3:4], v[97:98]
	v_mul_f64 v[97:98], v[1:2], v[97:98]
	s_waitcnt vmcnt(0)
	v_fma_f64 v[1:2], v[1:2], v[99:100], -v[102:103]
	v_fma_f64 v[3:4], v[3:4], v[99:100], v[97:98]
.LBB108_158:
	s_and_saveexec_b32 s53, s4
	s_cbranch_execz .LBB108_162
; %bb.159:
	v_subrev_nc_u32_e32 v97, 25, v0
	s_movk_i32 s54, 0x460
	s_mov_b32 s4, 0
	s_mov_b32 s55, s26
	.p2align	6
.LBB108_160:                            ; =>This Inner Loop Header: Depth=1
	v_mov_b32_e32 v100, s55
	v_add_nc_u32_e32 v97, -1, v97
	s_add_i32 s55, s55, 16
	s_clause 0x3
	buffer_load_dword v98, v100, s[0:3], 0 offen offset:8
	buffer_load_dword v99, v100, s[0:3], 0 offen offset:12
	buffer_load_dword v106, v100, s[0:3], 0 offen
	buffer_load_dword v107, v100, s[0:3], 0 offen offset:4
	v_mov_b32_e32 v100, s54
	v_cmp_eq_u32_e32 vcc_lo, 0, v97
	s_add_i32 s54, s54, 16
	ds_read_b128 v[102:105], v100
	s_or_b32 s4, vcc_lo, s4
	s_waitcnt vmcnt(2) lgkmcnt(0)
	v_mul_f64 v[108:109], v[104:105], v[98:99]
	v_mul_f64 v[98:99], v[102:103], v[98:99]
	s_waitcnt vmcnt(0)
	v_fma_f64 v[102:103], v[102:103], v[106:107], -v[108:109]
	v_fma_f64 v[98:99], v[104:105], v[106:107], v[98:99]
	v_add_f64 v[1:2], v[1:2], v[102:103]
	v_add_f64 v[3:4], v[3:4], v[98:99]
	s_andn2_b32 exec_lo, exec_lo, s4
	s_cbranch_execnz .LBB108_160
; %bb.161:
	s_or_b32 exec_lo, exec_lo, s4
.LBB108_162:
	s_or_b32 exec_lo, exec_lo, s53
	v_mov_b32_e32 v97, 0
	ds_read_b128 v[97:100], v97 offset:384
	s_waitcnt lgkmcnt(0)
	v_mul_f64 v[102:103], v[3:4], v[99:100]
	v_mul_f64 v[99:100], v[1:2], v[99:100]
	v_fma_f64 v[1:2], v[1:2], v[97:98], -v[102:103]
	v_fma_f64 v[3:4], v[3:4], v[97:98], v[99:100]
	buffer_store_dword v2, off, s[0:3], 0 offset:388
	buffer_store_dword v1, off, s[0:3], 0 offset:384
	;; [unrolled: 1-line block ×4, first 2 shown]
.LBB108_163:
	s_or_b32 exec_lo, exec_lo, s8
	v_mov_b32_e32 v4, s28
	v_cmp_lt_u32_e64 s4, 23, v0
	s_clause 0x3
	buffer_load_dword v1, v4, s[0:3], 0 offen
	buffer_load_dword v2, v4, s[0:3], 0 offen offset:4
	buffer_load_dword v3, v4, s[0:3], 0 offen offset:8
	;; [unrolled: 1-line block ×3, first 2 shown]
	s_waitcnt vmcnt(0)
	ds_write_b128 v96, v[1:4]
	s_waitcnt lgkmcnt(0)
	s_waitcnt_vscnt null, 0x0
	s_barrier
	buffer_gl0_inv
	s_and_saveexec_b32 s8, s4
	s_cbranch_execz .LBB108_171
; %bb.164:
	ds_read_b128 v[1:4], v96
	s_andn2_b32 vcc_lo, exec_lo, s52
	s_cbranch_vccnz .LBB108_166
; %bb.165:
	s_clause 0x3
	buffer_load_dword v97, v95, s[0:3], 0 offen offset:8
	buffer_load_dword v98, v95, s[0:3], 0 offen offset:12
	buffer_load_dword v99, v95, s[0:3], 0 offen
	buffer_load_dword v100, v95, s[0:3], 0 offen offset:4
	s_waitcnt vmcnt(2) lgkmcnt(0)
	v_mul_f64 v[102:103], v[3:4], v[97:98]
	v_mul_f64 v[97:98], v[1:2], v[97:98]
	s_waitcnt vmcnt(0)
	v_fma_f64 v[1:2], v[1:2], v[99:100], -v[102:103]
	v_fma_f64 v[3:4], v[3:4], v[99:100], v[97:98]
.LBB108_166:
	s_and_saveexec_b32 s53, s5
	s_cbranch_execz .LBB108_170
; %bb.167:
	v_subrev_nc_u32_e32 v97, 24, v0
	s_movk_i32 s54, 0x450
	s_mov_b32 s5, 0
	s_mov_b32 s55, s27
	.p2align	6
.LBB108_168:                            ; =>This Inner Loop Header: Depth=1
	v_mov_b32_e32 v100, s55
	v_add_nc_u32_e32 v97, -1, v97
	s_add_i32 s55, s55, 16
	s_clause 0x3
	buffer_load_dword v98, v100, s[0:3], 0 offen offset:8
	buffer_load_dword v99, v100, s[0:3], 0 offen offset:12
	buffer_load_dword v106, v100, s[0:3], 0 offen
	buffer_load_dword v107, v100, s[0:3], 0 offen offset:4
	v_mov_b32_e32 v100, s54
	v_cmp_eq_u32_e32 vcc_lo, 0, v97
	s_add_i32 s54, s54, 16
	ds_read_b128 v[102:105], v100
	s_or_b32 s5, vcc_lo, s5
	s_waitcnt vmcnt(2) lgkmcnt(0)
	v_mul_f64 v[108:109], v[104:105], v[98:99]
	v_mul_f64 v[98:99], v[102:103], v[98:99]
	s_waitcnt vmcnt(0)
	v_fma_f64 v[102:103], v[102:103], v[106:107], -v[108:109]
	v_fma_f64 v[98:99], v[104:105], v[106:107], v[98:99]
	v_add_f64 v[1:2], v[1:2], v[102:103]
	v_add_f64 v[3:4], v[3:4], v[98:99]
	s_andn2_b32 exec_lo, exec_lo, s5
	s_cbranch_execnz .LBB108_168
; %bb.169:
	s_or_b32 exec_lo, exec_lo, s5
.LBB108_170:
	s_or_b32 exec_lo, exec_lo, s53
	v_mov_b32_e32 v97, 0
	ds_read_b128 v[97:100], v97 offset:368
	s_waitcnt lgkmcnt(0)
	v_mul_f64 v[102:103], v[3:4], v[99:100]
	v_mul_f64 v[99:100], v[1:2], v[99:100]
	v_fma_f64 v[1:2], v[1:2], v[97:98], -v[102:103]
	v_fma_f64 v[3:4], v[3:4], v[97:98], v[99:100]
	buffer_store_dword v2, off, s[0:3], 0 offset:372
	buffer_store_dword v1, off, s[0:3], 0 offset:368
	;; [unrolled: 1-line block ×4, first 2 shown]
.LBB108_171:
	s_or_b32 exec_lo, exec_lo, s8
	v_mov_b32_e32 v4, s29
	v_cmp_lt_u32_e64 s5, 22, v0
	s_clause 0x3
	buffer_load_dword v1, v4, s[0:3], 0 offen
	buffer_load_dword v2, v4, s[0:3], 0 offen offset:4
	buffer_load_dword v3, v4, s[0:3], 0 offen offset:8
	;; [unrolled: 1-line block ×3, first 2 shown]
	s_waitcnt vmcnt(0)
	ds_write_b128 v96, v[1:4]
	s_waitcnt lgkmcnt(0)
	s_waitcnt_vscnt null, 0x0
	s_barrier
	buffer_gl0_inv
	s_and_saveexec_b32 s8, s5
	s_cbranch_execz .LBB108_179
; %bb.172:
	ds_read_b128 v[1:4], v96
	s_andn2_b32 vcc_lo, exec_lo, s52
	s_cbranch_vccnz .LBB108_174
; %bb.173:
	s_clause 0x3
	buffer_load_dword v97, v95, s[0:3], 0 offen offset:8
	buffer_load_dword v98, v95, s[0:3], 0 offen offset:12
	buffer_load_dword v99, v95, s[0:3], 0 offen
	buffer_load_dword v100, v95, s[0:3], 0 offen offset:4
	s_waitcnt vmcnt(2) lgkmcnt(0)
	v_mul_f64 v[102:103], v[3:4], v[97:98]
	v_mul_f64 v[97:98], v[1:2], v[97:98]
	s_waitcnt vmcnt(0)
	v_fma_f64 v[1:2], v[1:2], v[99:100], -v[102:103]
	v_fma_f64 v[3:4], v[3:4], v[99:100], v[97:98]
.LBB108_174:
	s_and_saveexec_b32 s53, s4
	s_cbranch_execz .LBB108_178
; %bb.175:
	v_subrev_nc_u32_e32 v97, 23, v0
	s_movk_i32 s54, 0x440
	s_mov_b32 s4, 0
	s_mov_b32 s55, s28
	.p2align	6
.LBB108_176:                            ; =>This Inner Loop Header: Depth=1
	v_mov_b32_e32 v100, s55
	v_add_nc_u32_e32 v97, -1, v97
	s_add_i32 s55, s55, 16
	s_clause 0x3
	buffer_load_dword v98, v100, s[0:3], 0 offen offset:8
	buffer_load_dword v99, v100, s[0:3], 0 offen offset:12
	buffer_load_dword v106, v100, s[0:3], 0 offen
	buffer_load_dword v107, v100, s[0:3], 0 offen offset:4
	v_mov_b32_e32 v100, s54
	v_cmp_eq_u32_e32 vcc_lo, 0, v97
	s_add_i32 s54, s54, 16
	ds_read_b128 v[102:105], v100
	s_or_b32 s4, vcc_lo, s4
	s_waitcnt vmcnt(2) lgkmcnt(0)
	v_mul_f64 v[108:109], v[104:105], v[98:99]
	v_mul_f64 v[98:99], v[102:103], v[98:99]
	s_waitcnt vmcnt(0)
	v_fma_f64 v[102:103], v[102:103], v[106:107], -v[108:109]
	v_fma_f64 v[98:99], v[104:105], v[106:107], v[98:99]
	v_add_f64 v[1:2], v[1:2], v[102:103]
	v_add_f64 v[3:4], v[3:4], v[98:99]
	s_andn2_b32 exec_lo, exec_lo, s4
	s_cbranch_execnz .LBB108_176
; %bb.177:
	s_or_b32 exec_lo, exec_lo, s4
.LBB108_178:
	s_or_b32 exec_lo, exec_lo, s53
	v_mov_b32_e32 v97, 0
	ds_read_b128 v[97:100], v97 offset:352
	s_waitcnt lgkmcnt(0)
	v_mul_f64 v[102:103], v[3:4], v[99:100]
	v_mul_f64 v[99:100], v[1:2], v[99:100]
	v_fma_f64 v[1:2], v[1:2], v[97:98], -v[102:103]
	v_fma_f64 v[3:4], v[3:4], v[97:98], v[99:100]
	buffer_store_dword v2, off, s[0:3], 0 offset:356
	buffer_store_dword v1, off, s[0:3], 0 offset:352
	;; [unrolled: 1-line block ×4, first 2 shown]
.LBB108_179:
	s_or_b32 exec_lo, exec_lo, s8
	v_mov_b32_e32 v4, s30
	v_cmp_lt_u32_e64 s4, 21, v0
	s_clause 0x3
	buffer_load_dword v1, v4, s[0:3], 0 offen
	buffer_load_dword v2, v4, s[0:3], 0 offen offset:4
	buffer_load_dword v3, v4, s[0:3], 0 offen offset:8
	buffer_load_dword v4, v4, s[0:3], 0 offen offset:12
	s_waitcnt vmcnt(0)
	ds_write_b128 v96, v[1:4]
	s_waitcnt lgkmcnt(0)
	s_waitcnt_vscnt null, 0x0
	s_barrier
	buffer_gl0_inv
	s_and_saveexec_b32 s8, s4
	s_cbranch_execz .LBB108_187
; %bb.180:
	ds_read_b128 v[1:4], v96
	s_andn2_b32 vcc_lo, exec_lo, s52
	s_cbranch_vccnz .LBB108_182
; %bb.181:
	s_clause 0x3
	buffer_load_dword v97, v95, s[0:3], 0 offen offset:8
	buffer_load_dword v98, v95, s[0:3], 0 offen offset:12
	buffer_load_dword v99, v95, s[0:3], 0 offen
	buffer_load_dword v100, v95, s[0:3], 0 offen offset:4
	s_waitcnt vmcnt(2) lgkmcnt(0)
	v_mul_f64 v[102:103], v[3:4], v[97:98]
	v_mul_f64 v[97:98], v[1:2], v[97:98]
	s_waitcnt vmcnt(0)
	v_fma_f64 v[1:2], v[1:2], v[99:100], -v[102:103]
	v_fma_f64 v[3:4], v[3:4], v[99:100], v[97:98]
.LBB108_182:
	s_and_saveexec_b32 s53, s5
	s_cbranch_execz .LBB108_186
; %bb.183:
	v_subrev_nc_u32_e32 v97, 22, v0
	s_movk_i32 s54, 0x430
	s_mov_b32 s5, 0
	s_mov_b32 s55, s29
	.p2align	6
.LBB108_184:                            ; =>This Inner Loop Header: Depth=1
	v_mov_b32_e32 v100, s55
	v_add_nc_u32_e32 v97, -1, v97
	s_add_i32 s55, s55, 16
	s_clause 0x3
	buffer_load_dword v98, v100, s[0:3], 0 offen offset:8
	buffer_load_dword v99, v100, s[0:3], 0 offen offset:12
	buffer_load_dword v106, v100, s[0:3], 0 offen
	buffer_load_dword v107, v100, s[0:3], 0 offen offset:4
	v_mov_b32_e32 v100, s54
	v_cmp_eq_u32_e32 vcc_lo, 0, v97
	s_add_i32 s54, s54, 16
	ds_read_b128 v[102:105], v100
	s_or_b32 s5, vcc_lo, s5
	s_waitcnt vmcnt(2) lgkmcnt(0)
	v_mul_f64 v[108:109], v[104:105], v[98:99]
	v_mul_f64 v[98:99], v[102:103], v[98:99]
	s_waitcnt vmcnt(0)
	v_fma_f64 v[102:103], v[102:103], v[106:107], -v[108:109]
	v_fma_f64 v[98:99], v[104:105], v[106:107], v[98:99]
	v_add_f64 v[1:2], v[1:2], v[102:103]
	v_add_f64 v[3:4], v[3:4], v[98:99]
	s_andn2_b32 exec_lo, exec_lo, s5
	s_cbranch_execnz .LBB108_184
; %bb.185:
	s_or_b32 exec_lo, exec_lo, s5
.LBB108_186:
	s_or_b32 exec_lo, exec_lo, s53
	v_mov_b32_e32 v97, 0
	ds_read_b128 v[97:100], v97 offset:336
	s_waitcnt lgkmcnt(0)
	v_mul_f64 v[102:103], v[3:4], v[99:100]
	v_mul_f64 v[99:100], v[1:2], v[99:100]
	v_fma_f64 v[1:2], v[1:2], v[97:98], -v[102:103]
	v_fma_f64 v[3:4], v[3:4], v[97:98], v[99:100]
	buffer_store_dword v2, off, s[0:3], 0 offset:340
	buffer_store_dword v1, off, s[0:3], 0 offset:336
	;; [unrolled: 1-line block ×4, first 2 shown]
.LBB108_187:
	s_or_b32 exec_lo, exec_lo, s8
	v_mov_b32_e32 v4, s31
	v_cmp_lt_u32_e64 s5, 20, v0
	s_clause 0x3
	buffer_load_dword v1, v4, s[0:3], 0 offen
	buffer_load_dword v2, v4, s[0:3], 0 offen offset:4
	buffer_load_dword v3, v4, s[0:3], 0 offen offset:8
	;; [unrolled: 1-line block ×3, first 2 shown]
	s_waitcnt vmcnt(0)
	ds_write_b128 v96, v[1:4]
	s_waitcnt lgkmcnt(0)
	s_waitcnt_vscnt null, 0x0
	s_barrier
	buffer_gl0_inv
	s_and_saveexec_b32 s8, s5
	s_cbranch_execz .LBB108_195
; %bb.188:
	ds_read_b128 v[1:4], v96
	s_andn2_b32 vcc_lo, exec_lo, s52
	s_cbranch_vccnz .LBB108_190
; %bb.189:
	s_clause 0x3
	buffer_load_dword v97, v95, s[0:3], 0 offen offset:8
	buffer_load_dword v98, v95, s[0:3], 0 offen offset:12
	buffer_load_dword v99, v95, s[0:3], 0 offen
	buffer_load_dword v100, v95, s[0:3], 0 offen offset:4
	s_waitcnt vmcnt(2) lgkmcnt(0)
	v_mul_f64 v[102:103], v[3:4], v[97:98]
	v_mul_f64 v[97:98], v[1:2], v[97:98]
	s_waitcnt vmcnt(0)
	v_fma_f64 v[1:2], v[1:2], v[99:100], -v[102:103]
	v_fma_f64 v[3:4], v[3:4], v[99:100], v[97:98]
.LBB108_190:
	s_and_saveexec_b32 s53, s4
	s_cbranch_execz .LBB108_194
; %bb.191:
	v_subrev_nc_u32_e32 v97, 21, v0
	s_movk_i32 s54, 0x420
	s_mov_b32 s4, 0
	s_mov_b32 s55, s30
	.p2align	6
.LBB108_192:                            ; =>This Inner Loop Header: Depth=1
	v_mov_b32_e32 v100, s55
	v_add_nc_u32_e32 v97, -1, v97
	s_add_i32 s55, s55, 16
	s_clause 0x3
	buffer_load_dword v98, v100, s[0:3], 0 offen offset:8
	buffer_load_dword v99, v100, s[0:3], 0 offen offset:12
	buffer_load_dword v106, v100, s[0:3], 0 offen
	buffer_load_dword v107, v100, s[0:3], 0 offen offset:4
	v_mov_b32_e32 v100, s54
	v_cmp_eq_u32_e32 vcc_lo, 0, v97
	s_add_i32 s54, s54, 16
	ds_read_b128 v[102:105], v100
	s_or_b32 s4, vcc_lo, s4
	s_waitcnt vmcnt(2) lgkmcnt(0)
	v_mul_f64 v[108:109], v[104:105], v[98:99]
	v_mul_f64 v[98:99], v[102:103], v[98:99]
	s_waitcnt vmcnt(0)
	v_fma_f64 v[102:103], v[102:103], v[106:107], -v[108:109]
	v_fma_f64 v[98:99], v[104:105], v[106:107], v[98:99]
	v_add_f64 v[1:2], v[1:2], v[102:103]
	v_add_f64 v[3:4], v[3:4], v[98:99]
	s_andn2_b32 exec_lo, exec_lo, s4
	s_cbranch_execnz .LBB108_192
; %bb.193:
	s_or_b32 exec_lo, exec_lo, s4
.LBB108_194:
	s_or_b32 exec_lo, exec_lo, s53
	v_mov_b32_e32 v97, 0
	ds_read_b128 v[97:100], v97 offset:320
	s_waitcnt lgkmcnt(0)
	v_mul_f64 v[102:103], v[3:4], v[99:100]
	v_mul_f64 v[99:100], v[1:2], v[99:100]
	v_fma_f64 v[1:2], v[1:2], v[97:98], -v[102:103]
	v_fma_f64 v[3:4], v[3:4], v[97:98], v[99:100]
	buffer_store_dword v2, off, s[0:3], 0 offset:324
	buffer_store_dword v1, off, s[0:3], 0 offset:320
	;; [unrolled: 1-line block ×4, first 2 shown]
.LBB108_195:
	s_or_b32 exec_lo, exec_lo, s8
	v_mov_b32_e32 v4, s33
	v_cmp_lt_u32_e64 s4, 19, v0
	s_clause 0x3
	buffer_load_dword v1, v4, s[0:3], 0 offen
	buffer_load_dword v2, v4, s[0:3], 0 offen offset:4
	buffer_load_dword v3, v4, s[0:3], 0 offen offset:8
	;; [unrolled: 1-line block ×3, first 2 shown]
	s_waitcnt vmcnt(0)
	ds_write_b128 v96, v[1:4]
	s_waitcnt lgkmcnt(0)
	s_waitcnt_vscnt null, 0x0
	s_barrier
	buffer_gl0_inv
	s_and_saveexec_b32 s8, s4
	s_cbranch_execz .LBB108_203
; %bb.196:
	ds_read_b128 v[1:4], v96
	s_andn2_b32 vcc_lo, exec_lo, s52
	s_cbranch_vccnz .LBB108_198
; %bb.197:
	s_clause 0x3
	buffer_load_dword v97, v95, s[0:3], 0 offen offset:8
	buffer_load_dword v98, v95, s[0:3], 0 offen offset:12
	buffer_load_dword v99, v95, s[0:3], 0 offen
	buffer_load_dword v100, v95, s[0:3], 0 offen offset:4
	s_waitcnt vmcnt(2) lgkmcnt(0)
	v_mul_f64 v[102:103], v[3:4], v[97:98]
	v_mul_f64 v[97:98], v[1:2], v[97:98]
	s_waitcnt vmcnt(0)
	v_fma_f64 v[1:2], v[1:2], v[99:100], -v[102:103]
	v_fma_f64 v[3:4], v[3:4], v[99:100], v[97:98]
.LBB108_198:
	s_and_saveexec_b32 s53, s5
	s_cbranch_execz .LBB108_202
; %bb.199:
	v_subrev_nc_u32_e32 v97, 20, v0
	s_movk_i32 s54, 0x410
	s_mov_b32 s5, 0
	s_mov_b32 s55, s31
	.p2align	6
.LBB108_200:                            ; =>This Inner Loop Header: Depth=1
	v_mov_b32_e32 v100, s55
	v_add_nc_u32_e32 v97, -1, v97
	s_add_i32 s55, s55, 16
	s_clause 0x3
	buffer_load_dword v98, v100, s[0:3], 0 offen offset:8
	buffer_load_dword v99, v100, s[0:3], 0 offen offset:12
	buffer_load_dword v106, v100, s[0:3], 0 offen
	buffer_load_dword v107, v100, s[0:3], 0 offen offset:4
	v_mov_b32_e32 v100, s54
	v_cmp_eq_u32_e32 vcc_lo, 0, v97
	s_add_i32 s54, s54, 16
	ds_read_b128 v[102:105], v100
	s_or_b32 s5, vcc_lo, s5
	s_waitcnt vmcnt(2) lgkmcnt(0)
	v_mul_f64 v[108:109], v[104:105], v[98:99]
	v_mul_f64 v[98:99], v[102:103], v[98:99]
	s_waitcnt vmcnt(0)
	v_fma_f64 v[102:103], v[102:103], v[106:107], -v[108:109]
	v_fma_f64 v[98:99], v[104:105], v[106:107], v[98:99]
	v_add_f64 v[1:2], v[1:2], v[102:103]
	v_add_f64 v[3:4], v[3:4], v[98:99]
	s_andn2_b32 exec_lo, exec_lo, s5
	s_cbranch_execnz .LBB108_200
; %bb.201:
	s_or_b32 exec_lo, exec_lo, s5
.LBB108_202:
	s_or_b32 exec_lo, exec_lo, s53
	v_mov_b32_e32 v97, 0
	ds_read_b128 v[97:100], v97 offset:304
	s_waitcnt lgkmcnt(0)
	v_mul_f64 v[102:103], v[3:4], v[99:100]
	v_mul_f64 v[99:100], v[1:2], v[99:100]
	v_fma_f64 v[1:2], v[1:2], v[97:98], -v[102:103]
	v_fma_f64 v[3:4], v[3:4], v[97:98], v[99:100]
	buffer_store_dword v2, off, s[0:3], 0 offset:308
	buffer_store_dword v1, off, s[0:3], 0 offset:304
	;; [unrolled: 1-line block ×4, first 2 shown]
.LBB108_203:
	s_or_b32 exec_lo, exec_lo, s8
	v_mov_b32_e32 v4, s34
	v_cmp_lt_u32_e64 s5, 18, v0
	s_clause 0x3
	buffer_load_dword v1, v4, s[0:3], 0 offen
	buffer_load_dword v2, v4, s[0:3], 0 offen offset:4
	buffer_load_dword v3, v4, s[0:3], 0 offen offset:8
	;; [unrolled: 1-line block ×3, first 2 shown]
	s_waitcnt vmcnt(0)
	ds_write_b128 v96, v[1:4]
	s_waitcnt lgkmcnt(0)
	s_waitcnt_vscnt null, 0x0
	s_barrier
	buffer_gl0_inv
	s_and_saveexec_b32 s8, s5
	s_cbranch_execz .LBB108_211
; %bb.204:
	ds_read_b128 v[1:4], v96
	s_andn2_b32 vcc_lo, exec_lo, s52
	s_cbranch_vccnz .LBB108_206
; %bb.205:
	s_clause 0x3
	buffer_load_dword v97, v95, s[0:3], 0 offen offset:8
	buffer_load_dword v98, v95, s[0:3], 0 offen offset:12
	buffer_load_dword v99, v95, s[0:3], 0 offen
	buffer_load_dword v100, v95, s[0:3], 0 offen offset:4
	s_waitcnt vmcnt(2) lgkmcnt(0)
	v_mul_f64 v[102:103], v[3:4], v[97:98]
	v_mul_f64 v[97:98], v[1:2], v[97:98]
	s_waitcnt vmcnt(0)
	v_fma_f64 v[1:2], v[1:2], v[99:100], -v[102:103]
	v_fma_f64 v[3:4], v[3:4], v[99:100], v[97:98]
.LBB108_206:
	s_and_saveexec_b32 s53, s4
	s_cbranch_execz .LBB108_210
; %bb.207:
	v_subrev_nc_u32_e32 v97, 19, v0
	s_movk_i32 s54, 0x400
	s_mov_b32 s4, 0
	s_mov_b32 s55, s33
	.p2align	6
.LBB108_208:                            ; =>This Inner Loop Header: Depth=1
	v_mov_b32_e32 v100, s55
	v_add_nc_u32_e32 v97, -1, v97
	s_add_i32 s55, s55, 16
	s_clause 0x3
	buffer_load_dword v98, v100, s[0:3], 0 offen offset:8
	buffer_load_dword v99, v100, s[0:3], 0 offen offset:12
	buffer_load_dword v106, v100, s[0:3], 0 offen
	buffer_load_dword v107, v100, s[0:3], 0 offen offset:4
	v_mov_b32_e32 v100, s54
	v_cmp_eq_u32_e32 vcc_lo, 0, v97
	s_add_i32 s54, s54, 16
	ds_read_b128 v[102:105], v100
	s_or_b32 s4, vcc_lo, s4
	s_waitcnt vmcnt(2) lgkmcnt(0)
	v_mul_f64 v[108:109], v[104:105], v[98:99]
	v_mul_f64 v[98:99], v[102:103], v[98:99]
	s_waitcnt vmcnt(0)
	v_fma_f64 v[102:103], v[102:103], v[106:107], -v[108:109]
	v_fma_f64 v[98:99], v[104:105], v[106:107], v[98:99]
	v_add_f64 v[1:2], v[1:2], v[102:103]
	v_add_f64 v[3:4], v[3:4], v[98:99]
	s_andn2_b32 exec_lo, exec_lo, s4
	s_cbranch_execnz .LBB108_208
; %bb.209:
	s_or_b32 exec_lo, exec_lo, s4
.LBB108_210:
	s_or_b32 exec_lo, exec_lo, s53
	v_mov_b32_e32 v97, 0
	ds_read_b128 v[97:100], v97 offset:288
	s_waitcnt lgkmcnt(0)
	v_mul_f64 v[102:103], v[3:4], v[99:100]
	v_mul_f64 v[99:100], v[1:2], v[99:100]
	v_fma_f64 v[1:2], v[1:2], v[97:98], -v[102:103]
	v_fma_f64 v[3:4], v[3:4], v[97:98], v[99:100]
	buffer_store_dword v2, off, s[0:3], 0 offset:292
	buffer_store_dword v1, off, s[0:3], 0 offset:288
	;; [unrolled: 1-line block ×4, first 2 shown]
.LBB108_211:
	s_or_b32 exec_lo, exec_lo, s8
	v_mov_b32_e32 v4, s35
	v_cmp_lt_u32_e64 s4, 17, v0
	s_clause 0x3
	buffer_load_dword v1, v4, s[0:3], 0 offen
	buffer_load_dword v2, v4, s[0:3], 0 offen offset:4
	buffer_load_dword v3, v4, s[0:3], 0 offen offset:8
	;; [unrolled: 1-line block ×3, first 2 shown]
	s_waitcnt vmcnt(0)
	ds_write_b128 v96, v[1:4]
	s_waitcnt lgkmcnt(0)
	s_waitcnt_vscnt null, 0x0
	s_barrier
	buffer_gl0_inv
	s_and_saveexec_b32 s8, s4
	s_cbranch_execz .LBB108_219
; %bb.212:
	ds_read_b128 v[1:4], v96
	s_andn2_b32 vcc_lo, exec_lo, s52
	s_cbranch_vccnz .LBB108_214
; %bb.213:
	s_clause 0x3
	buffer_load_dword v97, v95, s[0:3], 0 offen offset:8
	buffer_load_dword v98, v95, s[0:3], 0 offen offset:12
	buffer_load_dword v99, v95, s[0:3], 0 offen
	buffer_load_dword v100, v95, s[0:3], 0 offen offset:4
	s_waitcnt vmcnt(2) lgkmcnt(0)
	v_mul_f64 v[102:103], v[3:4], v[97:98]
	v_mul_f64 v[97:98], v[1:2], v[97:98]
	s_waitcnt vmcnt(0)
	v_fma_f64 v[1:2], v[1:2], v[99:100], -v[102:103]
	v_fma_f64 v[3:4], v[3:4], v[99:100], v[97:98]
.LBB108_214:
	s_and_saveexec_b32 s53, s5
	s_cbranch_execz .LBB108_218
; %bb.215:
	v_subrev_nc_u32_e32 v97, 18, v0
	s_movk_i32 s54, 0x3f0
	s_mov_b32 s5, 0
	s_mov_b32 s55, s34
	.p2align	6
.LBB108_216:                            ; =>This Inner Loop Header: Depth=1
	v_mov_b32_e32 v100, s55
	v_add_nc_u32_e32 v97, -1, v97
	s_add_i32 s55, s55, 16
	s_clause 0x3
	buffer_load_dword v98, v100, s[0:3], 0 offen offset:8
	buffer_load_dword v99, v100, s[0:3], 0 offen offset:12
	buffer_load_dword v106, v100, s[0:3], 0 offen
	buffer_load_dword v107, v100, s[0:3], 0 offen offset:4
	v_mov_b32_e32 v100, s54
	v_cmp_eq_u32_e32 vcc_lo, 0, v97
	s_add_i32 s54, s54, 16
	ds_read_b128 v[102:105], v100
	s_or_b32 s5, vcc_lo, s5
	s_waitcnt vmcnt(2) lgkmcnt(0)
	v_mul_f64 v[108:109], v[104:105], v[98:99]
	v_mul_f64 v[98:99], v[102:103], v[98:99]
	s_waitcnt vmcnt(0)
	v_fma_f64 v[102:103], v[102:103], v[106:107], -v[108:109]
	v_fma_f64 v[98:99], v[104:105], v[106:107], v[98:99]
	v_add_f64 v[1:2], v[1:2], v[102:103]
	v_add_f64 v[3:4], v[3:4], v[98:99]
	s_andn2_b32 exec_lo, exec_lo, s5
	s_cbranch_execnz .LBB108_216
; %bb.217:
	s_or_b32 exec_lo, exec_lo, s5
.LBB108_218:
	s_or_b32 exec_lo, exec_lo, s53
	v_mov_b32_e32 v97, 0
	ds_read_b128 v[97:100], v97 offset:272
	s_waitcnt lgkmcnt(0)
	v_mul_f64 v[102:103], v[3:4], v[99:100]
	v_mul_f64 v[99:100], v[1:2], v[99:100]
	v_fma_f64 v[1:2], v[1:2], v[97:98], -v[102:103]
	v_fma_f64 v[3:4], v[3:4], v[97:98], v[99:100]
	buffer_store_dword v2, off, s[0:3], 0 offset:276
	buffer_store_dword v1, off, s[0:3], 0 offset:272
	;; [unrolled: 1-line block ×4, first 2 shown]
.LBB108_219:
	s_or_b32 exec_lo, exec_lo, s8
	v_mov_b32_e32 v4, s36
	v_cmp_lt_u32_e64 s5, 16, v0
	s_clause 0x3
	buffer_load_dword v1, v4, s[0:3], 0 offen
	buffer_load_dword v2, v4, s[0:3], 0 offen offset:4
	buffer_load_dword v3, v4, s[0:3], 0 offen offset:8
	;; [unrolled: 1-line block ×3, first 2 shown]
	s_waitcnt vmcnt(0)
	ds_write_b128 v96, v[1:4]
	s_waitcnt lgkmcnt(0)
	s_waitcnt_vscnt null, 0x0
	s_barrier
	buffer_gl0_inv
	s_and_saveexec_b32 s8, s5
	s_cbranch_execz .LBB108_227
; %bb.220:
	ds_read_b128 v[1:4], v96
	s_andn2_b32 vcc_lo, exec_lo, s52
	s_cbranch_vccnz .LBB108_222
; %bb.221:
	s_clause 0x3
	buffer_load_dword v97, v95, s[0:3], 0 offen offset:8
	buffer_load_dword v98, v95, s[0:3], 0 offen offset:12
	buffer_load_dword v99, v95, s[0:3], 0 offen
	buffer_load_dword v100, v95, s[0:3], 0 offen offset:4
	s_waitcnt vmcnt(2) lgkmcnt(0)
	v_mul_f64 v[102:103], v[3:4], v[97:98]
	v_mul_f64 v[97:98], v[1:2], v[97:98]
	s_waitcnt vmcnt(0)
	v_fma_f64 v[1:2], v[1:2], v[99:100], -v[102:103]
	v_fma_f64 v[3:4], v[3:4], v[99:100], v[97:98]
.LBB108_222:
	s_and_saveexec_b32 s53, s4
	s_cbranch_execz .LBB108_226
; %bb.223:
	v_subrev_nc_u32_e32 v97, 17, v0
	s_movk_i32 s54, 0x3e0
	s_mov_b32 s4, 0
	s_mov_b32 s55, s35
	.p2align	6
.LBB108_224:                            ; =>This Inner Loop Header: Depth=1
	v_mov_b32_e32 v100, s55
	v_add_nc_u32_e32 v97, -1, v97
	s_add_i32 s55, s55, 16
	s_clause 0x3
	buffer_load_dword v98, v100, s[0:3], 0 offen offset:8
	buffer_load_dword v99, v100, s[0:3], 0 offen offset:12
	buffer_load_dword v106, v100, s[0:3], 0 offen
	buffer_load_dword v107, v100, s[0:3], 0 offen offset:4
	v_mov_b32_e32 v100, s54
	v_cmp_eq_u32_e32 vcc_lo, 0, v97
	s_add_i32 s54, s54, 16
	ds_read_b128 v[102:105], v100
	s_or_b32 s4, vcc_lo, s4
	s_waitcnt vmcnt(2) lgkmcnt(0)
	v_mul_f64 v[108:109], v[104:105], v[98:99]
	v_mul_f64 v[98:99], v[102:103], v[98:99]
	s_waitcnt vmcnt(0)
	v_fma_f64 v[102:103], v[102:103], v[106:107], -v[108:109]
	v_fma_f64 v[98:99], v[104:105], v[106:107], v[98:99]
	v_add_f64 v[1:2], v[1:2], v[102:103]
	v_add_f64 v[3:4], v[3:4], v[98:99]
	s_andn2_b32 exec_lo, exec_lo, s4
	s_cbranch_execnz .LBB108_224
; %bb.225:
	s_or_b32 exec_lo, exec_lo, s4
.LBB108_226:
	s_or_b32 exec_lo, exec_lo, s53
	v_mov_b32_e32 v97, 0
	ds_read_b128 v[97:100], v97 offset:256
	s_waitcnt lgkmcnt(0)
	v_mul_f64 v[102:103], v[3:4], v[99:100]
	v_mul_f64 v[99:100], v[1:2], v[99:100]
	v_fma_f64 v[1:2], v[1:2], v[97:98], -v[102:103]
	v_fma_f64 v[3:4], v[3:4], v[97:98], v[99:100]
	buffer_store_dword v2, off, s[0:3], 0 offset:260
	buffer_store_dword v1, off, s[0:3], 0 offset:256
	buffer_store_dword v4, off, s[0:3], 0 offset:268
	buffer_store_dword v3, off, s[0:3], 0 offset:264
.LBB108_227:
	s_or_b32 exec_lo, exec_lo, s8
	v_mov_b32_e32 v4, s37
	v_cmp_lt_u32_e64 s4, 15, v0
	s_clause 0x3
	buffer_load_dword v1, v4, s[0:3], 0 offen
	buffer_load_dword v2, v4, s[0:3], 0 offen offset:4
	buffer_load_dword v3, v4, s[0:3], 0 offen offset:8
	;; [unrolled: 1-line block ×3, first 2 shown]
	s_waitcnt vmcnt(0)
	ds_write_b128 v96, v[1:4]
	s_waitcnt lgkmcnt(0)
	s_waitcnt_vscnt null, 0x0
	s_barrier
	buffer_gl0_inv
	s_and_saveexec_b32 s8, s4
	s_cbranch_execz .LBB108_235
; %bb.228:
	ds_read_b128 v[1:4], v96
	s_andn2_b32 vcc_lo, exec_lo, s52
	s_cbranch_vccnz .LBB108_230
; %bb.229:
	s_clause 0x3
	buffer_load_dword v97, v95, s[0:3], 0 offen offset:8
	buffer_load_dword v98, v95, s[0:3], 0 offen offset:12
	buffer_load_dword v99, v95, s[0:3], 0 offen
	buffer_load_dword v100, v95, s[0:3], 0 offen offset:4
	s_waitcnt vmcnt(2) lgkmcnt(0)
	v_mul_f64 v[102:103], v[3:4], v[97:98]
	v_mul_f64 v[97:98], v[1:2], v[97:98]
	s_waitcnt vmcnt(0)
	v_fma_f64 v[1:2], v[1:2], v[99:100], -v[102:103]
	v_fma_f64 v[3:4], v[3:4], v[99:100], v[97:98]
.LBB108_230:
	s_and_saveexec_b32 s53, s5
	s_cbranch_execz .LBB108_234
; %bb.231:
	v_add_nc_u32_e32 v97, -16, v0
	s_movk_i32 s54, 0x3d0
	s_mov_b32 s5, 0
	s_mov_b32 s55, s36
	.p2align	6
.LBB108_232:                            ; =>This Inner Loop Header: Depth=1
	v_mov_b32_e32 v100, s55
	v_add_nc_u32_e32 v97, -1, v97
	s_add_i32 s55, s55, 16
	s_clause 0x3
	buffer_load_dword v98, v100, s[0:3], 0 offen offset:8
	buffer_load_dword v99, v100, s[0:3], 0 offen offset:12
	buffer_load_dword v106, v100, s[0:3], 0 offen
	buffer_load_dword v107, v100, s[0:3], 0 offen offset:4
	v_mov_b32_e32 v100, s54
	v_cmp_eq_u32_e32 vcc_lo, 0, v97
	s_add_i32 s54, s54, 16
	ds_read_b128 v[102:105], v100
	s_or_b32 s5, vcc_lo, s5
	s_waitcnt vmcnt(2) lgkmcnt(0)
	v_mul_f64 v[108:109], v[104:105], v[98:99]
	v_mul_f64 v[98:99], v[102:103], v[98:99]
	s_waitcnt vmcnt(0)
	v_fma_f64 v[102:103], v[102:103], v[106:107], -v[108:109]
	v_fma_f64 v[98:99], v[104:105], v[106:107], v[98:99]
	v_add_f64 v[1:2], v[1:2], v[102:103]
	v_add_f64 v[3:4], v[3:4], v[98:99]
	s_andn2_b32 exec_lo, exec_lo, s5
	s_cbranch_execnz .LBB108_232
; %bb.233:
	s_or_b32 exec_lo, exec_lo, s5
.LBB108_234:
	s_or_b32 exec_lo, exec_lo, s53
	v_mov_b32_e32 v97, 0
	ds_read_b128 v[97:100], v97 offset:240
	s_waitcnt lgkmcnt(0)
	v_mul_f64 v[102:103], v[3:4], v[99:100]
	v_mul_f64 v[99:100], v[1:2], v[99:100]
	v_fma_f64 v[1:2], v[1:2], v[97:98], -v[102:103]
	v_fma_f64 v[3:4], v[3:4], v[97:98], v[99:100]
	buffer_store_dword v2, off, s[0:3], 0 offset:244
	buffer_store_dword v1, off, s[0:3], 0 offset:240
	;; [unrolled: 1-line block ×4, first 2 shown]
.LBB108_235:
	s_or_b32 exec_lo, exec_lo, s8
	v_mov_b32_e32 v4, s38
	v_cmp_lt_u32_e64 s5, 14, v0
	s_clause 0x3
	buffer_load_dword v1, v4, s[0:3], 0 offen
	buffer_load_dword v2, v4, s[0:3], 0 offen offset:4
	buffer_load_dword v3, v4, s[0:3], 0 offen offset:8
	;; [unrolled: 1-line block ×3, first 2 shown]
	s_waitcnt vmcnt(0)
	ds_write_b128 v96, v[1:4]
	s_waitcnt lgkmcnt(0)
	s_waitcnt_vscnt null, 0x0
	s_barrier
	buffer_gl0_inv
	s_and_saveexec_b32 s8, s5
	s_cbranch_execz .LBB108_243
; %bb.236:
	ds_read_b128 v[1:4], v96
	s_andn2_b32 vcc_lo, exec_lo, s52
	s_cbranch_vccnz .LBB108_238
; %bb.237:
	s_clause 0x3
	buffer_load_dword v97, v95, s[0:3], 0 offen offset:8
	buffer_load_dword v98, v95, s[0:3], 0 offen offset:12
	buffer_load_dword v99, v95, s[0:3], 0 offen
	buffer_load_dword v100, v95, s[0:3], 0 offen offset:4
	s_waitcnt vmcnt(2) lgkmcnt(0)
	v_mul_f64 v[102:103], v[3:4], v[97:98]
	v_mul_f64 v[97:98], v[1:2], v[97:98]
	s_waitcnt vmcnt(0)
	v_fma_f64 v[1:2], v[1:2], v[99:100], -v[102:103]
	v_fma_f64 v[3:4], v[3:4], v[99:100], v[97:98]
.LBB108_238:
	s_and_saveexec_b32 s53, s4
	s_cbranch_execz .LBB108_242
; %bb.239:
	v_add_nc_u32_e32 v97, -15, v0
	s_movk_i32 s54, 0x3c0
	s_mov_b32 s4, 0
	s_mov_b32 s55, s37
	.p2align	6
.LBB108_240:                            ; =>This Inner Loop Header: Depth=1
	v_mov_b32_e32 v100, s55
	v_add_nc_u32_e32 v97, -1, v97
	s_add_i32 s55, s55, 16
	s_clause 0x3
	buffer_load_dword v98, v100, s[0:3], 0 offen offset:8
	buffer_load_dword v99, v100, s[0:3], 0 offen offset:12
	buffer_load_dword v106, v100, s[0:3], 0 offen
	buffer_load_dword v107, v100, s[0:3], 0 offen offset:4
	v_mov_b32_e32 v100, s54
	v_cmp_eq_u32_e32 vcc_lo, 0, v97
	s_add_i32 s54, s54, 16
	ds_read_b128 v[102:105], v100
	s_or_b32 s4, vcc_lo, s4
	s_waitcnt vmcnt(2) lgkmcnt(0)
	v_mul_f64 v[108:109], v[104:105], v[98:99]
	v_mul_f64 v[98:99], v[102:103], v[98:99]
	s_waitcnt vmcnt(0)
	v_fma_f64 v[102:103], v[102:103], v[106:107], -v[108:109]
	v_fma_f64 v[98:99], v[104:105], v[106:107], v[98:99]
	v_add_f64 v[1:2], v[1:2], v[102:103]
	v_add_f64 v[3:4], v[3:4], v[98:99]
	s_andn2_b32 exec_lo, exec_lo, s4
	s_cbranch_execnz .LBB108_240
; %bb.241:
	s_or_b32 exec_lo, exec_lo, s4
.LBB108_242:
	s_or_b32 exec_lo, exec_lo, s53
	v_mov_b32_e32 v97, 0
	ds_read_b128 v[97:100], v97 offset:224
	s_waitcnt lgkmcnt(0)
	v_mul_f64 v[102:103], v[3:4], v[99:100]
	v_mul_f64 v[99:100], v[1:2], v[99:100]
	v_fma_f64 v[1:2], v[1:2], v[97:98], -v[102:103]
	v_fma_f64 v[3:4], v[3:4], v[97:98], v[99:100]
	buffer_store_dword v2, off, s[0:3], 0 offset:228
	buffer_store_dword v1, off, s[0:3], 0 offset:224
	;; [unrolled: 1-line block ×4, first 2 shown]
.LBB108_243:
	s_or_b32 exec_lo, exec_lo, s8
	v_mov_b32_e32 v4, s39
	v_cmp_lt_u32_e64 s4, 13, v0
	s_clause 0x3
	buffer_load_dword v1, v4, s[0:3], 0 offen
	buffer_load_dword v2, v4, s[0:3], 0 offen offset:4
	buffer_load_dword v3, v4, s[0:3], 0 offen offset:8
	;; [unrolled: 1-line block ×3, first 2 shown]
	s_waitcnt vmcnt(0)
	ds_write_b128 v96, v[1:4]
	s_waitcnt lgkmcnt(0)
	s_waitcnt_vscnt null, 0x0
	s_barrier
	buffer_gl0_inv
	s_and_saveexec_b32 s8, s4
	s_cbranch_execz .LBB108_251
; %bb.244:
	ds_read_b128 v[1:4], v96
	s_andn2_b32 vcc_lo, exec_lo, s52
	s_cbranch_vccnz .LBB108_246
; %bb.245:
	s_clause 0x3
	buffer_load_dword v97, v95, s[0:3], 0 offen offset:8
	buffer_load_dword v98, v95, s[0:3], 0 offen offset:12
	buffer_load_dword v99, v95, s[0:3], 0 offen
	buffer_load_dword v100, v95, s[0:3], 0 offen offset:4
	s_waitcnt vmcnt(2) lgkmcnt(0)
	v_mul_f64 v[102:103], v[3:4], v[97:98]
	v_mul_f64 v[97:98], v[1:2], v[97:98]
	s_waitcnt vmcnt(0)
	v_fma_f64 v[1:2], v[1:2], v[99:100], -v[102:103]
	v_fma_f64 v[3:4], v[3:4], v[99:100], v[97:98]
.LBB108_246:
	s_and_saveexec_b32 s53, s5
	s_cbranch_execz .LBB108_250
; %bb.247:
	v_add_nc_u32_e32 v97, -14, v0
	s_movk_i32 s54, 0x3b0
	s_mov_b32 s5, 0
	s_mov_b32 s55, s38
	.p2align	6
.LBB108_248:                            ; =>This Inner Loop Header: Depth=1
	v_mov_b32_e32 v100, s55
	v_add_nc_u32_e32 v97, -1, v97
	s_add_i32 s55, s55, 16
	s_clause 0x3
	buffer_load_dword v98, v100, s[0:3], 0 offen offset:8
	buffer_load_dword v99, v100, s[0:3], 0 offen offset:12
	buffer_load_dword v106, v100, s[0:3], 0 offen
	buffer_load_dword v107, v100, s[0:3], 0 offen offset:4
	v_mov_b32_e32 v100, s54
	v_cmp_eq_u32_e32 vcc_lo, 0, v97
	s_add_i32 s54, s54, 16
	ds_read_b128 v[102:105], v100
	s_or_b32 s5, vcc_lo, s5
	s_waitcnt vmcnt(2) lgkmcnt(0)
	v_mul_f64 v[108:109], v[104:105], v[98:99]
	v_mul_f64 v[98:99], v[102:103], v[98:99]
	s_waitcnt vmcnt(0)
	v_fma_f64 v[102:103], v[102:103], v[106:107], -v[108:109]
	v_fma_f64 v[98:99], v[104:105], v[106:107], v[98:99]
	v_add_f64 v[1:2], v[1:2], v[102:103]
	v_add_f64 v[3:4], v[3:4], v[98:99]
	s_andn2_b32 exec_lo, exec_lo, s5
	s_cbranch_execnz .LBB108_248
; %bb.249:
	s_or_b32 exec_lo, exec_lo, s5
.LBB108_250:
	s_or_b32 exec_lo, exec_lo, s53
	v_mov_b32_e32 v97, 0
	ds_read_b128 v[97:100], v97 offset:208
	s_waitcnt lgkmcnt(0)
	v_mul_f64 v[102:103], v[3:4], v[99:100]
	v_mul_f64 v[99:100], v[1:2], v[99:100]
	v_fma_f64 v[1:2], v[1:2], v[97:98], -v[102:103]
	v_fma_f64 v[3:4], v[3:4], v[97:98], v[99:100]
	buffer_store_dword v2, off, s[0:3], 0 offset:212
	buffer_store_dword v1, off, s[0:3], 0 offset:208
	;; [unrolled: 1-line block ×4, first 2 shown]
.LBB108_251:
	s_or_b32 exec_lo, exec_lo, s8
	v_mov_b32_e32 v4, s40
	v_cmp_lt_u32_e64 s5, 12, v0
	s_clause 0x3
	buffer_load_dword v1, v4, s[0:3], 0 offen
	buffer_load_dword v2, v4, s[0:3], 0 offen offset:4
	buffer_load_dword v3, v4, s[0:3], 0 offen offset:8
	;; [unrolled: 1-line block ×3, first 2 shown]
	s_waitcnt vmcnt(0)
	ds_write_b128 v96, v[1:4]
	s_waitcnt lgkmcnt(0)
	s_waitcnt_vscnt null, 0x0
	s_barrier
	buffer_gl0_inv
	s_and_saveexec_b32 s8, s5
	s_cbranch_execz .LBB108_259
; %bb.252:
	ds_read_b128 v[1:4], v96
	s_andn2_b32 vcc_lo, exec_lo, s52
	s_cbranch_vccnz .LBB108_254
; %bb.253:
	s_clause 0x3
	buffer_load_dword v97, v95, s[0:3], 0 offen offset:8
	buffer_load_dword v98, v95, s[0:3], 0 offen offset:12
	buffer_load_dword v99, v95, s[0:3], 0 offen
	buffer_load_dword v100, v95, s[0:3], 0 offen offset:4
	s_waitcnt vmcnt(2) lgkmcnt(0)
	v_mul_f64 v[102:103], v[3:4], v[97:98]
	v_mul_f64 v[97:98], v[1:2], v[97:98]
	s_waitcnt vmcnt(0)
	v_fma_f64 v[1:2], v[1:2], v[99:100], -v[102:103]
	v_fma_f64 v[3:4], v[3:4], v[99:100], v[97:98]
.LBB108_254:
	s_and_saveexec_b32 s53, s4
	s_cbranch_execz .LBB108_258
; %bb.255:
	v_add_nc_u32_e32 v97, -13, v0
	s_movk_i32 s54, 0x3a0
	s_mov_b32 s4, 0
	s_mov_b32 s55, s39
	.p2align	6
.LBB108_256:                            ; =>This Inner Loop Header: Depth=1
	v_mov_b32_e32 v100, s55
	v_add_nc_u32_e32 v97, -1, v97
	s_add_i32 s55, s55, 16
	s_clause 0x3
	buffer_load_dword v98, v100, s[0:3], 0 offen offset:8
	buffer_load_dword v99, v100, s[0:3], 0 offen offset:12
	buffer_load_dword v106, v100, s[0:3], 0 offen
	buffer_load_dword v107, v100, s[0:3], 0 offen offset:4
	v_mov_b32_e32 v100, s54
	v_cmp_eq_u32_e32 vcc_lo, 0, v97
	s_add_i32 s54, s54, 16
	ds_read_b128 v[102:105], v100
	s_or_b32 s4, vcc_lo, s4
	s_waitcnt vmcnt(2) lgkmcnt(0)
	v_mul_f64 v[108:109], v[104:105], v[98:99]
	v_mul_f64 v[98:99], v[102:103], v[98:99]
	s_waitcnt vmcnt(0)
	v_fma_f64 v[102:103], v[102:103], v[106:107], -v[108:109]
	v_fma_f64 v[98:99], v[104:105], v[106:107], v[98:99]
	v_add_f64 v[1:2], v[1:2], v[102:103]
	v_add_f64 v[3:4], v[3:4], v[98:99]
	s_andn2_b32 exec_lo, exec_lo, s4
	s_cbranch_execnz .LBB108_256
; %bb.257:
	s_or_b32 exec_lo, exec_lo, s4
.LBB108_258:
	s_or_b32 exec_lo, exec_lo, s53
	v_mov_b32_e32 v97, 0
	ds_read_b128 v[97:100], v97 offset:192
	s_waitcnt lgkmcnt(0)
	v_mul_f64 v[102:103], v[3:4], v[99:100]
	v_mul_f64 v[99:100], v[1:2], v[99:100]
	v_fma_f64 v[1:2], v[1:2], v[97:98], -v[102:103]
	v_fma_f64 v[3:4], v[3:4], v[97:98], v[99:100]
	buffer_store_dword v2, off, s[0:3], 0 offset:196
	buffer_store_dword v1, off, s[0:3], 0 offset:192
	;; [unrolled: 1-line block ×4, first 2 shown]
.LBB108_259:
	s_or_b32 exec_lo, exec_lo, s8
	v_mov_b32_e32 v4, s41
	v_cmp_lt_u32_e64 s4, 11, v0
	s_clause 0x3
	buffer_load_dword v1, v4, s[0:3], 0 offen
	buffer_load_dword v2, v4, s[0:3], 0 offen offset:4
	buffer_load_dword v3, v4, s[0:3], 0 offen offset:8
	;; [unrolled: 1-line block ×3, first 2 shown]
	s_waitcnt vmcnt(0)
	ds_write_b128 v96, v[1:4]
	s_waitcnt lgkmcnt(0)
	s_waitcnt_vscnt null, 0x0
	s_barrier
	buffer_gl0_inv
	s_and_saveexec_b32 s8, s4
	s_cbranch_execz .LBB108_267
; %bb.260:
	ds_read_b128 v[1:4], v96
	s_andn2_b32 vcc_lo, exec_lo, s52
	s_cbranch_vccnz .LBB108_262
; %bb.261:
	s_clause 0x3
	buffer_load_dword v97, v95, s[0:3], 0 offen offset:8
	buffer_load_dword v98, v95, s[0:3], 0 offen offset:12
	buffer_load_dword v99, v95, s[0:3], 0 offen
	buffer_load_dword v100, v95, s[0:3], 0 offen offset:4
	s_waitcnt vmcnt(2) lgkmcnt(0)
	v_mul_f64 v[102:103], v[3:4], v[97:98]
	v_mul_f64 v[97:98], v[1:2], v[97:98]
	s_waitcnt vmcnt(0)
	v_fma_f64 v[1:2], v[1:2], v[99:100], -v[102:103]
	v_fma_f64 v[3:4], v[3:4], v[99:100], v[97:98]
.LBB108_262:
	s_and_saveexec_b32 s53, s5
	s_cbranch_execz .LBB108_266
; %bb.263:
	v_add_nc_u32_e32 v97, -12, v0
	s_movk_i32 s54, 0x390
	s_mov_b32 s5, 0
	s_mov_b32 s55, s40
	.p2align	6
.LBB108_264:                            ; =>This Inner Loop Header: Depth=1
	v_mov_b32_e32 v100, s55
	v_add_nc_u32_e32 v97, -1, v97
	s_add_i32 s55, s55, 16
	s_clause 0x3
	buffer_load_dword v98, v100, s[0:3], 0 offen offset:8
	buffer_load_dword v99, v100, s[0:3], 0 offen offset:12
	buffer_load_dword v106, v100, s[0:3], 0 offen
	buffer_load_dword v107, v100, s[0:3], 0 offen offset:4
	v_mov_b32_e32 v100, s54
	v_cmp_eq_u32_e32 vcc_lo, 0, v97
	s_add_i32 s54, s54, 16
	ds_read_b128 v[102:105], v100
	s_or_b32 s5, vcc_lo, s5
	s_waitcnt vmcnt(2) lgkmcnt(0)
	v_mul_f64 v[108:109], v[104:105], v[98:99]
	v_mul_f64 v[98:99], v[102:103], v[98:99]
	s_waitcnt vmcnt(0)
	v_fma_f64 v[102:103], v[102:103], v[106:107], -v[108:109]
	v_fma_f64 v[98:99], v[104:105], v[106:107], v[98:99]
	v_add_f64 v[1:2], v[1:2], v[102:103]
	v_add_f64 v[3:4], v[3:4], v[98:99]
	s_andn2_b32 exec_lo, exec_lo, s5
	s_cbranch_execnz .LBB108_264
; %bb.265:
	s_or_b32 exec_lo, exec_lo, s5
.LBB108_266:
	s_or_b32 exec_lo, exec_lo, s53
	v_mov_b32_e32 v97, 0
	ds_read_b128 v[97:100], v97 offset:176
	s_waitcnt lgkmcnt(0)
	v_mul_f64 v[102:103], v[3:4], v[99:100]
	v_mul_f64 v[99:100], v[1:2], v[99:100]
	v_fma_f64 v[1:2], v[1:2], v[97:98], -v[102:103]
	v_fma_f64 v[3:4], v[3:4], v[97:98], v[99:100]
	buffer_store_dword v2, off, s[0:3], 0 offset:180
	buffer_store_dword v1, off, s[0:3], 0 offset:176
	buffer_store_dword v4, off, s[0:3], 0 offset:188
	buffer_store_dword v3, off, s[0:3], 0 offset:184
.LBB108_267:
	s_or_b32 exec_lo, exec_lo, s8
	v_mov_b32_e32 v4, s42
	v_cmp_lt_u32_e64 s5, 10, v0
	s_clause 0x3
	buffer_load_dword v1, v4, s[0:3], 0 offen
	buffer_load_dword v2, v4, s[0:3], 0 offen offset:4
	buffer_load_dword v3, v4, s[0:3], 0 offen offset:8
	;; [unrolled: 1-line block ×3, first 2 shown]
	s_waitcnt vmcnt(0)
	ds_write_b128 v96, v[1:4]
	s_waitcnt lgkmcnt(0)
	s_waitcnt_vscnt null, 0x0
	s_barrier
	buffer_gl0_inv
	s_and_saveexec_b32 s8, s5
	s_cbranch_execz .LBB108_275
; %bb.268:
	ds_read_b128 v[1:4], v96
	s_andn2_b32 vcc_lo, exec_lo, s52
	s_cbranch_vccnz .LBB108_270
; %bb.269:
	s_clause 0x3
	buffer_load_dword v97, v95, s[0:3], 0 offen offset:8
	buffer_load_dword v98, v95, s[0:3], 0 offen offset:12
	buffer_load_dword v99, v95, s[0:3], 0 offen
	buffer_load_dword v100, v95, s[0:3], 0 offen offset:4
	s_waitcnt vmcnt(2) lgkmcnt(0)
	v_mul_f64 v[102:103], v[3:4], v[97:98]
	v_mul_f64 v[97:98], v[1:2], v[97:98]
	s_waitcnt vmcnt(0)
	v_fma_f64 v[1:2], v[1:2], v[99:100], -v[102:103]
	v_fma_f64 v[3:4], v[3:4], v[99:100], v[97:98]
.LBB108_270:
	s_and_saveexec_b32 s53, s4
	s_cbranch_execz .LBB108_274
; %bb.271:
	v_add_nc_u32_e32 v97, -11, v0
	s_movk_i32 s54, 0x380
	s_mov_b32 s4, 0
	s_mov_b32 s55, s41
	.p2align	6
.LBB108_272:                            ; =>This Inner Loop Header: Depth=1
	v_mov_b32_e32 v100, s55
	v_add_nc_u32_e32 v97, -1, v97
	s_add_i32 s55, s55, 16
	s_clause 0x3
	buffer_load_dword v98, v100, s[0:3], 0 offen offset:8
	buffer_load_dword v99, v100, s[0:3], 0 offen offset:12
	buffer_load_dword v106, v100, s[0:3], 0 offen
	buffer_load_dword v107, v100, s[0:3], 0 offen offset:4
	v_mov_b32_e32 v100, s54
	v_cmp_eq_u32_e32 vcc_lo, 0, v97
	s_add_i32 s54, s54, 16
	ds_read_b128 v[102:105], v100
	s_or_b32 s4, vcc_lo, s4
	s_waitcnt vmcnt(2) lgkmcnt(0)
	v_mul_f64 v[108:109], v[104:105], v[98:99]
	v_mul_f64 v[98:99], v[102:103], v[98:99]
	s_waitcnt vmcnt(0)
	v_fma_f64 v[102:103], v[102:103], v[106:107], -v[108:109]
	v_fma_f64 v[98:99], v[104:105], v[106:107], v[98:99]
	v_add_f64 v[1:2], v[1:2], v[102:103]
	v_add_f64 v[3:4], v[3:4], v[98:99]
	s_andn2_b32 exec_lo, exec_lo, s4
	s_cbranch_execnz .LBB108_272
; %bb.273:
	s_or_b32 exec_lo, exec_lo, s4
.LBB108_274:
	s_or_b32 exec_lo, exec_lo, s53
	v_mov_b32_e32 v97, 0
	ds_read_b128 v[97:100], v97 offset:160
	s_waitcnt lgkmcnt(0)
	v_mul_f64 v[102:103], v[3:4], v[99:100]
	v_mul_f64 v[99:100], v[1:2], v[99:100]
	v_fma_f64 v[1:2], v[1:2], v[97:98], -v[102:103]
	v_fma_f64 v[3:4], v[3:4], v[97:98], v[99:100]
	buffer_store_dword v2, off, s[0:3], 0 offset:164
	buffer_store_dword v1, off, s[0:3], 0 offset:160
	;; [unrolled: 1-line block ×4, first 2 shown]
.LBB108_275:
	s_or_b32 exec_lo, exec_lo, s8
	v_mov_b32_e32 v4, s43
	v_cmp_lt_u32_e64 s4, 9, v0
	s_clause 0x3
	buffer_load_dword v1, v4, s[0:3], 0 offen
	buffer_load_dword v2, v4, s[0:3], 0 offen offset:4
	buffer_load_dword v3, v4, s[0:3], 0 offen offset:8
	;; [unrolled: 1-line block ×3, first 2 shown]
	s_waitcnt vmcnt(0)
	ds_write_b128 v96, v[1:4]
	s_waitcnt lgkmcnt(0)
	s_waitcnt_vscnt null, 0x0
	s_barrier
	buffer_gl0_inv
	s_and_saveexec_b32 s8, s4
	s_cbranch_execz .LBB108_283
; %bb.276:
	ds_read_b128 v[1:4], v96
	s_andn2_b32 vcc_lo, exec_lo, s52
	s_cbranch_vccnz .LBB108_278
; %bb.277:
	s_clause 0x3
	buffer_load_dword v97, v95, s[0:3], 0 offen offset:8
	buffer_load_dword v98, v95, s[0:3], 0 offen offset:12
	buffer_load_dword v99, v95, s[0:3], 0 offen
	buffer_load_dword v100, v95, s[0:3], 0 offen offset:4
	s_waitcnt vmcnt(2) lgkmcnt(0)
	v_mul_f64 v[102:103], v[3:4], v[97:98]
	v_mul_f64 v[97:98], v[1:2], v[97:98]
	s_waitcnt vmcnt(0)
	v_fma_f64 v[1:2], v[1:2], v[99:100], -v[102:103]
	v_fma_f64 v[3:4], v[3:4], v[99:100], v[97:98]
.LBB108_278:
	s_and_saveexec_b32 s53, s5
	s_cbranch_execz .LBB108_282
; %bb.279:
	v_add_nc_u32_e32 v97, -10, v0
	s_movk_i32 s54, 0x370
	s_mov_b32 s5, 0
	s_mov_b32 s55, s42
	.p2align	6
.LBB108_280:                            ; =>This Inner Loop Header: Depth=1
	v_mov_b32_e32 v100, s55
	v_add_nc_u32_e32 v97, -1, v97
	s_add_i32 s55, s55, 16
	s_clause 0x3
	buffer_load_dword v98, v100, s[0:3], 0 offen offset:8
	buffer_load_dword v99, v100, s[0:3], 0 offen offset:12
	buffer_load_dword v106, v100, s[0:3], 0 offen
	buffer_load_dword v107, v100, s[0:3], 0 offen offset:4
	v_mov_b32_e32 v100, s54
	v_cmp_eq_u32_e32 vcc_lo, 0, v97
	s_add_i32 s54, s54, 16
	ds_read_b128 v[102:105], v100
	s_or_b32 s5, vcc_lo, s5
	s_waitcnt vmcnt(2) lgkmcnt(0)
	v_mul_f64 v[108:109], v[104:105], v[98:99]
	v_mul_f64 v[98:99], v[102:103], v[98:99]
	s_waitcnt vmcnt(0)
	v_fma_f64 v[102:103], v[102:103], v[106:107], -v[108:109]
	v_fma_f64 v[98:99], v[104:105], v[106:107], v[98:99]
	v_add_f64 v[1:2], v[1:2], v[102:103]
	v_add_f64 v[3:4], v[3:4], v[98:99]
	s_andn2_b32 exec_lo, exec_lo, s5
	s_cbranch_execnz .LBB108_280
; %bb.281:
	s_or_b32 exec_lo, exec_lo, s5
.LBB108_282:
	s_or_b32 exec_lo, exec_lo, s53
	v_mov_b32_e32 v97, 0
	ds_read_b128 v[97:100], v97 offset:144
	s_waitcnt lgkmcnt(0)
	v_mul_f64 v[102:103], v[3:4], v[99:100]
	v_mul_f64 v[99:100], v[1:2], v[99:100]
	v_fma_f64 v[1:2], v[1:2], v[97:98], -v[102:103]
	v_fma_f64 v[3:4], v[3:4], v[97:98], v[99:100]
	buffer_store_dword v2, off, s[0:3], 0 offset:148
	buffer_store_dword v1, off, s[0:3], 0 offset:144
	;; [unrolled: 1-line block ×4, first 2 shown]
.LBB108_283:
	s_or_b32 exec_lo, exec_lo, s8
	v_mov_b32_e32 v4, s44
	v_cmp_lt_u32_e64 s5, 8, v0
	s_clause 0x3
	buffer_load_dword v1, v4, s[0:3], 0 offen
	buffer_load_dword v2, v4, s[0:3], 0 offen offset:4
	buffer_load_dword v3, v4, s[0:3], 0 offen offset:8
	;; [unrolled: 1-line block ×3, first 2 shown]
	s_waitcnt vmcnt(0)
	ds_write_b128 v96, v[1:4]
	s_waitcnt lgkmcnt(0)
	s_waitcnt_vscnt null, 0x0
	s_barrier
	buffer_gl0_inv
	s_and_saveexec_b32 s8, s5
	s_cbranch_execz .LBB108_291
; %bb.284:
	ds_read_b128 v[1:4], v96
	s_andn2_b32 vcc_lo, exec_lo, s52
	s_cbranch_vccnz .LBB108_286
; %bb.285:
	s_clause 0x3
	buffer_load_dword v97, v95, s[0:3], 0 offen offset:8
	buffer_load_dword v98, v95, s[0:3], 0 offen offset:12
	buffer_load_dword v99, v95, s[0:3], 0 offen
	buffer_load_dword v100, v95, s[0:3], 0 offen offset:4
	s_waitcnt vmcnt(2) lgkmcnt(0)
	v_mul_f64 v[102:103], v[3:4], v[97:98]
	v_mul_f64 v[97:98], v[1:2], v[97:98]
	s_waitcnt vmcnt(0)
	v_fma_f64 v[1:2], v[1:2], v[99:100], -v[102:103]
	v_fma_f64 v[3:4], v[3:4], v[99:100], v[97:98]
.LBB108_286:
	s_and_saveexec_b32 s53, s4
	s_cbranch_execz .LBB108_290
; %bb.287:
	v_add_nc_u32_e32 v97, -9, v0
	s_movk_i32 s54, 0x360
	s_mov_b32 s4, 0
	s_mov_b32 s55, s43
	.p2align	6
.LBB108_288:                            ; =>This Inner Loop Header: Depth=1
	v_mov_b32_e32 v100, s55
	v_add_nc_u32_e32 v97, -1, v97
	s_add_i32 s55, s55, 16
	s_clause 0x3
	buffer_load_dword v98, v100, s[0:3], 0 offen offset:8
	buffer_load_dword v99, v100, s[0:3], 0 offen offset:12
	buffer_load_dword v106, v100, s[0:3], 0 offen
	buffer_load_dword v107, v100, s[0:3], 0 offen offset:4
	v_mov_b32_e32 v100, s54
	v_cmp_eq_u32_e32 vcc_lo, 0, v97
	s_add_i32 s54, s54, 16
	ds_read_b128 v[102:105], v100
	s_or_b32 s4, vcc_lo, s4
	s_waitcnt vmcnt(2) lgkmcnt(0)
	v_mul_f64 v[108:109], v[104:105], v[98:99]
	v_mul_f64 v[98:99], v[102:103], v[98:99]
	s_waitcnt vmcnt(0)
	v_fma_f64 v[102:103], v[102:103], v[106:107], -v[108:109]
	v_fma_f64 v[98:99], v[104:105], v[106:107], v[98:99]
	v_add_f64 v[1:2], v[1:2], v[102:103]
	v_add_f64 v[3:4], v[3:4], v[98:99]
	s_andn2_b32 exec_lo, exec_lo, s4
	s_cbranch_execnz .LBB108_288
; %bb.289:
	s_or_b32 exec_lo, exec_lo, s4
.LBB108_290:
	s_or_b32 exec_lo, exec_lo, s53
	v_mov_b32_e32 v97, 0
	ds_read_b128 v[97:100], v97 offset:128
	s_waitcnt lgkmcnt(0)
	v_mul_f64 v[102:103], v[3:4], v[99:100]
	v_mul_f64 v[99:100], v[1:2], v[99:100]
	v_fma_f64 v[1:2], v[1:2], v[97:98], -v[102:103]
	v_fma_f64 v[3:4], v[3:4], v[97:98], v[99:100]
	buffer_store_dword v2, off, s[0:3], 0 offset:132
	buffer_store_dword v1, off, s[0:3], 0 offset:128
	;; [unrolled: 1-line block ×4, first 2 shown]
.LBB108_291:
	s_or_b32 exec_lo, exec_lo, s8
	v_mov_b32_e32 v4, s45
	v_cmp_lt_u32_e64 s4, 7, v0
	s_clause 0x3
	buffer_load_dword v1, v4, s[0:3], 0 offen
	buffer_load_dword v2, v4, s[0:3], 0 offen offset:4
	buffer_load_dword v3, v4, s[0:3], 0 offen offset:8
	;; [unrolled: 1-line block ×3, first 2 shown]
	s_waitcnt vmcnt(0)
	ds_write_b128 v96, v[1:4]
	s_waitcnt lgkmcnt(0)
	s_waitcnt_vscnt null, 0x0
	s_barrier
	buffer_gl0_inv
	s_and_saveexec_b32 s8, s4
	s_cbranch_execz .LBB108_299
; %bb.292:
	ds_read_b128 v[1:4], v96
	s_andn2_b32 vcc_lo, exec_lo, s52
	s_cbranch_vccnz .LBB108_294
; %bb.293:
	s_clause 0x3
	buffer_load_dword v97, v95, s[0:3], 0 offen offset:8
	buffer_load_dword v98, v95, s[0:3], 0 offen offset:12
	buffer_load_dword v99, v95, s[0:3], 0 offen
	buffer_load_dword v100, v95, s[0:3], 0 offen offset:4
	s_waitcnt vmcnt(2) lgkmcnt(0)
	v_mul_f64 v[102:103], v[3:4], v[97:98]
	v_mul_f64 v[97:98], v[1:2], v[97:98]
	s_waitcnt vmcnt(0)
	v_fma_f64 v[1:2], v[1:2], v[99:100], -v[102:103]
	v_fma_f64 v[3:4], v[3:4], v[99:100], v[97:98]
.LBB108_294:
	s_and_saveexec_b32 s53, s5
	s_cbranch_execz .LBB108_298
; %bb.295:
	v_add_nc_u32_e32 v97, -8, v0
	s_movk_i32 s54, 0x350
	s_mov_b32 s5, 0
	s_mov_b32 s55, s44
	.p2align	6
.LBB108_296:                            ; =>This Inner Loop Header: Depth=1
	v_mov_b32_e32 v100, s55
	v_add_nc_u32_e32 v97, -1, v97
	s_add_i32 s55, s55, 16
	s_clause 0x3
	buffer_load_dword v98, v100, s[0:3], 0 offen offset:8
	buffer_load_dword v99, v100, s[0:3], 0 offen offset:12
	buffer_load_dword v106, v100, s[0:3], 0 offen
	buffer_load_dword v107, v100, s[0:3], 0 offen offset:4
	v_mov_b32_e32 v100, s54
	v_cmp_eq_u32_e32 vcc_lo, 0, v97
	s_add_i32 s54, s54, 16
	ds_read_b128 v[102:105], v100
	s_or_b32 s5, vcc_lo, s5
	s_waitcnt vmcnt(2) lgkmcnt(0)
	v_mul_f64 v[108:109], v[104:105], v[98:99]
	v_mul_f64 v[98:99], v[102:103], v[98:99]
	s_waitcnt vmcnt(0)
	v_fma_f64 v[102:103], v[102:103], v[106:107], -v[108:109]
	v_fma_f64 v[98:99], v[104:105], v[106:107], v[98:99]
	v_add_f64 v[1:2], v[1:2], v[102:103]
	v_add_f64 v[3:4], v[3:4], v[98:99]
	s_andn2_b32 exec_lo, exec_lo, s5
	s_cbranch_execnz .LBB108_296
; %bb.297:
	s_or_b32 exec_lo, exec_lo, s5
.LBB108_298:
	s_or_b32 exec_lo, exec_lo, s53
	v_mov_b32_e32 v97, 0
	ds_read_b128 v[97:100], v97 offset:112
	s_waitcnt lgkmcnt(0)
	v_mul_f64 v[102:103], v[3:4], v[99:100]
	v_mul_f64 v[99:100], v[1:2], v[99:100]
	v_fma_f64 v[1:2], v[1:2], v[97:98], -v[102:103]
	v_fma_f64 v[3:4], v[3:4], v[97:98], v[99:100]
	buffer_store_dword v2, off, s[0:3], 0 offset:116
	buffer_store_dword v1, off, s[0:3], 0 offset:112
	;; [unrolled: 1-line block ×4, first 2 shown]
.LBB108_299:
	s_or_b32 exec_lo, exec_lo, s8
	v_mov_b32_e32 v4, s46
	v_cmp_lt_u32_e64 s5, 6, v0
	s_clause 0x3
	buffer_load_dword v1, v4, s[0:3], 0 offen
	buffer_load_dword v2, v4, s[0:3], 0 offen offset:4
	buffer_load_dword v3, v4, s[0:3], 0 offen offset:8
	;; [unrolled: 1-line block ×3, first 2 shown]
	s_waitcnt vmcnt(0)
	ds_write_b128 v96, v[1:4]
	s_waitcnt lgkmcnt(0)
	s_waitcnt_vscnt null, 0x0
	s_barrier
	buffer_gl0_inv
	s_and_saveexec_b32 s8, s5
	s_cbranch_execz .LBB108_307
; %bb.300:
	ds_read_b128 v[1:4], v96
	s_andn2_b32 vcc_lo, exec_lo, s52
	s_cbranch_vccnz .LBB108_302
; %bb.301:
	s_clause 0x3
	buffer_load_dword v97, v95, s[0:3], 0 offen offset:8
	buffer_load_dword v98, v95, s[0:3], 0 offen offset:12
	buffer_load_dword v99, v95, s[0:3], 0 offen
	buffer_load_dword v100, v95, s[0:3], 0 offen offset:4
	s_waitcnt vmcnt(2) lgkmcnt(0)
	v_mul_f64 v[102:103], v[3:4], v[97:98]
	v_mul_f64 v[97:98], v[1:2], v[97:98]
	s_waitcnt vmcnt(0)
	v_fma_f64 v[1:2], v[1:2], v[99:100], -v[102:103]
	v_fma_f64 v[3:4], v[3:4], v[99:100], v[97:98]
.LBB108_302:
	s_and_saveexec_b32 s53, s4
	s_cbranch_execz .LBB108_306
; %bb.303:
	v_add_nc_u32_e32 v97, -7, v0
	s_movk_i32 s54, 0x340
	s_mov_b32 s4, 0
	s_mov_b32 s55, s45
	.p2align	6
.LBB108_304:                            ; =>This Inner Loop Header: Depth=1
	v_mov_b32_e32 v100, s55
	v_add_nc_u32_e32 v97, -1, v97
	s_add_i32 s55, s55, 16
	s_clause 0x3
	buffer_load_dword v98, v100, s[0:3], 0 offen offset:8
	buffer_load_dword v99, v100, s[0:3], 0 offen offset:12
	buffer_load_dword v106, v100, s[0:3], 0 offen
	buffer_load_dword v107, v100, s[0:3], 0 offen offset:4
	v_mov_b32_e32 v100, s54
	v_cmp_eq_u32_e32 vcc_lo, 0, v97
	s_add_i32 s54, s54, 16
	ds_read_b128 v[102:105], v100
	s_or_b32 s4, vcc_lo, s4
	s_waitcnt vmcnt(2) lgkmcnt(0)
	v_mul_f64 v[108:109], v[104:105], v[98:99]
	v_mul_f64 v[98:99], v[102:103], v[98:99]
	s_waitcnt vmcnt(0)
	v_fma_f64 v[102:103], v[102:103], v[106:107], -v[108:109]
	v_fma_f64 v[98:99], v[104:105], v[106:107], v[98:99]
	v_add_f64 v[1:2], v[1:2], v[102:103]
	v_add_f64 v[3:4], v[3:4], v[98:99]
	s_andn2_b32 exec_lo, exec_lo, s4
	s_cbranch_execnz .LBB108_304
; %bb.305:
	s_or_b32 exec_lo, exec_lo, s4
.LBB108_306:
	s_or_b32 exec_lo, exec_lo, s53
	v_mov_b32_e32 v97, 0
	ds_read_b128 v[97:100], v97 offset:96
	s_waitcnt lgkmcnt(0)
	v_mul_f64 v[102:103], v[3:4], v[99:100]
	v_mul_f64 v[99:100], v[1:2], v[99:100]
	v_fma_f64 v[1:2], v[1:2], v[97:98], -v[102:103]
	v_fma_f64 v[3:4], v[3:4], v[97:98], v[99:100]
	buffer_store_dword v2, off, s[0:3], 0 offset:100
	buffer_store_dword v1, off, s[0:3], 0 offset:96
	;; [unrolled: 1-line block ×4, first 2 shown]
.LBB108_307:
	s_or_b32 exec_lo, exec_lo, s8
	v_mov_b32_e32 v4, s47
	v_cmp_lt_u32_e64 s4, 5, v0
	s_clause 0x3
	buffer_load_dword v1, v4, s[0:3], 0 offen
	buffer_load_dword v2, v4, s[0:3], 0 offen offset:4
	buffer_load_dword v3, v4, s[0:3], 0 offen offset:8
	;; [unrolled: 1-line block ×3, first 2 shown]
	s_waitcnt vmcnt(0)
	ds_write_b128 v96, v[1:4]
	s_waitcnt lgkmcnt(0)
	s_waitcnt_vscnt null, 0x0
	s_barrier
	buffer_gl0_inv
	s_and_saveexec_b32 s8, s4
	s_cbranch_execz .LBB108_315
; %bb.308:
	ds_read_b128 v[1:4], v96
	s_andn2_b32 vcc_lo, exec_lo, s52
	s_cbranch_vccnz .LBB108_310
; %bb.309:
	s_clause 0x3
	buffer_load_dword v97, v95, s[0:3], 0 offen offset:8
	buffer_load_dword v98, v95, s[0:3], 0 offen offset:12
	buffer_load_dword v99, v95, s[0:3], 0 offen
	buffer_load_dword v100, v95, s[0:3], 0 offen offset:4
	s_waitcnt vmcnt(2) lgkmcnt(0)
	v_mul_f64 v[102:103], v[3:4], v[97:98]
	v_mul_f64 v[97:98], v[1:2], v[97:98]
	s_waitcnt vmcnt(0)
	v_fma_f64 v[1:2], v[1:2], v[99:100], -v[102:103]
	v_fma_f64 v[3:4], v[3:4], v[99:100], v[97:98]
.LBB108_310:
	s_and_saveexec_b32 s53, s5
	s_cbranch_execz .LBB108_314
; %bb.311:
	v_add_nc_u32_e32 v97, -6, v0
	s_movk_i32 s54, 0x330
	s_mov_b32 s5, 0
	s_mov_b32 s55, s46
	.p2align	6
.LBB108_312:                            ; =>This Inner Loop Header: Depth=1
	v_mov_b32_e32 v100, s55
	v_add_nc_u32_e32 v97, -1, v97
	s_add_i32 s55, s55, 16
	s_clause 0x3
	buffer_load_dword v98, v100, s[0:3], 0 offen offset:8
	buffer_load_dword v99, v100, s[0:3], 0 offen offset:12
	buffer_load_dword v106, v100, s[0:3], 0 offen
	buffer_load_dword v107, v100, s[0:3], 0 offen offset:4
	v_mov_b32_e32 v100, s54
	v_cmp_eq_u32_e32 vcc_lo, 0, v97
	s_add_i32 s54, s54, 16
	ds_read_b128 v[102:105], v100
	s_or_b32 s5, vcc_lo, s5
	s_waitcnt vmcnt(2) lgkmcnt(0)
	v_mul_f64 v[108:109], v[104:105], v[98:99]
	v_mul_f64 v[98:99], v[102:103], v[98:99]
	s_waitcnt vmcnt(0)
	v_fma_f64 v[102:103], v[102:103], v[106:107], -v[108:109]
	v_fma_f64 v[98:99], v[104:105], v[106:107], v[98:99]
	v_add_f64 v[1:2], v[1:2], v[102:103]
	v_add_f64 v[3:4], v[3:4], v[98:99]
	s_andn2_b32 exec_lo, exec_lo, s5
	s_cbranch_execnz .LBB108_312
; %bb.313:
	s_or_b32 exec_lo, exec_lo, s5
.LBB108_314:
	s_or_b32 exec_lo, exec_lo, s53
	v_mov_b32_e32 v97, 0
	ds_read_b128 v[97:100], v97 offset:80
	s_waitcnt lgkmcnt(0)
	v_mul_f64 v[102:103], v[3:4], v[99:100]
	v_mul_f64 v[99:100], v[1:2], v[99:100]
	v_fma_f64 v[1:2], v[1:2], v[97:98], -v[102:103]
	v_fma_f64 v[3:4], v[3:4], v[97:98], v[99:100]
	buffer_store_dword v2, off, s[0:3], 0 offset:84
	buffer_store_dword v1, off, s[0:3], 0 offset:80
	;; [unrolled: 1-line block ×4, first 2 shown]
.LBB108_315:
	s_or_b32 exec_lo, exec_lo, s8
	v_mov_b32_e32 v4, s48
	v_cmp_lt_u32_e64 s5, 4, v0
	s_clause 0x3
	buffer_load_dword v1, v4, s[0:3], 0 offen
	buffer_load_dword v2, v4, s[0:3], 0 offen offset:4
	buffer_load_dword v3, v4, s[0:3], 0 offen offset:8
	;; [unrolled: 1-line block ×3, first 2 shown]
	s_waitcnt vmcnt(0)
	ds_write_b128 v96, v[1:4]
	s_waitcnt lgkmcnt(0)
	s_waitcnt_vscnt null, 0x0
	s_barrier
	buffer_gl0_inv
	s_and_saveexec_b32 s8, s5
	s_cbranch_execz .LBB108_323
; %bb.316:
	ds_read_b128 v[1:4], v96
	s_andn2_b32 vcc_lo, exec_lo, s52
	s_cbranch_vccnz .LBB108_318
; %bb.317:
	s_clause 0x3
	buffer_load_dword v97, v95, s[0:3], 0 offen offset:8
	buffer_load_dword v98, v95, s[0:3], 0 offen offset:12
	buffer_load_dword v99, v95, s[0:3], 0 offen
	buffer_load_dword v100, v95, s[0:3], 0 offen offset:4
	s_waitcnt vmcnt(2) lgkmcnt(0)
	v_mul_f64 v[102:103], v[3:4], v[97:98]
	v_mul_f64 v[97:98], v[1:2], v[97:98]
	s_waitcnt vmcnt(0)
	v_fma_f64 v[1:2], v[1:2], v[99:100], -v[102:103]
	v_fma_f64 v[3:4], v[3:4], v[99:100], v[97:98]
.LBB108_318:
	s_and_saveexec_b32 s53, s4
	s_cbranch_execz .LBB108_322
; %bb.319:
	v_add_nc_u32_e32 v97, -5, v0
	s_movk_i32 s54, 0x320
	s_mov_b32 s4, 0
	s_mov_b32 s55, s47
	.p2align	6
.LBB108_320:                            ; =>This Inner Loop Header: Depth=1
	v_mov_b32_e32 v100, s55
	v_add_nc_u32_e32 v97, -1, v97
	s_add_i32 s55, s55, 16
	s_clause 0x3
	buffer_load_dword v98, v100, s[0:3], 0 offen offset:8
	buffer_load_dword v99, v100, s[0:3], 0 offen offset:12
	buffer_load_dword v106, v100, s[0:3], 0 offen
	buffer_load_dword v107, v100, s[0:3], 0 offen offset:4
	v_mov_b32_e32 v100, s54
	v_cmp_eq_u32_e32 vcc_lo, 0, v97
	s_add_i32 s54, s54, 16
	ds_read_b128 v[102:105], v100
	s_or_b32 s4, vcc_lo, s4
	s_waitcnt vmcnt(2) lgkmcnt(0)
	v_mul_f64 v[108:109], v[104:105], v[98:99]
	v_mul_f64 v[98:99], v[102:103], v[98:99]
	s_waitcnt vmcnt(0)
	v_fma_f64 v[102:103], v[102:103], v[106:107], -v[108:109]
	v_fma_f64 v[98:99], v[104:105], v[106:107], v[98:99]
	v_add_f64 v[1:2], v[1:2], v[102:103]
	v_add_f64 v[3:4], v[3:4], v[98:99]
	s_andn2_b32 exec_lo, exec_lo, s4
	s_cbranch_execnz .LBB108_320
; %bb.321:
	s_or_b32 exec_lo, exec_lo, s4
.LBB108_322:
	s_or_b32 exec_lo, exec_lo, s53
	v_mov_b32_e32 v97, 0
	ds_read_b128 v[97:100], v97 offset:64
	s_waitcnt lgkmcnt(0)
	v_mul_f64 v[102:103], v[3:4], v[99:100]
	v_mul_f64 v[99:100], v[1:2], v[99:100]
	v_fma_f64 v[1:2], v[1:2], v[97:98], -v[102:103]
	v_fma_f64 v[3:4], v[3:4], v[97:98], v[99:100]
	buffer_store_dword v2, off, s[0:3], 0 offset:68
	buffer_store_dword v1, off, s[0:3], 0 offset:64
	;; [unrolled: 1-line block ×4, first 2 shown]
.LBB108_323:
	s_or_b32 exec_lo, exec_lo, s8
	v_mov_b32_e32 v4, s49
	v_cmp_lt_u32_e64 s4, 3, v0
	s_clause 0x3
	buffer_load_dword v1, v4, s[0:3], 0 offen
	buffer_load_dword v2, v4, s[0:3], 0 offen offset:4
	buffer_load_dword v3, v4, s[0:3], 0 offen offset:8
	;; [unrolled: 1-line block ×3, first 2 shown]
	s_waitcnt vmcnt(0)
	ds_write_b128 v96, v[1:4]
	s_waitcnt lgkmcnt(0)
	s_waitcnt_vscnt null, 0x0
	s_barrier
	buffer_gl0_inv
	s_and_saveexec_b32 s8, s4
	s_cbranch_execz .LBB108_331
; %bb.324:
	ds_read_b128 v[1:4], v96
	s_andn2_b32 vcc_lo, exec_lo, s52
	s_cbranch_vccnz .LBB108_326
; %bb.325:
	s_clause 0x3
	buffer_load_dword v97, v95, s[0:3], 0 offen offset:8
	buffer_load_dword v98, v95, s[0:3], 0 offen offset:12
	buffer_load_dword v99, v95, s[0:3], 0 offen
	buffer_load_dword v100, v95, s[0:3], 0 offen offset:4
	s_waitcnt vmcnt(2) lgkmcnt(0)
	v_mul_f64 v[102:103], v[3:4], v[97:98]
	v_mul_f64 v[97:98], v[1:2], v[97:98]
	s_waitcnt vmcnt(0)
	v_fma_f64 v[1:2], v[1:2], v[99:100], -v[102:103]
	v_fma_f64 v[3:4], v[3:4], v[99:100], v[97:98]
.LBB108_326:
	s_and_saveexec_b32 s53, s5
	s_cbranch_execz .LBB108_330
; %bb.327:
	v_add_nc_u32_e32 v97, -4, v0
	s_movk_i32 s54, 0x310
	s_mov_b32 s5, 0
	s_mov_b32 s55, s48
	.p2align	6
.LBB108_328:                            ; =>This Inner Loop Header: Depth=1
	v_mov_b32_e32 v100, s55
	v_add_nc_u32_e32 v97, -1, v97
	s_add_i32 s55, s55, 16
	s_clause 0x3
	buffer_load_dword v98, v100, s[0:3], 0 offen offset:8
	buffer_load_dword v99, v100, s[0:3], 0 offen offset:12
	buffer_load_dword v106, v100, s[0:3], 0 offen
	buffer_load_dword v107, v100, s[0:3], 0 offen offset:4
	v_mov_b32_e32 v100, s54
	v_cmp_eq_u32_e32 vcc_lo, 0, v97
	s_add_i32 s54, s54, 16
	ds_read_b128 v[102:105], v100
	s_or_b32 s5, vcc_lo, s5
	s_waitcnt vmcnt(2) lgkmcnt(0)
	v_mul_f64 v[108:109], v[104:105], v[98:99]
	v_mul_f64 v[98:99], v[102:103], v[98:99]
	s_waitcnt vmcnt(0)
	v_fma_f64 v[102:103], v[102:103], v[106:107], -v[108:109]
	v_fma_f64 v[98:99], v[104:105], v[106:107], v[98:99]
	v_add_f64 v[1:2], v[1:2], v[102:103]
	v_add_f64 v[3:4], v[3:4], v[98:99]
	s_andn2_b32 exec_lo, exec_lo, s5
	s_cbranch_execnz .LBB108_328
; %bb.329:
	s_or_b32 exec_lo, exec_lo, s5
.LBB108_330:
	s_or_b32 exec_lo, exec_lo, s53
	v_mov_b32_e32 v97, 0
	ds_read_b128 v[97:100], v97 offset:48
	s_waitcnt lgkmcnt(0)
	v_mul_f64 v[102:103], v[3:4], v[99:100]
	v_mul_f64 v[99:100], v[1:2], v[99:100]
	v_fma_f64 v[1:2], v[1:2], v[97:98], -v[102:103]
	v_fma_f64 v[3:4], v[3:4], v[97:98], v[99:100]
	buffer_store_dword v2, off, s[0:3], 0 offset:52
	buffer_store_dword v1, off, s[0:3], 0 offset:48
	;; [unrolled: 1-line block ×4, first 2 shown]
.LBB108_331:
	s_or_b32 exec_lo, exec_lo, s8
	v_mov_b32_e32 v4, s50
	v_cmp_lt_u32_e64 s5, 2, v0
	s_clause 0x3
	buffer_load_dword v1, v4, s[0:3], 0 offen
	buffer_load_dword v2, v4, s[0:3], 0 offen offset:4
	buffer_load_dword v3, v4, s[0:3], 0 offen offset:8
	;; [unrolled: 1-line block ×3, first 2 shown]
	s_waitcnt vmcnt(0)
	ds_write_b128 v96, v[1:4]
	s_waitcnt lgkmcnt(0)
	s_waitcnt_vscnt null, 0x0
	s_barrier
	buffer_gl0_inv
	s_and_saveexec_b32 s8, s5
	s_cbranch_execz .LBB108_339
; %bb.332:
	ds_read_b128 v[1:4], v96
	s_andn2_b32 vcc_lo, exec_lo, s52
	s_cbranch_vccnz .LBB108_334
; %bb.333:
	s_clause 0x3
	buffer_load_dword v97, v95, s[0:3], 0 offen offset:8
	buffer_load_dword v98, v95, s[0:3], 0 offen offset:12
	buffer_load_dword v99, v95, s[0:3], 0 offen
	buffer_load_dword v100, v95, s[0:3], 0 offen offset:4
	s_waitcnt vmcnt(2) lgkmcnt(0)
	v_mul_f64 v[102:103], v[3:4], v[97:98]
	v_mul_f64 v[97:98], v[1:2], v[97:98]
	s_waitcnt vmcnt(0)
	v_fma_f64 v[1:2], v[1:2], v[99:100], -v[102:103]
	v_fma_f64 v[3:4], v[3:4], v[99:100], v[97:98]
.LBB108_334:
	s_and_saveexec_b32 s53, s4
	s_cbranch_execz .LBB108_338
; %bb.335:
	v_add_nc_u32_e32 v97, -3, v0
	s_movk_i32 s54, 0x300
	s_mov_b32 s4, 0
	s_mov_b32 s55, s49
	.p2align	6
.LBB108_336:                            ; =>This Inner Loop Header: Depth=1
	v_mov_b32_e32 v100, s55
	v_add_nc_u32_e32 v97, -1, v97
	s_add_i32 s55, s55, 16
	s_clause 0x3
	buffer_load_dword v98, v100, s[0:3], 0 offen offset:8
	buffer_load_dword v99, v100, s[0:3], 0 offen offset:12
	buffer_load_dword v106, v100, s[0:3], 0 offen
	buffer_load_dword v107, v100, s[0:3], 0 offen offset:4
	v_mov_b32_e32 v100, s54
	v_cmp_eq_u32_e32 vcc_lo, 0, v97
	s_add_i32 s54, s54, 16
	ds_read_b128 v[102:105], v100
	s_or_b32 s4, vcc_lo, s4
	s_waitcnt vmcnt(2) lgkmcnt(0)
	v_mul_f64 v[108:109], v[104:105], v[98:99]
	v_mul_f64 v[98:99], v[102:103], v[98:99]
	s_waitcnt vmcnt(0)
	v_fma_f64 v[102:103], v[102:103], v[106:107], -v[108:109]
	v_fma_f64 v[98:99], v[104:105], v[106:107], v[98:99]
	v_add_f64 v[1:2], v[1:2], v[102:103]
	v_add_f64 v[3:4], v[3:4], v[98:99]
	s_andn2_b32 exec_lo, exec_lo, s4
	s_cbranch_execnz .LBB108_336
; %bb.337:
	s_or_b32 exec_lo, exec_lo, s4
.LBB108_338:
	s_or_b32 exec_lo, exec_lo, s53
	v_mov_b32_e32 v97, 0
	ds_read_b128 v[97:100], v97 offset:32
	s_waitcnt lgkmcnt(0)
	v_mul_f64 v[102:103], v[3:4], v[99:100]
	v_mul_f64 v[99:100], v[1:2], v[99:100]
	v_fma_f64 v[1:2], v[1:2], v[97:98], -v[102:103]
	v_fma_f64 v[3:4], v[3:4], v[97:98], v[99:100]
	buffer_store_dword v2, off, s[0:3], 0 offset:36
	buffer_store_dword v1, off, s[0:3], 0 offset:32
	;; [unrolled: 1-line block ×4, first 2 shown]
.LBB108_339:
	s_or_b32 exec_lo, exec_lo, s8
	v_mov_b32_e32 v4, s51
	v_cmp_lt_u32_e64 s4, 1, v0
	s_clause 0x3
	buffer_load_dword v1, v4, s[0:3], 0 offen
	buffer_load_dword v2, v4, s[0:3], 0 offen offset:4
	buffer_load_dword v3, v4, s[0:3], 0 offen offset:8
	;; [unrolled: 1-line block ×3, first 2 shown]
	s_waitcnt vmcnt(0)
	ds_write_b128 v96, v[1:4]
	s_waitcnt lgkmcnt(0)
	s_waitcnt_vscnt null, 0x0
	s_barrier
	buffer_gl0_inv
	s_and_saveexec_b32 s8, s4
	s_cbranch_execz .LBB108_347
; %bb.340:
	ds_read_b128 v[1:4], v96
	s_andn2_b32 vcc_lo, exec_lo, s52
	s_cbranch_vccnz .LBB108_342
; %bb.341:
	s_clause 0x3
	buffer_load_dword v97, v95, s[0:3], 0 offen offset:8
	buffer_load_dword v98, v95, s[0:3], 0 offen offset:12
	buffer_load_dword v99, v95, s[0:3], 0 offen
	buffer_load_dword v100, v95, s[0:3], 0 offen offset:4
	s_waitcnt vmcnt(2) lgkmcnt(0)
	v_mul_f64 v[102:103], v[3:4], v[97:98]
	v_mul_f64 v[97:98], v[1:2], v[97:98]
	s_waitcnt vmcnt(0)
	v_fma_f64 v[1:2], v[1:2], v[99:100], -v[102:103]
	v_fma_f64 v[3:4], v[3:4], v[99:100], v[97:98]
.LBB108_342:
	s_and_saveexec_b32 s53, s5
	s_cbranch_execz .LBB108_346
; %bb.343:
	v_add_nc_u32_e32 v97, -2, v0
	s_movk_i32 s54, 0x2f0
	s_mov_b32 s5, 0
	s_mov_b32 s55, s50
	.p2align	6
.LBB108_344:                            ; =>This Inner Loop Header: Depth=1
	v_mov_b32_e32 v100, s55
	v_add_nc_u32_e32 v97, -1, v97
	s_add_i32 s55, s55, 16
	s_clause 0x3
	buffer_load_dword v98, v100, s[0:3], 0 offen offset:8
	buffer_load_dword v99, v100, s[0:3], 0 offen offset:12
	buffer_load_dword v106, v100, s[0:3], 0 offen
	buffer_load_dword v107, v100, s[0:3], 0 offen offset:4
	v_mov_b32_e32 v100, s54
	v_cmp_eq_u32_e32 vcc_lo, 0, v97
	s_add_i32 s54, s54, 16
	ds_read_b128 v[102:105], v100
	s_or_b32 s5, vcc_lo, s5
	s_waitcnt vmcnt(2) lgkmcnt(0)
	v_mul_f64 v[108:109], v[104:105], v[98:99]
	v_mul_f64 v[98:99], v[102:103], v[98:99]
	s_waitcnt vmcnt(0)
	v_fma_f64 v[102:103], v[102:103], v[106:107], -v[108:109]
	v_fma_f64 v[98:99], v[104:105], v[106:107], v[98:99]
	v_add_f64 v[1:2], v[1:2], v[102:103]
	v_add_f64 v[3:4], v[3:4], v[98:99]
	s_andn2_b32 exec_lo, exec_lo, s5
	s_cbranch_execnz .LBB108_344
; %bb.345:
	s_or_b32 exec_lo, exec_lo, s5
.LBB108_346:
	s_or_b32 exec_lo, exec_lo, s53
	v_mov_b32_e32 v97, 0
	ds_read_b128 v[97:100], v97 offset:16
	s_waitcnt lgkmcnt(0)
	v_mul_f64 v[102:103], v[3:4], v[99:100]
	v_mul_f64 v[99:100], v[1:2], v[99:100]
	v_fma_f64 v[1:2], v[1:2], v[97:98], -v[102:103]
	v_fma_f64 v[3:4], v[3:4], v[97:98], v[99:100]
	buffer_store_dword v2, off, s[0:3], 0 offset:20
	buffer_store_dword v1, off, s[0:3], 0 offset:16
	;; [unrolled: 1-line block ×4, first 2 shown]
.LBB108_347:
	s_or_b32 exec_lo, exec_lo, s8
	s_clause 0x3
	buffer_load_dword v1, off, s[0:3], 0
	buffer_load_dword v2, off, s[0:3], 0 offset:4
	buffer_load_dword v3, off, s[0:3], 0 offset:8
	;; [unrolled: 1-line block ×3, first 2 shown]
	s_mov_b32 s8, 0
	s_mov_b32 s5, 0
	s_mov_b32 s53, exec_lo
                                        ; implicit-def: $sgpr54
	s_waitcnt vmcnt(0)
	ds_write_b128 v96, v[1:4]
	s_waitcnt lgkmcnt(0)
	s_waitcnt_vscnt null, 0x0
	s_barrier
	buffer_gl0_inv
                                        ; implicit-def: $vgpr1_vgpr2
	v_cmpx_ne_u32_e32 0, v0
	s_cbranch_execz .LBB108_355
; %bb.348:
	ds_read_b128 v[1:4], v96
	s_andn2_b32 vcc_lo, exec_lo, s52
	s_cbranch_vccnz .LBB108_350
; %bb.349:
	s_clause 0x3
	buffer_load_dword v97, v95, s[0:3], 0 offen offset:8
	buffer_load_dword v98, v95, s[0:3], 0 offen offset:12
	buffer_load_dword v99, v95, s[0:3], 0 offen
	buffer_load_dword v100, v95, s[0:3], 0 offen offset:4
	s_waitcnt vmcnt(2) lgkmcnt(0)
	v_mul_f64 v[102:103], v[3:4], v[97:98]
	v_mul_f64 v[97:98], v[1:2], v[97:98]
	s_waitcnt vmcnt(0)
	v_fma_f64 v[1:2], v[1:2], v[99:100], -v[102:103]
	v_fma_f64 v[3:4], v[3:4], v[99:100], v[97:98]
.LBB108_350:
	s_and_saveexec_b32 s5, s4
	s_cbranch_execz .LBB108_354
; %bb.351:
	v_add_nc_u32_e32 v97, -1, v0
	s_movk_i32 s54, 0x2e0
	s_mov_b32 s4, 0
	s_mov_b32 s55, s51
	.p2align	6
.LBB108_352:                            ; =>This Inner Loop Header: Depth=1
	v_mov_b32_e32 v100, s55
	v_add_nc_u32_e32 v97, -1, v97
	s_add_i32 s55, s55, 16
	s_clause 0x3
	buffer_load_dword v98, v100, s[0:3], 0 offen offset:8
	buffer_load_dword v99, v100, s[0:3], 0 offen offset:12
	buffer_load_dword v106, v100, s[0:3], 0 offen
	buffer_load_dword v107, v100, s[0:3], 0 offen offset:4
	v_mov_b32_e32 v100, s54
	v_cmp_eq_u32_e32 vcc_lo, 0, v97
	s_add_i32 s54, s54, 16
	ds_read_b128 v[102:105], v100
	s_or_b32 s4, vcc_lo, s4
	s_waitcnt vmcnt(2) lgkmcnt(0)
	v_mul_f64 v[108:109], v[104:105], v[98:99]
	v_mul_f64 v[98:99], v[102:103], v[98:99]
	s_waitcnt vmcnt(0)
	v_fma_f64 v[102:103], v[102:103], v[106:107], -v[108:109]
	v_fma_f64 v[98:99], v[104:105], v[106:107], v[98:99]
	v_add_f64 v[1:2], v[1:2], v[102:103]
	v_add_f64 v[3:4], v[3:4], v[98:99]
	s_andn2_b32 exec_lo, exec_lo, s4
	s_cbranch_execnz .LBB108_352
; %bb.353:
	s_or_b32 exec_lo, exec_lo, s4
.LBB108_354:
	s_or_b32 exec_lo, exec_lo, s5
	v_mov_b32_e32 v97, 0
	s_mov_b32 s5, exec_lo
	s_or_b32 s54, 0, 8
	ds_read_b128 v[97:100], v97
	s_waitcnt lgkmcnt(0)
	v_mul_f64 v[102:103], v[3:4], v[99:100]
	v_mul_f64 v[99:100], v[1:2], v[99:100]
	v_fma_f64 v[102:103], v[1:2], v[97:98], -v[102:103]
	v_fma_f64 v[1:2], v[3:4], v[97:98], v[99:100]
	buffer_store_dword v103, off, s[0:3], 0 offset:4
	buffer_store_dword v102, off, s[0:3], 0
.LBB108_355:
	s_or_b32 exec_lo, exec_lo, s53
	s_and_b32 vcc_lo, exec_lo, s8
	s_cbranch_vccnz .LBB108_357
	s_branch .LBB108_704
.LBB108_356:
	s_mov_b32 s5, 0
                                        ; implicit-def: $vgpr1_vgpr2
                                        ; implicit-def: $sgpr54
	s_cbranch_execz .LBB108_704
.LBB108_357:
	v_mov_b32_e32 v4, s51
	v_cmp_eq_u32_e64 s4, 0, v0
	v_cndmask_b32_e64 v97, 0, 1, s52
	s_clause 0x3
	buffer_load_dword v1, v4, s[0:3], 0 offen
	buffer_load_dword v2, v4, s[0:3], 0 offen offset:4
	buffer_load_dword v3, v4, s[0:3], 0 offen offset:8
	;; [unrolled: 1-line block ×3, first 2 shown]
	s_waitcnt vmcnt(0)
	ds_write_b128 v96, v[1:4]
	s_waitcnt lgkmcnt(0)
	s_waitcnt_vscnt null, 0x0
	s_barrier
	buffer_gl0_inv
	s_and_saveexec_b32 s8, s4
	s_cbranch_execz .LBB108_361
; %bb.358:
	ds_read_b128 v[1:4], v96
	s_andn2_b32 vcc_lo, exec_lo, s52
	s_cbranch_vccnz .LBB108_360
; %bb.359:
	s_clause 0x3
	buffer_load_dword v98, v95, s[0:3], 0 offen offset:8
	buffer_load_dword v99, v95, s[0:3], 0 offen offset:12
	buffer_load_dword v102, v95, s[0:3], 0 offen
	buffer_load_dword v103, v95, s[0:3], 0 offen offset:4
	s_waitcnt vmcnt(2) lgkmcnt(0)
	v_mul_f64 v[104:105], v[3:4], v[98:99]
	v_mul_f64 v[98:99], v[1:2], v[98:99]
	s_waitcnt vmcnt(0)
	v_fma_f64 v[1:2], v[1:2], v[102:103], -v[104:105]
	v_fma_f64 v[3:4], v[3:4], v[102:103], v[98:99]
.LBB108_360:
	v_mov_b32_e32 v98, 0
	ds_read_b128 v[102:105], v98 offset:16
	s_waitcnt lgkmcnt(0)
	v_mul_f64 v[98:99], v[3:4], v[104:105]
	v_mul_f64 v[104:105], v[1:2], v[104:105]
	v_fma_f64 v[1:2], v[1:2], v[102:103], -v[98:99]
	v_fma_f64 v[3:4], v[3:4], v[102:103], v[104:105]
	buffer_store_dword v2, off, s[0:3], 0 offset:20
	buffer_store_dword v1, off, s[0:3], 0 offset:16
	;; [unrolled: 1-line block ×4, first 2 shown]
.LBB108_361:
	s_or_b32 exec_lo, exec_lo, s8
	v_mov_b32_e32 v4, s50
	s_mov_b32 s8, exec_lo
	s_clause 0x3
	buffer_load_dword v1, v4, s[0:3], 0 offen
	buffer_load_dword v2, v4, s[0:3], 0 offen offset:4
	buffer_load_dword v3, v4, s[0:3], 0 offen offset:8
	;; [unrolled: 1-line block ×3, first 2 shown]
	s_waitcnt vmcnt(0)
	ds_write_b128 v96, v[1:4]
	s_waitcnt lgkmcnt(0)
	s_waitcnt_vscnt null, 0x0
	s_barrier
	buffer_gl0_inv
	v_cmpx_gt_u32_e32 2, v0
	s_cbranch_execz .LBB108_367
; %bb.362:
	ds_read_b128 v[1:4], v96
	v_cmp_ne_u32_e32 vcc_lo, 1, v97
	s_cbranch_vccnz .LBB108_364
; %bb.363:
	s_clause 0x3
	buffer_load_dword v98, v95, s[0:3], 0 offen offset:8
	buffer_load_dword v99, v95, s[0:3], 0 offen offset:12
	buffer_load_dword v102, v95, s[0:3], 0 offen
	buffer_load_dword v103, v95, s[0:3], 0 offen offset:4
	s_waitcnt vmcnt(2) lgkmcnt(0)
	v_mul_f64 v[104:105], v[3:4], v[98:99]
	v_mul_f64 v[98:99], v[1:2], v[98:99]
	s_waitcnt vmcnt(0)
	v_fma_f64 v[1:2], v[1:2], v[102:103], -v[104:105]
	v_fma_f64 v[3:4], v[3:4], v[102:103], v[98:99]
.LBB108_364:
	s_and_saveexec_b32 s52, s4
	s_cbranch_execz .LBB108_366
; %bb.365:
	s_clause 0x3
	buffer_load_dword v98, off, s[0:3], 0 offset:24
	buffer_load_dword v99, off, s[0:3], 0 offset:28
	;; [unrolled: 1-line block ×4, first 2 shown]
	v_mov_b32_e32 v100, 0
	ds_read_b128 v[102:105], v100 offset:736
	s_waitcnt vmcnt(2) lgkmcnt(0)
	v_mul_f64 v[108:109], v[104:105], v[98:99]
	v_mul_f64 v[98:99], v[102:103], v[98:99]
	s_waitcnt vmcnt(0)
	v_fma_f64 v[102:103], v[102:103], v[106:107], -v[108:109]
	v_fma_f64 v[98:99], v[104:105], v[106:107], v[98:99]
	v_add_f64 v[1:2], v[1:2], v[102:103]
	v_add_f64 v[3:4], v[3:4], v[98:99]
.LBB108_366:
	s_or_b32 exec_lo, exec_lo, s52
	v_mov_b32_e32 v98, 0
	ds_read_b128 v[102:105], v98 offset:32
	s_waitcnt lgkmcnt(0)
	v_mul_f64 v[98:99], v[3:4], v[104:105]
	v_mul_f64 v[104:105], v[1:2], v[104:105]
	v_fma_f64 v[1:2], v[1:2], v[102:103], -v[98:99]
	v_fma_f64 v[3:4], v[3:4], v[102:103], v[104:105]
	buffer_store_dword v2, off, s[0:3], 0 offset:36
	buffer_store_dword v1, off, s[0:3], 0 offset:32
	;; [unrolled: 1-line block ×4, first 2 shown]
.LBB108_367:
	s_or_b32 exec_lo, exec_lo, s8
	v_mov_b32_e32 v4, s49
	s_mov_b32 s8, exec_lo
	s_clause 0x3
	buffer_load_dword v1, v4, s[0:3], 0 offen
	buffer_load_dword v2, v4, s[0:3], 0 offen offset:4
	buffer_load_dword v3, v4, s[0:3], 0 offen offset:8
	buffer_load_dword v4, v4, s[0:3], 0 offen offset:12
	s_waitcnt vmcnt(0)
	ds_write_b128 v96, v[1:4]
	s_waitcnt lgkmcnt(0)
	s_waitcnt_vscnt null, 0x0
	s_barrier
	buffer_gl0_inv
	v_cmpx_gt_u32_e32 3, v0
	s_cbranch_execz .LBB108_375
; %bb.368:
	ds_read_b128 v[1:4], v96
	v_cmp_ne_u32_e32 vcc_lo, 1, v97
	s_cbranch_vccnz .LBB108_370
; %bb.369:
	s_clause 0x3
	buffer_load_dword v98, v95, s[0:3], 0 offen offset:8
	buffer_load_dword v99, v95, s[0:3], 0 offen offset:12
	buffer_load_dword v102, v95, s[0:3], 0 offen
	buffer_load_dword v103, v95, s[0:3], 0 offen offset:4
	s_waitcnt vmcnt(2) lgkmcnt(0)
	v_mul_f64 v[104:105], v[3:4], v[98:99]
	v_mul_f64 v[98:99], v[1:2], v[98:99]
	s_waitcnt vmcnt(0)
	v_fma_f64 v[1:2], v[1:2], v[102:103], -v[104:105]
	v_fma_f64 v[3:4], v[3:4], v[102:103], v[98:99]
.LBB108_370:
	s_mov_b32 s52, exec_lo
	v_cmpx_ne_u32_e32 2, v0
	s_cbranch_execz .LBB108_374
; %bb.371:
	s_clause 0x3
	buffer_load_dword v98, v95, s[0:3], 0 offen offset:24
	buffer_load_dword v99, v95, s[0:3], 0 offen offset:28
	;; [unrolled: 1-line block ×4, first 2 shown]
	ds_read_b128 v[102:105], v96 offset:16
	s_waitcnt vmcnt(2) lgkmcnt(0)
	v_mul_f64 v[108:109], v[104:105], v[98:99]
	v_mul_f64 v[98:99], v[102:103], v[98:99]
	s_waitcnt vmcnt(0)
	v_fma_f64 v[102:103], v[102:103], v[106:107], -v[108:109]
	v_fma_f64 v[98:99], v[104:105], v[106:107], v[98:99]
	v_add_f64 v[1:2], v[1:2], v[102:103]
	v_add_f64 v[3:4], v[3:4], v[98:99]
	s_and_saveexec_b32 s53, s4
	s_cbranch_execz .LBB108_373
; %bb.372:
	s_clause 0x3
	buffer_load_dword v98, off, s[0:3], 0 offset:40
	buffer_load_dword v99, off, s[0:3], 0 offset:44
	;; [unrolled: 1-line block ×4, first 2 shown]
	v_mov_b32_e32 v100, 0
	ds_read_b128 v[102:105], v100 offset:752
	s_waitcnt vmcnt(2) lgkmcnt(0)
	v_mul_f64 v[108:109], v[102:103], v[98:99]
	v_mul_f64 v[98:99], v[104:105], v[98:99]
	s_waitcnt vmcnt(0)
	v_fma_f64 v[104:105], v[104:105], v[106:107], v[108:109]
	v_fma_f64 v[98:99], v[102:103], v[106:107], -v[98:99]
	v_add_f64 v[3:4], v[3:4], v[104:105]
	v_add_f64 v[1:2], v[1:2], v[98:99]
.LBB108_373:
	s_or_b32 exec_lo, exec_lo, s53
.LBB108_374:
	s_or_b32 exec_lo, exec_lo, s52
	v_mov_b32_e32 v98, 0
	ds_read_b128 v[102:105], v98 offset:48
	s_waitcnt lgkmcnt(0)
	v_mul_f64 v[98:99], v[3:4], v[104:105]
	v_mul_f64 v[104:105], v[1:2], v[104:105]
	v_fma_f64 v[1:2], v[1:2], v[102:103], -v[98:99]
	v_fma_f64 v[3:4], v[3:4], v[102:103], v[104:105]
	buffer_store_dword v2, off, s[0:3], 0 offset:52
	buffer_store_dword v1, off, s[0:3], 0 offset:48
	;; [unrolled: 1-line block ×4, first 2 shown]
.LBB108_375:
	s_or_b32 exec_lo, exec_lo, s8
	v_mov_b32_e32 v4, s48
	s_mov_b32 s4, exec_lo
	s_clause 0x3
	buffer_load_dword v1, v4, s[0:3], 0 offen
	buffer_load_dword v2, v4, s[0:3], 0 offen offset:4
	buffer_load_dword v3, v4, s[0:3], 0 offen offset:8
	;; [unrolled: 1-line block ×3, first 2 shown]
	s_waitcnt vmcnt(0)
	ds_write_b128 v96, v[1:4]
	s_waitcnt lgkmcnt(0)
	s_waitcnt_vscnt null, 0x0
	s_barrier
	buffer_gl0_inv
	v_cmpx_gt_u32_e32 4, v0
	s_cbranch_execz .LBB108_383
; %bb.376:
	ds_read_b128 v[1:4], v96
	v_cmp_ne_u32_e32 vcc_lo, 1, v97
	s_cbranch_vccnz .LBB108_378
; %bb.377:
	s_clause 0x3
	buffer_load_dword v98, v95, s[0:3], 0 offen offset:8
	buffer_load_dword v99, v95, s[0:3], 0 offen offset:12
	buffer_load_dword v102, v95, s[0:3], 0 offen
	buffer_load_dword v103, v95, s[0:3], 0 offen offset:4
	s_waitcnt vmcnt(2) lgkmcnt(0)
	v_mul_f64 v[104:105], v[3:4], v[98:99]
	v_mul_f64 v[98:99], v[1:2], v[98:99]
	s_waitcnt vmcnt(0)
	v_fma_f64 v[1:2], v[1:2], v[102:103], -v[104:105]
	v_fma_f64 v[3:4], v[3:4], v[102:103], v[98:99]
.LBB108_378:
	s_mov_b32 s8, exec_lo
	v_cmpx_ne_u32_e32 3, v0
	s_cbranch_execz .LBB108_382
; %bb.379:
	v_add_nc_u32_e32 v98, 0x2e0, v101
	v_add3_u32 v99, 0, v101, 16
	v_mov_b32_e32 v100, v0
	s_mov_b32 s52, 0
	.p2align	6
.LBB108_380:                            ; =>This Inner Loop Header: Depth=1
	s_clause 0x3
	buffer_load_dword v106, v99, s[0:3], 0 offen offset:8
	buffer_load_dword v107, v99, s[0:3], 0 offen offset:12
	buffer_load_dword v108, v99, s[0:3], 0 offen
	buffer_load_dword v109, v99, s[0:3], 0 offen offset:4
	ds_read_b128 v[102:105], v98
	v_add_nc_u32_e32 v100, 1, v100
	v_add_nc_u32_e32 v98, 16, v98
	;; [unrolled: 1-line block ×3, first 2 shown]
	v_cmp_lt_u32_e32 vcc_lo, 2, v100
	s_or_b32 s52, vcc_lo, s52
	s_waitcnt vmcnt(2) lgkmcnt(0)
	v_mul_f64 v[110:111], v[104:105], v[106:107]
	v_mul_f64 v[106:107], v[102:103], v[106:107]
	s_waitcnt vmcnt(0)
	v_fma_f64 v[102:103], v[102:103], v[108:109], -v[110:111]
	v_fma_f64 v[104:105], v[104:105], v[108:109], v[106:107]
	v_add_f64 v[1:2], v[1:2], v[102:103]
	v_add_f64 v[3:4], v[3:4], v[104:105]
	s_andn2_b32 exec_lo, exec_lo, s52
	s_cbranch_execnz .LBB108_380
; %bb.381:
	s_or_b32 exec_lo, exec_lo, s52
.LBB108_382:
	s_or_b32 exec_lo, exec_lo, s8
	v_mov_b32_e32 v98, 0
	ds_read_b128 v[102:105], v98 offset:64
	s_waitcnt lgkmcnt(0)
	v_mul_f64 v[98:99], v[3:4], v[104:105]
	v_mul_f64 v[104:105], v[1:2], v[104:105]
	v_fma_f64 v[1:2], v[1:2], v[102:103], -v[98:99]
	v_fma_f64 v[3:4], v[3:4], v[102:103], v[104:105]
	buffer_store_dword v2, off, s[0:3], 0 offset:68
	buffer_store_dword v1, off, s[0:3], 0 offset:64
	;; [unrolled: 1-line block ×4, first 2 shown]
.LBB108_383:
	s_or_b32 exec_lo, exec_lo, s4
	v_mov_b32_e32 v4, s47
	s_mov_b32 s4, exec_lo
	s_clause 0x3
	buffer_load_dword v1, v4, s[0:3], 0 offen
	buffer_load_dword v2, v4, s[0:3], 0 offen offset:4
	buffer_load_dword v3, v4, s[0:3], 0 offen offset:8
	;; [unrolled: 1-line block ×3, first 2 shown]
	s_waitcnt vmcnt(0)
	ds_write_b128 v96, v[1:4]
	s_waitcnt lgkmcnt(0)
	s_waitcnt_vscnt null, 0x0
	s_barrier
	buffer_gl0_inv
	v_cmpx_gt_u32_e32 5, v0
	s_cbranch_execz .LBB108_391
; %bb.384:
	ds_read_b128 v[1:4], v96
	v_cmp_ne_u32_e32 vcc_lo, 1, v97
	s_cbranch_vccnz .LBB108_386
; %bb.385:
	s_clause 0x3
	buffer_load_dword v98, v95, s[0:3], 0 offen offset:8
	buffer_load_dword v99, v95, s[0:3], 0 offen offset:12
	buffer_load_dword v102, v95, s[0:3], 0 offen
	buffer_load_dword v103, v95, s[0:3], 0 offen offset:4
	s_waitcnt vmcnt(2) lgkmcnt(0)
	v_mul_f64 v[104:105], v[3:4], v[98:99]
	v_mul_f64 v[98:99], v[1:2], v[98:99]
	s_waitcnt vmcnt(0)
	v_fma_f64 v[1:2], v[1:2], v[102:103], -v[104:105]
	v_fma_f64 v[3:4], v[3:4], v[102:103], v[98:99]
.LBB108_386:
	s_mov_b32 s8, exec_lo
	v_cmpx_ne_u32_e32 4, v0
	s_cbranch_execz .LBB108_390
; %bb.387:
	v_add_nc_u32_e32 v98, 0x2e0, v101
	v_add3_u32 v99, 0, v101, 16
	v_mov_b32_e32 v100, v0
	s_mov_b32 s52, 0
	.p2align	6
.LBB108_388:                            ; =>This Inner Loop Header: Depth=1
	s_clause 0x3
	buffer_load_dword v106, v99, s[0:3], 0 offen offset:8
	buffer_load_dword v107, v99, s[0:3], 0 offen offset:12
	buffer_load_dword v108, v99, s[0:3], 0 offen
	buffer_load_dword v109, v99, s[0:3], 0 offen offset:4
	ds_read_b128 v[102:105], v98
	v_add_nc_u32_e32 v100, 1, v100
	v_add_nc_u32_e32 v98, 16, v98
	;; [unrolled: 1-line block ×3, first 2 shown]
	v_cmp_lt_u32_e32 vcc_lo, 3, v100
	s_or_b32 s52, vcc_lo, s52
	s_waitcnt vmcnt(2) lgkmcnt(0)
	v_mul_f64 v[110:111], v[104:105], v[106:107]
	v_mul_f64 v[106:107], v[102:103], v[106:107]
	s_waitcnt vmcnt(0)
	v_fma_f64 v[102:103], v[102:103], v[108:109], -v[110:111]
	v_fma_f64 v[104:105], v[104:105], v[108:109], v[106:107]
	v_add_f64 v[1:2], v[1:2], v[102:103]
	v_add_f64 v[3:4], v[3:4], v[104:105]
	s_andn2_b32 exec_lo, exec_lo, s52
	s_cbranch_execnz .LBB108_388
; %bb.389:
	s_or_b32 exec_lo, exec_lo, s52
.LBB108_390:
	s_or_b32 exec_lo, exec_lo, s8
	v_mov_b32_e32 v98, 0
	ds_read_b128 v[102:105], v98 offset:80
	s_waitcnt lgkmcnt(0)
	v_mul_f64 v[98:99], v[3:4], v[104:105]
	v_mul_f64 v[104:105], v[1:2], v[104:105]
	v_fma_f64 v[1:2], v[1:2], v[102:103], -v[98:99]
	v_fma_f64 v[3:4], v[3:4], v[102:103], v[104:105]
	buffer_store_dword v2, off, s[0:3], 0 offset:84
	buffer_store_dword v1, off, s[0:3], 0 offset:80
	;; [unrolled: 1-line block ×4, first 2 shown]
.LBB108_391:
	s_or_b32 exec_lo, exec_lo, s4
	v_mov_b32_e32 v4, s46
	s_mov_b32 s4, exec_lo
	s_clause 0x3
	buffer_load_dword v1, v4, s[0:3], 0 offen
	buffer_load_dword v2, v4, s[0:3], 0 offen offset:4
	buffer_load_dword v3, v4, s[0:3], 0 offen offset:8
	;; [unrolled: 1-line block ×3, first 2 shown]
	s_waitcnt vmcnt(0)
	ds_write_b128 v96, v[1:4]
	s_waitcnt lgkmcnt(0)
	s_waitcnt_vscnt null, 0x0
	s_barrier
	buffer_gl0_inv
	v_cmpx_gt_u32_e32 6, v0
	s_cbranch_execz .LBB108_399
; %bb.392:
	ds_read_b128 v[1:4], v96
	v_cmp_ne_u32_e32 vcc_lo, 1, v97
	s_cbranch_vccnz .LBB108_394
; %bb.393:
	s_clause 0x3
	buffer_load_dword v98, v95, s[0:3], 0 offen offset:8
	buffer_load_dword v99, v95, s[0:3], 0 offen offset:12
	buffer_load_dword v102, v95, s[0:3], 0 offen
	buffer_load_dword v103, v95, s[0:3], 0 offen offset:4
	s_waitcnt vmcnt(2) lgkmcnt(0)
	v_mul_f64 v[104:105], v[3:4], v[98:99]
	v_mul_f64 v[98:99], v[1:2], v[98:99]
	s_waitcnt vmcnt(0)
	v_fma_f64 v[1:2], v[1:2], v[102:103], -v[104:105]
	v_fma_f64 v[3:4], v[3:4], v[102:103], v[98:99]
.LBB108_394:
	s_mov_b32 s8, exec_lo
	v_cmpx_ne_u32_e32 5, v0
	s_cbranch_execz .LBB108_398
; %bb.395:
	v_add_nc_u32_e32 v98, 0x2e0, v101
	v_add3_u32 v99, 0, v101, 16
	v_mov_b32_e32 v100, v0
	s_mov_b32 s52, 0
	.p2align	6
.LBB108_396:                            ; =>This Inner Loop Header: Depth=1
	s_clause 0x3
	buffer_load_dword v106, v99, s[0:3], 0 offen offset:8
	buffer_load_dword v107, v99, s[0:3], 0 offen offset:12
	buffer_load_dword v108, v99, s[0:3], 0 offen
	buffer_load_dword v109, v99, s[0:3], 0 offen offset:4
	ds_read_b128 v[102:105], v98
	v_add_nc_u32_e32 v100, 1, v100
	v_add_nc_u32_e32 v98, 16, v98
	;; [unrolled: 1-line block ×3, first 2 shown]
	v_cmp_lt_u32_e32 vcc_lo, 4, v100
	s_or_b32 s52, vcc_lo, s52
	s_waitcnt vmcnt(2) lgkmcnt(0)
	v_mul_f64 v[110:111], v[104:105], v[106:107]
	v_mul_f64 v[106:107], v[102:103], v[106:107]
	s_waitcnt vmcnt(0)
	v_fma_f64 v[102:103], v[102:103], v[108:109], -v[110:111]
	v_fma_f64 v[104:105], v[104:105], v[108:109], v[106:107]
	v_add_f64 v[1:2], v[1:2], v[102:103]
	v_add_f64 v[3:4], v[3:4], v[104:105]
	s_andn2_b32 exec_lo, exec_lo, s52
	s_cbranch_execnz .LBB108_396
; %bb.397:
	s_or_b32 exec_lo, exec_lo, s52
.LBB108_398:
	s_or_b32 exec_lo, exec_lo, s8
	v_mov_b32_e32 v98, 0
	ds_read_b128 v[102:105], v98 offset:96
	s_waitcnt lgkmcnt(0)
	v_mul_f64 v[98:99], v[3:4], v[104:105]
	v_mul_f64 v[104:105], v[1:2], v[104:105]
	v_fma_f64 v[1:2], v[1:2], v[102:103], -v[98:99]
	v_fma_f64 v[3:4], v[3:4], v[102:103], v[104:105]
	buffer_store_dword v2, off, s[0:3], 0 offset:100
	buffer_store_dword v1, off, s[0:3], 0 offset:96
	;; [unrolled: 1-line block ×4, first 2 shown]
.LBB108_399:
	s_or_b32 exec_lo, exec_lo, s4
	v_mov_b32_e32 v4, s45
	s_mov_b32 s4, exec_lo
	s_clause 0x3
	buffer_load_dword v1, v4, s[0:3], 0 offen
	buffer_load_dword v2, v4, s[0:3], 0 offen offset:4
	buffer_load_dword v3, v4, s[0:3], 0 offen offset:8
	buffer_load_dword v4, v4, s[0:3], 0 offen offset:12
	s_waitcnt vmcnt(0)
	ds_write_b128 v96, v[1:4]
	s_waitcnt lgkmcnt(0)
	s_waitcnt_vscnt null, 0x0
	s_barrier
	buffer_gl0_inv
	v_cmpx_gt_u32_e32 7, v0
	s_cbranch_execz .LBB108_407
; %bb.400:
	ds_read_b128 v[1:4], v96
	v_cmp_ne_u32_e32 vcc_lo, 1, v97
	s_cbranch_vccnz .LBB108_402
; %bb.401:
	s_clause 0x3
	buffer_load_dword v98, v95, s[0:3], 0 offen offset:8
	buffer_load_dword v99, v95, s[0:3], 0 offen offset:12
	buffer_load_dword v102, v95, s[0:3], 0 offen
	buffer_load_dword v103, v95, s[0:3], 0 offen offset:4
	s_waitcnt vmcnt(2) lgkmcnt(0)
	v_mul_f64 v[104:105], v[3:4], v[98:99]
	v_mul_f64 v[98:99], v[1:2], v[98:99]
	s_waitcnt vmcnt(0)
	v_fma_f64 v[1:2], v[1:2], v[102:103], -v[104:105]
	v_fma_f64 v[3:4], v[3:4], v[102:103], v[98:99]
.LBB108_402:
	s_mov_b32 s8, exec_lo
	v_cmpx_ne_u32_e32 6, v0
	s_cbranch_execz .LBB108_406
; %bb.403:
	v_add_nc_u32_e32 v98, 0x2e0, v101
	v_add3_u32 v99, 0, v101, 16
	v_mov_b32_e32 v100, v0
	s_mov_b32 s52, 0
	.p2align	6
.LBB108_404:                            ; =>This Inner Loop Header: Depth=1
	s_clause 0x3
	buffer_load_dword v106, v99, s[0:3], 0 offen offset:8
	buffer_load_dword v107, v99, s[0:3], 0 offen offset:12
	buffer_load_dword v108, v99, s[0:3], 0 offen
	buffer_load_dword v109, v99, s[0:3], 0 offen offset:4
	ds_read_b128 v[102:105], v98
	v_add_nc_u32_e32 v100, 1, v100
	v_add_nc_u32_e32 v98, 16, v98
	;; [unrolled: 1-line block ×3, first 2 shown]
	v_cmp_lt_u32_e32 vcc_lo, 5, v100
	s_or_b32 s52, vcc_lo, s52
	s_waitcnt vmcnt(2) lgkmcnt(0)
	v_mul_f64 v[110:111], v[104:105], v[106:107]
	v_mul_f64 v[106:107], v[102:103], v[106:107]
	s_waitcnt vmcnt(0)
	v_fma_f64 v[102:103], v[102:103], v[108:109], -v[110:111]
	v_fma_f64 v[104:105], v[104:105], v[108:109], v[106:107]
	v_add_f64 v[1:2], v[1:2], v[102:103]
	v_add_f64 v[3:4], v[3:4], v[104:105]
	s_andn2_b32 exec_lo, exec_lo, s52
	s_cbranch_execnz .LBB108_404
; %bb.405:
	s_or_b32 exec_lo, exec_lo, s52
.LBB108_406:
	s_or_b32 exec_lo, exec_lo, s8
	v_mov_b32_e32 v98, 0
	ds_read_b128 v[102:105], v98 offset:112
	s_waitcnt lgkmcnt(0)
	v_mul_f64 v[98:99], v[3:4], v[104:105]
	v_mul_f64 v[104:105], v[1:2], v[104:105]
	v_fma_f64 v[1:2], v[1:2], v[102:103], -v[98:99]
	v_fma_f64 v[3:4], v[3:4], v[102:103], v[104:105]
	buffer_store_dword v2, off, s[0:3], 0 offset:116
	buffer_store_dword v1, off, s[0:3], 0 offset:112
	;; [unrolled: 1-line block ×4, first 2 shown]
.LBB108_407:
	s_or_b32 exec_lo, exec_lo, s4
	v_mov_b32_e32 v4, s44
	s_mov_b32 s4, exec_lo
	s_clause 0x3
	buffer_load_dword v1, v4, s[0:3], 0 offen
	buffer_load_dword v2, v4, s[0:3], 0 offen offset:4
	buffer_load_dword v3, v4, s[0:3], 0 offen offset:8
	;; [unrolled: 1-line block ×3, first 2 shown]
	s_waitcnt vmcnt(0)
	ds_write_b128 v96, v[1:4]
	s_waitcnt lgkmcnt(0)
	s_waitcnt_vscnt null, 0x0
	s_barrier
	buffer_gl0_inv
	v_cmpx_gt_u32_e32 8, v0
	s_cbranch_execz .LBB108_415
; %bb.408:
	ds_read_b128 v[1:4], v96
	v_cmp_ne_u32_e32 vcc_lo, 1, v97
	s_cbranch_vccnz .LBB108_410
; %bb.409:
	s_clause 0x3
	buffer_load_dword v98, v95, s[0:3], 0 offen offset:8
	buffer_load_dword v99, v95, s[0:3], 0 offen offset:12
	buffer_load_dword v102, v95, s[0:3], 0 offen
	buffer_load_dword v103, v95, s[0:3], 0 offen offset:4
	s_waitcnt vmcnt(2) lgkmcnt(0)
	v_mul_f64 v[104:105], v[3:4], v[98:99]
	v_mul_f64 v[98:99], v[1:2], v[98:99]
	s_waitcnt vmcnt(0)
	v_fma_f64 v[1:2], v[1:2], v[102:103], -v[104:105]
	v_fma_f64 v[3:4], v[3:4], v[102:103], v[98:99]
.LBB108_410:
	s_mov_b32 s8, exec_lo
	v_cmpx_ne_u32_e32 7, v0
	s_cbranch_execz .LBB108_414
; %bb.411:
	v_add_nc_u32_e32 v98, 0x2e0, v101
	v_add3_u32 v99, 0, v101, 16
	v_mov_b32_e32 v100, v0
	s_mov_b32 s52, 0
	.p2align	6
.LBB108_412:                            ; =>This Inner Loop Header: Depth=1
	s_clause 0x3
	buffer_load_dword v106, v99, s[0:3], 0 offen offset:8
	buffer_load_dword v107, v99, s[0:3], 0 offen offset:12
	buffer_load_dword v108, v99, s[0:3], 0 offen
	buffer_load_dword v109, v99, s[0:3], 0 offen offset:4
	ds_read_b128 v[102:105], v98
	v_add_nc_u32_e32 v100, 1, v100
	v_add_nc_u32_e32 v98, 16, v98
	v_add_nc_u32_e32 v99, 16, v99
	v_cmp_lt_u32_e32 vcc_lo, 6, v100
	s_or_b32 s52, vcc_lo, s52
	s_waitcnt vmcnt(2) lgkmcnt(0)
	v_mul_f64 v[110:111], v[104:105], v[106:107]
	v_mul_f64 v[106:107], v[102:103], v[106:107]
	s_waitcnt vmcnt(0)
	v_fma_f64 v[102:103], v[102:103], v[108:109], -v[110:111]
	v_fma_f64 v[104:105], v[104:105], v[108:109], v[106:107]
	v_add_f64 v[1:2], v[1:2], v[102:103]
	v_add_f64 v[3:4], v[3:4], v[104:105]
	s_andn2_b32 exec_lo, exec_lo, s52
	s_cbranch_execnz .LBB108_412
; %bb.413:
	s_or_b32 exec_lo, exec_lo, s52
.LBB108_414:
	s_or_b32 exec_lo, exec_lo, s8
	v_mov_b32_e32 v98, 0
	ds_read_b128 v[102:105], v98 offset:128
	s_waitcnt lgkmcnt(0)
	v_mul_f64 v[98:99], v[3:4], v[104:105]
	v_mul_f64 v[104:105], v[1:2], v[104:105]
	v_fma_f64 v[1:2], v[1:2], v[102:103], -v[98:99]
	v_fma_f64 v[3:4], v[3:4], v[102:103], v[104:105]
	buffer_store_dword v2, off, s[0:3], 0 offset:132
	buffer_store_dword v1, off, s[0:3], 0 offset:128
	;; [unrolled: 1-line block ×4, first 2 shown]
.LBB108_415:
	s_or_b32 exec_lo, exec_lo, s4
	v_mov_b32_e32 v4, s43
	s_mov_b32 s4, exec_lo
	s_clause 0x3
	buffer_load_dword v1, v4, s[0:3], 0 offen
	buffer_load_dword v2, v4, s[0:3], 0 offen offset:4
	buffer_load_dword v3, v4, s[0:3], 0 offen offset:8
	;; [unrolled: 1-line block ×3, first 2 shown]
	s_waitcnt vmcnt(0)
	ds_write_b128 v96, v[1:4]
	s_waitcnt lgkmcnt(0)
	s_waitcnt_vscnt null, 0x0
	s_barrier
	buffer_gl0_inv
	v_cmpx_gt_u32_e32 9, v0
	s_cbranch_execz .LBB108_423
; %bb.416:
	ds_read_b128 v[1:4], v96
	v_cmp_ne_u32_e32 vcc_lo, 1, v97
	s_cbranch_vccnz .LBB108_418
; %bb.417:
	s_clause 0x3
	buffer_load_dword v98, v95, s[0:3], 0 offen offset:8
	buffer_load_dword v99, v95, s[0:3], 0 offen offset:12
	buffer_load_dword v102, v95, s[0:3], 0 offen
	buffer_load_dword v103, v95, s[0:3], 0 offen offset:4
	s_waitcnt vmcnt(2) lgkmcnt(0)
	v_mul_f64 v[104:105], v[3:4], v[98:99]
	v_mul_f64 v[98:99], v[1:2], v[98:99]
	s_waitcnt vmcnt(0)
	v_fma_f64 v[1:2], v[1:2], v[102:103], -v[104:105]
	v_fma_f64 v[3:4], v[3:4], v[102:103], v[98:99]
.LBB108_418:
	s_mov_b32 s8, exec_lo
	v_cmpx_ne_u32_e32 8, v0
	s_cbranch_execz .LBB108_422
; %bb.419:
	v_add_nc_u32_e32 v98, 0x2e0, v101
	v_add3_u32 v99, 0, v101, 16
	v_mov_b32_e32 v100, v0
	s_mov_b32 s52, 0
	.p2align	6
.LBB108_420:                            ; =>This Inner Loop Header: Depth=1
	s_clause 0x3
	buffer_load_dword v106, v99, s[0:3], 0 offen offset:8
	buffer_load_dword v107, v99, s[0:3], 0 offen offset:12
	buffer_load_dword v108, v99, s[0:3], 0 offen
	buffer_load_dword v109, v99, s[0:3], 0 offen offset:4
	ds_read_b128 v[102:105], v98
	v_add_nc_u32_e32 v100, 1, v100
	v_add_nc_u32_e32 v98, 16, v98
	;; [unrolled: 1-line block ×3, first 2 shown]
	v_cmp_lt_u32_e32 vcc_lo, 7, v100
	s_or_b32 s52, vcc_lo, s52
	s_waitcnt vmcnt(2) lgkmcnt(0)
	v_mul_f64 v[110:111], v[104:105], v[106:107]
	v_mul_f64 v[106:107], v[102:103], v[106:107]
	s_waitcnt vmcnt(0)
	v_fma_f64 v[102:103], v[102:103], v[108:109], -v[110:111]
	v_fma_f64 v[104:105], v[104:105], v[108:109], v[106:107]
	v_add_f64 v[1:2], v[1:2], v[102:103]
	v_add_f64 v[3:4], v[3:4], v[104:105]
	s_andn2_b32 exec_lo, exec_lo, s52
	s_cbranch_execnz .LBB108_420
; %bb.421:
	s_or_b32 exec_lo, exec_lo, s52
.LBB108_422:
	s_or_b32 exec_lo, exec_lo, s8
	v_mov_b32_e32 v98, 0
	ds_read_b128 v[102:105], v98 offset:144
	s_waitcnt lgkmcnt(0)
	v_mul_f64 v[98:99], v[3:4], v[104:105]
	v_mul_f64 v[104:105], v[1:2], v[104:105]
	v_fma_f64 v[1:2], v[1:2], v[102:103], -v[98:99]
	v_fma_f64 v[3:4], v[3:4], v[102:103], v[104:105]
	buffer_store_dword v2, off, s[0:3], 0 offset:148
	buffer_store_dword v1, off, s[0:3], 0 offset:144
	;; [unrolled: 1-line block ×4, first 2 shown]
.LBB108_423:
	s_or_b32 exec_lo, exec_lo, s4
	v_mov_b32_e32 v4, s42
	s_mov_b32 s4, exec_lo
	s_clause 0x3
	buffer_load_dword v1, v4, s[0:3], 0 offen
	buffer_load_dword v2, v4, s[0:3], 0 offen offset:4
	buffer_load_dword v3, v4, s[0:3], 0 offen offset:8
	;; [unrolled: 1-line block ×3, first 2 shown]
	s_waitcnt vmcnt(0)
	ds_write_b128 v96, v[1:4]
	s_waitcnt lgkmcnt(0)
	s_waitcnt_vscnt null, 0x0
	s_barrier
	buffer_gl0_inv
	v_cmpx_gt_u32_e32 10, v0
	s_cbranch_execz .LBB108_431
; %bb.424:
	ds_read_b128 v[1:4], v96
	v_cmp_ne_u32_e32 vcc_lo, 1, v97
	s_cbranch_vccnz .LBB108_426
; %bb.425:
	s_clause 0x3
	buffer_load_dword v98, v95, s[0:3], 0 offen offset:8
	buffer_load_dword v99, v95, s[0:3], 0 offen offset:12
	buffer_load_dword v102, v95, s[0:3], 0 offen
	buffer_load_dword v103, v95, s[0:3], 0 offen offset:4
	s_waitcnt vmcnt(2) lgkmcnt(0)
	v_mul_f64 v[104:105], v[3:4], v[98:99]
	v_mul_f64 v[98:99], v[1:2], v[98:99]
	s_waitcnt vmcnt(0)
	v_fma_f64 v[1:2], v[1:2], v[102:103], -v[104:105]
	v_fma_f64 v[3:4], v[3:4], v[102:103], v[98:99]
.LBB108_426:
	s_mov_b32 s8, exec_lo
	v_cmpx_ne_u32_e32 9, v0
	s_cbranch_execz .LBB108_430
; %bb.427:
	v_add_nc_u32_e32 v98, 0x2e0, v101
	v_add3_u32 v99, 0, v101, 16
	v_mov_b32_e32 v100, v0
	s_mov_b32 s52, 0
	.p2align	6
.LBB108_428:                            ; =>This Inner Loop Header: Depth=1
	s_clause 0x3
	buffer_load_dword v106, v99, s[0:3], 0 offen offset:8
	buffer_load_dword v107, v99, s[0:3], 0 offen offset:12
	buffer_load_dword v108, v99, s[0:3], 0 offen
	buffer_load_dword v109, v99, s[0:3], 0 offen offset:4
	ds_read_b128 v[102:105], v98
	v_add_nc_u32_e32 v100, 1, v100
	v_add_nc_u32_e32 v98, 16, v98
	;; [unrolled: 1-line block ×3, first 2 shown]
	v_cmp_lt_u32_e32 vcc_lo, 8, v100
	s_or_b32 s52, vcc_lo, s52
	s_waitcnt vmcnt(2) lgkmcnt(0)
	v_mul_f64 v[110:111], v[104:105], v[106:107]
	v_mul_f64 v[106:107], v[102:103], v[106:107]
	s_waitcnt vmcnt(0)
	v_fma_f64 v[102:103], v[102:103], v[108:109], -v[110:111]
	v_fma_f64 v[104:105], v[104:105], v[108:109], v[106:107]
	v_add_f64 v[1:2], v[1:2], v[102:103]
	v_add_f64 v[3:4], v[3:4], v[104:105]
	s_andn2_b32 exec_lo, exec_lo, s52
	s_cbranch_execnz .LBB108_428
; %bb.429:
	s_or_b32 exec_lo, exec_lo, s52
.LBB108_430:
	s_or_b32 exec_lo, exec_lo, s8
	v_mov_b32_e32 v98, 0
	ds_read_b128 v[102:105], v98 offset:160
	s_waitcnt lgkmcnt(0)
	v_mul_f64 v[98:99], v[3:4], v[104:105]
	v_mul_f64 v[104:105], v[1:2], v[104:105]
	v_fma_f64 v[1:2], v[1:2], v[102:103], -v[98:99]
	v_fma_f64 v[3:4], v[3:4], v[102:103], v[104:105]
	buffer_store_dword v2, off, s[0:3], 0 offset:164
	buffer_store_dword v1, off, s[0:3], 0 offset:160
	;; [unrolled: 1-line block ×4, first 2 shown]
.LBB108_431:
	s_or_b32 exec_lo, exec_lo, s4
	v_mov_b32_e32 v4, s41
	s_mov_b32 s4, exec_lo
	s_clause 0x3
	buffer_load_dword v1, v4, s[0:3], 0 offen
	buffer_load_dword v2, v4, s[0:3], 0 offen offset:4
	buffer_load_dword v3, v4, s[0:3], 0 offen offset:8
	;; [unrolled: 1-line block ×3, first 2 shown]
	s_waitcnt vmcnt(0)
	ds_write_b128 v96, v[1:4]
	s_waitcnt lgkmcnt(0)
	s_waitcnt_vscnt null, 0x0
	s_barrier
	buffer_gl0_inv
	v_cmpx_gt_u32_e32 11, v0
	s_cbranch_execz .LBB108_439
; %bb.432:
	ds_read_b128 v[1:4], v96
	v_cmp_ne_u32_e32 vcc_lo, 1, v97
	s_cbranch_vccnz .LBB108_434
; %bb.433:
	s_clause 0x3
	buffer_load_dword v98, v95, s[0:3], 0 offen offset:8
	buffer_load_dword v99, v95, s[0:3], 0 offen offset:12
	buffer_load_dword v102, v95, s[0:3], 0 offen
	buffer_load_dword v103, v95, s[0:3], 0 offen offset:4
	s_waitcnt vmcnt(2) lgkmcnt(0)
	v_mul_f64 v[104:105], v[3:4], v[98:99]
	v_mul_f64 v[98:99], v[1:2], v[98:99]
	s_waitcnt vmcnt(0)
	v_fma_f64 v[1:2], v[1:2], v[102:103], -v[104:105]
	v_fma_f64 v[3:4], v[3:4], v[102:103], v[98:99]
.LBB108_434:
	s_mov_b32 s8, exec_lo
	v_cmpx_ne_u32_e32 10, v0
	s_cbranch_execz .LBB108_438
; %bb.435:
	v_add_nc_u32_e32 v98, 0x2e0, v101
	v_add3_u32 v99, 0, v101, 16
	v_mov_b32_e32 v100, v0
	s_mov_b32 s52, 0
	.p2align	6
.LBB108_436:                            ; =>This Inner Loop Header: Depth=1
	s_clause 0x3
	buffer_load_dword v106, v99, s[0:3], 0 offen offset:8
	buffer_load_dword v107, v99, s[0:3], 0 offen offset:12
	buffer_load_dword v108, v99, s[0:3], 0 offen
	buffer_load_dword v109, v99, s[0:3], 0 offen offset:4
	ds_read_b128 v[102:105], v98
	v_add_nc_u32_e32 v100, 1, v100
	v_add_nc_u32_e32 v98, 16, v98
	;; [unrolled: 1-line block ×3, first 2 shown]
	v_cmp_lt_u32_e32 vcc_lo, 9, v100
	s_or_b32 s52, vcc_lo, s52
	s_waitcnt vmcnt(2) lgkmcnt(0)
	v_mul_f64 v[110:111], v[104:105], v[106:107]
	v_mul_f64 v[106:107], v[102:103], v[106:107]
	s_waitcnt vmcnt(0)
	v_fma_f64 v[102:103], v[102:103], v[108:109], -v[110:111]
	v_fma_f64 v[104:105], v[104:105], v[108:109], v[106:107]
	v_add_f64 v[1:2], v[1:2], v[102:103]
	v_add_f64 v[3:4], v[3:4], v[104:105]
	s_andn2_b32 exec_lo, exec_lo, s52
	s_cbranch_execnz .LBB108_436
; %bb.437:
	s_or_b32 exec_lo, exec_lo, s52
.LBB108_438:
	s_or_b32 exec_lo, exec_lo, s8
	v_mov_b32_e32 v98, 0
	ds_read_b128 v[102:105], v98 offset:176
	s_waitcnt lgkmcnt(0)
	v_mul_f64 v[98:99], v[3:4], v[104:105]
	v_mul_f64 v[104:105], v[1:2], v[104:105]
	v_fma_f64 v[1:2], v[1:2], v[102:103], -v[98:99]
	v_fma_f64 v[3:4], v[3:4], v[102:103], v[104:105]
	buffer_store_dword v2, off, s[0:3], 0 offset:180
	buffer_store_dword v1, off, s[0:3], 0 offset:176
	;; [unrolled: 1-line block ×4, first 2 shown]
.LBB108_439:
	s_or_b32 exec_lo, exec_lo, s4
	v_mov_b32_e32 v4, s40
	s_mov_b32 s4, exec_lo
	s_clause 0x3
	buffer_load_dword v1, v4, s[0:3], 0 offen
	buffer_load_dword v2, v4, s[0:3], 0 offen offset:4
	buffer_load_dword v3, v4, s[0:3], 0 offen offset:8
	;; [unrolled: 1-line block ×3, first 2 shown]
	s_waitcnt vmcnt(0)
	ds_write_b128 v96, v[1:4]
	s_waitcnt lgkmcnt(0)
	s_waitcnt_vscnt null, 0x0
	s_barrier
	buffer_gl0_inv
	v_cmpx_gt_u32_e32 12, v0
	s_cbranch_execz .LBB108_447
; %bb.440:
	ds_read_b128 v[1:4], v96
	v_cmp_ne_u32_e32 vcc_lo, 1, v97
	s_cbranch_vccnz .LBB108_442
; %bb.441:
	s_clause 0x3
	buffer_load_dword v98, v95, s[0:3], 0 offen offset:8
	buffer_load_dword v99, v95, s[0:3], 0 offen offset:12
	buffer_load_dword v102, v95, s[0:3], 0 offen
	buffer_load_dword v103, v95, s[0:3], 0 offen offset:4
	s_waitcnt vmcnt(2) lgkmcnt(0)
	v_mul_f64 v[104:105], v[3:4], v[98:99]
	v_mul_f64 v[98:99], v[1:2], v[98:99]
	s_waitcnt vmcnt(0)
	v_fma_f64 v[1:2], v[1:2], v[102:103], -v[104:105]
	v_fma_f64 v[3:4], v[3:4], v[102:103], v[98:99]
.LBB108_442:
	s_mov_b32 s8, exec_lo
	v_cmpx_ne_u32_e32 11, v0
	s_cbranch_execz .LBB108_446
; %bb.443:
	v_add_nc_u32_e32 v98, 0x2e0, v101
	v_add3_u32 v99, 0, v101, 16
	v_mov_b32_e32 v100, v0
	s_mov_b32 s52, 0
	.p2align	6
.LBB108_444:                            ; =>This Inner Loop Header: Depth=1
	s_clause 0x3
	buffer_load_dword v106, v99, s[0:3], 0 offen offset:8
	buffer_load_dword v107, v99, s[0:3], 0 offen offset:12
	buffer_load_dword v108, v99, s[0:3], 0 offen
	buffer_load_dword v109, v99, s[0:3], 0 offen offset:4
	ds_read_b128 v[102:105], v98
	v_add_nc_u32_e32 v100, 1, v100
	v_add_nc_u32_e32 v98, 16, v98
	;; [unrolled: 1-line block ×3, first 2 shown]
	v_cmp_lt_u32_e32 vcc_lo, 10, v100
	s_or_b32 s52, vcc_lo, s52
	s_waitcnt vmcnt(2) lgkmcnt(0)
	v_mul_f64 v[110:111], v[104:105], v[106:107]
	v_mul_f64 v[106:107], v[102:103], v[106:107]
	s_waitcnt vmcnt(0)
	v_fma_f64 v[102:103], v[102:103], v[108:109], -v[110:111]
	v_fma_f64 v[104:105], v[104:105], v[108:109], v[106:107]
	v_add_f64 v[1:2], v[1:2], v[102:103]
	v_add_f64 v[3:4], v[3:4], v[104:105]
	s_andn2_b32 exec_lo, exec_lo, s52
	s_cbranch_execnz .LBB108_444
; %bb.445:
	s_or_b32 exec_lo, exec_lo, s52
.LBB108_446:
	s_or_b32 exec_lo, exec_lo, s8
	v_mov_b32_e32 v98, 0
	ds_read_b128 v[102:105], v98 offset:192
	s_waitcnt lgkmcnt(0)
	v_mul_f64 v[98:99], v[3:4], v[104:105]
	v_mul_f64 v[104:105], v[1:2], v[104:105]
	v_fma_f64 v[1:2], v[1:2], v[102:103], -v[98:99]
	v_fma_f64 v[3:4], v[3:4], v[102:103], v[104:105]
	buffer_store_dword v2, off, s[0:3], 0 offset:196
	buffer_store_dword v1, off, s[0:3], 0 offset:192
	;; [unrolled: 1-line block ×4, first 2 shown]
.LBB108_447:
	s_or_b32 exec_lo, exec_lo, s4
	v_mov_b32_e32 v4, s39
	s_mov_b32 s4, exec_lo
	s_clause 0x3
	buffer_load_dword v1, v4, s[0:3], 0 offen
	buffer_load_dword v2, v4, s[0:3], 0 offen offset:4
	buffer_load_dword v3, v4, s[0:3], 0 offen offset:8
	;; [unrolled: 1-line block ×3, first 2 shown]
	s_waitcnt vmcnt(0)
	ds_write_b128 v96, v[1:4]
	s_waitcnt lgkmcnt(0)
	s_waitcnt_vscnt null, 0x0
	s_barrier
	buffer_gl0_inv
	v_cmpx_gt_u32_e32 13, v0
	s_cbranch_execz .LBB108_455
; %bb.448:
	ds_read_b128 v[1:4], v96
	v_cmp_ne_u32_e32 vcc_lo, 1, v97
	s_cbranch_vccnz .LBB108_450
; %bb.449:
	s_clause 0x3
	buffer_load_dword v98, v95, s[0:3], 0 offen offset:8
	buffer_load_dword v99, v95, s[0:3], 0 offen offset:12
	buffer_load_dword v102, v95, s[0:3], 0 offen
	buffer_load_dword v103, v95, s[0:3], 0 offen offset:4
	s_waitcnt vmcnt(2) lgkmcnt(0)
	v_mul_f64 v[104:105], v[3:4], v[98:99]
	v_mul_f64 v[98:99], v[1:2], v[98:99]
	s_waitcnt vmcnt(0)
	v_fma_f64 v[1:2], v[1:2], v[102:103], -v[104:105]
	v_fma_f64 v[3:4], v[3:4], v[102:103], v[98:99]
.LBB108_450:
	s_mov_b32 s8, exec_lo
	v_cmpx_ne_u32_e32 12, v0
	s_cbranch_execz .LBB108_454
; %bb.451:
	v_add_nc_u32_e32 v98, 0x2e0, v101
	v_add3_u32 v99, 0, v101, 16
	v_mov_b32_e32 v100, v0
	s_mov_b32 s52, 0
	.p2align	6
.LBB108_452:                            ; =>This Inner Loop Header: Depth=1
	s_clause 0x3
	buffer_load_dword v106, v99, s[0:3], 0 offen offset:8
	buffer_load_dword v107, v99, s[0:3], 0 offen offset:12
	buffer_load_dword v108, v99, s[0:3], 0 offen
	buffer_load_dword v109, v99, s[0:3], 0 offen offset:4
	ds_read_b128 v[102:105], v98
	v_add_nc_u32_e32 v100, 1, v100
	v_add_nc_u32_e32 v98, 16, v98
	;; [unrolled: 1-line block ×3, first 2 shown]
	v_cmp_lt_u32_e32 vcc_lo, 11, v100
	s_or_b32 s52, vcc_lo, s52
	s_waitcnt vmcnt(2) lgkmcnt(0)
	v_mul_f64 v[110:111], v[104:105], v[106:107]
	v_mul_f64 v[106:107], v[102:103], v[106:107]
	s_waitcnt vmcnt(0)
	v_fma_f64 v[102:103], v[102:103], v[108:109], -v[110:111]
	v_fma_f64 v[104:105], v[104:105], v[108:109], v[106:107]
	v_add_f64 v[1:2], v[1:2], v[102:103]
	v_add_f64 v[3:4], v[3:4], v[104:105]
	s_andn2_b32 exec_lo, exec_lo, s52
	s_cbranch_execnz .LBB108_452
; %bb.453:
	s_or_b32 exec_lo, exec_lo, s52
.LBB108_454:
	s_or_b32 exec_lo, exec_lo, s8
	v_mov_b32_e32 v98, 0
	ds_read_b128 v[102:105], v98 offset:208
	s_waitcnt lgkmcnt(0)
	v_mul_f64 v[98:99], v[3:4], v[104:105]
	v_mul_f64 v[104:105], v[1:2], v[104:105]
	v_fma_f64 v[1:2], v[1:2], v[102:103], -v[98:99]
	v_fma_f64 v[3:4], v[3:4], v[102:103], v[104:105]
	buffer_store_dword v2, off, s[0:3], 0 offset:212
	buffer_store_dword v1, off, s[0:3], 0 offset:208
	;; [unrolled: 1-line block ×4, first 2 shown]
.LBB108_455:
	s_or_b32 exec_lo, exec_lo, s4
	v_mov_b32_e32 v4, s38
	s_mov_b32 s4, exec_lo
	s_clause 0x3
	buffer_load_dword v1, v4, s[0:3], 0 offen
	buffer_load_dword v2, v4, s[0:3], 0 offen offset:4
	buffer_load_dword v3, v4, s[0:3], 0 offen offset:8
	;; [unrolled: 1-line block ×3, first 2 shown]
	s_waitcnt vmcnt(0)
	ds_write_b128 v96, v[1:4]
	s_waitcnt lgkmcnt(0)
	s_waitcnt_vscnt null, 0x0
	s_barrier
	buffer_gl0_inv
	v_cmpx_gt_u32_e32 14, v0
	s_cbranch_execz .LBB108_463
; %bb.456:
	ds_read_b128 v[1:4], v96
	v_cmp_ne_u32_e32 vcc_lo, 1, v97
	s_cbranch_vccnz .LBB108_458
; %bb.457:
	s_clause 0x3
	buffer_load_dword v98, v95, s[0:3], 0 offen offset:8
	buffer_load_dword v99, v95, s[0:3], 0 offen offset:12
	buffer_load_dword v102, v95, s[0:3], 0 offen
	buffer_load_dword v103, v95, s[0:3], 0 offen offset:4
	s_waitcnt vmcnt(2) lgkmcnt(0)
	v_mul_f64 v[104:105], v[3:4], v[98:99]
	v_mul_f64 v[98:99], v[1:2], v[98:99]
	s_waitcnt vmcnt(0)
	v_fma_f64 v[1:2], v[1:2], v[102:103], -v[104:105]
	v_fma_f64 v[3:4], v[3:4], v[102:103], v[98:99]
.LBB108_458:
	s_mov_b32 s8, exec_lo
	v_cmpx_ne_u32_e32 13, v0
	s_cbranch_execz .LBB108_462
; %bb.459:
	v_add_nc_u32_e32 v98, 0x2e0, v101
	v_add3_u32 v99, 0, v101, 16
	v_mov_b32_e32 v100, v0
	s_mov_b32 s52, 0
	.p2align	6
.LBB108_460:                            ; =>This Inner Loop Header: Depth=1
	s_clause 0x3
	buffer_load_dword v106, v99, s[0:3], 0 offen offset:8
	buffer_load_dword v107, v99, s[0:3], 0 offen offset:12
	buffer_load_dword v108, v99, s[0:3], 0 offen
	buffer_load_dword v109, v99, s[0:3], 0 offen offset:4
	ds_read_b128 v[102:105], v98
	v_add_nc_u32_e32 v100, 1, v100
	v_add_nc_u32_e32 v98, 16, v98
	;; [unrolled: 1-line block ×3, first 2 shown]
	v_cmp_lt_u32_e32 vcc_lo, 12, v100
	s_or_b32 s52, vcc_lo, s52
	s_waitcnt vmcnt(2) lgkmcnt(0)
	v_mul_f64 v[110:111], v[104:105], v[106:107]
	v_mul_f64 v[106:107], v[102:103], v[106:107]
	s_waitcnt vmcnt(0)
	v_fma_f64 v[102:103], v[102:103], v[108:109], -v[110:111]
	v_fma_f64 v[104:105], v[104:105], v[108:109], v[106:107]
	v_add_f64 v[1:2], v[1:2], v[102:103]
	v_add_f64 v[3:4], v[3:4], v[104:105]
	s_andn2_b32 exec_lo, exec_lo, s52
	s_cbranch_execnz .LBB108_460
; %bb.461:
	s_or_b32 exec_lo, exec_lo, s52
.LBB108_462:
	s_or_b32 exec_lo, exec_lo, s8
	v_mov_b32_e32 v98, 0
	ds_read_b128 v[102:105], v98 offset:224
	s_waitcnt lgkmcnt(0)
	v_mul_f64 v[98:99], v[3:4], v[104:105]
	v_mul_f64 v[104:105], v[1:2], v[104:105]
	v_fma_f64 v[1:2], v[1:2], v[102:103], -v[98:99]
	v_fma_f64 v[3:4], v[3:4], v[102:103], v[104:105]
	buffer_store_dword v2, off, s[0:3], 0 offset:228
	buffer_store_dword v1, off, s[0:3], 0 offset:224
	;; [unrolled: 1-line block ×4, first 2 shown]
.LBB108_463:
	s_or_b32 exec_lo, exec_lo, s4
	v_mov_b32_e32 v4, s37
	s_mov_b32 s4, exec_lo
	s_clause 0x3
	buffer_load_dword v1, v4, s[0:3], 0 offen
	buffer_load_dword v2, v4, s[0:3], 0 offen offset:4
	buffer_load_dword v3, v4, s[0:3], 0 offen offset:8
	;; [unrolled: 1-line block ×3, first 2 shown]
	s_waitcnt vmcnt(0)
	ds_write_b128 v96, v[1:4]
	s_waitcnt lgkmcnt(0)
	s_waitcnt_vscnt null, 0x0
	s_barrier
	buffer_gl0_inv
	v_cmpx_gt_u32_e32 15, v0
	s_cbranch_execz .LBB108_471
; %bb.464:
	ds_read_b128 v[1:4], v96
	v_cmp_ne_u32_e32 vcc_lo, 1, v97
	s_cbranch_vccnz .LBB108_466
; %bb.465:
	s_clause 0x3
	buffer_load_dword v98, v95, s[0:3], 0 offen offset:8
	buffer_load_dword v99, v95, s[0:3], 0 offen offset:12
	buffer_load_dword v102, v95, s[0:3], 0 offen
	buffer_load_dword v103, v95, s[0:3], 0 offen offset:4
	s_waitcnt vmcnt(2) lgkmcnt(0)
	v_mul_f64 v[104:105], v[3:4], v[98:99]
	v_mul_f64 v[98:99], v[1:2], v[98:99]
	s_waitcnt vmcnt(0)
	v_fma_f64 v[1:2], v[1:2], v[102:103], -v[104:105]
	v_fma_f64 v[3:4], v[3:4], v[102:103], v[98:99]
.LBB108_466:
	s_mov_b32 s8, exec_lo
	v_cmpx_ne_u32_e32 14, v0
	s_cbranch_execz .LBB108_470
; %bb.467:
	v_add_nc_u32_e32 v98, 0x2e0, v101
	v_add3_u32 v99, 0, v101, 16
	v_mov_b32_e32 v100, v0
	s_mov_b32 s52, 0
	.p2align	6
.LBB108_468:                            ; =>This Inner Loop Header: Depth=1
	s_clause 0x3
	buffer_load_dword v106, v99, s[0:3], 0 offen offset:8
	buffer_load_dword v107, v99, s[0:3], 0 offen offset:12
	buffer_load_dword v108, v99, s[0:3], 0 offen
	buffer_load_dword v109, v99, s[0:3], 0 offen offset:4
	ds_read_b128 v[102:105], v98
	v_add_nc_u32_e32 v100, 1, v100
	v_add_nc_u32_e32 v98, 16, v98
	;; [unrolled: 1-line block ×3, first 2 shown]
	v_cmp_lt_u32_e32 vcc_lo, 13, v100
	s_or_b32 s52, vcc_lo, s52
	s_waitcnt vmcnt(2) lgkmcnt(0)
	v_mul_f64 v[110:111], v[104:105], v[106:107]
	v_mul_f64 v[106:107], v[102:103], v[106:107]
	s_waitcnt vmcnt(0)
	v_fma_f64 v[102:103], v[102:103], v[108:109], -v[110:111]
	v_fma_f64 v[104:105], v[104:105], v[108:109], v[106:107]
	v_add_f64 v[1:2], v[1:2], v[102:103]
	v_add_f64 v[3:4], v[3:4], v[104:105]
	s_andn2_b32 exec_lo, exec_lo, s52
	s_cbranch_execnz .LBB108_468
; %bb.469:
	s_or_b32 exec_lo, exec_lo, s52
.LBB108_470:
	s_or_b32 exec_lo, exec_lo, s8
	v_mov_b32_e32 v98, 0
	ds_read_b128 v[102:105], v98 offset:240
	s_waitcnt lgkmcnt(0)
	v_mul_f64 v[98:99], v[3:4], v[104:105]
	v_mul_f64 v[104:105], v[1:2], v[104:105]
	v_fma_f64 v[1:2], v[1:2], v[102:103], -v[98:99]
	v_fma_f64 v[3:4], v[3:4], v[102:103], v[104:105]
	buffer_store_dword v2, off, s[0:3], 0 offset:244
	buffer_store_dword v1, off, s[0:3], 0 offset:240
	;; [unrolled: 1-line block ×4, first 2 shown]
.LBB108_471:
	s_or_b32 exec_lo, exec_lo, s4
	v_mov_b32_e32 v4, s36
	s_mov_b32 s4, exec_lo
	s_clause 0x3
	buffer_load_dword v1, v4, s[0:3], 0 offen
	buffer_load_dword v2, v4, s[0:3], 0 offen offset:4
	buffer_load_dword v3, v4, s[0:3], 0 offen offset:8
	;; [unrolled: 1-line block ×3, first 2 shown]
	s_waitcnt vmcnt(0)
	ds_write_b128 v96, v[1:4]
	s_waitcnt lgkmcnt(0)
	s_waitcnt_vscnt null, 0x0
	s_barrier
	buffer_gl0_inv
	v_cmpx_gt_u32_e32 16, v0
	s_cbranch_execz .LBB108_479
; %bb.472:
	ds_read_b128 v[1:4], v96
	v_cmp_ne_u32_e32 vcc_lo, 1, v97
	s_cbranch_vccnz .LBB108_474
; %bb.473:
	s_clause 0x3
	buffer_load_dword v98, v95, s[0:3], 0 offen offset:8
	buffer_load_dword v99, v95, s[0:3], 0 offen offset:12
	buffer_load_dword v102, v95, s[0:3], 0 offen
	buffer_load_dword v103, v95, s[0:3], 0 offen offset:4
	s_waitcnt vmcnt(2) lgkmcnt(0)
	v_mul_f64 v[104:105], v[3:4], v[98:99]
	v_mul_f64 v[98:99], v[1:2], v[98:99]
	s_waitcnt vmcnt(0)
	v_fma_f64 v[1:2], v[1:2], v[102:103], -v[104:105]
	v_fma_f64 v[3:4], v[3:4], v[102:103], v[98:99]
.LBB108_474:
	s_mov_b32 s8, exec_lo
	v_cmpx_ne_u32_e32 15, v0
	s_cbranch_execz .LBB108_478
; %bb.475:
	v_add_nc_u32_e32 v98, 0x2e0, v101
	v_add3_u32 v99, 0, v101, 16
	v_mov_b32_e32 v100, v0
	s_mov_b32 s52, 0
	.p2align	6
.LBB108_476:                            ; =>This Inner Loop Header: Depth=1
	s_clause 0x3
	buffer_load_dword v106, v99, s[0:3], 0 offen offset:8
	buffer_load_dword v107, v99, s[0:3], 0 offen offset:12
	buffer_load_dword v108, v99, s[0:3], 0 offen
	buffer_load_dword v109, v99, s[0:3], 0 offen offset:4
	ds_read_b128 v[102:105], v98
	v_add_nc_u32_e32 v100, 1, v100
	v_add_nc_u32_e32 v98, 16, v98
	;; [unrolled: 1-line block ×3, first 2 shown]
	v_cmp_lt_u32_e32 vcc_lo, 14, v100
	s_or_b32 s52, vcc_lo, s52
	s_waitcnt vmcnt(2) lgkmcnt(0)
	v_mul_f64 v[110:111], v[104:105], v[106:107]
	v_mul_f64 v[106:107], v[102:103], v[106:107]
	s_waitcnt vmcnt(0)
	v_fma_f64 v[102:103], v[102:103], v[108:109], -v[110:111]
	v_fma_f64 v[104:105], v[104:105], v[108:109], v[106:107]
	v_add_f64 v[1:2], v[1:2], v[102:103]
	v_add_f64 v[3:4], v[3:4], v[104:105]
	s_andn2_b32 exec_lo, exec_lo, s52
	s_cbranch_execnz .LBB108_476
; %bb.477:
	s_or_b32 exec_lo, exec_lo, s52
.LBB108_478:
	s_or_b32 exec_lo, exec_lo, s8
	v_mov_b32_e32 v98, 0
	ds_read_b128 v[102:105], v98 offset:256
	s_waitcnt lgkmcnt(0)
	v_mul_f64 v[98:99], v[3:4], v[104:105]
	v_mul_f64 v[104:105], v[1:2], v[104:105]
	v_fma_f64 v[1:2], v[1:2], v[102:103], -v[98:99]
	v_fma_f64 v[3:4], v[3:4], v[102:103], v[104:105]
	buffer_store_dword v2, off, s[0:3], 0 offset:260
	buffer_store_dword v1, off, s[0:3], 0 offset:256
	;; [unrolled: 1-line block ×4, first 2 shown]
.LBB108_479:
	s_or_b32 exec_lo, exec_lo, s4
	v_mov_b32_e32 v4, s35
	s_mov_b32 s4, exec_lo
	s_clause 0x3
	buffer_load_dword v1, v4, s[0:3], 0 offen
	buffer_load_dword v2, v4, s[0:3], 0 offen offset:4
	buffer_load_dword v3, v4, s[0:3], 0 offen offset:8
	;; [unrolled: 1-line block ×3, first 2 shown]
	s_waitcnt vmcnt(0)
	ds_write_b128 v96, v[1:4]
	s_waitcnt lgkmcnt(0)
	s_waitcnt_vscnt null, 0x0
	s_barrier
	buffer_gl0_inv
	v_cmpx_gt_u32_e32 17, v0
	s_cbranch_execz .LBB108_487
; %bb.480:
	ds_read_b128 v[1:4], v96
	v_cmp_ne_u32_e32 vcc_lo, 1, v97
	s_cbranch_vccnz .LBB108_482
; %bb.481:
	s_clause 0x3
	buffer_load_dword v98, v95, s[0:3], 0 offen offset:8
	buffer_load_dword v99, v95, s[0:3], 0 offen offset:12
	buffer_load_dword v102, v95, s[0:3], 0 offen
	buffer_load_dword v103, v95, s[0:3], 0 offen offset:4
	s_waitcnt vmcnt(2) lgkmcnt(0)
	v_mul_f64 v[104:105], v[3:4], v[98:99]
	v_mul_f64 v[98:99], v[1:2], v[98:99]
	s_waitcnt vmcnt(0)
	v_fma_f64 v[1:2], v[1:2], v[102:103], -v[104:105]
	v_fma_f64 v[3:4], v[3:4], v[102:103], v[98:99]
.LBB108_482:
	s_mov_b32 s8, exec_lo
	v_cmpx_ne_u32_e32 16, v0
	s_cbranch_execz .LBB108_486
; %bb.483:
	v_add_nc_u32_e32 v98, 0x2e0, v101
	v_add3_u32 v99, 0, v101, 16
	v_mov_b32_e32 v100, v0
	s_mov_b32 s52, 0
	.p2align	6
.LBB108_484:                            ; =>This Inner Loop Header: Depth=1
	s_clause 0x3
	buffer_load_dword v106, v99, s[0:3], 0 offen offset:8
	buffer_load_dword v107, v99, s[0:3], 0 offen offset:12
	buffer_load_dword v108, v99, s[0:3], 0 offen
	buffer_load_dword v109, v99, s[0:3], 0 offen offset:4
	ds_read_b128 v[102:105], v98
	v_add_nc_u32_e32 v100, 1, v100
	v_add_nc_u32_e32 v98, 16, v98
	;; [unrolled: 1-line block ×3, first 2 shown]
	v_cmp_lt_u32_e32 vcc_lo, 15, v100
	s_or_b32 s52, vcc_lo, s52
	s_waitcnt vmcnt(2) lgkmcnt(0)
	v_mul_f64 v[110:111], v[104:105], v[106:107]
	v_mul_f64 v[106:107], v[102:103], v[106:107]
	s_waitcnt vmcnt(0)
	v_fma_f64 v[102:103], v[102:103], v[108:109], -v[110:111]
	v_fma_f64 v[104:105], v[104:105], v[108:109], v[106:107]
	v_add_f64 v[1:2], v[1:2], v[102:103]
	v_add_f64 v[3:4], v[3:4], v[104:105]
	s_andn2_b32 exec_lo, exec_lo, s52
	s_cbranch_execnz .LBB108_484
; %bb.485:
	s_or_b32 exec_lo, exec_lo, s52
.LBB108_486:
	s_or_b32 exec_lo, exec_lo, s8
	v_mov_b32_e32 v98, 0
	ds_read_b128 v[102:105], v98 offset:272
	s_waitcnt lgkmcnt(0)
	v_mul_f64 v[98:99], v[3:4], v[104:105]
	v_mul_f64 v[104:105], v[1:2], v[104:105]
	v_fma_f64 v[1:2], v[1:2], v[102:103], -v[98:99]
	v_fma_f64 v[3:4], v[3:4], v[102:103], v[104:105]
	buffer_store_dword v2, off, s[0:3], 0 offset:276
	buffer_store_dword v1, off, s[0:3], 0 offset:272
	;; [unrolled: 1-line block ×4, first 2 shown]
.LBB108_487:
	s_or_b32 exec_lo, exec_lo, s4
	v_mov_b32_e32 v4, s34
	s_mov_b32 s4, exec_lo
	s_clause 0x3
	buffer_load_dword v1, v4, s[0:3], 0 offen
	buffer_load_dword v2, v4, s[0:3], 0 offen offset:4
	buffer_load_dword v3, v4, s[0:3], 0 offen offset:8
	;; [unrolled: 1-line block ×3, first 2 shown]
	s_waitcnt vmcnt(0)
	ds_write_b128 v96, v[1:4]
	s_waitcnt lgkmcnt(0)
	s_waitcnt_vscnt null, 0x0
	s_barrier
	buffer_gl0_inv
	v_cmpx_gt_u32_e32 18, v0
	s_cbranch_execz .LBB108_495
; %bb.488:
	ds_read_b128 v[1:4], v96
	v_cmp_ne_u32_e32 vcc_lo, 1, v97
	s_cbranch_vccnz .LBB108_490
; %bb.489:
	s_clause 0x3
	buffer_load_dword v98, v95, s[0:3], 0 offen offset:8
	buffer_load_dword v99, v95, s[0:3], 0 offen offset:12
	buffer_load_dword v102, v95, s[0:3], 0 offen
	buffer_load_dword v103, v95, s[0:3], 0 offen offset:4
	s_waitcnt vmcnt(2) lgkmcnt(0)
	v_mul_f64 v[104:105], v[3:4], v[98:99]
	v_mul_f64 v[98:99], v[1:2], v[98:99]
	s_waitcnt vmcnt(0)
	v_fma_f64 v[1:2], v[1:2], v[102:103], -v[104:105]
	v_fma_f64 v[3:4], v[3:4], v[102:103], v[98:99]
.LBB108_490:
	s_mov_b32 s8, exec_lo
	v_cmpx_ne_u32_e32 17, v0
	s_cbranch_execz .LBB108_494
; %bb.491:
	v_add_nc_u32_e32 v98, 0x2e0, v101
	v_add3_u32 v99, 0, v101, 16
	v_mov_b32_e32 v100, v0
	s_mov_b32 s52, 0
	.p2align	6
.LBB108_492:                            ; =>This Inner Loop Header: Depth=1
	s_clause 0x3
	buffer_load_dword v106, v99, s[0:3], 0 offen offset:8
	buffer_load_dword v107, v99, s[0:3], 0 offen offset:12
	buffer_load_dword v108, v99, s[0:3], 0 offen
	buffer_load_dword v109, v99, s[0:3], 0 offen offset:4
	ds_read_b128 v[102:105], v98
	v_add_nc_u32_e32 v100, 1, v100
	v_add_nc_u32_e32 v98, 16, v98
	;; [unrolled: 1-line block ×3, first 2 shown]
	v_cmp_lt_u32_e32 vcc_lo, 16, v100
	s_or_b32 s52, vcc_lo, s52
	s_waitcnt vmcnt(2) lgkmcnt(0)
	v_mul_f64 v[110:111], v[104:105], v[106:107]
	v_mul_f64 v[106:107], v[102:103], v[106:107]
	s_waitcnt vmcnt(0)
	v_fma_f64 v[102:103], v[102:103], v[108:109], -v[110:111]
	v_fma_f64 v[104:105], v[104:105], v[108:109], v[106:107]
	v_add_f64 v[1:2], v[1:2], v[102:103]
	v_add_f64 v[3:4], v[3:4], v[104:105]
	s_andn2_b32 exec_lo, exec_lo, s52
	s_cbranch_execnz .LBB108_492
; %bb.493:
	s_or_b32 exec_lo, exec_lo, s52
.LBB108_494:
	s_or_b32 exec_lo, exec_lo, s8
	v_mov_b32_e32 v98, 0
	ds_read_b128 v[102:105], v98 offset:288
	s_waitcnt lgkmcnt(0)
	v_mul_f64 v[98:99], v[3:4], v[104:105]
	v_mul_f64 v[104:105], v[1:2], v[104:105]
	v_fma_f64 v[1:2], v[1:2], v[102:103], -v[98:99]
	v_fma_f64 v[3:4], v[3:4], v[102:103], v[104:105]
	buffer_store_dword v2, off, s[0:3], 0 offset:292
	buffer_store_dword v1, off, s[0:3], 0 offset:288
	buffer_store_dword v4, off, s[0:3], 0 offset:300
	buffer_store_dword v3, off, s[0:3], 0 offset:296
.LBB108_495:
	s_or_b32 exec_lo, exec_lo, s4
	v_mov_b32_e32 v4, s33
	s_mov_b32 s4, exec_lo
	s_clause 0x3
	buffer_load_dword v1, v4, s[0:3], 0 offen
	buffer_load_dword v2, v4, s[0:3], 0 offen offset:4
	buffer_load_dword v3, v4, s[0:3], 0 offen offset:8
	;; [unrolled: 1-line block ×3, first 2 shown]
	s_waitcnt vmcnt(0)
	ds_write_b128 v96, v[1:4]
	s_waitcnt lgkmcnt(0)
	s_waitcnt_vscnt null, 0x0
	s_barrier
	buffer_gl0_inv
	v_cmpx_gt_u32_e32 19, v0
	s_cbranch_execz .LBB108_503
; %bb.496:
	ds_read_b128 v[1:4], v96
	v_cmp_ne_u32_e32 vcc_lo, 1, v97
	s_cbranch_vccnz .LBB108_498
; %bb.497:
	s_clause 0x3
	buffer_load_dword v98, v95, s[0:3], 0 offen offset:8
	buffer_load_dword v99, v95, s[0:3], 0 offen offset:12
	buffer_load_dword v102, v95, s[0:3], 0 offen
	buffer_load_dword v103, v95, s[0:3], 0 offen offset:4
	s_waitcnt vmcnt(2) lgkmcnt(0)
	v_mul_f64 v[104:105], v[3:4], v[98:99]
	v_mul_f64 v[98:99], v[1:2], v[98:99]
	s_waitcnt vmcnt(0)
	v_fma_f64 v[1:2], v[1:2], v[102:103], -v[104:105]
	v_fma_f64 v[3:4], v[3:4], v[102:103], v[98:99]
.LBB108_498:
	s_mov_b32 s8, exec_lo
	v_cmpx_ne_u32_e32 18, v0
	s_cbranch_execz .LBB108_502
; %bb.499:
	v_add_nc_u32_e32 v98, 0x2e0, v101
	v_add3_u32 v99, 0, v101, 16
	v_mov_b32_e32 v100, v0
	s_mov_b32 s52, 0
	.p2align	6
.LBB108_500:                            ; =>This Inner Loop Header: Depth=1
	s_clause 0x3
	buffer_load_dword v106, v99, s[0:3], 0 offen offset:8
	buffer_load_dword v107, v99, s[0:3], 0 offen offset:12
	buffer_load_dword v108, v99, s[0:3], 0 offen
	buffer_load_dword v109, v99, s[0:3], 0 offen offset:4
	ds_read_b128 v[102:105], v98
	v_add_nc_u32_e32 v100, 1, v100
	v_add_nc_u32_e32 v98, 16, v98
	;; [unrolled: 1-line block ×3, first 2 shown]
	v_cmp_lt_u32_e32 vcc_lo, 17, v100
	s_or_b32 s52, vcc_lo, s52
	s_waitcnt vmcnt(2) lgkmcnt(0)
	v_mul_f64 v[110:111], v[104:105], v[106:107]
	v_mul_f64 v[106:107], v[102:103], v[106:107]
	s_waitcnt vmcnt(0)
	v_fma_f64 v[102:103], v[102:103], v[108:109], -v[110:111]
	v_fma_f64 v[104:105], v[104:105], v[108:109], v[106:107]
	v_add_f64 v[1:2], v[1:2], v[102:103]
	v_add_f64 v[3:4], v[3:4], v[104:105]
	s_andn2_b32 exec_lo, exec_lo, s52
	s_cbranch_execnz .LBB108_500
; %bb.501:
	s_or_b32 exec_lo, exec_lo, s52
.LBB108_502:
	s_or_b32 exec_lo, exec_lo, s8
	v_mov_b32_e32 v98, 0
	ds_read_b128 v[102:105], v98 offset:304
	s_waitcnt lgkmcnt(0)
	v_mul_f64 v[98:99], v[3:4], v[104:105]
	v_mul_f64 v[104:105], v[1:2], v[104:105]
	v_fma_f64 v[1:2], v[1:2], v[102:103], -v[98:99]
	v_fma_f64 v[3:4], v[3:4], v[102:103], v[104:105]
	buffer_store_dword v2, off, s[0:3], 0 offset:308
	buffer_store_dword v1, off, s[0:3], 0 offset:304
	;; [unrolled: 1-line block ×4, first 2 shown]
.LBB108_503:
	s_or_b32 exec_lo, exec_lo, s4
	v_mov_b32_e32 v4, s31
	s_mov_b32 s4, exec_lo
	s_clause 0x3
	buffer_load_dword v1, v4, s[0:3], 0 offen
	buffer_load_dword v2, v4, s[0:3], 0 offen offset:4
	buffer_load_dword v3, v4, s[0:3], 0 offen offset:8
	;; [unrolled: 1-line block ×3, first 2 shown]
	s_waitcnt vmcnt(0)
	ds_write_b128 v96, v[1:4]
	s_waitcnt lgkmcnt(0)
	s_waitcnt_vscnt null, 0x0
	s_barrier
	buffer_gl0_inv
	v_cmpx_gt_u32_e32 20, v0
	s_cbranch_execz .LBB108_511
; %bb.504:
	ds_read_b128 v[1:4], v96
	v_cmp_ne_u32_e32 vcc_lo, 1, v97
	s_cbranch_vccnz .LBB108_506
; %bb.505:
	s_clause 0x3
	buffer_load_dword v98, v95, s[0:3], 0 offen offset:8
	buffer_load_dword v99, v95, s[0:3], 0 offen offset:12
	buffer_load_dword v102, v95, s[0:3], 0 offen
	buffer_load_dword v103, v95, s[0:3], 0 offen offset:4
	s_waitcnt vmcnt(2) lgkmcnt(0)
	v_mul_f64 v[104:105], v[3:4], v[98:99]
	v_mul_f64 v[98:99], v[1:2], v[98:99]
	s_waitcnt vmcnt(0)
	v_fma_f64 v[1:2], v[1:2], v[102:103], -v[104:105]
	v_fma_f64 v[3:4], v[3:4], v[102:103], v[98:99]
.LBB108_506:
	s_mov_b32 s8, exec_lo
	v_cmpx_ne_u32_e32 19, v0
	s_cbranch_execz .LBB108_510
; %bb.507:
	v_add_nc_u32_e32 v98, 0x2e0, v101
	v_add3_u32 v99, 0, v101, 16
	v_mov_b32_e32 v100, v0
	s_mov_b32 s52, 0
	.p2align	6
.LBB108_508:                            ; =>This Inner Loop Header: Depth=1
	s_clause 0x3
	buffer_load_dword v106, v99, s[0:3], 0 offen offset:8
	buffer_load_dword v107, v99, s[0:3], 0 offen offset:12
	buffer_load_dword v108, v99, s[0:3], 0 offen
	buffer_load_dword v109, v99, s[0:3], 0 offen offset:4
	ds_read_b128 v[102:105], v98
	v_add_nc_u32_e32 v100, 1, v100
	v_add_nc_u32_e32 v98, 16, v98
	;; [unrolled: 1-line block ×3, first 2 shown]
	v_cmp_lt_u32_e32 vcc_lo, 18, v100
	s_or_b32 s52, vcc_lo, s52
	s_waitcnt vmcnt(2) lgkmcnt(0)
	v_mul_f64 v[110:111], v[104:105], v[106:107]
	v_mul_f64 v[106:107], v[102:103], v[106:107]
	s_waitcnt vmcnt(0)
	v_fma_f64 v[102:103], v[102:103], v[108:109], -v[110:111]
	v_fma_f64 v[104:105], v[104:105], v[108:109], v[106:107]
	v_add_f64 v[1:2], v[1:2], v[102:103]
	v_add_f64 v[3:4], v[3:4], v[104:105]
	s_andn2_b32 exec_lo, exec_lo, s52
	s_cbranch_execnz .LBB108_508
; %bb.509:
	s_or_b32 exec_lo, exec_lo, s52
.LBB108_510:
	s_or_b32 exec_lo, exec_lo, s8
	v_mov_b32_e32 v98, 0
	ds_read_b128 v[102:105], v98 offset:320
	s_waitcnt lgkmcnt(0)
	v_mul_f64 v[98:99], v[3:4], v[104:105]
	v_mul_f64 v[104:105], v[1:2], v[104:105]
	v_fma_f64 v[1:2], v[1:2], v[102:103], -v[98:99]
	v_fma_f64 v[3:4], v[3:4], v[102:103], v[104:105]
	buffer_store_dword v2, off, s[0:3], 0 offset:324
	buffer_store_dword v1, off, s[0:3], 0 offset:320
	;; [unrolled: 1-line block ×4, first 2 shown]
.LBB108_511:
	s_or_b32 exec_lo, exec_lo, s4
	v_mov_b32_e32 v4, s30
	s_mov_b32 s4, exec_lo
	s_clause 0x3
	buffer_load_dword v1, v4, s[0:3], 0 offen
	buffer_load_dword v2, v4, s[0:3], 0 offen offset:4
	buffer_load_dword v3, v4, s[0:3], 0 offen offset:8
	;; [unrolled: 1-line block ×3, first 2 shown]
	s_waitcnt vmcnt(0)
	ds_write_b128 v96, v[1:4]
	s_waitcnt lgkmcnt(0)
	s_waitcnt_vscnt null, 0x0
	s_barrier
	buffer_gl0_inv
	v_cmpx_gt_u32_e32 21, v0
	s_cbranch_execz .LBB108_519
; %bb.512:
	ds_read_b128 v[1:4], v96
	v_cmp_ne_u32_e32 vcc_lo, 1, v97
	s_cbranch_vccnz .LBB108_514
; %bb.513:
	s_clause 0x3
	buffer_load_dword v98, v95, s[0:3], 0 offen offset:8
	buffer_load_dword v99, v95, s[0:3], 0 offen offset:12
	buffer_load_dword v102, v95, s[0:3], 0 offen
	buffer_load_dword v103, v95, s[0:3], 0 offen offset:4
	s_waitcnt vmcnt(2) lgkmcnt(0)
	v_mul_f64 v[104:105], v[3:4], v[98:99]
	v_mul_f64 v[98:99], v[1:2], v[98:99]
	s_waitcnt vmcnt(0)
	v_fma_f64 v[1:2], v[1:2], v[102:103], -v[104:105]
	v_fma_f64 v[3:4], v[3:4], v[102:103], v[98:99]
.LBB108_514:
	s_mov_b32 s8, exec_lo
	v_cmpx_ne_u32_e32 20, v0
	s_cbranch_execz .LBB108_518
; %bb.515:
	v_add_nc_u32_e32 v98, 0x2e0, v101
	v_add3_u32 v99, 0, v101, 16
	v_mov_b32_e32 v100, v0
	s_mov_b32 s52, 0
	.p2align	6
.LBB108_516:                            ; =>This Inner Loop Header: Depth=1
	s_clause 0x3
	buffer_load_dword v106, v99, s[0:3], 0 offen offset:8
	buffer_load_dword v107, v99, s[0:3], 0 offen offset:12
	buffer_load_dword v108, v99, s[0:3], 0 offen
	buffer_load_dword v109, v99, s[0:3], 0 offen offset:4
	ds_read_b128 v[102:105], v98
	v_add_nc_u32_e32 v100, 1, v100
	v_add_nc_u32_e32 v98, 16, v98
	;; [unrolled: 1-line block ×3, first 2 shown]
	v_cmp_lt_u32_e32 vcc_lo, 19, v100
	s_or_b32 s52, vcc_lo, s52
	s_waitcnt vmcnt(2) lgkmcnt(0)
	v_mul_f64 v[110:111], v[104:105], v[106:107]
	v_mul_f64 v[106:107], v[102:103], v[106:107]
	s_waitcnt vmcnt(0)
	v_fma_f64 v[102:103], v[102:103], v[108:109], -v[110:111]
	v_fma_f64 v[104:105], v[104:105], v[108:109], v[106:107]
	v_add_f64 v[1:2], v[1:2], v[102:103]
	v_add_f64 v[3:4], v[3:4], v[104:105]
	s_andn2_b32 exec_lo, exec_lo, s52
	s_cbranch_execnz .LBB108_516
; %bb.517:
	s_or_b32 exec_lo, exec_lo, s52
.LBB108_518:
	s_or_b32 exec_lo, exec_lo, s8
	v_mov_b32_e32 v98, 0
	ds_read_b128 v[102:105], v98 offset:336
	s_waitcnt lgkmcnt(0)
	v_mul_f64 v[98:99], v[3:4], v[104:105]
	v_mul_f64 v[104:105], v[1:2], v[104:105]
	v_fma_f64 v[1:2], v[1:2], v[102:103], -v[98:99]
	v_fma_f64 v[3:4], v[3:4], v[102:103], v[104:105]
	buffer_store_dword v2, off, s[0:3], 0 offset:340
	buffer_store_dword v1, off, s[0:3], 0 offset:336
	buffer_store_dword v4, off, s[0:3], 0 offset:348
	buffer_store_dword v3, off, s[0:3], 0 offset:344
.LBB108_519:
	s_or_b32 exec_lo, exec_lo, s4
	v_mov_b32_e32 v4, s29
	s_mov_b32 s4, exec_lo
	s_clause 0x3
	buffer_load_dword v1, v4, s[0:3], 0 offen
	buffer_load_dword v2, v4, s[0:3], 0 offen offset:4
	buffer_load_dword v3, v4, s[0:3], 0 offen offset:8
	buffer_load_dword v4, v4, s[0:3], 0 offen offset:12
	s_waitcnt vmcnt(0)
	ds_write_b128 v96, v[1:4]
	s_waitcnt lgkmcnt(0)
	s_waitcnt_vscnt null, 0x0
	s_barrier
	buffer_gl0_inv
	v_cmpx_gt_u32_e32 22, v0
	s_cbranch_execz .LBB108_527
; %bb.520:
	ds_read_b128 v[1:4], v96
	v_cmp_ne_u32_e32 vcc_lo, 1, v97
	s_cbranch_vccnz .LBB108_522
; %bb.521:
	s_clause 0x3
	buffer_load_dword v98, v95, s[0:3], 0 offen offset:8
	buffer_load_dword v99, v95, s[0:3], 0 offen offset:12
	buffer_load_dword v102, v95, s[0:3], 0 offen
	buffer_load_dword v103, v95, s[0:3], 0 offen offset:4
	s_waitcnt vmcnt(2) lgkmcnt(0)
	v_mul_f64 v[104:105], v[3:4], v[98:99]
	v_mul_f64 v[98:99], v[1:2], v[98:99]
	s_waitcnt vmcnt(0)
	v_fma_f64 v[1:2], v[1:2], v[102:103], -v[104:105]
	v_fma_f64 v[3:4], v[3:4], v[102:103], v[98:99]
.LBB108_522:
	s_mov_b32 s8, exec_lo
	v_cmpx_ne_u32_e32 21, v0
	s_cbranch_execz .LBB108_526
; %bb.523:
	v_add_nc_u32_e32 v98, 0x2e0, v101
	v_add3_u32 v99, 0, v101, 16
	v_mov_b32_e32 v100, v0
	s_mov_b32 s52, 0
	.p2align	6
.LBB108_524:                            ; =>This Inner Loop Header: Depth=1
	s_clause 0x3
	buffer_load_dword v106, v99, s[0:3], 0 offen offset:8
	buffer_load_dword v107, v99, s[0:3], 0 offen offset:12
	buffer_load_dword v108, v99, s[0:3], 0 offen
	buffer_load_dword v109, v99, s[0:3], 0 offen offset:4
	ds_read_b128 v[102:105], v98
	v_add_nc_u32_e32 v100, 1, v100
	v_add_nc_u32_e32 v98, 16, v98
	;; [unrolled: 1-line block ×3, first 2 shown]
	v_cmp_lt_u32_e32 vcc_lo, 20, v100
	s_or_b32 s52, vcc_lo, s52
	s_waitcnt vmcnt(2) lgkmcnt(0)
	v_mul_f64 v[110:111], v[104:105], v[106:107]
	v_mul_f64 v[106:107], v[102:103], v[106:107]
	s_waitcnt vmcnt(0)
	v_fma_f64 v[102:103], v[102:103], v[108:109], -v[110:111]
	v_fma_f64 v[104:105], v[104:105], v[108:109], v[106:107]
	v_add_f64 v[1:2], v[1:2], v[102:103]
	v_add_f64 v[3:4], v[3:4], v[104:105]
	s_andn2_b32 exec_lo, exec_lo, s52
	s_cbranch_execnz .LBB108_524
; %bb.525:
	s_or_b32 exec_lo, exec_lo, s52
.LBB108_526:
	s_or_b32 exec_lo, exec_lo, s8
	v_mov_b32_e32 v98, 0
	ds_read_b128 v[102:105], v98 offset:352
	s_waitcnt lgkmcnt(0)
	v_mul_f64 v[98:99], v[3:4], v[104:105]
	v_mul_f64 v[104:105], v[1:2], v[104:105]
	v_fma_f64 v[1:2], v[1:2], v[102:103], -v[98:99]
	v_fma_f64 v[3:4], v[3:4], v[102:103], v[104:105]
	buffer_store_dword v2, off, s[0:3], 0 offset:356
	buffer_store_dword v1, off, s[0:3], 0 offset:352
	;; [unrolled: 1-line block ×4, first 2 shown]
.LBB108_527:
	s_or_b32 exec_lo, exec_lo, s4
	v_mov_b32_e32 v4, s28
	s_mov_b32 s4, exec_lo
	s_clause 0x3
	buffer_load_dword v1, v4, s[0:3], 0 offen
	buffer_load_dword v2, v4, s[0:3], 0 offen offset:4
	buffer_load_dword v3, v4, s[0:3], 0 offen offset:8
	;; [unrolled: 1-line block ×3, first 2 shown]
	s_waitcnt vmcnt(0)
	ds_write_b128 v96, v[1:4]
	s_waitcnt lgkmcnt(0)
	s_waitcnt_vscnt null, 0x0
	s_barrier
	buffer_gl0_inv
	v_cmpx_gt_u32_e32 23, v0
	s_cbranch_execz .LBB108_535
; %bb.528:
	ds_read_b128 v[1:4], v96
	v_cmp_ne_u32_e32 vcc_lo, 1, v97
	s_cbranch_vccnz .LBB108_530
; %bb.529:
	s_clause 0x3
	buffer_load_dword v98, v95, s[0:3], 0 offen offset:8
	buffer_load_dword v99, v95, s[0:3], 0 offen offset:12
	buffer_load_dword v102, v95, s[0:3], 0 offen
	buffer_load_dword v103, v95, s[0:3], 0 offen offset:4
	s_waitcnt vmcnt(2) lgkmcnt(0)
	v_mul_f64 v[104:105], v[3:4], v[98:99]
	v_mul_f64 v[98:99], v[1:2], v[98:99]
	s_waitcnt vmcnt(0)
	v_fma_f64 v[1:2], v[1:2], v[102:103], -v[104:105]
	v_fma_f64 v[3:4], v[3:4], v[102:103], v[98:99]
.LBB108_530:
	s_mov_b32 s8, exec_lo
	v_cmpx_ne_u32_e32 22, v0
	s_cbranch_execz .LBB108_534
; %bb.531:
	v_add_nc_u32_e32 v98, 0x2e0, v101
	v_add3_u32 v99, 0, v101, 16
	v_mov_b32_e32 v100, v0
	s_mov_b32 s52, 0
	.p2align	6
.LBB108_532:                            ; =>This Inner Loop Header: Depth=1
	s_clause 0x3
	buffer_load_dword v106, v99, s[0:3], 0 offen offset:8
	buffer_load_dword v107, v99, s[0:3], 0 offen offset:12
	buffer_load_dword v108, v99, s[0:3], 0 offen
	buffer_load_dword v109, v99, s[0:3], 0 offen offset:4
	ds_read_b128 v[102:105], v98
	v_add_nc_u32_e32 v100, 1, v100
	v_add_nc_u32_e32 v98, 16, v98
	v_add_nc_u32_e32 v99, 16, v99
	v_cmp_lt_u32_e32 vcc_lo, 21, v100
	s_or_b32 s52, vcc_lo, s52
	s_waitcnt vmcnt(2) lgkmcnt(0)
	v_mul_f64 v[110:111], v[104:105], v[106:107]
	v_mul_f64 v[106:107], v[102:103], v[106:107]
	s_waitcnt vmcnt(0)
	v_fma_f64 v[102:103], v[102:103], v[108:109], -v[110:111]
	v_fma_f64 v[104:105], v[104:105], v[108:109], v[106:107]
	v_add_f64 v[1:2], v[1:2], v[102:103]
	v_add_f64 v[3:4], v[3:4], v[104:105]
	s_andn2_b32 exec_lo, exec_lo, s52
	s_cbranch_execnz .LBB108_532
; %bb.533:
	s_or_b32 exec_lo, exec_lo, s52
.LBB108_534:
	s_or_b32 exec_lo, exec_lo, s8
	v_mov_b32_e32 v98, 0
	ds_read_b128 v[102:105], v98 offset:368
	s_waitcnt lgkmcnt(0)
	v_mul_f64 v[98:99], v[3:4], v[104:105]
	v_mul_f64 v[104:105], v[1:2], v[104:105]
	v_fma_f64 v[1:2], v[1:2], v[102:103], -v[98:99]
	v_fma_f64 v[3:4], v[3:4], v[102:103], v[104:105]
	buffer_store_dword v2, off, s[0:3], 0 offset:372
	buffer_store_dword v1, off, s[0:3], 0 offset:368
	buffer_store_dword v4, off, s[0:3], 0 offset:380
	buffer_store_dword v3, off, s[0:3], 0 offset:376
.LBB108_535:
	s_or_b32 exec_lo, exec_lo, s4
	v_mov_b32_e32 v4, s27
	s_mov_b32 s4, exec_lo
	s_clause 0x3
	buffer_load_dword v1, v4, s[0:3], 0 offen
	buffer_load_dword v2, v4, s[0:3], 0 offen offset:4
	buffer_load_dword v3, v4, s[0:3], 0 offen offset:8
	;; [unrolled: 1-line block ×3, first 2 shown]
	s_waitcnt vmcnt(0)
	ds_write_b128 v96, v[1:4]
	s_waitcnt lgkmcnt(0)
	s_waitcnt_vscnt null, 0x0
	s_barrier
	buffer_gl0_inv
	v_cmpx_gt_u32_e32 24, v0
	s_cbranch_execz .LBB108_543
; %bb.536:
	ds_read_b128 v[1:4], v96
	v_cmp_ne_u32_e32 vcc_lo, 1, v97
	s_cbranch_vccnz .LBB108_538
; %bb.537:
	s_clause 0x3
	buffer_load_dword v98, v95, s[0:3], 0 offen offset:8
	buffer_load_dword v99, v95, s[0:3], 0 offen offset:12
	buffer_load_dword v102, v95, s[0:3], 0 offen
	buffer_load_dword v103, v95, s[0:3], 0 offen offset:4
	s_waitcnt vmcnt(2) lgkmcnt(0)
	v_mul_f64 v[104:105], v[3:4], v[98:99]
	v_mul_f64 v[98:99], v[1:2], v[98:99]
	s_waitcnt vmcnt(0)
	v_fma_f64 v[1:2], v[1:2], v[102:103], -v[104:105]
	v_fma_f64 v[3:4], v[3:4], v[102:103], v[98:99]
.LBB108_538:
	s_mov_b32 s8, exec_lo
	v_cmpx_ne_u32_e32 23, v0
	s_cbranch_execz .LBB108_542
; %bb.539:
	v_add_nc_u32_e32 v98, 0x2e0, v101
	v_add3_u32 v99, 0, v101, 16
	v_mov_b32_e32 v100, v0
	s_mov_b32 s52, 0
	.p2align	6
.LBB108_540:                            ; =>This Inner Loop Header: Depth=1
	s_clause 0x3
	buffer_load_dword v106, v99, s[0:3], 0 offen offset:8
	buffer_load_dword v107, v99, s[0:3], 0 offen offset:12
	buffer_load_dword v108, v99, s[0:3], 0 offen
	buffer_load_dword v109, v99, s[0:3], 0 offen offset:4
	ds_read_b128 v[102:105], v98
	v_add_nc_u32_e32 v100, 1, v100
	v_add_nc_u32_e32 v98, 16, v98
	;; [unrolled: 1-line block ×3, first 2 shown]
	v_cmp_lt_u32_e32 vcc_lo, 22, v100
	s_or_b32 s52, vcc_lo, s52
	s_waitcnt vmcnt(2) lgkmcnt(0)
	v_mul_f64 v[110:111], v[104:105], v[106:107]
	v_mul_f64 v[106:107], v[102:103], v[106:107]
	s_waitcnt vmcnt(0)
	v_fma_f64 v[102:103], v[102:103], v[108:109], -v[110:111]
	v_fma_f64 v[104:105], v[104:105], v[108:109], v[106:107]
	v_add_f64 v[1:2], v[1:2], v[102:103]
	v_add_f64 v[3:4], v[3:4], v[104:105]
	s_andn2_b32 exec_lo, exec_lo, s52
	s_cbranch_execnz .LBB108_540
; %bb.541:
	s_or_b32 exec_lo, exec_lo, s52
.LBB108_542:
	s_or_b32 exec_lo, exec_lo, s8
	v_mov_b32_e32 v98, 0
	ds_read_b128 v[102:105], v98 offset:384
	s_waitcnt lgkmcnt(0)
	v_mul_f64 v[98:99], v[3:4], v[104:105]
	v_mul_f64 v[104:105], v[1:2], v[104:105]
	v_fma_f64 v[1:2], v[1:2], v[102:103], -v[98:99]
	v_fma_f64 v[3:4], v[3:4], v[102:103], v[104:105]
	buffer_store_dword v2, off, s[0:3], 0 offset:388
	buffer_store_dword v1, off, s[0:3], 0 offset:384
	;; [unrolled: 1-line block ×4, first 2 shown]
.LBB108_543:
	s_or_b32 exec_lo, exec_lo, s4
	v_mov_b32_e32 v4, s26
	s_mov_b32 s4, exec_lo
	s_clause 0x3
	buffer_load_dword v1, v4, s[0:3], 0 offen
	buffer_load_dword v2, v4, s[0:3], 0 offen offset:4
	buffer_load_dword v3, v4, s[0:3], 0 offen offset:8
	;; [unrolled: 1-line block ×3, first 2 shown]
	s_waitcnt vmcnt(0)
	ds_write_b128 v96, v[1:4]
	s_waitcnt lgkmcnt(0)
	s_waitcnt_vscnt null, 0x0
	s_barrier
	buffer_gl0_inv
	v_cmpx_gt_u32_e32 25, v0
	s_cbranch_execz .LBB108_551
; %bb.544:
	ds_read_b128 v[1:4], v96
	v_cmp_ne_u32_e32 vcc_lo, 1, v97
	s_cbranch_vccnz .LBB108_546
; %bb.545:
	s_clause 0x3
	buffer_load_dword v98, v95, s[0:3], 0 offen offset:8
	buffer_load_dword v99, v95, s[0:3], 0 offen offset:12
	buffer_load_dword v102, v95, s[0:3], 0 offen
	buffer_load_dword v103, v95, s[0:3], 0 offen offset:4
	s_waitcnt vmcnt(2) lgkmcnt(0)
	v_mul_f64 v[104:105], v[3:4], v[98:99]
	v_mul_f64 v[98:99], v[1:2], v[98:99]
	s_waitcnt vmcnt(0)
	v_fma_f64 v[1:2], v[1:2], v[102:103], -v[104:105]
	v_fma_f64 v[3:4], v[3:4], v[102:103], v[98:99]
.LBB108_546:
	s_mov_b32 s8, exec_lo
	v_cmpx_ne_u32_e32 24, v0
	s_cbranch_execz .LBB108_550
; %bb.547:
	v_add_nc_u32_e32 v98, 0x2e0, v101
	v_add3_u32 v99, 0, v101, 16
	v_mov_b32_e32 v100, v0
	s_mov_b32 s52, 0
	.p2align	6
.LBB108_548:                            ; =>This Inner Loop Header: Depth=1
	s_clause 0x3
	buffer_load_dword v106, v99, s[0:3], 0 offen offset:8
	buffer_load_dword v107, v99, s[0:3], 0 offen offset:12
	buffer_load_dword v108, v99, s[0:3], 0 offen
	buffer_load_dword v109, v99, s[0:3], 0 offen offset:4
	ds_read_b128 v[102:105], v98
	v_add_nc_u32_e32 v100, 1, v100
	v_add_nc_u32_e32 v98, 16, v98
	;; [unrolled: 1-line block ×3, first 2 shown]
	v_cmp_lt_u32_e32 vcc_lo, 23, v100
	s_or_b32 s52, vcc_lo, s52
	s_waitcnt vmcnt(2) lgkmcnt(0)
	v_mul_f64 v[110:111], v[104:105], v[106:107]
	v_mul_f64 v[106:107], v[102:103], v[106:107]
	s_waitcnt vmcnt(0)
	v_fma_f64 v[102:103], v[102:103], v[108:109], -v[110:111]
	v_fma_f64 v[104:105], v[104:105], v[108:109], v[106:107]
	v_add_f64 v[1:2], v[1:2], v[102:103]
	v_add_f64 v[3:4], v[3:4], v[104:105]
	s_andn2_b32 exec_lo, exec_lo, s52
	s_cbranch_execnz .LBB108_548
; %bb.549:
	s_or_b32 exec_lo, exec_lo, s52
.LBB108_550:
	s_or_b32 exec_lo, exec_lo, s8
	v_mov_b32_e32 v98, 0
	ds_read_b128 v[102:105], v98 offset:400
	s_waitcnt lgkmcnt(0)
	v_mul_f64 v[98:99], v[3:4], v[104:105]
	v_mul_f64 v[104:105], v[1:2], v[104:105]
	v_fma_f64 v[1:2], v[1:2], v[102:103], -v[98:99]
	v_fma_f64 v[3:4], v[3:4], v[102:103], v[104:105]
	buffer_store_dword v2, off, s[0:3], 0 offset:404
	buffer_store_dword v1, off, s[0:3], 0 offset:400
	;; [unrolled: 1-line block ×4, first 2 shown]
.LBB108_551:
	s_or_b32 exec_lo, exec_lo, s4
	v_mov_b32_e32 v4, s25
	s_mov_b32 s4, exec_lo
	s_clause 0x3
	buffer_load_dword v1, v4, s[0:3], 0 offen
	buffer_load_dword v2, v4, s[0:3], 0 offen offset:4
	buffer_load_dword v3, v4, s[0:3], 0 offen offset:8
	;; [unrolled: 1-line block ×3, first 2 shown]
	s_waitcnt vmcnt(0)
	ds_write_b128 v96, v[1:4]
	s_waitcnt lgkmcnt(0)
	s_waitcnt_vscnt null, 0x0
	s_barrier
	buffer_gl0_inv
	v_cmpx_gt_u32_e32 26, v0
	s_cbranch_execz .LBB108_559
; %bb.552:
	ds_read_b128 v[1:4], v96
	v_cmp_ne_u32_e32 vcc_lo, 1, v97
	s_cbranch_vccnz .LBB108_554
; %bb.553:
	s_clause 0x3
	buffer_load_dword v98, v95, s[0:3], 0 offen offset:8
	buffer_load_dword v99, v95, s[0:3], 0 offen offset:12
	buffer_load_dword v102, v95, s[0:3], 0 offen
	buffer_load_dword v103, v95, s[0:3], 0 offen offset:4
	s_waitcnt vmcnt(2) lgkmcnt(0)
	v_mul_f64 v[104:105], v[3:4], v[98:99]
	v_mul_f64 v[98:99], v[1:2], v[98:99]
	s_waitcnt vmcnt(0)
	v_fma_f64 v[1:2], v[1:2], v[102:103], -v[104:105]
	v_fma_f64 v[3:4], v[3:4], v[102:103], v[98:99]
.LBB108_554:
	s_mov_b32 s8, exec_lo
	v_cmpx_ne_u32_e32 25, v0
	s_cbranch_execz .LBB108_558
; %bb.555:
	v_add_nc_u32_e32 v98, 0x2e0, v101
	v_add3_u32 v99, 0, v101, 16
	v_mov_b32_e32 v100, v0
	s_mov_b32 s52, 0
	.p2align	6
.LBB108_556:                            ; =>This Inner Loop Header: Depth=1
	s_clause 0x3
	buffer_load_dword v106, v99, s[0:3], 0 offen offset:8
	buffer_load_dword v107, v99, s[0:3], 0 offen offset:12
	buffer_load_dword v108, v99, s[0:3], 0 offen
	buffer_load_dword v109, v99, s[0:3], 0 offen offset:4
	ds_read_b128 v[102:105], v98
	v_add_nc_u32_e32 v100, 1, v100
	v_add_nc_u32_e32 v98, 16, v98
	;; [unrolled: 1-line block ×3, first 2 shown]
	v_cmp_lt_u32_e32 vcc_lo, 24, v100
	s_or_b32 s52, vcc_lo, s52
	s_waitcnt vmcnt(2) lgkmcnt(0)
	v_mul_f64 v[110:111], v[104:105], v[106:107]
	v_mul_f64 v[106:107], v[102:103], v[106:107]
	s_waitcnt vmcnt(0)
	v_fma_f64 v[102:103], v[102:103], v[108:109], -v[110:111]
	v_fma_f64 v[104:105], v[104:105], v[108:109], v[106:107]
	v_add_f64 v[1:2], v[1:2], v[102:103]
	v_add_f64 v[3:4], v[3:4], v[104:105]
	s_andn2_b32 exec_lo, exec_lo, s52
	s_cbranch_execnz .LBB108_556
; %bb.557:
	s_or_b32 exec_lo, exec_lo, s52
.LBB108_558:
	s_or_b32 exec_lo, exec_lo, s8
	v_mov_b32_e32 v98, 0
	ds_read_b128 v[102:105], v98 offset:416
	s_waitcnt lgkmcnt(0)
	v_mul_f64 v[98:99], v[3:4], v[104:105]
	v_mul_f64 v[104:105], v[1:2], v[104:105]
	v_fma_f64 v[1:2], v[1:2], v[102:103], -v[98:99]
	v_fma_f64 v[3:4], v[3:4], v[102:103], v[104:105]
	buffer_store_dword v2, off, s[0:3], 0 offset:420
	buffer_store_dword v1, off, s[0:3], 0 offset:416
	;; [unrolled: 1-line block ×4, first 2 shown]
.LBB108_559:
	s_or_b32 exec_lo, exec_lo, s4
	v_mov_b32_e32 v4, s24
	s_mov_b32 s4, exec_lo
	s_clause 0x3
	buffer_load_dword v1, v4, s[0:3], 0 offen
	buffer_load_dword v2, v4, s[0:3], 0 offen offset:4
	buffer_load_dword v3, v4, s[0:3], 0 offen offset:8
	;; [unrolled: 1-line block ×3, first 2 shown]
	s_waitcnt vmcnt(0)
	ds_write_b128 v96, v[1:4]
	s_waitcnt lgkmcnt(0)
	s_waitcnt_vscnt null, 0x0
	s_barrier
	buffer_gl0_inv
	v_cmpx_gt_u32_e32 27, v0
	s_cbranch_execz .LBB108_567
; %bb.560:
	ds_read_b128 v[1:4], v96
	v_cmp_ne_u32_e32 vcc_lo, 1, v97
	s_cbranch_vccnz .LBB108_562
; %bb.561:
	s_clause 0x3
	buffer_load_dword v98, v95, s[0:3], 0 offen offset:8
	buffer_load_dword v99, v95, s[0:3], 0 offen offset:12
	buffer_load_dword v102, v95, s[0:3], 0 offen
	buffer_load_dword v103, v95, s[0:3], 0 offen offset:4
	s_waitcnt vmcnt(2) lgkmcnt(0)
	v_mul_f64 v[104:105], v[3:4], v[98:99]
	v_mul_f64 v[98:99], v[1:2], v[98:99]
	s_waitcnt vmcnt(0)
	v_fma_f64 v[1:2], v[1:2], v[102:103], -v[104:105]
	v_fma_f64 v[3:4], v[3:4], v[102:103], v[98:99]
.LBB108_562:
	s_mov_b32 s8, exec_lo
	v_cmpx_ne_u32_e32 26, v0
	s_cbranch_execz .LBB108_566
; %bb.563:
	v_add_nc_u32_e32 v98, 0x2e0, v101
	v_add3_u32 v99, 0, v101, 16
	v_mov_b32_e32 v100, v0
	s_mov_b32 s52, 0
	.p2align	6
.LBB108_564:                            ; =>This Inner Loop Header: Depth=1
	s_clause 0x3
	buffer_load_dword v106, v99, s[0:3], 0 offen offset:8
	buffer_load_dword v107, v99, s[0:3], 0 offen offset:12
	buffer_load_dword v108, v99, s[0:3], 0 offen
	buffer_load_dword v109, v99, s[0:3], 0 offen offset:4
	ds_read_b128 v[102:105], v98
	v_add_nc_u32_e32 v100, 1, v100
	v_add_nc_u32_e32 v98, 16, v98
	;; [unrolled: 1-line block ×3, first 2 shown]
	v_cmp_lt_u32_e32 vcc_lo, 25, v100
	s_or_b32 s52, vcc_lo, s52
	s_waitcnt vmcnt(2) lgkmcnt(0)
	v_mul_f64 v[110:111], v[104:105], v[106:107]
	v_mul_f64 v[106:107], v[102:103], v[106:107]
	s_waitcnt vmcnt(0)
	v_fma_f64 v[102:103], v[102:103], v[108:109], -v[110:111]
	v_fma_f64 v[104:105], v[104:105], v[108:109], v[106:107]
	v_add_f64 v[1:2], v[1:2], v[102:103]
	v_add_f64 v[3:4], v[3:4], v[104:105]
	s_andn2_b32 exec_lo, exec_lo, s52
	s_cbranch_execnz .LBB108_564
; %bb.565:
	s_or_b32 exec_lo, exec_lo, s52
.LBB108_566:
	s_or_b32 exec_lo, exec_lo, s8
	v_mov_b32_e32 v98, 0
	ds_read_b128 v[102:105], v98 offset:432
	s_waitcnt lgkmcnt(0)
	v_mul_f64 v[98:99], v[3:4], v[104:105]
	v_mul_f64 v[104:105], v[1:2], v[104:105]
	v_fma_f64 v[1:2], v[1:2], v[102:103], -v[98:99]
	v_fma_f64 v[3:4], v[3:4], v[102:103], v[104:105]
	buffer_store_dword v2, off, s[0:3], 0 offset:436
	buffer_store_dword v1, off, s[0:3], 0 offset:432
	;; [unrolled: 1-line block ×4, first 2 shown]
.LBB108_567:
	s_or_b32 exec_lo, exec_lo, s4
	v_mov_b32_e32 v4, s23
	s_mov_b32 s4, exec_lo
	s_clause 0x3
	buffer_load_dword v1, v4, s[0:3], 0 offen
	buffer_load_dword v2, v4, s[0:3], 0 offen offset:4
	buffer_load_dword v3, v4, s[0:3], 0 offen offset:8
	;; [unrolled: 1-line block ×3, first 2 shown]
	s_waitcnt vmcnt(0)
	ds_write_b128 v96, v[1:4]
	s_waitcnt lgkmcnt(0)
	s_waitcnt_vscnt null, 0x0
	s_barrier
	buffer_gl0_inv
	v_cmpx_gt_u32_e32 28, v0
	s_cbranch_execz .LBB108_575
; %bb.568:
	ds_read_b128 v[1:4], v96
	v_cmp_ne_u32_e32 vcc_lo, 1, v97
	s_cbranch_vccnz .LBB108_570
; %bb.569:
	s_clause 0x3
	buffer_load_dword v98, v95, s[0:3], 0 offen offset:8
	buffer_load_dword v99, v95, s[0:3], 0 offen offset:12
	buffer_load_dword v102, v95, s[0:3], 0 offen
	buffer_load_dword v103, v95, s[0:3], 0 offen offset:4
	s_waitcnt vmcnt(2) lgkmcnt(0)
	v_mul_f64 v[104:105], v[3:4], v[98:99]
	v_mul_f64 v[98:99], v[1:2], v[98:99]
	s_waitcnt vmcnt(0)
	v_fma_f64 v[1:2], v[1:2], v[102:103], -v[104:105]
	v_fma_f64 v[3:4], v[3:4], v[102:103], v[98:99]
.LBB108_570:
	s_mov_b32 s8, exec_lo
	v_cmpx_ne_u32_e32 27, v0
	s_cbranch_execz .LBB108_574
; %bb.571:
	v_add_nc_u32_e32 v98, 0x2e0, v101
	v_add3_u32 v99, 0, v101, 16
	v_mov_b32_e32 v100, v0
	s_mov_b32 s52, 0
	.p2align	6
.LBB108_572:                            ; =>This Inner Loop Header: Depth=1
	s_clause 0x3
	buffer_load_dword v106, v99, s[0:3], 0 offen offset:8
	buffer_load_dword v107, v99, s[0:3], 0 offen offset:12
	buffer_load_dword v108, v99, s[0:3], 0 offen
	buffer_load_dword v109, v99, s[0:3], 0 offen offset:4
	ds_read_b128 v[102:105], v98
	v_add_nc_u32_e32 v100, 1, v100
	v_add_nc_u32_e32 v98, 16, v98
	;; [unrolled: 1-line block ×3, first 2 shown]
	v_cmp_lt_u32_e32 vcc_lo, 26, v100
	s_or_b32 s52, vcc_lo, s52
	s_waitcnt vmcnt(2) lgkmcnt(0)
	v_mul_f64 v[110:111], v[104:105], v[106:107]
	v_mul_f64 v[106:107], v[102:103], v[106:107]
	s_waitcnt vmcnt(0)
	v_fma_f64 v[102:103], v[102:103], v[108:109], -v[110:111]
	v_fma_f64 v[104:105], v[104:105], v[108:109], v[106:107]
	v_add_f64 v[1:2], v[1:2], v[102:103]
	v_add_f64 v[3:4], v[3:4], v[104:105]
	s_andn2_b32 exec_lo, exec_lo, s52
	s_cbranch_execnz .LBB108_572
; %bb.573:
	s_or_b32 exec_lo, exec_lo, s52
.LBB108_574:
	s_or_b32 exec_lo, exec_lo, s8
	v_mov_b32_e32 v98, 0
	ds_read_b128 v[102:105], v98 offset:448
	s_waitcnt lgkmcnt(0)
	v_mul_f64 v[98:99], v[3:4], v[104:105]
	v_mul_f64 v[104:105], v[1:2], v[104:105]
	v_fma_f64 v[1:2], v[1:2], v[102:103], -v[98:99]
	v_fma_f64 v[3:4], v[3:4], v[102:103], v[104:105]
	buffer_store_dword v2, off, s[0:3], 0 offset:452
	buffer_store_dword v1, off, s[0:3], 0 offset:448
	buffer_store_dword v4, off, s[0:3], 0 offset:460
	buffer_store_dword v3, off, s[0:3], 0 offset:456
.LBB108_575:
	s_or_b32 exec_lo, exec_lo, s4
	v_mov_b32_e32 v4, s22
	s_mov_b32 s4, exec_lo
	s_clause 0x3
	buffer_load_dword v1, v4, s[0:3], 0 offen
	buffer_load_dword v2, v4, s[0:3], 0 offen offset:4
	buffer_load_dword v3, v4, s[0:3], 0 offen offset:8
	;; [unrolled: 1-line block ×3, first 2 shown]
	s_waitcnt vmcnt(0)
	ds_write_b128 v96, v[1:4]
	s_waitcnt lgkmcnt(0)
	s_waitcnt_vscnt null, 0x0
	s_barrier
	buffer_gl0_inv
	v_cmpx_gt_u32_e32 29, v0
	s_cbranch_execz .LBB108_583
; %bb.576:
	ds_read_b128 v[1:4], v96
	v_cmp_ne_u32_e32 vcc_lo, 1, v97
	s_cbranch_vccnz .LBB108_578
; %bb.577:
	s_clause 0x3
	buffer_load_dword v98, v95, s[0:3], 0 offen offset:8
	buffer_load_dword v99, v95, s[0:3], 0 offen offset:12
	buffer_load_dword v102, v95, s[0:3], 0 offen
	buffer_load_dword v103, v95, s[0:3], 0 offen offset:4
	s_waitcnt vmcnt(2) lgkmcnt(0)
	v_mul_f64 v[104:105], v[3:4], v[98:99]
	v_mul_f64 v[98:99], v[1:2], v[98:99]
	s_waitcnt vmcnt(0)
	v_fma_f64 v[1:2], v[1:2], v[102:103], -v[104:105]
	v_fma_f64 v[3:4], v[3:4], v[102:103], v[98:99]
.LBB108_578:
	s_mov_b32 s8, exec_lo
	v_cmpx_ne_u32_e32 28, v0
	s_cbranch_execz .LBB108_582
; %bb.579:
	v_add_nc_u32_e32 v98, 0x2e0, v101
	v_add3_u32 v99, 0, v101, 16
	v_mov_b32_e32 v100, v0
	s_mov_b32 s52, 0
	.p2align	6
.LBB108_580:                            ; =>This Inner Loop Header: Depth=1
	s_clause 0x3
	buffer_load_dword v106, v99, s[0:3], 0 offen offset:8
	buffer_load_dword v107, v99, s[0:3], 0 offen offset:12
	buffer_load_dword v108, v99, s[0:3], 0 offen
	buffer_load_dword v109, v99, s[0:3], 0 offen offset:4
	ds_read_b128 v[102:105], v98
	v_add_nc_u32_e32 v100, 1, v100
	v_add_nc_u32_e32 v98, 16, v98
	;; [unrolled: 1-line block ×3, first 2 shown]
	v_cmp_lt_u32_e32 vcc_lo, 27, v100
	s_or_b32 s52, vcc_lo, s52
	s_waitcnt vmcnt(2) lgkmcnt(0)
	v_mul_f64 v[110:111], v[104:105], v[106:107]
	v_mul_f64 v[106:107], v[102:103], v[106:107]
	s_waitcnt vmcnt(0)
	v_fma_f64 v[102:103], v[102:103], v[108:109], -v[110:111]
	v_fma_f64 v[104:105], v[104:105], v[108:109], v[106:107]
	v_add_f64 v[1:2], v[1:2], v[102:103]
	v_add_f64 v[3:4], v[3:4], v[104:105]
	s_andn2_b32 exec_lo, exec_lo, s52
	s_cbranch_execnz .LBB108_580
; %bb.581:
	s_or_b32 exec_lo, exec_lo, s52
.LBB108_582:
	s_or_b32 exec_lo, exec_lo, s8
	v_mov_b32_e32 v98, 0
	ds_read_b128 v[102:105], v98 offset:464
	s_waitcnt lgkmcnt(0)
	v_mul_f64 v[98:99], v[3:4], v[104:105]
	v_mul_f64 v[104:105], v[1:2], v[104:105]
	v_fma_f64 v[1:2], v[1:2], v[102:103], -v[98:99]
	v_fma_f64 v[3:4], v[3:4], v[102:103], v[104:105]
	buffer_store_dword v2, off, s[0:3], 0 offset:468
	buffer_store_dword v1, off, s[0:3], 0 offset:464
	;; [unrolled: 1-line block ×4, first 2 shown]
.LBB108_583:
	s_or_b32 exec_lo, exec_lo, s4
	v_mov_b32_e32 v4, s21
	s_mov_b32 s4, exec_lo
	s_clause 0x3
	buffer_load_dword v1, v4, s[0:3], 0 offen
	buffer_load_dword v2, v4, s[0:3], 0 offen offset:4
	buffer_load_dword v3, v4, s[0:3], 0 offen offset:8
	buffer_load_dword v4, v4, s[0:3], 0 offen offset:12
	s_waitcnt vmcnt(0)
	ds_write_b128 v96, v[1:4]
	s_waitcnt lgkmcnt(0)
	s_waitcnt_vscnt null, 0x0
	s_barrier
	buffer_gl0_inv
	v_cmpx_gt_u32_e32 30, v0
	s_cbranch_execz .LBB108_591
; %bb.584:
	ds_read_b128 v[1:4], v96
	v_cmp_ne_u32_e32 vcc_lo, 1, v97
	s_cbranch_vccnz .LBB108_586
; %bb.585:
	s_clause 0x3
	buffer_load_dword v98, v95, s[0:3], 0 offen offset:8
	buffer_load_dword v99, v95, s[0:3], 0 offen offset:12
	buffer_load_dword v102, v95, s[0:3], 0 offen
	buffer_load_dword v103, v95, s[0:3], 0 offen offset:4
	s_waitcnt vmcnt(2) lgkmcnt(0)
	v_mul_f64 v[104:105], v[3:4], v[98:99]
	v_mul_f64 v[98:99], v[1:2], v[98:99]
	s_waitcnt vmcnt(0)
	v_fma_f64 v[1:2], v[1:2], v[102:103], -v[104:105]
	v_fma_f64 v[3:4], v[3:4], v[102:103], v[98:99]
.LBB108_586:
	s_mov_b32 s8, exec_lo
	v_cmpx_ne_u32_e32 29, v0
	s_cbranch_execz .LBB108_590
; %bb.587:
	v_add_nc_u32_e32 v98, 0x2e0, v101
	v_add3_u32 v99, 0, v101, 16
	v_mov_b32_e32 v100, v0
	s_mov_b32 s52, 0
	.p2align	6
.LBB108_588:                            ; =>This Inner Loop Header: Depth=1
	s_clause 0x3
	buffer_load_dword v106, v99, s[0:3], 0 offen offset:8
	buffer_load_dword v107, v99, s[0:3], 0 offen offset:12
	buffer_load_dword v108, v99, s[0:3], 0 offen
	buffer_load_dword v109, v99, s[0:3], 0 offen offset:4
	ds_read_b128 v[102:105], v98
	v_add_nc_u32_e32 v100, 1, v100
	v_add_nc_u32_e32 v98, 16, v98
	;; [unrolled: 1-line block ×3, first 2 shown]
	v_cmp_lt_u32_e32 vcc_lo, 28, v100
	s_or_b32 s52, vcc_lo, s52
	s_waitcnt vmcnt(2) lgkmcnt(0)
	v_mul_f64 v[110:111], v[104:105], v[106:107]
	v_mul_f64 v[106:107], v[102:103], v[106:107]
	s_waitcnt vmcnt(0)
	v_fma_f64 v[102:103], v[102:103], v[108:109], -v[110:111]
	v_fma_f64 v[104:105], v[104:105], v[108:109], v[106:107]
	v_add_f64 v[1:2], v[1:2], v[102:103]
	v_add_f64 v[3:4], v[3:4], v[104:105]
	s_andn2_b32 exec_lo, exec_lo, s52
	s_cbranch_execnz .LBB108_588
; %bb.589:
	s_or_b32 exec_lo, exec_lo, s52
.LBB108_590:
	s_or_b32 exec_lo, exec_lo, s8
	v_mov_b32_e32 v98, 0
	ds_read_b128 v[102:105], v98 offset:480
	s_waitcnt lgkmcnt(0)
	v_mul_f64 v[98:99], v[3:4], v[104:105]
	v_mul_f64 v[104:105], v[1:2], v[104:105]
	v_fma_f64 v[1:2], v[1:2], v[102:103], -v[98:99]
	v_fma_f64 v[3:4], v[3:4], v[102:103], v[104:105]
	buffer_store_dword v2, off, s[0:3], 0 offset:484
	buffer_store_dword v1, off, s[0:3], 0 offset:480
	;; [unrolled: 1-line block ×4, first 2 shown]
.LBB108_591:
	s_or_b32 exec_lo, exec_lo, s4
	v_mov_b32_e32 v4, s20
	s_mov_b32 s4, exec_lo
	s_clause 0x3
	buffer_load_dword v1, v4, s[0:3], 0 offen
	buffer_load_dword v2, v4, s[0:3], 0 offen offset:4
	buffer_load_dword v3, v4, s[0:3], 0 offen offset:8
	;; [unrolled: 1-line block ×3, first 2 shown]
	s_waitcnt vmcnt(0)
	ds_write_b128 v96, v[1:4]
	s_waitcnt lgkmcnt(0)
	s_waitcnt_vscnt null, 0x0
	s_barrier
	buffer_gl0_inv
	v_cmpx_gt_u32_e32 31, v0
	s_cbranch_execz .LBB108_599
; %bb.592:
	ds_read_b128 v[1:4], v96
	v_cmp_ne_u32_e32 vcc_lo, 1, v97
	s_cbranch_vccnz .LBB108_594
; %bb.593:
	s_clause 0x3
	buffer_load_dword v98, v95, s[0:3], 0 offen offset:8
	buffer_load_dword v99, v95, s[0:3], 0 offen offset:12
	buffer_load_dword v102, v95, s[0:3], 0 offen
	buffer_load_dword v103, v95, s[0:3], 0 offen offset:4
	s_waitcnt vmcnt(2) lgkmcnt(0)
	v_mul_f64 v[104:105], v[3:4], v[98:99]
	v_mul_f64 v[98:99], v[1:2], v[98:99]
	s_waitcnt vmcnt(0)
	v_fma_f64 v[1:2], v[1:2], v[102:103], -v[104:105]
	v_fma_f64 v[3:4], v[3:4], v[102:103], v[98:99]
.LBB108_594:
	s_mov_b32 s8, exec_lo
	v_cmpx_ne_u32_e32 30, v0
	s_cbranch_execz .LBB108_598
; %bb.595:
	v_add_nc_u32_e32 v98, 0x2e0, v101
	v_add3_u32 v99, 0, v101, 16
	v_mov_b32_e32 v100, v0
	s_mov_b32 s52, 0
	.p2align	6
.LBB108_596:                            ; =>This Inner Loop Header: Depth=1
	s_clause 0x3
	buffer_load_dword v106, v99, s[0:3], 0 offen offset:8
	buffer_load_dword v107, v99, s[0:3], 0 offen offset:12
	buffer_load_dword v108, v99, s[0:3], 0 offen
	buffer_load_dword v109, v99, s[0:3], 0 offen offset:4
	ds_read_b128 v[102:105], v98
	v_add_nc_u32_e32 v100, 1, v100
	v_add_nc_u32_e32 v98, 16, v98
	;; [unrolled: 1-line block ×3, first 2 shown]
	v_cmp_lt_u32_e32 vcc_lo, 29, v100
	s_or_b32 s52, vcc_lo, s52
	s_waitcnt vmcnt(2) lgkmcnt(0)
	v_mul_f64 v[110:111], v[104:105], v[106:107]
	v_mul_f64 v[106:107], v[102:103], v[106:107]
	s_waitcnt vmcnt(0)
	v_fma_f64 v[102:103], v[102:103], v[108:109], -v[110:111]
	v_fma_f64 v[104:105], v[104:105], v[108:109], v[106:107]
	v_add_f64 v[1:2], v[1:2], v[102:103]
	v_add_f64 v[3:4], v[3:4], v[104:105]
	s_andn2_b32 exec_lo, exec_lo, s52
	s_cbranch_execnz .LBB108_596
; %bb.597:
	s_or_b32 exec_lo, exec_lo, s52
.LBB108_598:
	s_or_b32 exec_lo, exec_lo, s8
	v_mov_b32_e32 v98, 0
	ds_read_b128 v[102:105], v98 offset:496
	s_waitcnt lgkmcnt(0)
	v_mul_f64 v[98:99], v[3:4], v[104:105]
	v_mul_f64 v[104:105], v[1:2], v[104:105]
	v_fma_f64 v[1:2], v[1:2], v[102:103], -v[98:99]
	v_fma_f64 v[3:4], v[3:4], v[102:103], v[104:105]
	buffer_store_dword v2, off, s[0:3], 0 offset:500
	buffer_store_dword v1, off, s[0:3], 0 offset:496
	;; [unrolled: 1-line block ×4, first 2 shown]
.LBB108_599:
	s_or_b32 exec_lo, exec_lo, s4
	v_mov_b32_e32 v4, s19
	s_mov_b32 s4, exec_lo
	s_clause 0x3
	buffer_load_dword v1, v4, s[0:3], 0 offen
	buffer_load_dword v2, v4, s[0:3], 0 offen offset:4
	buffer_load_dword v3, v4, s[0:3], 0 offen offset:8
	;; [unrolled: 1-line block ×3, first 2 shown]
	s_waitcnt vmcnt(0)
	ds_write_b128 v96, v[1:4]
	s_waitcnt lgkmcnt(0)
	s_waitcnt_vscnt null, 0x0
	s_barrier
	buffer_gl0_inv
	v_cmpx_gt_u32_e32 32, v0
	s_cbranch_execz .LBB108_607
; %bb.600:
	ds_read_b128 v[1:4], v96
	v_cmp_ne_u32_e32 vcc_lo, 1, v97
	s_cbranch_vccnz .LBB108_602
; %bb.601:
	s_clause 0x3
	buffer_load_dword v98, v95, s[0:3], 0 offen offset:8
	buffer_load_dword v99, v95, s[0:3], 0 offen offset:12
	buffer_load_dword v102, v95, s[0:3], 0 offen
	buffer_load_dword v103, v95, s[0:3], 0 offen offset:4
	s_waitcnt vmcnt(2) lgkmcnt(0)
	v_mul_f64 v[104:105], v[3:4], v[98:99]
	v_mul_f64 v[98:99], v[1:2], v[98:99]
	s_waitcnt vmcnt(0)
	v_fma_f64 v[1:2], v[1:2], v[102:103], -v[104:105]
	v_fma_f64 v[3:4], v[3:4], v[102:103], v[98:99]
.LBB108_602:
	s_mov_b32 s8, exec_lo
	v_cmpx_ne_u32_e32 31, v0
	s_cbranch_execz .LBB108_606
; %bb.603:
	v_add_nc_u32_e32 v98, 0x2e0, v101
	v_add3_u32 v99, 0, v101, 16
	v_mov_b32_e32 v100, v0
	s_mov_b32 s52, 0
	.p2align	6
.LBB108_604:                            ; =>This Inner Loop Header: Depth=1
	s_clause 0x3
	buffer_load_dword v106, v99, s[0:3], 0 offen offset:8
	buffer_load_dword v107, v99, s[0:3], 0 offen offset:12
	buffer_load_dword v108, v99, s[0:3], 0 offen
	buffer_load_dword v109, v99, s[0:3], 0 offen offset:4
	ds_read_b128 v[102:105], v98
	v_add_nc_u32_e32 v100, 1, v100
	v_add_nc_u32_e32 v98, 16, v98
	;; [unrolled: 1-line block ×3, first 2 shown]
	v_cmp_lt_u32_e32 vcc_lo, 30, v100
	s_or_b32 s52, vcc_lo, s52
	s_waitcnt vmcnt(2) lgkmcnt(0)
	v_mul_f64 v[110:111], v[104:105], v[106:107]
	v_mul_f64 v[106:107], v[102:103], v[106:107]
	s_waitcnt vmcnt(0)
	v_fma_f64 v[102:103], v[102:103], v[108:109], -v[110:111]
	v_fma_f64 v[104:105], v[104:105], v[108:109], v[106:107]
	v_add_f64 v[1:2], v[1:2], v[102:103]
	v_add_f64 v[3:4], v[3:4], v[104:105]
	s_andn2_b32 exec_lo, exec_lo, s52
	s_cbranch_execnz .LBB108_604
; %bb.605:
	s_or_b32 exec_lo, exec_lo, s52
.LBB108_606:
	s_or_b32 exec_lo, exec_lo, s8
	v_mov_b32_e32 v98, 0
	ds_read_b128 v[102:105], v98 offset:512
	s_waitcnt lgkmcnt(0)
	v_mul_f64 v[98:99], v[3:4], v[104:105]
	v_mul_f64 v[104:105], v[1:2], v[104:105]
	v_fma_f64 v[1:2], v[1:2], v[102:103], -v[98:99]
	v_fma_f64 v[3:4], v[3:4], v[102:103], v[104:105]
	buffer_store_dword v2, off, s[0:3], 0 offset:516
	buffer_store_dword v1, off, s[0:3], 0 offset:512
	buffer_store_dword v4, off, s[0:3], 0 offset:524
	buffer_store_dword v3, off, s[0:3], 0 offset:520
.LBB108_607:
	s_or_b32 exec_lo, exec_lo, s4
	v_mov_b32_e32 v4, s18
	s_mov_b32 s4, exec_lo
	s_clause 0x3
	buffer_load_dword v1, v4, s[0:3], 0 offen
	buffer_load_dword v2, v4, s[0:3], 0 offen offset:4
	buffer_load_dword v3, v4, s[0:3], 0 offen offset:8
	;; [unrolled: 1-line block ×3, first 2 shown]
	s_waitcnt vmcnt(0)
	ds_write_b128 v96, v[1:4]
	s_waitcnt lgkmcnt(0)
	s_waitcnt_vscnt null, 0x0
	s_barrier
	buffer_gl0_inv
	v_cmpx_gt_u32_e32 33, v0
	s_cbranch_execz .LBB108_615
; %bb.608:
	ds_read_b128 v[1:4], v96
	v_cmp_ne_u32_e32 vcc_lo, 1, v97
	s_cbranch_vccnz .LBB108_610
; %bb.609:
	s_clause 0x3
	buffer_load_dword v98, v95, s[0:3], 0 offen offset:8
	buffer_load_dword v99, v95, s[0:3], 0 offen offset:12
	buffer_load_dword v102, v95, s[0:3], 0 offen
	buffer_load_dword v103, v95, s[0:3], 0 offen offset:4
	s_waitcnt vmcnt(2) lgkmcnt(0)
	v_mul_f64 v[104:105], v[3:4], v[98:99]
	v_mul_f64 v[98:99], v[1:2], v[98:99]
	s_waitcnt vmcnt(0)
	v_fma_f64 v[1:2], v[1:2], v[102:103], -v[104:105]
	v_fma_f64 v[3:4], v[3:4], v[102:103], v[98:99]
.LBB108_610:
	s_mov_b32 s8, exec_lo
	v_cmpx_ne_u32_e32 32, v0
	s_cbranch_execz .LBB108_614
; %bb.611:
	v_add_nc_u32_e32 v98, 0x2e0, v101
	v_add3_u32 v99, 0, v101, 16
	v_mov_b32_e32 v100, v0
	s_mov_b32 s52, 0
	.p2align	6
.LBB108_612:                            ; =>This Inner Loop Header: Depth=1
	s_clause 0x3
	buffer_load_dword v106, v99, s[0:3], 0 offen offset:8
	buffer_load_dword v107, v99, s[0:3], 0 offen offset:12
	buffer_load_dword v108, v99, s[0:3], 0 offen
	buffer_load_dword v109, v99, s[0:3], 0 offen offset:4
	ds_read_b128 v[102:105], v98
	v_add_nc_u32_e32 v100, 1, v100
	v_add_nc_u32_e32 v98, 16, v98
	;; [unrolled: 1-line block ×3, first 2 shown]
	v_cmp_lt_u32_e32 vcc_lo, 31, v100
	s_or_b32 s52, vcc_lo, s52
	s_waitcnt vmcnt(2) lgkmcnt(0)
	v_mul_f64 v[110:111], v[104:105], v[106:107]
	v_mul_f64 v[106:107], v[102:103], v[106:107]
	s_waitcnt vmcnt(0)
	v_fma_f64 v[102:103], v[102:103], v[108:109], -v[110:111]
	v_fma_f64 v[104:105], v[104:105], v[108:109], v[106:107]
	v_add_f64 v[1:2], v[1:2], v[102:103]
	v_add_f64 v[3:4], v[3:4], v[104:105]
	s_andn2_b32 exec_lo, exec_lo, s52
	s_cbranch_execnz .LBB108_612
; %bb.613:
	s_or_b32 exec_lo, exec_lo, s52
.LBB108_614:
	s_or_b32 exec_lo, exec_lo, s8
	v_mov_b32_e32 v98, 0
	ds_read_b128 v[102:105], v98 offset:528
	s_waitcnt lgkmcnt(0)
	v_mul_f64 v[98:99], v[3:4], v[104:105]
	v_mul_f64 v[104:105], v[1:2], v[104:105]
	v_fma_f64 v[1:2], v[1:2], v[102:103], -v[98:99]
	v_fma_f64 v[3:4], v[3:4], v[102:103], v[104:105]
	buffer_store_dword v2, off, s[0:3], 0 offset:532
	buffer_store_dword v1, off, s[0:3], 0 offset:528
	;; [unrolled: 1-line block ×4, first 2 shown]
.LBB108_615:
	s_or_b32 exec_lo, exec_lo, s4
	v_mov_b32_e32 v4, s17
	s_mov_b32 s4, exec_lo
	s_clause 0x3
	buffer_load_dword v1, v4, s[0:3], 0 offen
	buffer_load_dword v2, v4, s[0:3], 0 offen offset:4
	buffer_load_dword v3, v4, s[0:3], 0 offen offset:8
	;; [unrolled: 1-line block ×3, first 2 shown]
	s_waitcnt vmcnt(0)
	ds_write_b128 v96, v[1:4]
	s_waitcnt lgkmcnt(0)
	s_waitcnt_vscnt null, 0x0
	s_barrier
	buffer_gl0_inv
	v_cmpx_gt_u32_e32 34, v0
	s_cbranch_execz .LBB108_623
; %bb.616:
	ds_read_b128 v[1:4], v96
	v_cmp_ne_u32_e32 vcc_lo, 1, v97
	s_cbranch_vccnz .LBB108_618
; %bb.617:
	s_clause 0x3
	buffer_load_dword v98, v95, s[0:3], 0 offen offset:8
	buffer_load_dword v99, v95, s[0:3], 0 offen offset:12
	buffer_load_dword v102, v95, s[0:3], 0 offen
	buffer_load_dword v103, v95, s[0:3], 0 offen offset:4
	s_waitcnt vmcnt(2) lgkmcnt(0)
	v_mul_f64 v[104:105], v[3:4], v[98:99]
	v_mul_f64 v[98:99], v[1:2], v[98:99]
	s_waitcnt vmcnt(0)
	v_fma_f64 v[1:2], v[1:2], v[102:103], -v[104:105]
	v_fma_f64 v[3:4], v[3:4], v[102:103], v[98:99]
.LBB108_618:
	s_mov_b32 s8, exec_lo
	v_cmpx_ne_u32_e32 33, v0
	s_cbranch_execz .LBB108_622
; %bb.619:
	v_add_nc_u32_e32 v98, 0x2e0, v101
	v_add3_u32 v99, 0, v101, 16
	v_mov_b32_e32 v100, v0
	s_mov_b32 s52, 0
	.p2align	6
.LBB108_620:                            ; =>This Inner Loop Header: Depth=1
	s_clause 0x3
	buffer_load_dword v106, v99, s[0:3], 0 offen offset:8
	buffer_load_dword v107, v99, s[0:3], 0 offen offset:12
	buffer_load_dword v108, v99, s[0:3], 0 offen
	buffer_load_dword v109, v99, s[0:3], 0 offen offset:4
	ds_read_b128 v[102:105], v98
	v_add_nc_u32_e32 v100, 1, v100
	v_add_nc_u32_e32 v98, 16, v98
	;; [unrolled: 1-line block ×3, first 2 shown]
	v_cmp_lt_u32_e32 vcc_lo, 32, v100
	s_or_b32 s52, vcc_lo, s52
	s_waitcnt vmcnt(2) lgkmcnt(0)
	v_mul_f64 v[110:111], v[104:105], v[106:107]
	v_mul_f64 v[106:107], v[102:103], v[106:107]
	s_waitcnt vmcnt(0)
	v_fma_f64 v[102:103], v[102:103], v[108:109], -v[110:111]
	v_fma_f64 v[104:105], v[104:105], v[108:109], v[106:107]
	v_add_f64 v[1:2], v[1:2], v[102:103]
	v_add_f64 v[3:4], v[3:4], v[104:105]
	s_andn2_b32 exec_lo, exec_lo, s52
	s_cbranch_execnz .LBB108_620
; %bb.621:
	s_or_b32 exec_lo, exec_lo, s52
.LBB108_622:
	s_or_b32 exec_lo, exec_lo, s8
	v_mov_b32_e32 v98, 0
	ds_read_b128 v[102:105], v98 offset:544
	s_waitcnt lgkmcnt(0)
	v_mul_f64 v[98:99], v[3:4], v[104:105]
	v_mul_f64 v[104:105], v[1:2], v[104:105]
	v_fma_f64 v[1:2], v[1:2], v[102:103], -v[98:99]
	v_fma_f64 v[3:4], v[3:4], v[102:103], v[104:105]
	buffer_store_dword v2, off, s[0:3], 0 offset:548
	buffer_store_dword v1, off, s[0:3], 0 offset:544
	;; [unrolled: 1-line block ×4, first 2 shown]
.LBB108_623:
	s_or_b32 exec_lo, exec_lo, s4
	v_mov_b32_e32 v4, s16
	s_mov_b32 s4, exec_lo
	s_clause 0x3
	buffer_load_dword v1, v4, s[0:3], 0 offen
	buffer_load_dword v2, v4, s[0:3], 0 offen offset:4
	buffer_load_dword v3, v4, s[0:3], 0 offen offset:8
	buffer_load_dword v4, v4, s[0:3], 0 offen offset:12
	s_waitcnt vmcnt(0)
	ds_write_b128 v96, v[1:4]
	s_waitcnt lgkmcnt(0)
	s_waitcnt_vscnt null, 0x0
	s_barrier
	buffer_gl0_inv
	v_cmpx_gt_u32_e32 35, v0
	s_cbranch_execz .LBB108_631
; %bb.624:
	ds_read_b128 v[1:4], v96
	v_cmp_ne_u32_e32 vcc_lo, 1, v97
	s_cbranch_vccnz .LBB108_626
; %bb.625:
	s_clause 0x3
	buffer_load_dword v98, v95, s[0:3], 0 offen offset:8
	buffer_load_dword v99, v95, s[0:3], 0 offen offset:12
	buffer_load_dword v102, v95, s[0:3], 0 offen
	buffer_load_dword v103, v95, s[0:3], 0 offen offset:4
	s_waitcnt vmcnt(2) lgkmcnt(0)
	v_mul_f64 v[104:105], v[3:4], v[98:99]
	v_mul_f64 v[98:99], v[1:2], v[98:99]
	s_waitcnt vmcnt(0)
	v_fma_f64 v[1:2], v[1:2], v[102:103], -v[104:105]
	v_fma_f64 v[3:4], v[3:4], v[102:103], v[98:99]
.LBB108_626:
	s_mov_b32 s8, exec_lo
	v_cmpx_ne_u32_e32 34, v0
	s_cbranch_execz .LBB108_630
; %bb.627:
	v_add_nc_u32_e32 v98, 0x2e0, v101
	v_add3_u32 v99, 0, v101, 16
	v_mov_b32_e32 v100, v0
	s_mov_b32 s52, 0
	.p2align	6
.LBB108_628:                            ; =>This Inner Loop Header: Depth=1
	s_clause 0x3
	buffer_load_dword v106, v99, s[0:3], 0 offen offset:8
	buffer_load_dword v107, v99, s[0:3], 0 offen offset:12
	buffer_load_dword v108, v99, s[0:3], 0 offen
	buffer_load_dword v109, v99, s[0:3], 0 offen offset:4
	ds_read_b128 v[102:105], v98
	v_add_nc_u32_e32 v100, 1, v100
	v_add_nc_u32_e32 v98, 16, v98
	v_add_nc_u32_e32 v99, 16, v99
	v_cmp_lt_u32_e32 vcc_lo, 33, v100
	s_or_b32 s52, vcc_lo, s52
	s_waitcnt vmcnt(2) lgkmcnt(0)
	v_mul_f64 v[110:111], v[104:105], v[106:107]
	v_mul_f64 v[106:107], v[102:103], v[106:107]
	s_waitcnt vmcnt(0)
	v_fma_f64 v[102:103], v[102:103], v[108:109], -v[110:111]
	v_fma_f64 v[104:105], v[104:105], v[108:109], v[106:107]
	v_add_f64 v[1:2], v[1:2], v[102:103]
	v_add_f64 v[3:4], v[3:4], v[104:105]
	s_andn2_b32 exec_lo, exec_lo, s52
	s_cbranch_execnz .LBB108_628
; %bb.629:
	s_or_b32 exec_lo, exec_lo, s52
.LBB108_630:
	s_or_b32 exec_lo, exec_lo, s8
	v_mov_b32_e32 v98, 0
	ds_read_b128 v[102:105], v98 offset:560
	s_waitcnt lgkmcnt(0)
	v_mul_f64 v[98:99], v[3:4], v[104:105]
	v_mul_f64 v[104:105], v[1:2], v[104:105]
	v_fma_f64 v[1:2], v[1:2], v[102:103], -v[98:99]
	v_fma_f64 v[3:4], v[3:4], v[102:103], v[104:105]
	buffer_store_dword v2, off, s[0:3], 0 offset:564
	buffer_store_dword v1, off, s[0:3], 0 offset:560
	buffer_store_dword v4, off, s[0:3], 0 offset:572
	buffer_store_dword v3, off, s[0:3], 0 offset:568
.LBB108_631:
	s_or_b32 exec_lo, exec_lo, s4
	v_mov_b32_e32 v4, s15
	s_mov_b32 s4, exec_lo
	s_clause 0x3
	buffer_load_dword v1, v4, s[0:3], 0 offen
	buffer_load_dword v2, v4, s[0:3], 0 offen offset:4
	buffer_load_dword v3, v4, s[0:3], 0 offen offset:8
	;; [unrolled: 1-line block ×3, first 2 shown]
	s_waitcnt vmcnt(0)
	ds_write_b128 v96, v[1:4]
	s_waitcnt lgkmcnt(0)
	s_waitcnt_vscnt null, 0x0
	s_barrier
	buffer_gl0_inv
	v_cmpx_gt_u32_e32 36, v0
	s_cbranch_execz .LBB108_639
; %bb.632:
	ds_read_b128 v[1:4], v96
	v_cmp_ne_u32_e32 vcc_lo, 1, v97
	s_cbranch_vccnz .LBB108_634
; %bb.633:
	s_clause 0x3
	buffer_load_dword v98, v95, s[0:3], 0 offen offset:8
	buffer_load_dword v99, v95, s[0:3], 0 offen offset:12
	buffer_load_dword v102, v95, s[0:3], 0 offen
	buffer_load_dword v103, v95, s[0:3], 0 offen offset:4
	s_waitcnt vmcnt(2) lgkmcnt(0)
	v_mul_f64 v[104:105], v[3:4], v[98:99]
	v_mul_f64 v[98:99], v[1:2], v[98:99]
	s_waitcnt vmcnt(0)
	v_fma_f64 v[1:2], v[1:2], v[102:103], -v[104:105]
	v_fma_f64 v[3:4], v[3:4], v[102:103], v[98:99]
.LBB108_634:
	s_mov_b32 s8, exec_lo
	v_cmpx_ne_u32_e32 35, v0
	s_cbranch_execz .LBB108_638
; %bb.635:
	v_add_nc_u32_e32 v98, 0x2e0, v101
	v_add3_u32 v99, 0, v101, 16
	v_mov_b32_e32 v100, v0
	s_mov_b32 s52, 0
	.p2align	6
.LBB108_636:                            ; =>This Inner Loop Header: Depth=1
	s_clause 0x3
	buffer_load_dword v106, v99, s[0:3], 0 offen offset:8
	buffer_load_dword v107, v99, s[0:3], 0 offen offset:12
	buffer_load_dword v108, v99, s[0:3], 0 offen
	buffer_load_dword v109, v99, s[0:3], 0 offen offset:4
	ds_read_b128 v[102:105], v98
	v_add_nc_u32_e32 v100, 1, v100
	v_add_nc_u32_e32 v98, 16, v98
	;; [unrolled: 1-line block ×3, first 2 shown]
	v_cmp_lt_u32_e32 vcc_lo, 34, v100
	s_or_b32 s52, vcc_lo, s52
	s_waitcnt vmcnt(2) lgkmcnt(0)
	v_mul_f64 v[110:111], v[104:105], v[106:107]
	v_mul_f64 v[106:107], v[102:103], v[106:107]
	s_waitcnt vmcnt(0)
	v_fma_f64 v[102:103], v[102:103], v[108:109], -v[110:111]
	v_fma_f64 v[104:105], v[104:105], v[108:109], v[106:107]
	v_add_f64 v[1:2], v[1:2], v[102:103]
	v_add_f64 v[3:4], v[3:4], v[104:105]
	s_andn2_b32 exec_lo, exec_lo, s52
	s_cbranch_execnz .LBB108_636
; %bb.637:
	s_or_b32 exec_lo, exec_lo, s52
.LBB108_638:
	s_or_b32 exec_lo, exec_lo, s8
	v_mov_b32_e32 v98, 0
	ds_read_b128 v[102:105], v98 offset:576
	s_waitcnt lgkmcnt(0)
	v_mul_f64 v[98:99], v[3:4], v[104:105]
	v_mul_f64 v[104:105], v[1:2], v[104:105]
	v_fma_f64 v[1:2], v[1:2], v[102:103], -v[98:99]
	v_fma_f64 v[3:4], v[3:4], v[102:103], v[104:105]
	buffer_store_dword v2, off, s[0:3], 0 offset:580
	buffer_store_dword v1, off, s[0:3], 0 offset:576
	;; [unrolled: 1-line block ×4, first 2 shown]
.LBB108_639:
	s_or_b32 exec_lo, exec_lo, s4
	v_mov_b32_e32 v4, s14
	s_mov_b32 s4, exec_lo
	s_clause 0x3
	buffer_load_dword v1, v4, s[0:3], 0 offen
	buffer_load_dword v2, v4, s[0:3], 0 offen offset:4
	buffer_load_dword v3, v4, s[0:3], 0 offen offset:8
	;; [unrolled: 1-line block ×3, first 2 shown]
	s_waitcnt vmcnt(0)
	ds_write_b128 v96, v[1:4]
	s_waitcnt lgkmcnt(0)
	s_waitcnt_vscnt null, 0x0
	s_barrier
	buffer_gl0_inv
	v_cmpx_gt_u32_e32 37, v0
	s_cbranch_execz .LBB108_647
; %bb.640:
	ds_read_b128 v[1:4], v96
	v_cmp_ne_u32_e32 vcc_lo, 1, v97
	s_cbranch_vccnz .LBB108_642
; %bb.641:
	s_clause 0x3
	buffer_load_dword v98, v95, s[0:3], 0 offen offset:8
	buffer_load_dword v99, v95, s[0:3], 0 offen offset:12
	buffer_load_dword v102, v95, s[0:3], 0 offen
	buffer_load_dword v103, v95, s[0:3], 0 offen offset:4
	s_waitcnt vmcnt(2) lgkmcnt(0)
	v_mul_f64 v[104:105], v[3:4], v[98:99]
	v_mul_f64 v[98:99], v[1:2], v[98:99]
	s_waitcnt vmcnt(0)
	v_fma_f64 v[1:2], v[1:2], v[102:103], -v[104:105]
	v_fma_f64 v[3:4], v[3:4], v[102:103], v[98:99]
.LBB108_642:
	s_mov_b32 s8, exec_lo
	v_cmpx_ne_u32_e32 36, v0
	s_cbranch_execz .LBB108_646
; %bb.643:
	v_add_nc_u32_e32 v98, 0x2e0, v101
	v_add3_u32 v99, 0, v101, 16
	v_mov_b32_e32 v100, v0
	s_mov_b32 s52, 0
	.p2align	6
.LBB108_644:                            ; =>This Inner Loop Header: Depth=1
	s_clause 0x3
	buffer_load_dword v106, v99, s[0:3], 0 offen offset:8
	buffer_load_dword v107, v99, s[0:3], 0 offen offset:12
	buffer_load_dword v108, v99, s[0:3], 0 offen
	buffer_load_dword v109, v99, s[0:3], 0 offen offset:4
	ds_read_b128 v[102:105], v98
	v_add_nc_u32_e32 v100, 1, v100
	v_add_nc_u32_e32 v98, 16, v98
	;; [unrolled: 1-line block ×3, first 2 shown]
	v_cmp_lt_u32_e32 vcc_lo, 35, v100
	s_or_b32 s52, vcc_lo, s52
	s_waitcnt vmcnt(2) lgkmcnt(0)
	v_mul_f64 v[110:111], v[104:105], v[106:107]
	v_mul_f64 v[106:107], v[102:103], v[106:107]
	s_waitcnt vmcnt(0)
	v_fma_f64 v[102:103], v[102:103], v[108:109], -v[110:111]
	v_fma_f64 v[104:105], v[104:105], v[108:109], v[106:107]
	v_add_f64 v[1:2], v[1:2], v[102:103]
	v_add_f64 v[3:4], v[3:4], v[104:105]
	s_andn2_b32 exec_lo, exec_lo, s52
	s_cbranch_execnz .LBB108_644
; %bb.645:
	s_or_b32 exec_lo, exec_lo, s52
.LBB108_646:
	s_or_b32 exec_lo, exec_lo, s8
	v_mov_b32_e32 v98, 0
	ds_read_b128 v[102:105], v98 offset:592
	s_waitcnt lgkmcnt(0)
	v_mul_f64 v[98:99], v[3:4], v[104:105]
	v_mul_f64 v[104:105], v[1:2], v[104:105]
	v_fma_f64 v[1:2], v[1:2], v[102:103], -v[98:99]
	v_fma_f64 v[3:4], v[3:4], v[102:103], v[104:105]
	buffer_store_dword v2, off, s[0:3], 0 offset:596
	buffer_store_dword v1, off, s[0:3], 0 offset:592
	;; [unrolled: 1-line block ×4, first 2 shown]
.LBB108_647:
	s_or_b32 exec_lo, exec_lo, s4
	v_mov_b32_e32 v4, s13
	s_mov_b32 s4, exec_lo
	s_clause 0x3
	buffer_load_dword v1, v4, s[0:3], 0 offen
	buffer_load_dword v2, v4, s[0:3], 0 offen offset:4
	buffer_load_dword v3, v4, s[0:3], 0 offen offset:8
	;; [unrolled: 1-line block ×3, first 2 shown]
	s_waitcnt vmcnt(0)
	ds_write_b128 v96, v[1:4]
	s_waitcnt lgkmcnt(0)
	s_waitcnt_vscnt null, 0x0
	s_barrier
	buffer_gl0_inv
	v_cmpx_gt_u32_e32 38, v0
	s_cbranch_execz .LBB108_655
; %bb.648:
	ds_read_b128 v[1:4], v96
	v_cmp_ne_u32_e32 vcc_lo, 1, v97
	s_cbranch_vccnz .LBB108_650
; %bb.649:
	s_clause 0x3
	buffer_load_dword v98, v95, s[0:3], 0 offen offset:8
	buffer_load_dword v99, v95, s[0:3], 0 offen offset:12
	buffer_load_dword v102, v95, s[0:3], 0 offen
	buffer_load_dword v103, v95, s[0:3], 0 offen offset:4
	s_waitcnt vmcnt(2) lgkmcnt(0)
	v_mul_f64 v[104:105], v[3:4], v[98:99]
	v_mul_f64 v[98:99], v[1:2], v[98:99]
	s_waitcnt vmcnt(0)
	v_fma_f64 v[1:2], v[1:2], v[102:103], -v[104:105]
	v_fma_f64 v[3:4], v[3:4], v[102:103], v[98:99]
.LBB108_650:
	s_mov_b32 s8, exec_lo
	v_cmpx_ne_u32_e32 37, v0
	s_cbranch_execz .LBB108_654
; %bb.651:
	v_add_nc_u32_e32 v98, 0x2e0, v101
	v_add3_u32 v99, 0, v101, 16
	v_mov_b32_e32 v100, v0
	s_mov_b32 s52, 0
	.p2align	6
.LBB108_652:                            ; =>This Inner Loop Header: Depth=1
	s_clause 0x3
	buffer_load_dword v106, v99, s[0:3], 0 offen offset:8
	buffer_load_dword v107, v99, s[0:3], 0 offen offset:12
	buffer_load_dword v108, v99, s[0:3], 0 offen
	buffer_load_dword v109, v99, s[0:3], 0 offen offset:4
	ds_read_b128 v[102:105], v98
	v_add_nc_u32_e32 v100, 1, v100
	v_add_nc_u32_e32 v98, 16, v98
	;; [unrolled: 1-line block ×3, first 2 shown]
	v_cmp_lt_u32_e32 vcc_lo, 36, v100
	s_or_b32 s52, vcc_lo, s52
	s_waitcnt vmcnt(2) lgkmcnt(0)
	v_mul_f64 v[110:111], v[104:105], v[106:107]
	v_mul_f64 v[106:107], v[102:103], v[106:107]
	s_waitcnt vmcnt(0)
	v_fma_f64 v[102:103], v[102:103], v[108:109], -v[110:111]
	v_fma_f64 v[104:105], v[104:105], v[108:109], v[106:107]
	v_add_f64 v[1:2], v[1:2], v[102:103]
	v_add_f64 v[3:4], v[3:4], v[104:105]
	s_andn2_b32 exec_lo, exec_lo, s52
	s_cbranch_execnz .LBB108_652
; %bb.653:
	s_or_b32 exec_lo, exec_lo, s52
.LBB108_654:
	s_or_b32 exec_lo, exec_lo, s8
	v_mov_b32_e32 v98, 0
	ds_read_b128 v[102:105], v98 offset:608
	s_waitcnt lgkmcnt(0)
	v_mul_f64 v[98:99], v[3:4], v[104:105]
	v_mul_f64 v[104:105], v[1:2], v[104:105]
	v_fma_f64 v[1:2], v[1:2], v[102:103], -v[98:99]
	v_fma_f64 v[3:4], v[3:4], v[102:103], v[104:105]
	buffer_store_dword v2, off, s[0:3], 0 offset:612
	buffer_store_dword v1, off, s[0:3], 0 offset:608
	;; [unrolled: 1-line block ×4, first 2 shown]
.LBB108_655:
	s_or_b32 exec_lo, exec_lo, s4
	v_mov_b32_e32 v4, s12
	s_mov_b32 s4, exec_lo
	s_clause 0x3
	buffer_load_dword v1, v4, s[0:3], 0 offen
	buffer_load_dword v2, v4, s[0:3], 0 offen offset:4
	buffer_load_dword v3, v4, s[0:3], 0 offen offset:8
	;; [unrolled: 1-line block ×3, first 2 shown]
	s_waitcnt vmcnt(0)
	ds_write_b128 v96, v[1:4]
	s_waitcnt lgkmcnt(0)
	s_waitcnt_vscnt null, 0x0
	s_barrier
	buffer_gl0_inv
	v_cmpx_gt_u32_e32 39, v0
	s_cbranch_execz .LBB108_663
; %bb.656:
	ds_read_b128 v[1:4], v96
	v_cmp_ne_u32_e32 vcc_lo, 1, v97
	s_cbranch_vccnz .LBB108_658
; %bb.657:
	s_clause 0x3
	buffer_load_dword v98, v95, s[0:3], 0 offen offset:8
	buffer_load_dword v99, v95, s[0:3], 0 offen offset:12
	buffer_load_dword v102, v95, s[0:3], 0 offen
	buffer_load_dword v103, v95, s[0:3], 0 offen offset:4
	s_waitcnt vmcnt(2) lgkmcnt(0)
	v_mul_f64 v[104:105], v[3:4], v[98:99]
	v_mul_f64 v[98:99], v[1:2], v[98:99]
	s_waitcnt vmcnt(0)
	v_fma_f64 v[1:2], v[1:2], v[102:103], -v[104:105]
	v_fma_f64 v[3:4], v[3:4], v[102:103], v[98:99]
.LBB108_658:
	s_mov_b32 s8, exec_lo
	v_cmpx_ne_u32_e32 38, v0
	s_cbranch_execz .LBB108_662
; %bb.659:
	v_add_nc_u32_e32 v98, 0x2e0, v101
	v_add3_u32 v99, 0, v101, 16
	v_mov_b32_e32 v100, v0
	s_mov_b32 s52, 0
	.p2align	6
.LBB108_660:                            ; =>This Inner Loop Header: Depth=1
	s_clause 0x3
	buffer_load_dword v106, v99, s[0:3], 0 offen offset:8
	buffer_load_dword v107, v99, s[0:3], 0 offen offset:12
	buffer_load_dword v108, v99, s[0:3], 0 offen
	buffer_load_dword v109, v99, s[0:3], 0 offen offset:4
	ds_read_b128 v[102:105], v98
	v_add_nc_u32_e32 v100, 1, v100
	v_add_nc_u32_e32 v98, 16, v98
	;; [unrolled: 1-line block ×3, first 2 shown]
	v_cmp_lt_u32_e32 vcc_lo, 37, v100
	s_or_b32 s52, vcc_lo, s52
	s_waitcnt vmcnt(2) lgkmcnt(0)
	v_mul_f64 v[110:111], v[104:105], v[106:107]
	v_mul_f64 v[106:107], v[102:103], v[106:107]
	s_waitcnt vmcnt(0)
	v_fma_f64 v[102:103], v[102:103], v[108:109], -v[110:111]
	v_fma_f64 v[104:105], v[104:105], v[108:109], v[106:107]
	v_add_f64 v[1:2], v[1:2], v[102:103]
	v_add_f64 v[3:4], v[3:4], v[104:105]
	s_andn2_b32 exec_lo, exec_lo, s52
	s_cbranch_execnz .LBB108_660
; %bb.661:
	s_or_b32 exec_lo, exec_lo, s52
.LBB108_662:
	s_or_b32 exec_lo, exec_lo, s8
	v_mov_b32_e32 v98, 0
	ds_read_b128 v[102:105], v98 offset:624
	s_waitcnt lgkmcnt(0)
	v_mul_f64 v[98:99], v[3:4], v[104:105]
	v_mul_f64 v[104:105], v[1:2], v[104:105]
	v_fma_f64 v[1:2], v[1:2], v[102:103], -v[98:99]
	v_fma_f64 v[3:4], v[3:4], v[102:103], v[104:105]
	buffer_store_dword v2, off, s[0:3], 0 offset:628
	buffer_store_dword v1, off, s[0:3], 0 offset:624
	;; [unrolled: 1-line block ×4, first 2 shown]
.LBB108_663:
	s_or_b32 exec_lo, exec_lo, s4
	v_mov_b32_e32 v4, s11
	s_mov_b32 s4, exec_lo
	s_clause 0x3
	buffer_load_dword v1, v4, s[0:3], 0 offen
	buffer_load_dword v2, v4, s[0:3], 0 offen offset:4
	buffer_load_dword v3, v4, s[0:3], 0 offen offset:8
	;; [unrolled: 1-line block ×3, first 2 shown]
	s_waitcnt vmcnt(0)
	ds_write_b128 v96, v[1:4]
	s_waitcnt lgkmcnt(0)
	s_waitcnt_vscnt null, 0x0
	s_barrier
	buffer_gl0_inv
	v_cmpx_gt_u32_e32 40, v0
	s_cbranch_execz .LBB108_671
; %bb.664:
	ds_read_b128 v[1:4], v96
	v_cmp_ne_u32_e32 vcc_lo, 1, v97
	s_cbranch_vccnz .LBB108_666
; %bb.665:
	s_clause 0x3
	buffer_load_dword v98, v95, s[0:3], 0 offen offset:8
	buffer_load_dword v99, v95, s[0:3], 0 offen offset:12
	buffer_load_dword v102, v95, s[0:3], 0 offen
	buffer_load_dword v103, v95, s[0:3], 0 offen offset:4
	s_waitcnt vmcnt(2) lgkmcnt(0)
	v_mul_f64 v[104:105], v[3:4], v[98:99]
	v_mul_f64 v[98:99], v[1:2], v[98:99]
	s_waitcnt vmcnt(0)
	v_fma_f64 v[1:2], v[1:2], v[102:103], -v[104:105]
	v_fma_f64 v[3:4], v[3:4], v[102:103], v[98:99]
.LBB108_666:
	s_mov_b32 s8, exec_lo
	v_cmpx_ne_u32_e32 39, v0
	s_cbranch_execz .LBB108_670
; %bb.667:
	v_add_nc_u32_e32 v98, 0x2e0, v101
	v_add3_u32 v99, 0, v101, 16
	v_mov_b32_e32 v100, v0
	s_mov_b32 s52, 0
	.p2align	6
.LBB108_668:                            ; =>This Inner Loop Header: Depth=1
	s_clause 0x3
	buffer_load_dword v106, v99, s[0:3], 0 offen offset:8
	buffer_load_dword v107, v99, s[0:3], 0 offen offset:12
	buffer_load_dword v108, v99, s[0:3], 0 offen
	buffer_load_dword v109, v99, s[0:3], 0 offen offset:4
	ds_read_b128 v[102:105], v98
	v_add_nc_u32_e32 v100, 1, v100
	v_add_nc_u32_e32 v98, 16, v98
	;; [unrolled: 1-line block ×3, first 2 shown]
	v_cmp_lt_u32_e32 vcc_lo, 38, v100
	s_or_b32 s52, vcc_lo, s52
	s_waitcnt vmcnt(2) lgkmcnt(0)
	v_mul_f64 v[110:111], v[104:105], v[106:107]
	v_mul_f64 v[106:107], v[102:103], v[106:107]
	s_waitcnt vmcnt(0)
	v_fma_f64 v[102:103], v[102:103], v[108:109], -v[110:111]
	v_fma_f64 v[104:105], v[104:105], v[108:109], v[106:107]
	v_add_f64 v[1:2], v[1:2], v[102:103]
	v_add_f64 v[3:4], v[3:4], v[104:105]
	s_andn2_b32 exec_lo, exec_lo, s52
	s_cbranch_execnz .LBB108_668
; %bb.669:
	s_or_b32 exec_lo, exec_lo, s52
.LBB108_670:
	s_or_b32 exec_lo, exec_lo, s8
	v_mov_b32_e32 v98, 0
	ds_read_b128 v[102:105], v98 offset:640
	s_waitcnt lgkmcnt(0)
	v_mul_f64 v[98:99], v[3:4], v[104:105]
	v_mul_f64 v[104:105], v[1:2], v[104:105]
	v_fma_f64 v[1:2], v[1:2], v[102:103], -v[98:99]
	v_fma_f64 v[3:4], v[3:4], v[102:103], v[104:105]
	buffer_store_dword v2, off, s[0:3], 0 offset:644
	buffer_store_dword v1, off, s[0:3], 0 offset:640
	;; [unrolled: 1-line block ×4, first 2 shown]
.LBB108_671:
	s_or_b32 exec_lo, exec_lo, s4
	v_mov_b32_e32 v4, s10
	s_mov_b32 s4, exec_lo
	s_clause 0x3
	buffer_load_dword v1, v4, s[0:3], 0 offen
	buffer_load_dword v2, v4, s[0:3], 0 offen offset:4
	buffer_load_dword v3, v4, s[0:3], 0 offen offset:8
	;; [unrolled: 1-line block ×3, first 2 shown]
	s_waitcnt vmcnt(0)
	ds_write_b128 v96, v[1:4]
	s_waitcnt lgkmcnt(0)
	s_waitcnt_vscnt null, 0x0
	s_barrier
	buffer_gl0_inv
	v_cmpx_gt_u32_e32 41, v0
	s_cbranch_execz .LBB108_679
; %bb.672:
	ds_read_b128 v[1:4], v96
	v_cmp_ne_u32_e32 vcc_lo, 1, v97
	s_cbranch_vccnz .LBB108_674
; %bb.673:
	s_clause 0x3
	buffer_load_dword v98, v95, s[0:3], 0 offen offset:8
	buffer_load_dword v99, v95, s[0:3], 0 offen offset:12
	buffer_load_dword v102, v95, s[0:3], 0 offen
	buffer_load_dword v103, v95, s[0:3], 0 offen offset:4
	s_waitcnt vmcnt(2) lgkmcnt(0)
	v_mul_f64 v[104:105], v[3:4], v[98:99]
	v_mul_f64 v[98:99], v[1:2], v[98:99]
	s_waitcnt vmcnt(0)
	v_fma_f64 v[1:2], v[1:2], v[102:103], -v[104:105]
	v_fma_f64 v[3:4], v[3:4], v[102:103], v[98:99]
.LBB108_674:
	s_mov_b32 s8, exec_lo
	v_cmpx_ne_u32_e32 40, v0
	s_cbranch_execz .LBB108_678
; %bb.675:
	v_add_nc_u32_e32 v98, 0x2e0, v101
	v_add3_u32 v99, 0, v101, 16
	v_mov_b32_e32 v100, v0
	s_mov_b32 s52, 0
	.p2align	6
.LBB108_676:                            ; =>This Inner Loop Header: Depth=1
	s_clause 0x3
	buffer_load_dword v106, v99, s[0:3], 0 offen offset:8
	buffer_load_dword v107, v99, s[0:3], 0 offen offset:12
	buffer_load_dword v108, v99, s[0:3], 0 offen
	buffer_load_dword v109, v99, s[0:3], 0 offen offset:4
	ds_read_b128 v[102:105], v98
	v_add_nc_u32_e32 v100, 1, v100
	v_add_nc_u32_e32 v98, 16, v98
	;; [unrolled: 1-line block ×3, first 2 shown]
	v_cmp_lt_u32_e32 vcc_lo, 39, v100
	s_or_b32 s52, vcc_lo, s52
	s_waitcnt vmcnt(2) lgkmcnt(0)
	v_mul_f64 v[110:111], v[104:105], v[106:107]
	v_mul_f64 v[106:107], v[102:103], v[106:107]
	s_waitcnt vmcnt(0)
	v_fma_f64 v[102:103], v[102:103], v[108:109], -v[110:111]
	v_fma_f64 v[104:105], v[104:105], v[108:109], v[106:107]
	v_add_f64 v[1:2], v[1:2], v[102:103]
	v_add_f64 v[3:4], v[3:4], v[104:105]
	s_andn2_b32 exec_lo, exec_lo, s52
	s_cbranch_execnz .LBB108_676
; %bb.677:
	s_or_b32 exec_lo, exec_lo, s52
.LBB108_678:
	s_or_b32 exec_lo, exec_lo, s8
	v_mov_b32_e32 v98, 0
	ds_read_b128 v[102:105], v98 offset:656
	s_waitcnt lgkmcnt(0)
	v_mul_f64 v[98:99], v[3:4], v[104:105]
	v_mul_f64 v[104:105], v[1:2], v[104:105]
	v_fma_f64 v[1:2], v[1:2], v[102:103], -v[98:99]
	v_fma_f64 v[3:4], v[3:4], v[102:103], v[104:105]
	buffer_store_dword v2, off, s[0:3], 0 offset:660
	buffer_store_dword v1, off, s[0:3], 0 offset:656
	;; [unrolled: 1-line block ×4, first 2 shown]
.LBB108_679:
	s_or_b32 exec_lo, exec_lo, s4
	v_mov_b32_e32 v4, s9
	s_mov_b32 s4, exec_lo
	s_clause 0x3
	buffer_load_dword v1, v4, s[0:3], 0 offen
	buffer_load_dword v2, v4, s[0:3], 0 offen offset:4
	buffer_load_dword v3, v4, s[0:3], 0 offen offset:8
	;; [unrolled: 1-line block ×3, first 2 shown]
	s_waitcnt vmcnt(0)
	ds_write_b128 v96, v[1:4]
	s_waitcnt lgkmcnt(0)
	s_waitcnt_vscnt null, 0x0
	s_barrier
	buffer_gl0_inv
	v_cmpx_gt_u32_e32 42, v0
	s_cbranch_execz .LBB108_687
; %bb.680:
	ds_read_b128 v[1:4], v96
	v_cmp_ne_u32_e32 vcc_lo, 1, v97
	s_cbranch_vccnz .LBB108_682
; %bb.681:
	s_clause 0x3
	buffer_load_dword v98, v95, s[0:3], 0 offen offset:8
	buffer_load_dword v99, v95, s[0:3], 0 offen offset:12
	buffer_load_dword v102, v95, s[0:3], 0 offen
	buffer_load_dword v103, v95, s[0:3], 0 offen offset:4
	s_waitcnt vmcnt(2) lgkmcnt(0)
	v_mul_f64 v[104:105], v[3:4], v[98:99]
	v_mul_f64 v[98:99], v[1:2], v[98:99]
	s_waitcnt vmcnt(0)
	v_fma_f64 v[1:2], v[1:2], v[102:103], -v[104:105]
	v_fma_f64 v[3:4], v[3:4], v[102:103], v[98:99]
.LBB108_682:
	s_mov_b32 s8, exec_lo
	v_cmpx_ne_u32_e32 41, v0
	s_cbranch_execz .LBB108_686
; %bb.683:
	v_add_nc_u32_e32 v98, 0x2e0, v101
	v_add3_u32 v99, 0, v101, 16
	v_mov_b32_e32 v100, v0
	s_mov_b32 s52, 0
	.p2align	6
.LBB108_684:                            ; =>This Inner Loop Header: Depth=1
	s_clause 0x3
	buffer_load_dword v106, v99, s[0:3], 0 offen offset:8
	buffer_load_dword v107, v99, s[0:3], 0 offen offset:12
	buffer_load_dword v108, v99, s[0:3], 0 offen
	buffer_load_dword v109, v99, s[0:3], 0 offen offset:4
	ds_read_b128 v[102:105], v98
	v_add_nc_u32_e32 v100, 1, v100
	v_add_nc_u32_e32 v98, 16, v98
	;; [unrolled: 1-line block ×3, first 2 shown]
	v_cmp_lt_u32_e32 vcc_lo, 40, v100
	s_or_b32 s52, vcc_lo, s52
	s_waitcnt vmcnt(2) lgkmcnt(0)
	v_mul_f64 v[110:111], v[104:105], v[106:107]
	v_mul_f64 v[106:107], v[102:103], v[106:107]
	s_waitcnt vmcnt(0)
	v_fma_f64 v[102:103], v[102:103], v[108:109], -v[110:111]
	v_fma_f64 v[104:105], v[104:105], v[108:109], v[106:107]
	v_add_f64 v[1:2], v[1:2], v[102:103]
	v_add_f64 v[3:4], v[3:4], v[104:105]
	s_andn2_b32 exec_lo, exec_lo, s52
	s_cbranch_execnz .LBB108_684
; %bb.685:
	s_or_b32 exec_lo, exec_lo, s52
.LBB108_686:
	s_or_b32 exec_lo, exec_lo, s8
	v_mov_b32_e32 v98, 0
	ds_read_b128 v[102:105], v98 offset:672
	s_waitcnt lgkmcnt(0)
	v_mul_f64 v[98:99], v[3:4], v[104:105]
	v_mul_f64 v[104:105], v[1:2], v[104:105]
	v_fma_f64 v[1:2], v[1:2], v[102:103], -v[98:99]
	v_fma_f64 v[3:4], v[3:4], v[102:103], v[104:105]
	buffer_store_dword v2, off, s[0:3], 0 offset:676
	buffer_store_dword v1, off, s[0:3], 0 offset:672
	buffer_store_dword v4, off, s[0:3], 0 offset:684
	buffer_store_dword v3, off, s[0:3], 0 offset:680
.LBB108_687:
	s_or_b32 exec_lo, exec_lo, s4
	v_mov_b32_e32 v4, s7
	v_cmp_gt_u32_e64 s4, 43, v0
	s_clause 0x3
	buffer_load_dword v1, v4, s[0:3], 0 offen
	buffer_load_dword v2, v4, s[0:3], 0 offen offset:4
	buffer_load_dword v3, v4, s[0:3], 0 offen offset:8
	buffer_load_dword v4, v4, s[0:3], 0 offen offset:12
	s_waitcnt vmcnt(0)
	ds_write_b128 v96, v[1:4]
	s_waitcnt lgkmcnt(0)
	s_waitcnt_vscnt null, 0x0
	s_barrier
	buffer_gl0_inv
	s_and_saveexec_b32 s8, s4
	s_cbranch_execz .LBB108_695
; %bb.688:
	ds_read_b128 v[1:4], v96
	v_cmp_ne_u32_e32 vcc_lo, 1, v97
	s_cbranch_vccnz .LBB108_690
; %bb.689:
	s_clause 0x3
	buffer_load_dword v98, v95, s[0:3], 0 offen offset:8
	buffer_load_dword v99, v95, s[0:3], 0 offen offset:12
	buffer_load_dword v102, v95, s[0:3], 0 offen
	buffer_load_dword v103, v95, s[0:3], 0 offen offset:4
	s_waitcnt vmcnt(2) lgkmcnt(0)
	v_mul_f64 v[104:105], v[3:4], v[98:99]
	v_mul_f64 v[98:99], v[1:2], v[98:99]
	s_waitcnt vmcnt(0)
	v_fma_f64 v[1:2], v[1:2], v[102:103], -v[104:105]
	v_fma_f64 v[3:4], v[3:4], v[102:103], v[98:99]
.LBB108_690:
	s_mov_b32 s52, exec_lo
	v_cmpx_ne_u32_e32 42, v0
	s_cbranch_execz .LBB108_694
; %bb.691:
	v_add_nc_u32_e32 v98, 0x2e0, v101
	v_add3_u32 v99, 0, v101, 16
	v_mov_b32_e32 v100, v0
	s_mov_b32 s53, 0
	.p2align	6
.LBB108_692:                            ; =>This Inner Loop Header: Depth=1
	s_clause 0x3
	buffer_load_dword v106, v99, s[0:3], 0 offen offset:8
	buffer_load_dword v107, v99, s[0:3], 0 offen offset:12
	buffer_load_dword v108, v99, s[0:3], 0 offen
	buffer_load_dword v109, v99, s[0:3], 0 offen offset:4
	ds_read_b128 v[102:105], v98
	v_add_nc_u32_e32 v100, 1, v100
	v_add_nc_u32_e32 v98, 16, v98
	;; [unrolled: 1-line block ×3, first 2 shown]
	v_cmp_lt_u32_e32 vcc_lo, 41, v100
	s_or_b32 s53, vcc_lo, s53
	s_waitcnt vmcnt(2) lgkmcnt(0)
	v_mul_f64 v[110:111], v[104:105], v[106:107]
	v_mul_f64 v[106:107], v[102:103], v[106:107]
	s_waitcnt vmcnt(0)
	v_fma_f64 v[102:103], v[102:103], v[108:109], -v[110:111]
	v_fma_f64 v[104:105], v[104:105], v[108:109], v[106:107]
	v_add_f64 v[1:2], v[1:2], v[102:103]
	v_add_f64 v[3:4], v[3:4], v[104:105]
	s_andn2_b32 exec_lo, exec_lo, s53
	s_cbranch_execnz .LBB108_692
; %bb.693:
	s_or_b32 exec_lo, exec_lo, s53
.LBB108_694:
	s_or_b32 exec_lo, exec_lo, s52
	v_mov_b32_e32 v98, 0
	ds_read_b128 v[102:105], v98 offset:688
	s_waitcnt lgkmcnt(0)
	v_mul_f64 v[98:99], v[3:4], v[104:105]
	v_mul_f64 v[104:105], v[1:2], v[104:105]
	v_fma_f64 v[1:2], v[1:2], v[102:103], -v[98:99]
	v_fma_f64 v[3:4], v[3:4], v[102:103], v[104:105]
	buffer_store_dword v2, off, s[0:3], 0 offset:692
	buffer_store_dword v1, off, s[0:3], 0 offset:688
	;; [unrolled: 1-line block ×4, first 2 shown]
.LBB108_695:
	s_or_b32 exec_lo, exec_lo, s8
	v_mov_b32_e32 v4, s6
	s_mov_b32 s8, exec_lo
                                        ; implicit-def: $sgpr54
	s_clause 0x3
	buffer_load_dword v1, v4, s[0:3], 0 offen
	buffer_load_dword v2, v4, s[0:3], 0 offen offset:4
	buffer_load_dword v3, v4, s[0:3], 0 offen offset:8
	buffer_load_dword v4, v4, s[0:3], 0 offen offset:12
	s_waitcnt vmcnt(0)
	ds_write_b128 v96, v[1:4]
	s_waitcnt lgkmcnt(0)
	s_waitcnt_vscnt null, 0x0
	s_barrier
	buffer_gl0_inv
                                        ; implicit-def: $vgpr1_vgpr2
	v_cmpx_ne_u32_e32 44, v0
	s_cbranch_execz .LBB108_703
; %bb.696:
	ds_read_b128 v[1:4], v96
	v_cmp_ne_u32_e32 vcc_lo, 1, v97
	s_cbranch_vccnz .LBB108_698
; %bb.697:
	s_clause 0x3
	buffer_load_dword v96, v95, s[0:3], 0 offen offset:8
	buffer_load_dword v97, v95, s[0:3], 0 offen offset:12
	buffer_load_dword v98, v95, s[0:3], 0 offen
	buffer_load_dword v99, v95, s[0:3], 0 offen offset:4
	s_waitcnt vmcnt(2) lgkmcnt(0)
	v_mul_f64 v[102:103], v[3:4], v[96:97]
	v_mul_f64 v[95:96], v[1:2], v[96:97]
	s_waitcnt vmcnt(0)
	v_fma_f64 v[1:2], v[1:2], v[98:99], -v[102:103]
	v_fma_f64 v[3:4], v[3:4], v[98:99], v[95:96]
.LBB108_698:
	s_and_saveexec_b32 s52, s4
	s_cbranch_execz .LBB108_702
; %bb.699:
	v_add_nc_u32_e32 v95, 0x2e0, v101
	v_add3_u32 v96, 0, v101, 16
	s_mov_b32 s4, 0
	.p2align	6
.LBB108_700:                            ; =>This Inner Loop Header: Depth=1
	s_clause 0x3
	buffer_load_dword v101, v96, s[0:3], 0 offen offset:8
	buffer_load_dword v102, v96, s[0:3], 0 offen offset:12
	buffer_load_dword v103, v96, s[0:3], 0 offen
	buffer_load_dword v104, v96, s[0:3], 0 offen offset:4
	ds_read_b128 v[97:100], v95
	v_add_nc_u32_e32 v0, 1, v0
	v_add_nc_u32_e32 v95, 16, v95
	;; [unrolled: 1-line block ×3, first 2 shown]
	v_cmp_lt_u32_e32 vcc_lo, 42, v0
	s_or_b32 s4, vcc_lo, s4
	s_waitcnt vmcnt(2) lgkmcnt(0)
	v_mul_f64 v[105:106], v[99:100], v[101:102]
	v_mul_f64 v[101:102], v[97:98], v[101:102]
	s_waitcnt vmcnt(0)
	v_fma_f64 v[97:98], v[97:98], v[103:104], -v[105:106]
	v_fma_f64 v[99:100], v[99:100], v[103:104], v[101:102]
	v_add_f64 v[1:2], v[1:2], v[97:98]
	v_add_f64 v[3:4], v[3:4], v[99:100]
	s_andn2_b32 exec_lo, exec_lo, s4
	s_cbranch_execnz .LBB108_700
; %bb.701:
	s_or_b32 exec_lo, exec_lo, s4
.LBB108_702:
	s_or_b32 exec_lo, exec_lo, s52
	v_mov_b32_e32 v0, 0
	s_movk_i32 s54, 0x2c8
	s_or_b32 s5, s5, exec_lo
	ds_read_b128 v[95:98], v0 offset:704
	s_waitcnt lgkmcnt(0)
	v_mul_f64 v[99:100], v[3:4], v[97:98]
	v_mul_f64 v[97:98], v[1:2], v[97:98]
	v_fma_f64 v[99:100], v[1:2], v[95:96], -v[99:100]
	v_fma_f64 v[1:2], v[3:4], v[95:96], v[97:98]
	buffer_store_dword v100, off, s[0:3], 0 offset:708
	buffer_store_dword v99, off, s[0:3], 0 offset:704
.LBB108_703:
	s_or_b32 exec_lo, exec_lo, s8
.LBB108_704:
	s_and_saveexec_b32 s4, s5
	s_cbranch_execz .LBB108_706
; %bb.705:
	v_mov_b32_e32 v0, s54
	buffer_store_dword v2, v0, s[0:3], 0 offen offset:4
	buffer_store_dword v1, v0, s[0:3], 0 offen
.LBB108_706:
	s_or_b32 exec_lo, exec_lo, s4
	s_clause 0x3
	buffer_load_dword v0, off, s[0:3], 0
	buffer_load_dword v1, off, s[0:3], 0 offset:4
	buffer_load_dword v2, off, s[0:3], 0 offset:8
	;; [unrolled: 1-line block ×3, first 2 shown]
	v_mov_b32_e32 v4, s51
	s_waitcnt vmcnt(0)
	flat_store_dwordx4 v[5:6], v[0:3]
	s_clause 0x3
	buffer_load_dword v0, v4, s[0:3], 0 offen
	buffer_load_dword v1, v4, s[0:3], 0 offen offset:4
	buffer_load_dword v2, v4, s[0:3], 0 offen offset:8
	buffer_load_dword v3, v4, s[0:3], 0 offen offset:12
	v_mov_b32_e32 v4, s50
	s_waitcnt vmcnt(0)
	flat_store_dwordx4 v[59:60], v[0:3]
	s_clause 0x3
	buffer_load_dword v0, v4, s[0:3], 0 offen
	buffer_load_dword v1, v4, s[0:3], 0 offen offset:4
	buffer_load_dword v2, v4, s[0:3], 0 offen offset:8
	buffer_load_dword v3, v4, s[0:3], 0 offen offset:12
	;; [unrolled: 8-line block ×44, first 2 shown]
	s_waitcnt vmcnt(0)
	flat_store_dwordx4 v[93:94], v[0:3]
.LBB108_707:
	s_endpgm
	.section	.rodata,"a",@progbits
	.p2align	6, 0x0
	.amdhsa_kernel _ZN9rocsolver6v33100L18trti2_kernel_smallILi45E19rocblas_complex_numIdEPKPS3_EEv13rocblas_fill_17rocblas_diagonal_T1_iil
		.amdhsa_group_segment_fixed_size 1440
		.amdhsa_private_segment_fixed_size 736
		.amdhsa_kernarg_size 32
		.amdhsa_user_sgpr_count 6
		.amdhsa_user_sgpr_private_segment_buffer 1
		.amdhsa_user_sgpr_dispatch_ptr 0
		.amdhsa_user_sgpr_queue_ptr 0
		.amdhsa_user_sgpr_kernarg_segment_ptr 1
		.amdhsa_user_sgpr_dispatch_id 0
		.amdhsa_user_sgpr_flat_scratch_init 0
		.amdhsa_user_sgpr_private_segment_size 0
		.amdhsa_wavefront_size32 1
		.amdhsa_uses_dynamic_stack 0
		.amdhsa_system_sgpr_private_segment_wavefront_offset 1
		.amdhsa_system_sgpr_workgroup_id_x 1
		.amdhsa_system_sgpr_workgroup_id_y 0
		.amdhsa_system_sgpr_workgroup_id_z 0
		.amdhsa_system_sgpr_workgroup_info 0
		.amdhsa_system_vgpr_workitem_id 0
		.amdhsa_next_free_vgpr 112
		.amdhsa_next_free_sgpr 72
		.amdhsa_reserve_vcc 1
		.amdhsa_reserve_flat_scratch 0
		.amdhsa_float_round_mode_32 0
		.amdhsa_float_round_mode_16_64 0
		.amdhsa_float_denorm_mode_32 3
		.amdhsa_float_denorm_mode_16_64 3
		.amdhsa_dx10_clamp 1
		.amdhsa_ieee_mode 1
		.amdhsa_fp16_overflow 0
		.amdhsa_workgroup_processor_mode 1
		.amdhsa_memory_ordered 1
		.amdhsa_forward_progress 1
		.amdhsa_shared_vgpr_count 0
		.amdhsa_exception_fp_ieee_invalid_op 0
		.amdhsa_exception_fp_denorm_src 0
		.amdhsa_exception_fp_ieee_div_zero 0
		.amdhsa_exception_fp_ieee_overflow 0
		.amdhsa_exception_fp_ieee_underflow 0
		.amdhsa_exception_fp_ieee_inexact 0
		.amdhsa_exception_int_div_zero 0
	.end_amdhsa_kernel
	.section	.text._ZN9rocsolver6v33100L18trti2_kernel_smallILi45E19rocblas_complex_numIdEPKPS3_EEv13rocblas_fill_17rocblas_diagonal_T1_iil,"axG",@progbits,_ZN9rocsolver6v33100L18trti2_kernel_smallILi45E19rocblas_complex_numIdEPKPS3_EEv13rocblas_fill_17rocblas_diagonal_T1_iil,comdat
.Lfunc_end108:
	.size	_ZN9rocsolver6v33100L18trti2_kernel_smallILi45E19rocblas_complex_numIdEPKPS3_EEv13rocblas_fill_17rocblas_diagonal_T1_iil, .Lfunc_end108-_ZN9rocsolver6v33100L18trti2_kernel_smallILi45E19rocblas_complex_numIdEPKPS3_EEv13rocblas_fill_17rocblas_diagonal_T1_iil
                                        ; -- End function
	.set _ZN9rocsolver6v33100L18trti2_kernel_smallILi45E19rocblas_complex_numIdEPKPS3_EEv13rocblas_fill_17rocblas_diagonal_T1_iil.num_vgpr, 112
	.set _ZN9rocsolver6v33100L18trti2_kernel_smallILi45E19rocblas_complex_numIdEPKPS3_EEv13rocblas_fill_17rocblas_diagonal_T1_iil.num_agpr, 0
	.set _ZN9rocsolver6v33100L18trti2_kernel_smallILi45E19rocblas_complex_numIdEPKPS3_EEv13rocblas_fill_17rocblas_diagonal_T1_iil.numbered_sgpr, 72
	.set _ZN9rocsolver6v33100L18trti2_kernel_smallILi45E19rocblas_complex_numIdEPKPS3_EEv13rocblas_fill_17rocblas_diagonal_T1_iil.num_named_barrier, 0
	.set _ZN9rocsolver6v33100L18trti2_kernel_smallILi45E19rocblas_complex_numIdEPKPS3_EEv13rocblas_fill_17rocblas_diagonal_T1_iil.private_seg_size, 736
	.set _ZN9rocsolver6v33100L18trti2_kernel_smallILi45E19rocblas_complex_numIdEPKPS3_EEv13rocblas_fill_17rocblas_diagonal_T1_iil.uses_vcc, 1
	.set _ZN9rocsolver6v33100L18trti2_kernel_smallILi45E19rocblas_complex_numIdEPKPS3_EEv13rocblas_fill_17rocblas_diagonal_T1_iil.uses_flat_scratch, 0
	.set _ZN9rocsolver6v33100L18trti2_kernel_smallILi45E19rocblas_complex_numIdEPKPS3_EEv13rocblas_fill_17rocblas_diagonal_T1_iil.has_dyn_sized_stack, 0
	.set _ZN9rocsolver6v33100L18trti2_kernel_smallILi45E19rocblas_complex_numIdEPKPS3_EEv13rocblas_fill_17rocblas_diagonal_T1_iil.has_recursion, 0
	.set _ZN9rocsolver6v33100L18trti2_kernel_smallILi45E19rocblas_complex_numIdEPKPS3_EEv13rocblas_fill_17rocblas_diagonal_T1_iil.has_indirect_call, 0
	.section	.AMDGPU.csdata,"",@progbits
; Kernel info:
; codeLenInByte = 45784
; TotalNumSgprs: 74
; NumVgprs: 112
; ScratchSize: 736
; MemoryBound: 0
; FloatMode: 240
; IeeeMode: 1
; LDSByteSize: 1440 bytes/workgroup (compile time only)
; SGPRBlocks: 0
; VGPRBlocks: 13
; NumSGPRsForWavesPerEU: 74
; NumVGPRsForWavesPerEU: 112
; Occupancy: 9
; WaveLimiterHint : 1
; COMPUTE_PGM_RSRC2:SCRATCH_EN: 1
; COMPUTE_PGM_RSRC2:USER_SGPR: 6
; COMPUTE_PGM_RSRC2:TRAP_HANDLER: 0
; COMPUTE_PGM_RSRC2:TGID_X_EN: 1
; COMPUTE_PGM_RSRC2:TGID_Y_EN: 0
; COMPUTE_PGM_RSRC2:TGID_Z_EN: 0
; COMPUTE_PGM_RSRC2:TIDIG_COMP_CNT: 0
	.section	.text._ZN9rocsolver6v33100L18trti2_kernel_smallILi46E19rocblas_complex_numIdEPKPS3_EEv13rocblas_fill_17rocblas_diagonal_T1_iil,"axG",@progbits,_ZN9rocsolver6v33100L18trti2_kernel_smallILi46E19rocblas_complex_numIdEPKPS3_EEv13rocblas_fill_17rocblas_diagonal_T1_iil,comdat
	.globl	_ZN9rocsolver6v33100L18trti2_kernel_smallILi46E19rocblas_complex_numIdEPKPS3_EEv13rocblas_fill_17rocblas_diagonal_T1_iil ; -- Begin function _ZN9rocsolver6v33100L18trti2_kernel_smallILi46E19rocblas_complex_numIdEPKPS3_EEv13rocblas_fill_17rocblas_diagonal_T1_iil
	.p2align	8
	.type	_ZN9rocsolver6v33100L18trti2_kernel_smallILi46E19rocblas_complex_numIdEPKPS3_EEv13rocblas_fill_17rocblas_diagonal_T1_iil,@function
_ZN9rocsolver6v33100L18trti2_kernel_smallILi46E19rocblas_complex_numIdEPKPS3_EEv13rocblas_fill_17rocblas_diagonal_T1_iil: ; @_ZN9rocsolver6v33100L18trti2_kernel_smallILi46E19rocblas_complex_numIdEPKPS3_EEv13rocblas_fill_17rocblas_diagonal_T1_iil
; %bb.0:
	s_add_u32 s0, s0, s7
	s_addc_u32 s1, s1, 0
	s_mov_b32 s7, exec_lo
	v_cmpx_gt_u32_e32 46, v0
	s_cbranch_execz .LBB109_723
; %bb.1:
	s_clause 0x1
	s_load_dwordx2 s[12:13], s[4:5], 0x10
	s_load_dwordx4 s[8:11], s[4:5], 0x0
	s_ashr_i32 s7, s6, 31
	v_lshlrev_b32_e32 v103, 4, v0
	s_lshl_b64 s[4:5], s[6:7], 3
	s_movk_i32 s14, 0xd0
	s_movk_i32 s15, 0xe0
	;; [unrolled: 1-line block ×15, first 2 shown]
	s_waitcnt lgkmcnt(0)
	s_ashr_i32 s7, s12, 31
	s_add_u32 s4, s10, s4
	s_addc_u32 s5, s11, s5
	s_mov_b32 s6, s12
	s_load_dwordx2 s[4:5], s[4:5], 0x0
	s_lshl_b64 s[6:7], s[6:7], 4
	v_add3_u32 v7, s13, s13, v0
	s_movk_i32 s10, 0x90
	s_movk_i32 s11, 0xa0
	;; [unrolled: 1-line block ×4, first 2 shown]
	v_ashrrev_i32_e32 v8, 31, v7
	s_movk_i32 s57, 0x1d0
	s_movk_i32 s58, 0x1e0
	;; [unrolled: 1-line block ×4, first 2 shown]
	v_lshlrev_b64 v[8:9], 4, v[7:8]
	v_add_nc_u32_e32 v7, s13, v7
	s_movk_i32 s61, 0x210
	s_movk_i32 s62, 0x220
	;; [unrolled: 1-line block ×6, first 2 shown]
	s_waitcnt lgkmcnt(0)
	s_add_u32 s6, s4, s6
	s_addc_u32 s7, s5, s7
	v_add_co_u32 v5, s4, s6, v103
	v_add_co_ci_u32_e64 v6, null, s7, 0, s4
	s_mov_b32 s4, s13
	s_ashr_i32 s5, s13, 31
	s_movk_i32 s67, 0x270
	flat_load_dwordx4 v[1:4], v[5:6]
	s_lshl_b64 s[4:5], s[4:5], 4
	s_cmpk_lg_i32 s9, 0x84
	v_add_co_u32 v59, vcc_lo, v5, s4
	v_add_co_ci_u32_e64 v60, null, s5, v6, vcc_lo
	v_add_co_u32 v57, vcc_lo, s6, v8
	v_add_co_ci_u32_e64 v58, null, s7, v9, vcc_lo
	v_ashrrev_i32_e32 v8, 31, v7
	s_movk_i32 s4, 0x50
	s_movk_i32 s5, 0x60
	;; [unrolled: 1-line block ×4, first 2 shown]
	v_lshlrev_b64 v[8:9], 4, v[7:8]
	v_add_nc_u32_e32 v7, s13, v7
	s_movk_i32 s70, 0x2a0
	s_movk_i32 s71, 0x2b0
	;; [unrolled: 1-line block ×4, first 2 shown]
	v_add_co_u32 v55, vcc_lo, s6, v8
	v_add_co_ci_u32_e64 v56, null, s7, v9, vcc_lo
	v_ashrrev_i32_e32 v8, 31, v7
	s_cselect_b32 s54, -1, 0
	s_cmpk_eq_i32 s9, 0x84
	s_waitcnt vmcnt(0) lgkmcnt(0)
	buffer_store_dword v4, off, s[0:3], 0 offset:12
	buffer_store_dword v3, off, s[0:3], 0 offset:8
	;; [unrolled: 1-line block ×3, first 2 shown]
	buffer_store_dword v1, off, s[0:3], 0
	flat_load_dwordx4 v[1:4], v[59:60]
	v_lshlrev_b64 v[8:9], 4, v[7:8]
	v_add_nc_u32_e32 v7, s13, v7
	s_waitcnt vmcnt(0) lgkmcnt(0)
	buffer_store_dword v4, off, s[0:3], 0 offset:28
	buffer_store_dword v3, off, s[0:3], 0 offset:24
	;; [unrolled: 1-line block ×4, first 2 shown]
	flat_load_dwordx4 v[1:4], v[57:58]
	v_add_co_u32 v53, vcc_lo, s6, v8
	v_add_co_ci_u32_e64 v54, null, s7, v9, vcc_lo
	v_ashrrev_i32_e32 v8, 31, v7
	s_waitcnt vmcnt(0) lgkmcnt(0)
	buffer_store_dword v4, off, s[0:3], 0 offset:44
	buffer_store_dword v3, off, s[0:3], 0 offset:40
	;; [unrolled: 1-line block ×4, first 2 shown]
	flat_load_dwordx4 v[1:4], v[55:56]
	v_lshlrev_b64 v[8:9], 4, v[7:8]
	v_add_nc_u32_e32 v7, s13, v7
	s_waitcnt vmcnt(0) lgkmcnt(0)
	buffer_store_dword v4, off, s[0:3], 0 offset:60
	buffer_store_dword v3, off, s[0:3], 0 offset:56
	;; [unrolled: 1-line block ×4, first 2 shown]
	flat_load_dwordx4 v[1:4], v[53:54]
	v_add_co_u32 v49, vcc_lo, s6, v8
	v_add_co_ci_u32_e64 v50, null, s7, v9, vcc_lo
	v_ashrrev_i32_e32 v8, 31, v7
	s_waitcnt vmcnt(0) lgkmcnt(0)
	buffer_store_dword v4, off, s[0:3], 0 offset:76
	buffer_store_dword v3, off, s[0:3], 0 offset:72
	;; [unrolled: 1-line block ×4, first 2 shown]
	flat_load_dwordx4 v[1:4], v[49:50]
	v_lshlrev_b64 v[8:9], 4, v[7:8]
	v_add_nc_u32_e32 v7, s13, v7
	s_waitcnt vmcnt(0) lgkmcnt(0)
	buffer_store_dword v4, off, s[0:3], 0 offset:92
	buffer_store_dword v3, off, s[0:3], 0 offset:88
	;; [unrolled: 1-line block ×4, first 2 shown]
	v_add_co_u32 v47, vcc_lo, s6, v8
	v_add_co_ci_u32_e64 v48, null, s7, v9, vcc_lo
	v_ashrrev_i32_e32 v8, 31, v7
	flat_load_dwordx4 v[1:4], v[47:48]
	s_waitcnt vmcnt(0) lgkmcnt(0)
	buffer_store_dword v4, off, s[0:3], 0 offset:108
	buffer_store_dword v3, off, s[0:3], 0 offset:104
	buffer_store_dword v2, off, s[0:3], 0 offset:100
	buffer_store_dword v1, off, s[0:3], 0 offset:96
	v_lshlrev_b64 v[8:9], 4, v[7:8]
	v_add_nc_u32_e32 v7, s13, v7
	v_add_co_u32 v45, vcc_lo, s6, v8
	v_add_co_ci_u32_e64 v46, null, s7, v9, vcc_lo
	v_ashrrev_i32_e32 v8, 31, v7
	flat_load_dwordx4 v[1:4], v[45:46]
	s_waitcnt vmcnt(0) lgkmcnt(0)
	buffer_store_dword v4, off, s[0:3], 0 offset:124
	buffer_store_dword v3, off, s[0:3], 0 offset:120
	buffer_store_dword v2, off, s[0:3], 0 offset:116
	buffer_store_dword v1, off, s[0:3], 0 offset:112
	v_lshlrev_b64 v[8:9], 4, v[7:8]
	v_add_nc_u32_e32 v7, s13, v7
	;; [unrolled: 11-line block ×17, first 2 shown]
	v_add_co_u32 v11, vcc_lo, s6, v8
	v_add_co_ci_u32_e64 v12, null, s7, v9, vcc_lo
	v_ashrrev_i32_e32 v8, 31, v7
	v_add_nc_u32_e32 v33, s13, v7
	flat_load_dwordx4 v[1:4], v[11:12]
	s_waitcnt vmcnt(0) lgkmcnt(0)
	buffer_store_dword v4, off, s[0:3], 0 offset:380
	buffer_store_dword v3, off, s[0:3], 0 offset:376
	;; [unrolled: 1-line block ×4, first 2 shown]
	v_lshlrev_b64 v[9:10], 4, v[7:8]
	v_ashrrev_i32_e32 v34, 31, v33
	v_add_nc_u32_e32 v51, s13, v33
	v_add_co_u32 v9, vcc_lo, s6, v9
	v_add_co_ci_u32_e64 v10, null, s7, v10, vcc_lo
	v_lshlrev_b64 v[7:8], 4, v[33:34]
	v_ashrrev_i32_e32 v52, 31, v51
	v_add_nc_u32_e32 v61, s13, v51
	flat_load_dwordx4 v[1:4], v[9:10]
	s_waitcnt vmcnt(0) lgkmcnt(0)
	buffer_store_dword v4, off, s[0:3], 0 offset:396
	buffer_store_dword v3, off, s[0:3], 0 offset:392
	buffer_store_dword v2, off, s[0:3], 0 offset:388
	buffer_store_dword v1, off, s[0:3], 0 offset:384
	v_add_co_u32 v7, vcc_lo, s6, v7
	v_add_co_ci_u32_e64 v8, null, s7, v8, vcc_lo
	v_lshlrev_b64 v[33:34], 4, v[51:52]
	v_ashrrev_i32_e32 v62, 31, v61
	v_add_nc_u32_e32 v63, s13, v61
	flat_load_dwordx4 v[1:4], v[7:8]
	s_waitcnt vmcnt(0) lgkmcnt(0)
	buffer_store_dword v4, off, s[0:3], 0 offset:412
	buffer_store_dword v3, off, s[0:3], 0 offset:408
	buffer_store_dword v2, off, s[0:3], 0 offset:404
	buffer_store_dword v1, off, s[0:3], 0 offset:400
	;; [unrolled: 11-line block ×18, first 2 shown]
	v_add_co_u32 v89, vcc_lo, s6, v89
	v_add_co_ci_u32_e64 v90, null, s7, v90, vcc_lo
	v_lshlrev_b64 v[91:92], 4, v[93:94]
	v_ashrrev_i32_e32 v96, 31, v95
	flat_load_dwordx4 v[1:4], v[89:90]
	s_waitcnt vmcnt(0) lgkmcnt(0)
	buffer_store_dword v4, off, s[0:3], 0 offset:684
	buffer_store_dword v3, off, s[0:3], 0 offset:680
	;; [unrolled: 1-line block ×4, first 2 shown]
	v_add_co_u32 v91, vcc_lo, s6, v91
	v_add_co_ci_u32_e64 v92, null, s7, v92, vcc_lo
	v_lshlrev_b64 v[93:94], 4, v[95:96]
	v_add_nc_u32_e32 v95, s13, v95
	s_movk_i32 s13, 0xc0
	flat_load_dwordx4 v[1:4], v[91:92]
	s_waitcnt vmcnt(0) lgkmcnt(0)
	buffer_store_dword v4, off, s[0:3], 0 offset:700
	buffer_store_dword v3, off, s[0:3], 0 offset:696
	;; [unrolled: 1-line block ×4, first 2 shown]
	v_add_co_u32 v93, vcc_lo, s6, v93
	v_add_co_ci_u32_e64 v94, null, s7, v94, vcc_lo
	v_ashrrev_i32_e32 v96, 31, v95
	flat_load_dwordx4 v[1:4], v[93:94]
	s_waitcnt vmcnt(0) lgkmcnt(0)
	buffer_store_dword v4, off, s[0:3], 0 offset:716
	buffer_store_dword v3, off, s[0:3], 0 offset:712
	;; [unrolled: 1-line block ×4, first 2 shown]
	v_lshlrev_b64 v[95:96], 4, v[95:96]
	v_add_co_u32 v95, vcc_lo, s6, v95
	v_add_co_ci_u32_e64 v96, null, s7, v96, vcc_lo
	s_movk_i32 s6, 0x70
	s_movk_i32 s7, 0x80
	flat_load_dwordx4 v[1:4], v[95:96]
	s_waitcnt vmcnt(0) lgkmcnt(0)
	buffer_store_dword v4, off, s[0:3], 0 offset:732
	buffer_store_dword v3, off, s[0:3], 0 offset:728
	;; [unrolled: 1-line block ×4, first 2 shown]
	s_cbranch_scc1 .LBB109_7
; %bb.2:
	v_lshl_add_u32 v104, v0, 4, 0
                                        ; implicit-def: $vgpr99_vgpr100
                                        ; implicit-def: $vgpr3_vgpr4
	s_clause 0x3
	buffer_load_dword v97, v104, s[0:3], 0 offen
	buffer_load_dword v98, v104, s[0:3], 0 offen offset:4
	buffer_load_dword v101, v104, s[0:3], 0 offen offset:8
	;; [unrolled: 1-line block ×3, first 2 shown]
	s_waitcnt vmcnt(0)
	v_cmp_ngt_f64_e64 s9, |v[97:98]|, |v[101:102]|
	s_and_saveexec_b32 s28, s9
	s_xor_b32 s9, exec_lo, s28
	s_cbranch_execz .LBB109_4
; %bb.3:
	v_div_scale_f64 v[1:2], null, v[101:102], v[101:102], v[97:98]
	v_div_scale_f64 v[105:106], vcc_lo, v[97:98], v[101:102], v[97:98]
	v_rcp_f64_e32 v[3:4], v[1:2]
	v_fma_f64 v[99:100], -v[1:2], v[3:4], 1.0
	v_fma_f64 v[3:4], v[3:4], v[99:100], v[3:4]
	v_fma_f64 v[99:100], -v[1:2], v[3:4], 1.0
	v_fma_f64 v[3:4], v[3:4], v[99:100], v[3:4]
	v_mul_f64 v[99:100], v[105:106], v[3:4]
	v_fma_f64 v[1:2], -v[1:2], v[99:100], v[105:106]
	v_div_fmas_f64 v[1:2], v[1:2], v[3:4], v[99:100]
	v_div_fixup_f64 v[1:2], v[1:2], v[101:102], v[97:98]
	v_fma_f64 v[3:4], v[97:98], v[1:2], v[101:102]
	v_div_scale_f64 v[97:98], null, v[3:4], v[3:4], 1.0
	v_div_scale_f64 v[105:106], vcc_lo, 1.0, v[3:4], 1.0
	v_rcp_f64_e32 v[99:100], v[97:98]
	v_fma_f64 v[101:102], -v[97:98], v[99:100], 1.0
	v_fma_f64 v[99:100], v[99:100], v[101:102], v[99:100]
	v_fma_f64 v[101:102], -v[97:98], v[99:100], 1.0
	v_fma_f64 v[99:100], v[99:100], v[101:102], v[99:100]
	v_mul_f64 v[101:102], v[105:106], v[99:100]
	v_fma_f64 v[97:98], -v[97:98], v[101:102], v[105:106]
	v_div_fmas_f64 v[97:98], v[97:98], v[99:100], v[101:102]
                                        ; implicit-def: $vgpr101_vgpr102
	v_div_fixup_f64 v[3:4], v[97:98], v[3:4], 1.0
                                        ; implicit-def: $vgpr97_vgpr98
	v_mul_f64 v[99:100], v[1:2], v[3:4]
	v_xor_b32_e32 v4, 0x80000000, v4
	v_xor_b32_e32 v2, 0x80000000, v100
	v_mov_b32_e32 v1, v99
.LBB109_4:
	s_andn2_saveexec_b32 s9, s9
	s_cbranch_execz .LBB109_6
; %bb.5:
	v_div_scale_f64 v[1:2], null, v[97:98], v[97:98], v[101:102]
	v_div_scale_f64 v[105:106], vcc_lo, v[101:102], v[97:98], v[101:102]
	v_rcp_f64_e32 v[3:4], v[1:2]
	v_fma_f64 v[99:100], -v[1:2], v[3:4], 1.0
	v_fma_f64 v[3:4], v[3:4], v[99:100], v[3:4]
	v_fma_f64 v[99:100], -v[1:2], v[3:4], 1.0
	v_fma_f64 v[3:4], v[3:4], v[99:100], v[3:4]
	v_mul_f64 v[99:100], v[105:106], v[3:4]
	v_fma_f64 v[1:2], -v[1:2], v[99:100], v[105:106]
	v_div_fmas_f64 v[1:2], v[1:2], v[3:4], v[99:100]
	v_div_fixup_f64 v[1:2], v[1:2], v[97:98], v[101:102]
	v_fma_f64 v[3:4], v[101:102], v[1:2], v[97:98]
	v_div_scale_f64 v[97:98], null, v[3:4], v[3:4], 1.0
	v_rcp_f64_e32 v[99:100], v[97:98]
	v_fma_f64 v[101:102], -v[97:98], v[99:100], 1.0
	v_fma_f64 v[99:100], v[99:100], v[101:102], v[99:100]
	v_fma_f64 v[101:102], -v[97:98], v[99:100], 1.0
	v_fma_f64 v[99:100], v[99:100], v[101:102], v[99:100]
	v_div_scale_f64 v[101:102], vcc_lo, 1.0, v[3:4], 1.0
	v_mul_f64 v[105:106], v[101:102], v[99:100]
	v_fma_f64 v[97:98], -v[97:98], v[105:106], v[101:102]
	v_div_fmas_f64 v[97:98], v[97:98], v[99:100], v[105:106]
	v_div_fixup_f64 v[99:100], v[97:98], v[3:4], 1.0
	v_mul_f64 v[3:4], v[1:2], -v[99:100]
	v_xor_b32_e32 v2, 0x80000000, v100
	v_mov_b32_e32 v1, v99
.LBB109_6:
	s_or_b32 exec_lo, exec_lo, s9
	buffer_store_dword v4, v104, s[0:3], 0 offen offset:12
	v_xor_b32_e32 v4, 0x80000000, v4
	buffer_store_dword v100, v104, s[0:3], 0 offen offset:4
	buffer_store_dword v99, v104, s[0:3], 0 offen
	buffer_store_dword v3, v104, s[0:3], 0 offen offset:8
	s_branch .LBB109_8
.LBB109_7:
	v_mov_b32_e32 v1, 0
	v_mov_b32_e32 v3, 0
	v_mov_b32_e32 v2, 0xbff00000
	v_mov_b32_e32 v4, 0
.LBB109_8:
	v_add_nc_u32_e32 v98, 0x2e0, v103
	v_mov_b32_e32 v97, v103
	s_mov_b32 s53, 16
	s_mov_b32 s52, 32
	;; [unrolled: 1-line block ×44, first 2 shown]
	s_cmpk_eq_i32 s8, 0x79
	ds_write_b128 v103, v[1:4]
	s_cbranch_scc1 .LBB109_364
; %bb.9:
	v_mov_b32_e32 v4, s9
	v_cmp_eq_u32_e64 s4, 45, v0
	s_clause 0x3
	buffer_load_dword v1, v4, s[0:3], 0 offen
	buffer_load_dword v2, v4, s[0:3], 0 offen offset:4
	buffer_load_dword v3, v4, s[0:3], 0 offen offset:8
	;; [unrolled: 1-line block ×3, first 2 shown]
	s_waitcnt vmcnt(0)
	ds_write_b128 v98, v[1:4]
	s_waitcnt lgkmcnt(0)
	s_waitcnt_vscnt null, 0x0
	s_barrier
	buffer_gl0_inv
	s_and_saveexec_b32 s5, s4
	s_cbranch_execz .LBB109_13
; %bb.10:
	ds_read_b128 v[1:4], v98
	s_andn2_b32 vcc_lo, exec_lo, s54
	s_cbranch_vccnz .LBB109_12
; %bb.11:
	s_clause 0x3
	buffer_load_dword v99, v97, s[0:3], 0 offen offset:8
	buffer_load_dword v100, v97, s[0:3], 0 offen offset:12
	buffer_load_dword v101, v97, s[0:3], 0 offen
	buffer_load_dword v102, v97, s[0:3], 0 offen offset:4
	s_waitcnt vmcnt(2) lgkmcnt(0)
	v_mul_f64 v[104:105], v[3:4], v[99:100]
	v_mul_f64 v[99:100], v[1:2], v[99:100]
	s_waitcnt vmcnt(0)
	v_fma_f64 v[1:2], v[1:2], v[101:102], -v[104:105]
	v_fma_f64 v[3:4], v[3:4], v[101:102], v[99:100]
.LBB109_12:
	v_mov_b32_e32 v99, 0
	ds_read_b128 v[99:102], v99 offset:704
	s_waitcnt lgkmcnt(0)
	v_mul_f64 v[104:105], v[3:4], v[101:102]
	v_mul_f64 v[101:102], v[1:2], v[101:102]
	v_fma_f64 v[1:2], v[1:2], v[99:100], -v[104:105]
	v_fma_f64 v[3:4], v[3:4], v[99:100], v[101:102]
	buffer_store_dword v2, off, s[0:3], 0 offset:708
	buffer_store_dword v1, off, s[0:3], 0 offset:704
	;; [unrolled: 1-line block ×4, first 2 shown]
.LBB109_13:
	s_or_b32 exec_lo, exec_lo, s5
	v_mov_b32_e32 v4, s10
	v_cmp_lt_u32_e64 s5, 43, v0
	s_clause 0x3
	buffer_load_dword v1, v4, s[0:3], 0 offen
	buffer_load_dword v2, v4, s[0:3], 0 offen offset:4
	buffer_load_dword v3, v4, s[0:3], 0 offen offset:8
	;; [unrolled: 1-line block ×3, first 2 shown]
	s_waitcnt vmcnt(0)
	ds_write_b128 v98, v[1:4]
	s_waitcnt lgkmcnt(0)
	s_waitcnt_vscnt null, 0x0
	s_barrier
	buffer_gl0_inv
	s_and_saveexec_b32 s6, s5
	s_cbranch_execz .LBB109_19
; %bb.14:
	ds_read_b128 v[1:4], v98
	s_andn2_b32 vcc_lo, exec_lo, s54
	s_cbranch_vccnz .LBB109_16
; %bb.15:
	s_clause 0x3
	buffer_load_dword v99, v97, s[0:3], 0 offen offset:8
	buffer_load_dword v100, v97, s[0:3], 0 offen offset:12
	buffer_load_dword v101, v97, s[0:3], 0 offen
	buffer_load_dword v102, v97, s[0:3], 0 offen offset:4
	s_waitcnt vmcnt(2) lgkmcnt(0)
	v_mul_f64 v[104:105], v[3:4], v[99:100]
	v_mul_f64 v[99:100], v[1:2], v[99:100]
	s_waitcnt vmcnt(0)
	v_fma_f64 v[1:2], v[1:2], v[101:102], -v[104:105]
	v_fma_f64 v[3:4], v[3:4], v[101:102], v[99:100]
.LBB109_16:
	s_and_saveexec_b32 s8, s4
	s_cbranch_execz .LBB109_18
; %bb.17:
	s_clause 0x3
	buffer_load_dword v104, off, s[0:3], 0 offset:712
	buffer_load_dword v105, off, s[0:3], 0 offset:716
	;; [unrolled: 1-line block ×4, first 2 shown]
	v_mov_b32_e32 v99, 0
	ds_read_b128 v[99:102], v99 offset:1440
	s_waitcnt vmcnt(2) lgkmcnt(0)
	v_mul_f64 v[108:109], v[99:100], v[104:105]
	v_mul_f64 v[104:105], v[101:102], v[104:105]
	s_waitcnt vmcnt(0)
	v_fma_f64 v[101:102], v[101:102], v[106:107], v[108:109]
	v_fma_f64 v[99:100], v[99:100], v[106:107], -v[104:105]
	v_add_f64 v[3:4], v[3:4], v[101:102]
	v_add_f64 v[1:2], v[1:2], v[99:100]
.LBB109_18:
	s_or_b32 exec_lo, exec_lo, s8
	v_mov_b32_e32 v99, 0
	ds_read_b128 v[99:102], v99 offset:688
	s_waitcnt lgkmcnt(0)
	v_mul_f64 v[104:105], v[3:4], v[101:102]
	v_mul_f64 v[101:102], v[1:2], v[101:102]
	v_fma_f64 v[1:2], v[1:2], v[99:100], -v[104:105]
	v_fma_f64 v[3:4], v[3:4], v[99:100], v[101:102]
	buffer_store_dword v2, off, s[0:3], 0 offset:692
	buffer_store_dword v1, off, s[0:3], 0 offset:688
	;; [unrolled: 1-line block ×4, first 2 shown]
.LBB109_19:
	s_or_b32 exec_lo, exec_lo, s6
	v_mov_b32_e32 v4, s11
	v_cmp_lt_u32_e64 s4, 42, v0
	s_clause 0x3
	buffer_load_dword v1, v4, s[0:3], 0 offen
	buffer_load_dword v2, v4, s[0:3], 0 offen offset:4
	buffer_load_dword v3, v4, s[0:3], 0 offen offset:8
	;; [unrolled: 1-line block ×3, first 2 shown]
	s_waitcnt vmcnt(0)
	ds_write_b128 v98, v[1:4]
	s_waitcnt lgkmcnt(0)
	s_waitcnt_vscnt null, 0x0
	s_barrier
	buffer_gl0_inv
	s_and_saveexec_b32 s6, s4
	s_cbranch_execz .LBB109_27
; %bb.20:
	ds_read_b128 v[1:4], v98
	s_andn2_b32 vcc_lo, exec_lo, s54
	s_cbranch_vccnz .LBB109_22
; %bb.21:
	s_clause 0x3
	buffer_load_dword v99, v97, s[0:3], 0 offen offset:8
	buffer_load_dword v100, v97, s[0:3], 0 offen offset:12
	buffer_load_dword v101, v97, s[0:3], 0 offen
	buffer_load_dword v102, v97, s[0:3], 0 offen offset:4
	s_waitcnt vmcnt(2) lgkmcnt(0)
	v_mul_f64 v[104:105], v[3:4], v[99:100]
	v_mul_f64 v[99:100], v[1:2], v[99:100]
	s_waitcnt vmcnt(0)
	v_fma_f64 v[1:2], v[1:2], v[101:102], -v[104:105]
	v_fma_f64 v[3:4], v[3:4], v[101:102], v[99:100]
.LBB109_22:
	s_and_saveexec_b32 s8, s5
	s_cbranch_execz .LBB109_26
; %bb.23:
	v_subrev_nc_u32_e32 v99, 43, v0
	s_movk_i32 s55, 0x590
	s_mov_b32 s5, 0
	s_mov_b32 s56, s10
	.p2align	6
.LBB109_24:                             ; =>This Inner Loop Header: Depth=1
	v_mov_b32_e32 v102, s56
	v_add_nc_u32_e32 v99, -1, v99
	s_add_i32 s56, s56, 16
	s_clause 0x3
	buffer_load_dword v100, v102, s[0:3], 0 offen offset:8
	buffer_load_dword v101, v102, s[0:3], 0 offen offset:12
	buffer_load_dword v108, v102, s[0:3], 0 offen
	buffer_load_dword v109, v102, s[0:3], 0 offen offset:4
	v_mov_b32_e32 v102, s55
	v_cmp_eq_u32_e32 vcc_lo, 0, v99
	s_add_i32 s55, s55, 16
	ds_read_b128 v[104:107], v102
	s_or_b32 s5, vcc_lo, s5
	s_waitcnt vmcnt(2) lgkmcnt(0)
	v_mul_f64 v[110:111], v[106:107], v[100:101]
	v_mul_f64 v[100:101], v[104:105], v[100:101]
	s_waitcnt vmcnt(0)
	v_fma_f64 v[104:105], v[104:105], v[108:109], -v[110:111]
	v_fma_f64 v[100:101], v[106:107], v[108:109], v[100:101]
	v_add_f64 v[1:2], v[1:2], v[104:105]
	v_add_f64 v[3:4], v[3:4], v[100:101]
	s_andn2_b32 exec_lo, exec_lo, s5
	s_cbranch_execnz .LBB109_24
; %bb.25:
	s_or_b32 exec_lo, exec_lo, s5
.LBB109_26:
	s_or_b32 exec_lo, exec_lo, s8
	v_mov_b32_e32 v99, 0
	ds_read_b128 v[99:102], v99 offset:672
	s_waitcnt lgkmcnt(0)
	v_mul_f64 v[104:105], v[3:4], v[101:102]
	v_mul_f64 v[101:102], v[1:2], v[101:102]
	v_fma_f64 v[1:2], v[1:2], v[99:100], -v[104:105]
	v_fma_f64 v[3:4], v[3:4], v[99:100], v[101:102]
	buffer_store_dword v2, off, s[0:3], 0 offset:676
	buffer_store_dword v1, off, s[0:3], 0 offset:672
	;; [unrolled: 1-line block ×4, first 2 shown]
.LBB109_27:
	s_or_b32 exec_lo, exec_lo, s6
	v_mov_b32_e32 v4, s12
	v_cmp_lt_u32_e64 s5, 41, v0
	s_clause 0x3
	buffer_load_dword v1, v4, s[0:3], 0 offen
	buffer_load_dword v2, v4, s[0:3], 0 offen offset:4
	buffer_load_dword v3, v4, s[0:3], 0 offen offset:8
	buffer_load_dword v4, v4, s[0:3], 0 offen offset:12
	s_waitcnt vmcnt(0)
	ds_write_b128 v98, v[1:4]
	s_waitcnt lgkmcnt(0)
	s_waitcnt_vscnt null, 0x0
	s_barrier
	buffer_gl0_inv
	s_and_saveexec_b32 s6, s5
	s_cbranch_execz .LBB109_35
; %bb.28:
	ds_read_b128 v[1:4], v98
	s_andn2_b32 vcc_lo, exec_lo, s54
	s_cbranch_vccnz .LBB109_30
; %bb.29:
	s_clause 0x3
	buffer_load_dword v99, v97, s[0:3], 0 offen offset:8
	buffer_load_dword v100, v97, s[0:3], 0 offen offset:12
	buffer_load_dword v101, v97, s[0:3], 0 offen
	buffer_load_dword v102, v97, s[0:3], 0 offen offset:4
	s_waitcnt vmcnt(2) lgkmcnt(0)
	v_mul_f64 v[104:105], v[3:4], v[99:100]
	v_mul_f64 v[99:100], v[1:2], v[99:100]
	s_waitcnt vmcnt(0)
	v_fma_f64 v[1:2], v[1:2], v[101:102], -v[104:105]
	v_fma_f64 v[3:4], v[3:4], v[101:102], v[99:100]
.LBB109_30:
	s_and_saveexec_b32 s8, s4
	s_cbranch_execz .LBB109_34
; %bb.31:
	v_subrev_nc_u32_e32 v99, 42, v0
	s_movk_i32 s55, 0x580
	s_mov_b32 s4, 0
	s_mov_b32 s56, s11
	.p2align	6
.LBB109_32:                             ; =>This Inner Loop Header: Depth=1
	v_mov_b32_e32 v102, s56
	v_add_nc_u32_e32 v99, -1, v99
	s_add_i32 s56, s56, 16
	s_clause 0x3
	buffer_load_dword v100, v102, s[0:3], 0 offen offset:8
	buffer_load_dword v101, v102, s[0:3], 0 offen offset:12
	buffer_load_dword v108, v102, s[0:3], 0 offen
	buffer_load_dword v109, v102, s[0:3], 0 offen offset:4
	v_mov_b32_e32 v102, s55
	v_cmp_eq_u32_e32 vcc_lo, 0, v99
	s_add_i32 s55, s55, 16
	ds_read_b128 v[104:107], v102
	s_or_b32 s4, vcc_lo, s4
	s_waitcnt vmcnt(2) lgkmcnt(0)
	v_mul_f64 v[110:111], v[106:107], v[100:101]
	v_mul_f64 v[100:101], v[104:105], v[100:101]
	s_waitcnt vmcnt(0)
	v_fma_f64 v[104:105], v[104:105], v[108:109], -v[110:111]
	v_fma_f64 v[100:101], v[106:107], v[108:109], v[100:101]
	v_add_f64 v[1:2], v[1:2], v[104:105]
	v_add_f64 v[3:4], v[3:4], v[100:101]
	s_andn2_b32 exec_lo, exec_lo, s4
	s_cbranch_execnz .LBB109_32
; %bb.33:
	s_or_b32 exec_lo, exec_lo, s4
.LBB109_34:
	s_or_b32 exec_lo, exec_lo, s8
	v_mov_b32_e32 v99, 0
	ds_read_b128 v[99:102], v99 offset:656
	s_waitcnt lgkmcnt(0)
	v_mul_f64 v[104:105], v[3:4], v[101:102]
	v_mul_f64 v[101:102], v[1:2], v[101:102]
	v_fma_f64 v[1:2], v[1:2], v[99:100], -v[104:105]
	v_fma_f64 v[3:4], v[3:4], v[99:100], v[101:102]
	buffer_store_dword v2, off, s[0:3], 0 offset:660
	buffer_store_dword v1, off, s[0:3], 0 offset:656
	buffer_store_dword v4, off, s[0:3], 0 offset:668
	buffer_store_dword v3, off, s[0:3], 0 offset:664
.LBB109_35:
	s_or_b32 exec_lo, exec_lo, s6
	v_mov_b32_e32 v4, s13
	v_cmp_lt_u32_e64 s4, 40, v0
	s_clause 0x3
	buffer_load_dword v1, v4, s[0:3], 0 offen
	buffer_load_dword v2, v4, s[0:3], 0 offen offset:4
	buffer_load_dword v3, v4, s[0:3], 0 offen offset:8
	;; [unrolled: 1-line block ×3, first 2 shown]
	s_waitcnt vmcnt(0)
	ds_write_b128 v98, v[1:4]
	s_waitcnt lgkmcnt(0)
	s_waitcnt_vscnt null, 0x0
	s_barrier
	buffer_gl0_inv
	s_and_saveexec_b32 s6, s4
	s_cbranch_execz .LBB109_43
; %bb.36:
	ds_read_b128 v[1:4], v98
	s_andn2_b32 vcc_lo, exec_lo, s54
	s_cbranch_vccnz .LBB109_38
; %bb.37:
	s_clause 0x3
	buffer_load_dword v99, v97, s[0:3], 0 offen offset:8
	buffer_load_dword v100, v97, s[0:3], 0 offen offset:12
	buffer_load_dword v101, v97, s[0:3], 0 offen
	buffer_load_dword v102, v97, s[0:3], 0 offen offset:4
	s_waitcnt vmcnt(2) lgkmcnt(0)
	v_mul_f64 v[104:105], v[3:4], v[99:100]
	v_mul_f64 v[99:100], v[1:2], v[99:100]
	s_waitcnt vmcnt(0)
	v_fma_f64 v[1:2], v[1:2], v[101:102], -v[104:105]
	v_fma_f64 v[3:4], v[3:4], v[101:102], v[99:100]
.LBB109_38:
	s_and_saveexec_b32 s8, s5
	s_cbranch_execz .LBB109_42
; %bb.39:
	v_subrev_nc_u32_e32 v99, 41, v0
	s_movk_i32 s55, 0x570
	s_mov_b32 s5, 0
	s_mov_b32 s56, s12
	.p2align	6
.LBB109_40:                             ; =>This Inner Loop Header: Depth=1
	v_mov_b32_e32 v102, s56
	v_add_nc_u32_e32 v99, -1, v99
	s_add_i32 s56, s56, 16
	s_clause 0x3
	buffer_load_dword v100, v102, s[0:3], 0 offen offset:8
	buffer_load_dword v101, v102, s[0:3], 0 offen offset:12
	buffer_load_dword v108, v102, s[0:3], 0 offen
	buffer_load_dword v109, v102, s[0:3], 0 offen offset:4
	v_mov_b32_e32 v102, s55
	v_cmp_eq_u32_e32 vcc_lo, 0, v99
	s_add_i32 s55, s55, 16
	ds_read_b128 v[104:107], v102
	s_or_b32 s5, vcc_lo, s5
	s_waitcnt vmcnt(2) lgkmcnt(0)
	v_mul_f64 v[110:111], v[106:107], v[100:101]
	v_mul_f64 v[100:101], v[104:105], v[100:101]
	s_waitcnt vmcnt(0)
	v_fma_f64 v[104:105], v[104:105], v[108:109], -v[110:111]
	v_fma_f64 v[100:101], v[106:107], v[108:109], v[100:101]
	v_add_f64 v[1:2], v[1:2], v[104:105]
	v_add_f64 v[3:4], v[3:4], v[100:101]
	s_andn2_b32 exec_lo, exec_lo, s5
	s_cbranch_execnz .LBB109_40
; %bb.41:
	s_or_b32 exec_lo, exec_lo, s5
.LBB109_42:
	s_or_b32 exec_lo, exec_lo, s8
	v_mov_b32_e32 v99, 0
	ds_read_b128 v[99:102], v99 offset:640
	s_waitcnt lgkmcnt(0)
	v_mul_f64 v[104:105], v[3:4], v[101:102]
	v_mul_f64 v[101:102], v[1:2], v[101:102]
	v_fma_f64 v[1:2], v[1:2], v[99:100], -v[104:105]
	v_fma_f64 v[3:4], v[3:4], v[99:100], v[101:102]
	buffer_store_dword v2, off, s[0:3], 0 offset:644
	buffer_store_dword v1, off, s[0:3], 0 offset:640
	;; [unrolled: 1-line block ×4, first 2 shown]
.LBB109_43:
	s_or_b32 exec_lo, exec_lo, s6
	v_mov_b32_e32 v4, s14
	v_cmp_lt_u32_e64 s5, 39, v0
	s_clause 0x3
	buffer_load_dword v1, v4, s[0:3], 0 offen
	buffer_load_dword v2, v4, s[0:3], 0 offen offset:4
	buffer_load_dword v3, v4, s[0:3], 0 offen offset:8
	;; [unrolled: 1-line block ×3, first 2 shown]
	s_waitcnt vmcnt(0)
	ds_write_b128 v98, v[1:4]
	s_waitcnt lgkmcnt(0)
	s_waitcnt_vscnt null, 0x0
	s_barrier
	buffer_gl0_inv
	s_and_saveexec_b32 s6, s5
	s_cbranch_execz .LBB109_51
; %bb.44:
	ds_read_b128 v[1:4], v98
	s_andn2_b32 vcc_lo, exec_lo, s54
	s_cbranch_vccnz .LBB109_46
; %bb.45:
	s_clause 0x3
	buffer_load_dword v99, v97, s[0:3], 0 offen offset:8
	buffer_load_dword v100, v97, s[0:3], 0 offen offset:12
	buffer_load_dword v101, v97, s[0:3], 0 offen
	buffer_load_dword v102, v97, s[0:3], 0 offen offset:4
	s_waitcnt vmcnt(2) lgkmcnt(0)
	v_mul_f64 v[104:105], v[3:4], v[99:100]
	v_mul_f64 v[99:100], v[1:2], v[99:100]
	s_waitcnt vmcnt(0)
	v_fma_f64 v[1:2], v[1:2], v[101:102], -v[104:105]
	v_fma_f64 v[3:4], v[3:4], v[101:102], v[99:100]
.LBB109_46:
	s_and_saveexec_b32 s8, s4
	s_cbranch_execz .LBB109_50
; %bb.47:
	v_subrev_nc_u32_e32 v99, 40, v0
	s_movk_i32 s55, 0x560
	s_mov_b32 s4, 0
	s_mov_b32 s56, s13
	.p2align	6
.LBB109_48:                             ; =>This Inner Loop Header: Depth=1
	v_mov_b32_e32 v102, s56
	v_add_nc_u32_e32 v99, -1, v99
	s_add_i32 s56, s56, 16
	s_clause 0x3
	buffer_load_dword v100, v102, s[0:3], 0 offen offset:8
	buffer_load_dword v101, v102, s[0:3], 0 offen offset:12
	buffer_load_dword v108, v102, s[0:3], 0 offen
	buffer_load_dword v109, v102, s[0:3], 0 offen offset:4
	v_mov_b32_e32 v102, s55
	v_cmp_eq_u32_e32 vcc_lo, 0, v99
	s_add_i32 s55, s55, 16
	ds_read_b128 v[104:107], v102
	s_or_b32 s4, vcc_lo, s4
	s_waitcnt vmcnt(2) lgkmcnt(0)
	v_mul_f64 v[110:111], v[106:107], v[100:101]
	v_mul_f64 v[100:101], v[104:105], v[100:101]
	s_waitcnt vmcnt(0)
	v_fma_f64 v[104:105], v[104:105], v[108:109], -v[110:111]
	v_fma_f64 v[100:101], v[106:107], v[108:109], v[100:101]
	v_add_f64 v[1:2], v[1:2], v[104:105]
	v_add_f64 v[3:4], v[3:4], v[100:101]
	s_andn2_b32 exec_lo, exec_lo, s4
	s_cbranch_execnz .LBB109_48
; %bb.49:
	s_or_b32 exec_lo, exec_lo, s4
.LBB109_50:
	s_or_b32 exec_lo, exec_lo, s8
	v_mov_b32_e32 v99, 0
	ds_read_b128 v[99:102], v99 offset:624
	s_waitcnt lgkmcnt(0)
	v_mul_f64 v[104:105], v[3:4], v[101:102]
	v_mul_f64 v[101:102], v[1:2], v[101:102]
	v_fma_f64 v[1:2], v[1:2], v[99:100], -v[104:105]
	v_fma_f64 v[3:4], v[3:4], v[99:100], v[101:102]
	buffer_store_dword v2, off, s[0:3], 0 offset:628
	buffer_store_dword v1, off, s[0:3], 0 offset:624
	;; [unrolled: 1-line block ×4, first 2 shown]
.LBB109_51:
	s_or_b32 exec_lo, exec_lo, s6
	v_mov_b32_e32 v4, s15
	v_cmp_lt_u32_e64 s4, 38, v0
	s_clause 0x3
	buffer_load_dword v1, v4, s[0:3], 0 offen
	buffer_load_dword v2, v4, s[0:3], 0 offen offset:4
	buffer_load_dword v3, v4, s[0:3], 0 offen offset:8
	;; [unrolled: 1-line block ×3, first 2 shown]
	s_waitcnt vmcnt(0)
	ds_write_b128 v98, v[1:4]
	s_waitcnt lgkmcnt(0)
	s_waitcnt_vscnt null, 0x0
	s_barrier
	buffer_gl0_inv
	s_and_saveexec_b32 s6, s4
	s_cbranch_execz .LBB109_59
; %bb.52:
	ds_read_b128 v[1:4], v98
	s_andn2_b32 vcc_lo, exec_lo, s54
	s_cbranch_vccnz .LBB109_54
; %bb.53:
	s_clause 0x3
	buffer_load_dword v99, v97, s[0:3], 0 offen offset:8
	buffer_load_dword v100, v97, s[0:3], 0 offen offset:12
	buffer_load_dword v101, v97, s[0:3], 0 offen
	buffer_load_dword v102, v97, s[0:3], 0 offen offset:4
	s_waitcnt vmcnt(2) lgkmcnt(0)
	v_mul_f64 v[104:105], v[3:4], v[99:100]
	v_mul_f64 v[99:100], v[1:2], v[99:100]
	s_waitcnt vmcnt(0)
	v_fma_f64 v[1:2], v[1:2], v[101:102], -v[104:105]
	v_fma_f64 v[3:4], v[3:4], v[101:102], v[99:100]
.LBB109_54:
	s_and_saveexec_b32 s8, s5
	s_cbranch_execz .LBB109_58
; %bb.55:
	v_subrev_nc_u32_e32 v99, 39, v0
	s_movk_i32 s55, 0x550
	s_mov_b32 s5, 0
	s_mov_b32 s56, s14
	.p2align	6
.LBB109_56:                             ; =>This Inner Loop Header: Depth=1
	v_mov_b32_e32 v102, s56
	v_add_nc_u32_e32 v99, -1, v99
	s_add_i32 s56, s56, 16
	s_clause 0x3
	buffer_load_dword v100, v102, s[0:3], 0 offen offset:8
	buffer_load_dword v101, v102, s[0:3], 0 offen offset:12
	buffer_load_dword v108, v102, s[0:3], 0 offen
	buffer_load_dword v109, v102, s[0:3], 0 offen offset:4
	v_mov_b32_e32 v102, s55
	v_cmp_eq_u32_e32 vcc_lo, 0, v99
	s_add_i32 s55, s55, 16
	ds_read_b128 v[104:107], v102
	s_or_b32 s5, vcc_lo, s5
	s_waitcnt vmcnt(2) lgkmcnt(0)
	v_mul_f64 v[110:111], v[106:107], v[100:101]
	v_mul_f64 v[100:101], v[104:105], v[100:101]
	s_waitcnt vmcnt(0)
	v_fma_f64 v[104:105], v[104:105], v[108:109], -v[110:111]
	v_fma_f64 v[100:101], v[106:107], v[108:109], v[100:101]
	v_add_f64 v[1:2], v[1:2], v[104:105]
	v_add_f64 v[3:4], v[3:4], v[100:101]
	s_andn2_b32 exec_lo, exec_lo, s5
	s_cbranch_execnz .LBB109_56
; %bb.57:
	s_or_b32 exec_lo, exec_lo, s5
.LBB109_58:
	s_or_b32 exec_lo, exec_lo, s8
	v_mov_b32_e32 v99, 0
	ds_read_b128 v[99:102], v99 offset:608
	s_waitcnt lgkmcnt(0)
	v_mul_f64 v[104:105], v[3:4], v[101:102]
	v_mul_f64 v[101:102], v[1:2], v[101:102]
	v_fma_f64 v[1:2], v[1:2], v[99:100], -v[104:105]
	v_fma_f64 v[3:4], v[3:4], v[99:100], v[101:102]
	buffer_store_dword v2, off, s[0:3], 0 offset:612
	buffer_store_dword v1, off, s[0:3], 0 offset:608
	;; [unrolled: 1-line block ×4, first 2 shown]
.LBB109_59:
	s_or_b32 exec_lo, exec_lo, s6
	v_mov_b32_e32 v4, s16
	v_cmp_lt_u32_e64 s5, 37, v0
	s_clause 0x3
	buffer_load_dword v1, v4, s[0:3], 0 offen
	buffer_load_dword v2, v4, s[0:3], 0 offen offset:4
	buffer_load_dword v3, v4, s[0:3], 0 offen offset:8
	;; [unrolled: 1-line block ×3, first 2 shown]
	s_waitcnt vmcnt(0)
	ds_write_b128 v98, v[1:4]
	s_waitcnt lgkmcnt(0)
	s_waitcnt_vscnt null, 0x0
	s_barrier
	buffer_gl0_inv
	s_and_saveexec_b32 s6, s5
	s_cbranch_execz .LBB109_67
; %bb.60:
	ds_read_b128 v[1:4], v98
	s_andn2_b32 vcc_lo, exec_lo, s54
	s_cbranch_vccnz .LBB109_62
; %bb.61:
	s_clause 0x3
	buffer_load_dword v99, v97, s[0:3], 0 offen offset:8
	buffer_load_dword v100, v97, s[0:3], 0 offen offset:12
	buffer_load_dword v101, v97, s[0:3], 0 offen
	buffer_load_dword v102, v97, s[0:3], 0 offen offset:4
	s_waitcnt vmcnt(2) lgkmcnt(0)
	v_mul_f64 v[104:105], v[3:4], v[99:100]
	v_mul_f64 v[99:100], v[1:2], v[99:100]
	s_waitcnt vmcnt(0)
	v_fma_f64 v[1:2], v[1:2], v[101:102], -v[104:105]
	v_fma_f64 v[3:4], v[3:4], v[101:102], v[99:100]
.LBB109_62:
	s_and_saveexec_b32 s8, s4
	s_cbranch_execz .LBB109_66
; %bb.63:
	v_subrev_nc_u32_e32 v99, 38, v0
	s_movk_i32 s55, 0x540
	s_mov_b32 s4, 0
	s_mov_b32 s56, s15
	.p2align	6
.LBB109_64:                             ; =>This Inner Loop Header: Depth=1
	v_mov_b32_e32 v102, s56
	v_add_nc_u32_e32 v99, -1, v99
	s_add_i32 s56, s56, 16
	s_clause 0x3
	buffer_load_dword v100, v102, s[0:3], 0 offen offset:8
	buffer_load_dword v101, v102, s[0:3], 0 offen offset:12
	buffer_load_dword v108, v102, s[0:3], 0 offen
	buffer_load_dword v109, v102, s[0:3], 0 offen offset:4
	v_mov_b32_e32 v102, s55
	v_cmp_eq_u32_e32 vcc_lo, 0, v99
	s_add_i32 s55, s55, 16
	ds_read_b128 v[104:107], v102
	s_or_b32 s4, vcc_lo, s4
	s_waitcnt vmcnt(2) lgkmcnt(0)
	v_mul_f64 v[110:111], v[106:107], v[100:101]
	v_mul_f64 v[100:101], v[104:105], v[100:101]
	s_waitcnt vmcnt(0)
	v_fma_f64 v[104:105], v[104:105], v[108:109], -v[110:111]
	v_fma_f64 v[100:101], v[106:107], v[108:109], v[100:101]
	v_add_f64 v[1:2], v[1:2], v[104:105]
	v_add_f64 v[3:4], v[3:4], v[100:101]
	s_andn2_b32 exec_lo, exec_lo, s4
	s_cbranch_execnz .LBB109_64
; %bb.65:
	s_or_b32 exec_lo, exec_lo, s4
.LBB109_66:
	s_or_b32 exec_lo, exec_lo, s8
	v_mov_b32_e32 v99, 0
	ds_read_b128 v[99:102], v99 offset:592
	s_waitcnt lgkmcnt(0)
	v_mul_f64 v[104:105], v[3:4], v[101:102]
	v_mul_f64 v[101:102], v[1:2], v[101:102]
	v_fma_f64 v[1:2], v[1:2], v[99:100], -v[104:105]
	v_fma_f64 v[3:4], v[3:4], v[99:100], v[101:102]
	buffer_store_dword v2, off, s[0:3], 0 offset:596
	buffer_store_dword v1, off, s[0:3], 0 offset:592
	;; [unrolled: 1-line block ×4, first 2 shown]
.LBB109_67:
	s_or_b32 exec_lo, exec_lo, s6
	v_mov_b32_e32 v4, s17
	v_cmp_lt_u32_e64 s4, 36, v0
	s_clause 0x3
	buffer_load_dword v1, v4, s[0:3], 0 offen
	buffer_load_dword v2, v4, s[0:3], 0 offen offset:4
	buffer_load_dword v3, v4, s[0:3], 0 offen offset:8
	;; [unrolled: 1-line block ×3, first 2 shown]
	s_waitcnt vmcnt(0)
	ds_write_b128 v98, v[1:4]
	s_waitcnt lgkmcnt(0)
	s_waitcnt_vscnt null, 0x0
	s_barrier
	buffer_gl0_inv
	s_and_saveexec_b32 s6, s4
	s_cbranch_execz .LBB109_75
; %bb.68:
	ds_read_b128 v[1:4], v98
	s_andn2_b32 vcc_lo, exec_lo, s54
	s_cbranch_vccnz .LBB109_70
; %bb.69:
	s_clause 0x3
	buffer_load_dword v99, v97, s[0:3], 0 offen offset:8
	buffer_load_dword v100, v97, s[0:3], 0 offen offset:12
	buffer_load_dword v101, v97, s[0:3], 0 offen
	buffer_load_dword v102, v97, s[0:3], 0 offen offset:4
	s_waitcnt vmcnt(2) lgkmcnt(0)
	v_mul_f64 v[104:105], v[3:4], v[99:100]
	v_mul_f64 v[99:100], v[1:2], v[99:100]
	s_waitcnt vmcnt(0)
	v_fma_f64 v[1:2], v[1:2], v[101:102], -v[104:105]
	v_fma_f64 v[3:4], v[3:4], v[101:102], v[99:100]
.LBB109_70:
	s_and_saveexec_b32 s8, s5
	s_cbranch_execz .LBB109_74
; %bb.71:
	v_subrev_nc_u32_e32 v99, 37, v0
	s_movk_i32 s55, 0x530
	s_mov_b32 s5, 0
	s_mov_b32 s56, s16
	.p2align	6
.LBB109_72:                             ; =>This Inner Loop Header: Depth=1
	v_mov_b32_e32 v102, s56
	v_add_nc_u32_e32 v99, -1, v99
	s_add_i32 s56, s56, 16
	s_clause 0x3
	buffer_load_dword v100, v102, s[0:3], 0 offen offset:8
	buffer_load_dword v101, v102, s[0:3], 0 offen offset:12
	buffer_load_dword v108, v102, s[0:3], 0 offen
	buffer_load_dword v109, v102, s[0:3], 0 offen offset:4
	v_mov_b32_e32 v102, s55
	v_cmp_eq_u32_e32 vcc_lo, 0, v99
	s_add_i32 s55, s55, 16
	ds_read_b128 v[104:107], v102
	s_or_b32 s5, vcc_lo, s5
	s_waitcnt vmcnt(2) lgkmcnt(0)
	v_mul_f64 v[110:111], v[106:107], v[100:101]
	v_mul_f64 v[100:101], v[104:105], v[100:101]
	s_waitcnt vmcnt(0)
	v_fma_f64 v[104:105], v[104:105], v[108:109], -v[110:111]
	v_fma_f64 v[100:101], v[106:107], v[108:109], v[100:101]
	v_add_f64 v[1:2], v[1:2], v[104:105]
	v_add_f64 v[3:4], v[3:4], v[100:101]
	s_andn2_b32 exec_lo, exec_lo, s5
	s_cbranch_execnz .LBB109_72
; %bb.73:
	s_or_b32 exec_lo, exec_lo, s5
.LBB109_74:
	s_or_b32 exec_lo, exec_lo, s8
	v_mov_b32_e32 v99, 0
	ds_read_b128 v[99:102], v99 offset:576
	s_waitcnt lgkmcnt(0)
	v_mul_f64 v[104:105], v[3:4], v[101:102]
	v_mul_f64 v[101:102], v[1:2], v[101:102]
	v_fma_f64 v[1:2], v[1:2], v[99:100], -v[104:105]
	v_fma_f64 v[3:4], v[3:4], v[99:100], v[101:102]
	buffer_store_dword v2, off, s[0:3], 0 offset:580
	buffer_store_dword v1, off, s[0:3], 0 offset:576
	buffer_store_dword v4, off, s[0:3], 0 offset:588
	buffer_store_dword v3, off, s[0:3], 0 offset:584
.LBB109_75:
	s_or_b32 exec_lo, exec_lo, s6
	v_mov_b32_e32 v4, s18
	v_cmp_lt_u32_e64 s5, 35, v0
	s_clause 0x3
	buffer_load_dword v1, v4, s[0:3], 0 offen
	buffer_load_dword v2, v4, s[0:3], 0 offen offset:4
	buffer_load_dword v3, v4, s[0:3], 0 offen offset:8
	;; [unrolled: 1-line block ×3, first 2 shown]
	s_waitcnt vmcnt(0)
	ds_write_b128 v98, v[1:4]
	s_waitcnt lgkmcnt(0)
	s_waitcnt_vscnt null, 0x0
	s_barrier
	buffer_gl0_inv
	s_and_saveexec_b32 s6, s5
	s_cbranch_execz .LBB109_83
; %bb.76:
	ds_read_b128 v[1:4], v98
	s_andn2_b32 vcc_lo, exec_lo, s54
	s_cbranch_vccnz .LBB109_78
; %bb.77:
	s_clause 0x3
	buffer_load_dword v99, v97, s[0:3], 0 offen offset:8
	buffer_load_dword v100, v97, s[0:3], 0 offen offset:12
	buffer_load_dword v101, v97, s[0:3], 0 offen
	buffer_load_dword v102, v97, s[0:3], 0 offen offset:4
	s_waitcnt vmcnt(2) lgkmcnt(0)
	v_mul_f64 v[104:105], v[3:4], v[99:100]
	v_mul_f64 v[99:100], v[1:2], v[99:100]
	s_waitcnt vmcnt(0)
	v_fma_f64 v[1:2], v[1:2], v[101:102], -v[104:105]
	v_fma_f64 v[3:4], v[3:4], v[101:102], v[99:100]
.LBB109_78:
	s_and_saveexec_b32 s8, s4
	s_cbranch_execz .LBB109_82
; %bb.79:
	v_subrev_nc_u32_e32 v99, 36, v0
	s_movk_i32 s55, 0x520
	s_mov_b32 s4, 0
	s_mov_b32 s56, s17
	.p2align	6
.LBB109_80:                             ; =>This Inner Loop Header: Depth=1
	v_mov_b32_e32 v102, s56
	v_add_nc_u32_e32 v99, -1, v99
	s_add_i32 s56, s56, 16
	s_clause 0x3
	buffer_load_dword v100, v102, s[0:3], 0 offen offset:8
	buffer_load_dword v101, v102, s[0:3], 0 offen offset:12
	buffer_load_dword v108, v102, s[0:3], 0 offen
	buffer_load_dword v109, v102, s[0:3], 0 offen offset:4
	v_mov_b32_e32 v102, s55
	v_cmp_eq_u32_e32 vcc_lo, 0, v99
	s_add_i32 s55, s55, 16
	ds_read_b128 v[104:107], v102
	s_or_b32 s4, vcc_lo, s4
	s_waitcnt vmcnt(2) lgkmcnt(0)
	v_mul_f64 v[110:111], v[106:107], v[100:101]
	v_mul_f64 v[100:101], v[104:105], v[100:101]
	s_waitcnt vmcnt(0)
	v_fma_f64 v[104:105], v[104:105], v[108:109], -v[110:111]
	v_fma_f64 v[100:101], v[106:107], v[108:109], v[100:101]
	v_add_f64 v[1:2], v[1:2], v[104:105]
	v_add_f64 v[3:4], v[3:4], v[100:101]
	s_andn2_b32 exec_lo, exec_lo, s4
	s_cbranch_execnz .LBB109_80
; %bb.81:
	s_or_b32 exec_lo, exec_lo, s4
.LBB109_82:
	s_or_b32 exec_lo, exec_lo, s8
	v_mov_b32_e32 v99, 0
	ds_read_b128 v[99:102], v99 offset:560
	s_waitcnt lgkmcnt(0)
	v_mul_f64 v[104:105], v[3:4], v[101:102]
	v_mul_f64 v[101:102], v[1:2], v[101:102]
	v_fma_f64 v[1:2], v[1:2], v[99:100], -v[104:105]
	v_fma_f64 v[3:4], v[3:4], v[99:100], v[101:102]
	buffer_store_dword v2, off, s[0:3], 0 offset:564
	buffer_store_dword v1, off, s[0:3], 0 offset:560
	;; [unrolled: 1-line block ×4, first 2 shown]
.LBB109_83:
	s_or_b32 exec_lo, exec_lo, s6
	v_mov_b32_e32 v4, s19
	v_cmp_lt_u32_e64 s4, 34, v0
	s_clause 0x3
	buffer_load_dword v1, v4, s[0:3], 0 offen
	buffer_load_dword v2, v4, s[0:3], 0 offen offset:4
	buffer_load_dword v3, v4, s[0:3], 0 offen offset:8
	;; [unrolled: 1-line block ×3, first 2 shown]
	s_waitcnt vmcnt(0)
	ds_write_b128 v98, v[1:4]
	s_waitcnt lgkmcnt(0)
	s_waitcnt_vscnt null, 0x0
	s_barrier
	buffer_gl0_inv
	s_and_saveexec_b32 s6, s4
	s_cbranch_execz .LBB109_91
; %bb.84:
	ds_read_b128 v[1:4], v98
	s_andn2_b32 vcc_lo, exec_lo, s54
	s_cbranch_vccnz .LBB109_86
; %bb.85:
	s_clause 0x3
	buffer_load_dword v99, v97, s[0:3], 0 offen offset:8
	buffer_load_dword v100, v97, s[0:3], 0 offen offset:12
	buffer_load_dword v101, v97, s[0:3], 0 offen
	buffer_load_dword v102, v97, s[0:3], 0 offen offset:4
	s_waitcnt vmcnt(2) lgkmcnt(0)
	v_mul_f64 v[104:105], v[3:4], v[99:100]
	v_mul_f64 v[99:100], v[1:2], v[99:100]
	s_waitcnt vmcnt(0)
	v_fma_f64 v[1:2], v[1:2], v[101:102], -v[104:105]
	v_fma_f64 v[3:4], v[3:4], v[101:102], v[99:100]
.LBB109_86:
	s_and_saveexec_b32 s8, s5
	s_cbranch_execz .LBB109_90
; %bb.87:
	v_subrev_nc_u32_e32 v99, 35, v0
	s_movk_i32 s55, 0x510
	s_mov_b32 s5, 0
	s_mov_b32 s56, s18
	.p2align	6
.LBB109_88:                             ; =>This Inner Loop Header: Depth=1
	v_mov_b32_e32 v102, s56
	v_add_nc_u32_e32 v99, -1, v99
	s_add_i32 s56, s56, 16
	s_clause 0x3
	buffer_load_dword v100, v102, s[0:3], 0 offen offset:8
	buffer_load_dword v101, v102, s[0:3], 0 offen offset:12
	buffer_load_dword v108, v102, s[0:3], 0 offen
	buffer_load_dword v109, v102, s[0:3], 0 offen offset:4
	v_mov_b32_e32 v102, s55
	v_cmp_eq_u32_e32 vcc_lo, 0, v99
	s_add_i32 s55, s55, 16
	ds_read_b128 v[104:107], v102
	s_or_b32 s5, vcc_lo, s5
	s_waitcnt vmcnt(2) lgkmcnt(0)
	v_mul_f64 v[110:111], v[106:107], v[100:101]
	v_mul_f64 v[100:101], v[104:105], v[100:101]
	s_waitcnt vmcnt(0)
	v_fma_f64 v[104:105], v[104:105], v[108:109], -v[110:111]
	v_fma_f64 v[100:101], v[106:107], v[108:109], v[100:101]
	v_add_f64 v[1:2], v[1:2], v[104:105]
	v_add_f64 v[3:4], v[3:4], v[100:101]
	s_andn2_b32 exec_lo, exec_lo, s5
	s_cbranch_execnz .LBB109_88
; %bb.89:
	s_or_b32 exec_lo, exec_lo, s5
.LBB109_90:
	s_or_b32 exec_lo, exec_lo, s8
	v_mov_b32_e32 v99, 0
	ds_read_b128 v[99:102], v99 offset:544
	s_waitcnt lgkmcnt(0)
	v_mul_f64 v[104:105], v[3:4], v[101:102]
	v_mul_f64 v[101:102], v[1:2], v[101:102]
	v_fma_f64 v[1:2], v[1:2], v[99:100], -v[104:105]
	v_fma_f64 v[3:4], v[3:4], v[99:100], v[101:102]
	buffer_store_dword v2, off, s[0:3], 0 offset:548
	buffer_store_dword v1, off, s[0:3], 0 offset:544
	;; [unrolled: 1-line block ×4, first 2 shown]
.LBB109_91:
	s_or_b32 exec_lo, exec_lo, s6
	v_mov_b32_e32 v4, s20
	v_cmp_lt_u32_e64 s5, 33, v0
	s_clause 0x3
	buffer_load_dword v1, v4, s[0:3], 0 offen
	buffer_load_dword v2, v4, s[0:3], 0 offen offset:4
	buffer_load_dword v3, v4, s[0:3], 0 offen offset:8
	;; [unrolled: 1-line block ×3, first 2 shown]
	s_waitcnt vmcnt(0)
	ds_write_b128 v98, v[1:4]
	s_waitcnt lgkmcnt(0)
	s_waitcnt_vscnt null, 0x0
	s_barrier
	buffer_gl0_inv
	s_and_saveexec_b32 s6, s5
	s_cbranch_execz .LBB109_99
; %bb.92:
	ds_read_b128 v[1:4], v98
	s_andn2_b32 vcc_lo, exec_lo, s54
	s_cbranch_vccnz .LBB109_94
; %bb.93:
	s_clause 0x3
	buffer_load_dword v99, v97, s[0:3], 0 offen offset:8
	buffer_load_dword v100, v97, s[0:3], 0 offen offset:12
	buffer_load_dword v101, v97, s[0:3], 0 offen
	buffer_load_dword v102, v97, s[0:3], 0 offen offset:4
	s_waitcnt vmcnt(2) lgkmcnt(0)
	v_mul_f64 v[104:105], v[3:4], v[99:100]
	v_mul_f64 v[99:100], v[1:2], v[99:100]
	s_waitcnt vmcnt(0)
	v_fma_f64 v[1:2], v[1:2], v[101:102], -v[104:105]
	v_fma_f64 v[3:4], v[3:4], v[101:102], v[99:100]
.LBB109_94:
	s_and_saveexec_b32 s8, s4
	s_cbranch_execz .LBB109_98
; %bb.95:
	v_subrev_nc_u32_e32 v99, 34, v0
	s_movk_i32 s55, 0x500
	s_mov_b32 s4, 0
	s_mov_b32 s56, s19
	.p2align	6
.LBB109_96:                             ; =>This Inner Loop Header: Depth=1
	v_mov_b32_e32 v102, s56
	v_add_nc_u32_e32 v99, -1, v99
	s_add_i32 s56, s56, 16
	s_clause 0x3
	buffer_load_dword v100, v102, s[0:3], 0 offen offset:8
	buffer_load_dword v101, v102, s[0:3], 0 offen offset:12
	buffer_load_dword v108, v102, s[0:3], 0 offen
	buffer_load_dword v109, v102, s[0:3], 0 offen offset:4
	v_mov_b32_e32 v102, s55
	v_cmp_eq_u32_e32 vcc_lo, 0, v99
	s_add_i32 s55, s55, 16
	ds_read_b128 v[104:107], v102
	s_or_b32 s4, vcc_lo, s4
	s_waitcnt vmcnt(2) lgkmcnt(0)
	v_mul_f64 v[110:111], v[106:107], v[100:101]
	v_mul_f64 v[100:101], v[104:105], v[100:101]
	s_waitcnt vmcnt(0)
	v_fma_f64 v[104:105], v[104:105], v[108:109], -v[110:111]
	v_fma_f64 v[100:101], v[106:107], v[108:109], v[100:101]
	v_add_f64 v[1:2], v[1:2], v[104:105]
	v_add_f64 v[3:4], v[3:4], v[100:101]
	s_andn2_b32 exec_lo, exec_lo, s4
	s_cbranch_execnz .LBB109_96
; %bb.97:
	s_or_b32 exec_lo, exec_lo, s4
.LBB109_98:
	s_or_b32 exec_lo, exec_lo, s8
	v_mov_b32_e32 v99, 0
	ds_read_b128 v[99:102], v99 offset:528
	s_waitcnt lgkmcnt(0)
	v_mul_f64 v[104:105], v[3:4], v[101:102]
	v_mul_f64 v[101:102], v[1:2], v[101:102]
	v_fma_f64 v[1:2], v[1:2], v[99:100], -v[104:105]
	v_fma_f64 v[3:4], v[3:4], v[99:100], v[101:102]
	buffer_store_dword v2, off, s[0:3], 0 offset:532
	buffer_store_dword v1, off, s[0:3], 0 offset:528
	;; [unrolled: 1-line block ×4, first 2 shown]
.LBB109_99:
	s_or_b32 exec_lo, exec_lo, s6
	v_mov_b32_e32 v4, s21
	v_cmp_lt_u32_e64 s4, 32, v0
	s_clause 0x3
	buffer_load_dword v1, v4, s[0:3], 0 offen
	buffer_load_dword v2, v4, s[0:3], 0 offen offset:4
	buffer_load_dword v3, v4, s[0:3], 0 offen offset:8
	;; [unrolled: 1-line block ×3, first 2 shown]
	s_waitcnt vmcnt(0)
	ds_write_b128 v98, v[1:4]
	s_waitcnt lgkmcnt(0)
	s_waitcnt_vscnt null, 0x0
	s_barrier
	buffer_gl0_inv
	s_and_saveexec_b32 s6, s4
	s_cbranch_execz .LBB109_107
; %bb.100:
	ds_read_b128 v[1:4], v98
	s_andn2_b32 vcc_lo, exec_lo, s54
	s_cbranch_vccnz .LBB109_102
; %bb.101:
	s_clause 0x3
	buffer_load_dword v99, v97, s[0:3], 0 offen offset:8
	buffer_load_dword v100, v97, s[0:3], 0 offen offset:12
	buffer_load_dword v101, v97, s[0:3], 0 offen
	buffer_load_dword v102, v97, s[0:3], 0 offen offset:4
	s_waitcnt vmcnt(2) lgkmcnt(0)
	v_mul_f64 v[104:105], v[3:4], v[99:100]
	v_mul_f64 v[99:100], v[1:2], v[99:100]
	s_waitcnt vmcnt(0)
	v_fma_f64 v[1:2], v[1:2], v[101:102], -v[104:105]
	v_fma_f64 v[3:4], v[3:4], v[101:102], v[99:100]
.LBB109_102:
	s_and_saveexec_b32 s8, s5
	s_cbranch_execz .LBB109_106
; %bb.103:
	v_subrev_nc_u32_e32 v99, 33, v0
	s_movk_i32 s55, 0x4f0
	s_mov_b32 s5, 0
	s_mov_b32 s56, s20
	.p2align	6
.LBB109_104:                            ; =>This Inner Loop Header: Depth=1
	v_mov_b32_e32 v102, s56
	v_add_nc_u32_e32 v99, -1, v99
	s_add_i32 s56, s56, 16
	s_clause 0x3
	buffer_load_dword v100, v102, s[0:3], 0 offen offset:8
	buffer_load_dword v101, v102, s[0:3], 0 offen offset:12
	buffer_load_dword v108, v102, s[0:3], 0 offen
	buffer_load_dword v109, v102, s[0:3], 0 offen offset:4
	v_mov_b32_e32 v102, s55
	v_cmp_eq_u32_e32 vcc_lo, 0, v99
	s_add_i32 s55, s55, 16
	ds_read_b128 v[104:107], v102
	s_or_b32 s5, vcc_lo, s5
	s_waitcnt vmcnt(2) lgkmcnt(0)
	v_mul_f64 v[110:111], v[106:107], v[100:101]
	v_mul_f64 v[100:101], v[104:105], v[100:101]
	s_waitcnt vmcnt(0)
	v_fma_f64 v[104:105], v[104:105], v[108:109], -v[110:111]
	v_fma_f64 v[100:101], v[106:107], v[108:109], v[100:101]
	v_add_f64 v[1:2], v[1:2], v[104:105]
	v_add_f64 v[3:4], v[3:4], v[100:101]
	s_andn2_b32 exec_lo, exec_lo, s5
	s_cbranch_execnz .LBB109_104
; %bb.105:
	s_or_b32 exec_lo, exec_lo, s5
.LBB109_106:
	s_or_b32 exec_lo, exec_lo, s8
	v_mov_b32_e32 v99, 0
	ds_read_b128 v[99:102], v99 offset:512
	s_waitcnt lgkmcnt(0)
	v_mul_f64 v[104:105], v[3:4], v[101:102]
	v_mul_f64 v[101:102], v[1:2], v[101:102]
	v_fma_f64 v[1:2], v[1:2], v[99:100], -v[104:105]
	v_fma_f64 v[3:4], v[3:4], v[99:100], v[101:102]
	buffer_store_dword v2, off, s[0:3], 0 offset:516
	buffer_store_dword v1, off, s[0:3], 0 offset:512
	;; [unrolled: 1-line block ×4, first 2 shown]
.LBB109_107:
	s_or_b32 exec_lo, exec_lo, s6
	v_mov_b32_e32 v4, s22
	v_cmp_lt_u32_e64 s5, 31, v0
	s_clause 0x3
	buffer_load_dword v1, v4, s[0:3], 0 offen
	buffer_load_dword v2, v4, s[0:3], 0 offen offset:4
	buffer_load_dword v3, v4, s[0:3], 0 offen offset:8
	;; [unrolled: 1-line block ×3, first 2 shown]
	s_waitcnt vmcnt(0)
	ds_write_b128 v98, v[1:4]
	s_waitcnt lgkmcnt(0)
	s_waitcnt_vscnt null, 0x0
	s_barrier
	buffer_gl0_inv
	s_and_saveexec_b32 s6, s5
	s_cbranch_execz .LBB109_115
; %bb.108:
	ds_read_b128 v[1:4], v98
	s_andn2_b32 vcc_lo, exec_lo, s54
	s_cbranch_vccnz .LBB109_110
; %bb.109:
	s_clause 0x3
	buffer_load_dword v99, v97, s[0:3], 0 offen offset:8
	buffer_load_dword v100, v97, s[0:3], 0 offen offset:12
	buffer_load_dword v101, v97, s[0:3], 0 offen
	buffer_load_dword v102, v97, s[0:3], 0 offen offset:4
	s_waitcnt vmcnt(2) lgkmcnt(0)
	v_mul_f64 v[104:105], v[3:4], v[99:100]
	v_mul_f64 v[99:100], v[1:2], v[99:100]
	s_waitcnt vmcnt(0)
	v_fma_f64 v[1:2], v[1:2], v[101:102], -v[104:105]
	v_fma_f64 v[3:4], v[3:4], v[101:102], v[99:100]
.LBB109_110:
	s_and_saveexec_b32 s8, s4
	s_cbranch_execz .LBB109_114
; %bb.111:
	v_subrev_nc_u32_e32 v99, 32, v0
	s_movk_i32 s55, 0x4e0
	s_mov_b32 s4, 0
	s_mov_b32 s56, s21
	.p2align	6
.LBB109_112:                            ; =>This Inner Loop Header: Depth=1
	v_mov_b32_e32 v102, s56
	v_add_nc_u32_e32 v99, -1, v99
	s_add_i32 s56, s56, 16
	s_clause 0x3
	buffer_load_dword v100, v102, s[0:3], 0 offen offset:8
	buffer_load_dword v101, v102, s[0:3], 0 offen offset:12
	buffer_load_dword v108, v102, s[0:3], 0 offen
	buffer_load_dword v109, v102, s[0:3], 0 offen offset:4
	v_mov_b32_e32 v102, s55
	v_cmp_eq_u32_e32 vcc_lo, 0, v99
	s_add_i32 s55, s55, 16
	ds_read_b128 v[104:107], v102
	s_or_b32 s4, vcc_lo, s4
	s_waitcnt vmcnt(2) lgkmcnt(0)
	v_mul_f64 v[110:111], v[106:107], v[100:101]
	v_mul_f64 v[100:101], v[104:105], v[100:101]
	s_waitcnt vmcnt(0)
	v_fma_f64 v[104:105], v[104:105], v[108:109], -v[110:111]
	v_fma_f64 v[100:101], v[106:107], v[108:109], v[100:101]
	v_add_f64 v[1:2], v[1:2], v[104:105]
	v_add_f64 v[3:4], v[3:4], v[100:101]
	s_andn2_b32 exec_lo, exec_lo, s4
	s_cbranch_execnz .LBB109_112
; %bb.113:
	s_or_b32 exec_lo, exec_lo, s4
.LBB109_114:
	s_or_b32 exec_lo, exec_lo, s8
	v_mov_b32_e32 v99, 0
	ds_read_b128 v[99:102], v99 offset:496
	s_waitcnt lgkmcnt(0)
	v_mul_f64 v[104:105], v[3:4], v[101:102]
	v_mul_f64 v[101:102], v[1:2], v[101:102]
	v_fma_f64 v[1:2], v[1:2], v[99:100], -v[104:105]
	v_fma_f64 v[3:4], v[3:4], v[99:100], v[101:102]
	buffer_store_dword v2, off, s[0:3], 0 offset:500
	buffer_store_dword v1, off, s[0:3], 0 offset:496
	;; [unrolled: 1-line block ×4, first 2 shown]
.LBB109_115:
	s_or_b32 exec_lo, exec_lo, s6
	v_mov_b32_e32 v4, s23
	v_cmp_lt_u32_e64 s4, 30, v0
	s_clause 0x3
	buffer_load_dword v1, v4, s[0:3], 0 offen
	buffer_load_dword v2, v4, s[0:3], 0 offen offset:4
	buffer_load_dword v3, v4, s[0:3], 0 offen offset:8
	;; [unrolled: 1-line block ×3, first 2 shown]
	s_waitcnt vmcnt(0)
	ds_write_b128 v98, v[1:4]
	s_waitcnt lgkmcnt(0)
	s_waitcnt_vscnt null, 0x0
	s_barrier
	buffer_gl0_inv
	s_and_saveexec_b32 s6, s4
	s_cbranch_execz .LBB109_123
; %bb.116:
	ds_read_b128 v[1:4], v98
	s_andn2_b32 vcc_lo, exec_lo, s54
	s_cbranch_vccnz .LBB109_118
; %bb.117:
	s_clause 0x3
	buffer_load_dword v99, v97, s[0:3], 0 offen offset:8
	buffer_load_dword v100, v97, s[0:3], 0 offen offset:12
	buffer_load_dword v101, v97, s[0:3], 0 offen
	buffer_load_dword v102, v97, s[0:3], 0 offen offset:4
	s_waitcnt vmcnt(2) lgkmcnt(0)
	v_mul_f64 v[104:105], v[3:4], v[99:100]
	v_mul_f64 v[99:100], v[1:2], v[99:100]
	s_waitcnt vmcnt(0)
	v_fma_f64 v[1:2], v[1:2], v[101:102], -v[104:105]
	v_fma_f64 v[3:4], v[3:4], v[101:102], v[99:100]
.LBB109_118:
	s_and_saveexec_b32 s8, s5
	s_cbranch_execz .LBB109_122
; %bb.119:
	v_subrev_nc_u32_e32 v99, 31, v0
	s_movk_i32 s55, 0x4d0
	s_mov_b32 s5, 0
	s_mov_b32 s56, s22
	.p2align	6
.LBB109_120:                            ; =>This Inner Loop Header: Depth=1
	v_mov_b32_e32 v102, s56
	v_add_nc_u32_e32 v99, -1, v99
	s_add_i32 s56, s56, 16
	s_clause 0x3
	buffer_load_dword v100, v102, s[0:3], 0 offen offset:8
	buffer_load_dword v101, v102, s[0:3], 0 offen offset:12
	buffer_load_dword v108, v102, s[0:3], 0 offen
	buffer_load_dword v109, v102, s[0:3], 0 offen offset:4
	v_mov_b32_e32 v102, s55
	v_cmp_eq_u32_e32 vcc_lo, 0, v99
	s_add_i32 s55, s55, 16
	ds_read_b128 v[104:107], v102
	s_or_b32 s5, vcc_lo, s5
	s_waitcnt vmcnt(2) lgkmcnt(0)
	v_mul_f64 v[110:111], v[106:107], v[100:101]
	v_mul_f64 v[100:101], v[104:105], v[100:101]
	s_waitcnt vmcnt(0)
	v_fma_f64 v[104:105], v[104:105], v[108:109], -v[110:111]
	v_fma_f64 v[100:101], v[106:107], v[108:109], v[100:101]
	v_add_f64 v[1:2], v[1:2], v[104:105]
	v_add_f64 v[3:4], v[3:4], v[100:101]
	s_andn2_b32 exec_lo, exec_lo, s5
	s_cbranch_execnz .LBB109_120
; %bb.121:
	s_or_b32 exec_lo, exec_lo, s5
.LBB109_122:
	s_or_b32 exec_lo, exec_lo, s8
	v_mov_b32_e32 v99, 0
	ds_read_b128 v[99:102], v99 offset:480
	s_waitcnt lgkmcnt(0)
	v_mul_f64 v[104:105], v[3:4], v[101:102]
	v_mul_f64 v[101:102], v[1:2], v[101:102]
	v_fma_f64 v[1:2], v[1:2], v[99:100], -v[104:105]
	v_fma_f64 v[3:4], v[3:4], v[99:100], v[101:102]
	buffer_store_dword v2, off, s[0:3], 0 offset:484
	buffer_store_dword v1, off, s[0:3], 0 offset:480
	;; [unrolled: 1-line block ×4, first 2 shown]
.LBB109_123:
	s_or_b32 exec_lo, exec_lo, s6
	v_mov_b32_e32 v4, s24
	v_cmp_lt_u32_e64 s5, 29, v0
	s_clause 0x3
	buffer_load_dword v1, v4, s[0:3], 0 offen
	buffer_load_dword v2, v4, s[0:3], 0 offen offset:4
	buffer_load_dword v3, v4, s[0:3], 0 offen offset:8
	buffer_load_dword v4, v4, s[0:3], 0 offen offset:12
	s_waitcnt vmcnt(0)
	ds_write_b128 v98, v[1:4]
	s_waitcnt lgkmcnt(0)
	s_waitcnt_vscnt null, 0x0
	s_barrier
	buffer_gl0_inv
	s_and_saveexec_b32 s6, s5
	s_cbranch_execz .LBB109_131
; %bb.124:
	ds_read_b128 v[1:4], v98
	s_andn2_b32 vcc_lo, exec_lo, s54
	s_cbranch_vccnz .LBB109_126
; %bb.125:
	s_clause 0x3
	buffer_load_dword v99, v97, s[0:3], 0 offen offset:8
	buffer_load_dword v100, v97, s[0:3], 0 offen offset:12
	buffer_load_dword v101, v97, s[0:3], 0 offen
	buffer_load_dword v102, v97, s[0:3], 0 offen offset:4
	s_waitcnt vmcnt(2) lgkmcnt(0)
	v_mul_f64 v[104:105], v[3:4], v[99:100]
	v_mul_f64 v[99:100], v[1:2], v[99:100]
	s_waitcnt vmcnt(0)
	v_fma_f64 v[1:2], v[1:2], v[101:102], -v[104:105]
	v_fma_f64 v[3:4], v[3:4], v[101:102], v[99:100]
.LBB109_126:
	s_and_saveexec_b32 s8, s4
	s_cbranch_execz .LBB109_130
; %bb.127:
	v_subrev_nc_u32_e32 v99, 30, v0
	s_movk_i32 s55, 0x4c0
	s_mov_b32 s4, 0
	s_mov_b32 s56, s23
	.p2align	6
.LBB109_128:                            ; =>This Inner Loop Header: Depth=1
	v_mov_b32_e32 v102, s56
	v_add_nc_u32_e32 v99, -1, v99
	s_add_i32 s56, s56, 16
	s_clause 0x3
	buffer_load_dword v100, v102, s[0:3], 0 offen offset:8
	buffer_load_dword v101, v102, s[0:3], 0 offen offset:12
	buffer_load_dword v108, v102, s[0:3], 0 offen
	buffer_load_dword v109, v102, s[0:3], 0 offen offset:4
	v_mov_b32_e32 v102, s55
	v_cmp_eq_u32_e32 vcc_lo, 0, v99
	s_add_i32 s55, s55, 16
	ds_read_b128 v[104:107], v102
	s_or_b32 s4, vcc_lo, s4
	s_waitcnt vmcnt(2) lgkmcnt(0)
	v_mul_f64 v[110:111], v[106:107], v[100:101]
	v_mul_f64 v[100:101], v[104:105], v[100:101]
	s_waitcnt vmcnt(0)
	v_fma_f64 v[104:105], v[104:105], v[108:109], -v[110:111]
	v_fma_f64 v[100:101], v[106:107], v[108:109], v[100:101]
	v_add_f64 v[1:2], v[1:2], v[104:105]
	v_add_f64 v[3:4], v[3:4], v[100:101]
	s_andn2_b32 exec_lo, exec_lo, s4
	s_cbranch_execnz .LBB109_128
; %bb.129:
	s_or_b32 exec_lo, exec_lo, s4
.LBB109_130:
	s_or_b32 exec_lo, exec_lo, s8
	v_mov_b32_e32 v99, 0
	ds_read_b128 v[99:102], v99 offset:464
	s_waitcnt lgkmcnt(0)
	v_mul_f64 v[104:105], v[3:4], v[101:102]
	v_mul_f64 v[101:102], v[1:2], v[101:102]
	v_fma_f64 v[1:2], v[1:2], v[99:100], -v[104:105]
	v_fma_f64 v[3:4], v[3:4], v[99:100], v[101:102]
	buffer_store_dword v2, off, s[0:3], 0 offset:468
	buffer_store_dword v1, off, s[0:3], 0 offset:464
	;; [unrolled: 1-line block ×4, first 2 shown]
.LBB109_131:
	s_or_b32 exec_lo, exec_lo, s6
	v_mov_b32_e32 v4, s25
	v_cmp_lt_u32_e64 s4, 28, v0
	s_clause 0x3
	buffer_load_dword v1, v4, s[0:3], 0 offen
	buffer_load_dword v2, v4, s[0:3], 0 offen offset:4
	buffer_load_dword v3, v4, s[0:3], 0 offen offset:8
	;; [unrolled: 1-line block ×3, first 2 shown]
	s_waitcnt vmcnt(0)
	ds_write_b128 v98, v[1:4]
	s_waitcnt lgkmcnt(0)
	s_waitcnt_vscnt null, 0x0
	s_barrier
	buffer_gl0_inv
	s_and_saveexec_b32 s6, s4
	s_cbranch_execz .LBB109_139
; %bb.132:
	ds_read_b128 v[1:4], v98
	s_andn2_b32 vcc_lo, exec_lo, s54
	s_cbranch_vccnz .LBB109_134
; %bb.133:
	s_clause 0x3
	buffer_load_dword v99, v97, s[0:3], 0 offen offset:8
	buffer_load_dword v100, v97, s[0:3], 0 offen offset:12
	buffer_load_dword v101, v97, s[0:3], 0 offen
	buffer_load_dword v102, v97, s[0:3], 0 offen offset:4
	s_waitcnt vmcnt(2) lgkmcnt(0)
	v_mul_f64 v[104:105], v[3:4], v[99:100]
	v_mul_f64 v[99:100], v[1:2], v[99:100]
	s_waitcnt vmcnt(0)
	v_fma_f64 v[1:2], v[1:2], v[101:102], -v[104:105]
	v_fma_f64 v[3:4], v[3:4], v[101:102], v[99:100]
.LBB109_134:
	s_and_saveexec_b32 s8, s5
	s_cbranch_execz .LBB109_138
; %bb.135:
	v_subrev_nc_u32_e32 v99, 29, v0
	s_movk_i32 s55, 0x4b0
	s_mov_b32 s5, 0
	s_mov_b32 s56, s24
	.p2align	6
.LBB109_136:                            ; =>This Inner Loop Header: Depth=1
	v_mov_b32_e32 v102, s56
	v_add_nc_u32_e32 v99, -1, v99
	s_add_i32 s56, s56, 16
	s_clause 0x3
	buffer_load_dword v100, v102, s[0:3], 0 offen offset:8
	buffer_load_dword v101, v102, s[0:3], 0 offen offset:12
	buffer_load_dword v108, v102, s[0:3], 0 offen
	buffer_load_dword v109, v102, s[0:3], 0 offen offset:4
	v_mov_b32_e32 v102, s55
	v_cmp_eq_u32_e32 vcc_lo, 0, v99
	s_add_i32 s55, s55, 16
	ds_read_b128 v[104:107], v102
	s_or_b32 s5, vcc_lo, s5
	s_waitcnt vmcnt(2) lgkmcnt(0)
	v_mul_f64 v[110:111], v[106:107], v[100:101]
	v_mul_f64 v[100:101], v[104:105], v[100:101]
	s_waitcnt vmcnt(0)
	v_fma_f64 v[104:105], v[104:105], v[108:109], -v[110:111]
	v_fma_f64 v[100:101], v[106:107], v[108:109], v[100:101]
	v_add_f64 v[1:2], v[1:2], v[104:105]
	v_add_f64 v[3:4], v[3:4], v[100:101]
	s_andn2_b32 exec_lo, exec_lo, s5
	s_cbranch_execnz .LBB109_136
; %bb.137:
	s_or_b32 exec_lo, exec_lo, s5
.LBB109_138:
	s_or_b32 exec_lo, exec_lo, s8
	v_mov_b32_e32 v99, 0
	ds_read_b128 v[99:102], v99 offset:448
	s_waitcnt lgkmcnt(0)
	v_mul_f64 v[104:105], v[3:4], v[101:102]
	v_mul_f64 v[101:102], v[1:2], v[101:102]
	v_fma_f64 v[1:2], v[1:2], v[99:100], -v[104:105]
	v_fma_f64 v[3:4], v[3:4], v[99:100], v[101:102]
	buffer_store_dword v2, off, s[0:3], 0 offset:452
	buffer_store_dword v1, off, s[0:3], 0 offset:448
	;; [unrolled: 1-line block ×4, first 2 shown]
.LBB109_139:
	s_or_b32 exec_lo, exec_lo, s6
	v_mov_b32_e32 v4, s26
	v_cmp_lt_u32_e64 s5, 27, v0
	s_clause 0x3
	buffer_load_dword v1, v4, s[0:3], 0 offen
	buffer_load_dword v2, v4, s[0:3], 0 offen offset:4
	buffer_load_dword v3, v4, s[0:3], 0 offen offset:8
	;; [unrolled: 1-line block ×3, first 2 shown]
	s_waitcnt vmcnt(0)
	ds_write_b128 v98, v[1:4]
	s_waitcnt lgkmcnt(0)
	s_waitcnt_vscnt null, 0x0
	s_barrier
	buffer_gl0_inv
	s_and_saveexec_b32 s6, s5
	s_cbranch_execz .LBB109_147
; %bb.140:
	ds_read_b128 v[1:4], v98
	s_andn2_b32 vcc_lo, exec_lo, s54
	s_cbranch_vccnz .LBB109_142
; %bb.141:
	s_clause 0x3
	buffer_load_dword v99, v97, s[0:3], 0 offen offset:8
	buffer_load_dword v100, v97, s[0:3], 0 offen offset:12
	buffer_load_dword v101, v97, s[0:3], 0 offen
	buffer_load_dword v102, v97, s[0:3], 0 offen offset:4
	s_waitcnt vmcnt(2) lgkmcnt(0)
	v_mul_f64 v[104:105], v[3:4], v[99:100]
	v_mul_f64 v[99:100], v[1:2], v[99:100]
	s_waitcnt vmcnt(0)
	v_fma_f64 v[1:2], v[1:2], v[101:102], -v[104:105]
	v_fma_f64 v[3:4], v[3:4], v[101:102], v[99:100]
.LBB109_142:
	s_and_saveexec_b32 s8, s4
	s_cbranch_execz .LBB109_146
; %bb.143:
	v_subrev_nc_u32_e32 v99, 28, v0
	s_movk_i32 s55, 0x4a0
	s_mov_b32 s4, 0
	s_mov_b32 s56, s25
	.p2align	6
.LBB109_144:                            ; =>This Inner Loop Header: Depth=1
	v_mov_b32_e32 v102, s56
	v_add_nc_u32_e32 v99, -1, v99
	s_add_i32 s56, s56, 16
	s_clause 0x3
	buffer_load_dword v100, v102, s[0:3], 0 offen offset:8
	buffer_load_dword v101, v102, s[0:3], 0 offen offset:12
	buffer_load_dword v108, v102, s[0:3], 0 offen
	buffer_load_dword v109, v102, s[0:3], 0 offen offset:4
	v_mov_b32_e32 v102, s55
	v_cmp_eq_u32_e32 vcc_lo, 0, v99
	s_add_i32 s55, s55, 16
	ds_read_b128 v[104:107], v102
	s_or_b32 s4, vcc_lo, s4
	s_waitcnt vmcnt(2) lgkmcnt(0)
	v_mul_f64 v[110:111], v[106:107], v[100:101]
	v_mul_f64 v[100:101], v[104:105], v[100:101]
	s_waitcnt vmcnt(0)
	v_fma_f64 v[104:105], v[104:105], v[108:109], -v[110:111]
	v_fma_f64 v[100:101], v[106:107], v[108:109], v[100:101]
	v_add_f64 v[1:2], v[1:2], v[104:105]
	v_add_f64 v[3:4], v[3:4], v[100:101]
	s_andn2_b32 exec_lo, exec_lo, s4
	s_cbranch_execnz .LBB109_144
; %bb.145:
	s_or_b32 exec_lo, exec_lo, s4
.LBB109_146:
	s_or_b32 exec_lo, exec_lo, s8
	v_mov_b32_e32 v99, 0
	ds_read_b128 v[99:102], v99 offset:432
	s_waitcnt lgkmcnt(0)
	v_mul_f64 v[104:105], v[3:4], v[101:102]
	v_mul_f64 v[101:102], v[1:2], v[101:102]
	v_fma_f64 v[1:2], v[1:2], v[99:100], -v[104:105]
	v_fma_f64 v[3:4], v[3:4], v[99:100], v[101:102]
	buffer_store_dword v2, off, s[0:3], 0 offset:436
	buffer_store_dword v1, off, s[0:3], 0 offset:432
	buffer_store_dword v4, off, s[0:3], 0 offset:444
	buffer_store_dword v3, off, s[0:3], 0 offset:440
.LBB109_147:
	s_or_b32 exec_lo, exec_lo, s6
	v_mov_b32_e32 v4, s27
	v_cmp_lt_u32_e64 s4, 26, v0
	s_clause 0x3
	buffer_load_dword v1, v4, s[0:3], 0 offen
	buffer_load_dword v2, v4, s[0:3], 0 offen offset:4
	buffer_load_dword v3, v4, s[0:3], 0 offen offset:8
	;; [unrolled: 1-line block ×3, first 2 shown]
	s_waitcnt vmcnt(0)
	ds_write_b128 v98, v[1:4]
	s_waitcnt lgkmcnt(0)
	s_waitcnt_vscnt null, 0x0
	s_barrier
	buffer_gl0_inv
	s_and_saveexec_b32 s6, s4
	s_cbranch_execz .LBB109_155
; %bb.148:
	ds_read_b128 v[1:4], v98
	s_andn2_b32 vcc_lo, exec_lo, s54
	s_cbranch_vccnz .LBB109_150
; %bb.149:
	s_clause 0x3
	buffer_load_dword v99, v97, s[0:3], 0 offen offset:8
	buffer_load_dword v100, v97, s[0:3], 0 offen offset:12
	buffer_load_dword v101, v97, s[0:3], 0 offen
	buffer_load_dword v102, v97, s[0:3], 0 offen offset:4
	s_waitcnt vmcnt(2) lgkmcnt(0)
	v_mul_f64 v[104:105], v[3:4], v[99:100]
	v_mul_f64 v[99:100], v[1:2], v[99:100]
	s_waitcnt vmcnt(0)
	v_fma_f64 v[1:2], v[1:2], v[101:102], -v[104:105]
	v_fma_f64 v[3:4], v[3:4], v[101:102], v[99:100]
.LBB109_150:
	s_and_saveexec_b32 s8, s5
	s_cbranch_execz .LBB109_154
; %bb.151:
	v_subrev_nc_u32_e32 v99, 27, v0
	s_movk_i32 s55, 0x490
	s_mov_b32 s5, 0
	s_mov_b32 s56, s26
	.p2align	6
.LBB109_152:                            ; =>This Inner Loop Header: Depth=1
	v_mov_b32_e32 v102, s56
	v_add_nc_u32_e32 v99, -1, v99
	s_add_i32 s56, s56, 16
	s_clause 0x3
	buffer_load_dword v100, v102, s[0:3], 0 offen offset:8
	buffer_load_dword v101, v102, s[0:3], 0 offen offset:12
	buffer_load_dword v108, v102, s[0:3], 0 offen
	buffer_load_dword v109, v102, s[0:3], 0 offen offset:4
	v_mov_b32_e32 v102, s55
	v_cmp_eq_u32_e32 vcc_lo, 0, v99
	s_add_i32 s55, s55, 16
	ds_read_b128 v[104:107], v102
	s_or_b32 s5, vcc_lo, s5
	s_waitcnt vmcnt(2) lgkmcnt(0)
	v_mul_f64 v[110:111], v[106:107], v[100:101]
	v_mul_f64 v[100:101], v[104:105], v[100:101]
	s_waitcnt vmcnt(0)
	v_fma_f64 v[104:105], v[104:105], v[108:109], -v[110:111]
	v_fma_f64 v[100:101], v[106:107], v[108:109], v[100:101]
	v_add_f64 v[1:2], v[1:2], v[104:105]
	v_add_f64 v[3:4], v[3:4], v[100:101]
	s_andn2_b32 exec_lo, exec_lo, s5
	s_cbranch_execnz .LBB109_152
; %bb.153:
	s_or_b32 exec_lo, exec_lo, s5
.LBB109_154:
	s_or_b32 exec_lo, exec_lo, s8
	v_mov_b32_e32 v99, 0
	ds_read_b128 v[99:102], v99 offset:416
	s_waitcnt lgkmcnt(0)
	v_mul_f64 v[104:105], v[3:4], v[101:102]
	v_mul_f64 v[101:102], v[1:2], v[101:102]
	v_fma_f64 v[1:2], v[1:2], v[99:100], -v[104:105]
	v_fma_f64 v[3:4], v[3:4], v[99:100], v[101:102]
	buffer_store_dword v2, off, s[0:3], 0 offset:420
	buffer_store_dword v1, off, s[0:3], 0 offset:416
	buffer_store_dword v4, off, s[0:3], 0 offset:428
	buffer_store_dword v3, off, s[0:3], 0 offset:424
.LBB109_155:
	s_or_b32 exec_lo, exec_lo, s6
	v_mov_b32_e32 v4, s28
	v_cmp_lt_u32_e64 s5, 25, v0
	s_clause 0x3
	buffer_load_dword v1, v4, s[0:3], 0 offen
	buffer_load_dword v2, v4, s[0:3], 0 offen offset:4
	buffer_load_dword v3, v4, s[0:3], 0 offen offset:8
	;; [unrolled: 1-line block ×3, first 2 shown]
	s_waitcnt vmcnt(0)
	ds_write_b128 v98, v[1:4]
	s_waitcnt lgkmcnt(0)
	s_waitcnt_vscnt null, 0x0
	s_barrier
	buffer_gl0_inv
	s_and_saveexec_b32 s6, s5
	s_cbranch_execz .LBB109_163
; %bb.156:
	ds_read_b128 v[1:4], v98
	s_andn2_b32 vcc_lo, exec_lo, s54
	s_cbranch_vccnz .LBB109_158
; %bb.157:
	s_clause 0x3
	buffer_load_dword v99, v97, s[0:3], 0 offen offset:8
	buffer_load_dword v100, v97, s[0:3], 0 offen offset:12
	buffer_load_dword v101, v97, s[0:3], 0 offen
	buffer_load_dword v102, v97, s[0:3], 0 offen offset:4
	s_waitcnt vmcnt(2) lgkmcnt(0)
	v_mul_f64 v[104:105], v[3:4], v[99:100]
	v_mul_f64 v[99:100], v[1:2], v[99:100]
	s_waitcnt vmcnt(0)
	v_fma_f64 v[1:2], v[1:2], v[101:102], -v[104:105]
	v_fma_f64 v[3:4], v[3:4], v[101:102], v[99:100]
.LBB109_158:
	s_and_saveexec_b32 s8, s4
	s_cbranch_execz .LBB109_162
; %bb.159:
	v_subrev_nc_u32_e32 v99, 26, v0
	s_movk_i32 s55, 0x480
	s_mov_b32 s4, 0
	s_mov_b32 s56, s27
	.p2align	6
.LBB109_160:                            ; =>This Inner Loop Header: Depth=1
	v_mov_b32_e32 v102, s56
	v_add_nc_u32_e32 v99, -1, v99
	s_add_i32 s56, s56, 16
	s_clause 0x3
	buffer_load_dword v100, v102, s[0:3], 0 offen offset:8
	buffer_load_dword v101, v102, s[0:3], 0 offen offset:12
	buffer_load_dword v108, v102, s[0:3], 0 offen
	buffer_load_dword v109, v102, s[0:3], 0 offen offset:4
	v_mov_b32_e32 v102, s55
	v_cmp_eq_u32_e32 vcc_lo, 0, v99
	s_add_i32 s55, s55, 16
	ds_read_b128 v[104:107], v102
	s_or_b32 s4, vcc_lo, s4
	s_waitcnt vmcnt(2) lgkmcnt(0)
	v_mul_f64 v[110:111], v[106:107], v[100:101]
	v_mul_f64 v[100:101], v[104:105], v[100:101]
	s_waitcnt vmcnt(0)
	v_fma_f64 v[104:105], v[104:105], v[108:109], -v[110:111]
	v_fma_f64 v[100:101], v[106:107], v[108:109], v[100:101]
	v_add_f64 v[1:2], v[1:2], v[104:105]
	v_add_f64 v[3:4], v[3:4], v[100:101]
	s_andn2_b32 exec_lo, exec_lo, s4
	s_cbranch_execnz .LBB109_160
; %bb.161:
	s_or_b32 exec_lo, exec_lo, s4
.LBB109_162:
	s_or_b32 exec_lo, exec_lo, s8
	v_mov_b32_e32 v99, 0
	ds_read_b128 v[99:102], v99 offset:400
	s_waitcnt lgkmcnt(0)
	v_mul_f64 v[104:105], v[3:4], v[101:102]
	v_mul_f64 v[101:102], v[1:2], v[101:102]
	v_fma_f64 v[1:2], v[1:2], v[99:100], -v[104:105]
	v_fma_f64 v[3:4], v[3:4], v[99:100], v[101:102]
	buffer_store_dword v2, off, s[0:3], 0 offset:404
	buffer_store_dword v1, off, s[0:3], 0 offset:400
	;; [unrolled: 1-line block ×4, first 2 shown]
.LBB109_163:
	s_or_b32 exec_lo, exec_lo, s6
	v_mov_b32_e32 v4, s29
	v_cmp_lt_u32_e64 s4, 24, v0
	s_clause 0x3
	buffer_load_dword v1, v4, s[0:3], 0 offen
	buffer_load_dword v2, v4, s[0:3], 0 offen offset:4
	buffer_load_dword v3, v4, s[0:3], 0 offen offset:8
	;; [unrolled: 1-line block ×3, first 2 shown]
	s_waitcnt vmcnt(0)
	ds_write_b128 v98, v[1:4]
	s_waitcnt lgkmcnt(0)
	s_waitcnt_vscnt null, 0x0
	s_barrier
	buffer_gl0_inv
	s_and_saveexec_b32 s6, s4
	s_cbranch_execz .LBB109_171
; %bb.164:
	ds_read_b128 v[1:4], v98
	s_andn2_b32 vcc_lo, exec_lo, s54
	s_cbranch_vccnz .LBB109_166
; %bb.165:
	s_clause 0x3
	buffer_load_dword v99, v97, s[0:3], 0 offen offset:8
	buffer_load_dword v100, v97, s[0:3], 0 offen offset:12
	buffer_load_dword v101, v97, s[0:3], 0 offen
	buffer_load_dword v102, v97, s[0:3], 0 offen offset:4
	s_waitcnt vmcnt(2) lgkmcnt(0)
	v_mul_f64 v[104:105], v[3:4], v[99:100]
	v_mul_f64 v[99:100], v[1:2], v[99:100]
	s_waitcnt vmcnt(0)
	v_fma_f64 v[1:2], v[1:2], v[101:102], -v[104:105]
	v_fma_f64 v[3:4], v[3:4], v[101:102], v[99:100]
.LBB109_166:
	s_and_saveexec_b32 s8, s5
	s_cbranch_execz .LBB109_170
; %bb.167:
	v_subrev_nc_u32_e32 v99, 25, v0
	s_movk_i32 s55, 0x470
	s_mov_b32 s5, 0
	s_mov_b32 s56, s28
	.p2align	6
.LBB109_168:                            ; =>This Inner Loop Header: Depth=1
	v_mov_b32_e32 v102, s56
	v_add_nc_u32_e32 v99, -1, v99
	s_add_i32 s56, s56, 16
	s_clause 0x3
	buffer_load_dword v100, v102, s[0:3], 0 offen offset:8
	buffer_load_dword v101, v102, s[0:3], 0 offen offset:12
	buffer_load_dword v108, v102, s[0:3], 0 offen
	buffer_load_dword v109, v102, s[0:3], 0 offen offset:4
	v_mov_b32_e32 v102, s55
	v_cmp_eq_u32_e32 vcc_lo, 0, v99
	s_add_i32 s55, s55, 16
	ds_read_b128 v[104:107], v102
	s_or_b32 s5, vcc_lo, s5
	s_waitcnt vmcnt(2) lgkmcnt(0)
	v_mul_f64 v[110:111], v[106:107], v[100:101]
	v_mul_f64 v[100:101], v[104:105], v[100:101]
	s_waitcnt vmcnt(0)
	v_fma_f64 v[104:105], v[104:105], v[108:109], -v[110:111]
	v_fma_f64 v[100:101], v[106:107], v[108:109], v[100:101]
	v_add_f64 v[1:2], v[1:2], v[104:105]
	v_add_f64 v[3:4], v[3:4], v[100:101]
	s_andn2_b32 exec_lo, exec_lo, s5
	s_cbranch_execnz .LBB109_168
; %bb.169:
	s_or_b32 exec_lo, exec_lo, s5
.LBB109_170:
	s_or_b32 exec_lo, exec_lo, s8
	v_mov_b32_e32 v99, 0
	ds_read_b128 v[99:102], v99 offset:384
	s_waitcnt lgkmcnt(0)
	v_mul_f64 v[104:105], v[3:4], v[101:102]
	v_mul_f64 v[101:102], v[1:2], v[101:102]
	v_fma_f64 v[1:2], v[1:2], v[99:100], -v[104:105]
	v_fma_f64 v[3:4], v[3:4], v[99:100], v[101:102]
	buffer_store_dword v2, off, s[0:3], 0 offset:388
	buffer_store_dword v1, off, s[0:3], 0 offset:384
	;; [unrolled: 1-line block ×4, first 2 shown]
.LBB109_171:
	s_or_b32 exec_lo, exec_lo, s6
	v_mov_b32_e32 v4, s30
	v_cmp_lt_u32_e64 s5, 23, v0
	s_clause 0x3
	buffer_load_dword v1, v4, s[0:3], 0 offen
	buffer_load_dword v2, v4, s[0:3], 0 offen offset:4
	buffer_load_dword v3, v4, s[0:3], 0 offen offset:8
	;; [unrolled: 1-line block ×3, first 2 shown]
	s_waitcnt vmcnt(0)
	ds_write_b128 v98, v[1:4]
	s_waitcnt lgkmcnt(0)
	s_waitcnt_vscnt null, 0x0
	s_barrier
	buffer_gl0_inv
	s_and_saveexec_b32 s6, s5
	s_cbranch_execz .LBB109_179
; %bb.172:
	ds_read_b128 v[1:4], v98
	s_andn2_b32 vcc_lo, exec_lo, s54
	s_cbranch_vccnz .LBB109_174
; %bb.173:
	s_clause 0x3
	buffer_load_dword v99, v97, s[0:3], 0 offen offset:8
	buffer_load_dword v100, v97, s[0:3], 0 offen offset:12
	buffer_load_dword v101, v97, s[0:3], 0 offen
	buffer_load_dword v102, v97, s[0:3], 0 offen offset:4
	s_waitcnt vmcnt(2) lgkmcnt(0)
	v_mul_f64 v[104:105], v[3:4], v[99:100]
	v_mul_f64 v[99:100], v[1:2], v[99:100]
	s_waitcnt vmcnt(0)
	v_fma_f64 v[1:2], v[1:2], v[101:102], -v[104:105]
	v_fma_f64 v[3:4], v[3:4], v[101:102], v[99:100]
.LBB109_174:
	s_and_saveexec_b32 s8, s4
	s_cbranch_execz .LBB109_178
; %bb.175:
	v_subrev_nc_u32_e32 v99, 24, v0
	s_movk_i32 s55, 0x460
	s_mov_b32 s4, 0
	s_mov_b32 s56, s29
	.p2align	6
.LBB109_176:                            ; =>This Inner Loop Header: Depth=1
	v_mov_b32_e32 v102, s56
	v_add_nc_u32_e32 v99, -1, v99
	s_add_i32 s56, s56, 16
	s_clause 0x3
	buffer_load_dword v100, v102, s[0:3], 0 offen offset:8
	buffer_load_dword v101, v102, s[0:3], 0 offen offset:12
	buffer_load_dword v108, v102, s[0:3], 0 offen
	buffer_load_dword v109, v102, s[0:3], 0 offen offset:4
	v_mov_b32_e32 v102, s55
	v_cmp_eq_u32_e32 vcc_lo, 0, v99
	s_add_i32 s55, s55, 16
	ds_read_b128 v[104:107], v102
	s_or_b32 s4, vcc_lo, s4
	s_waitcnt vmcnt(2) lgkmcnt(0)
	v_mul_f64 v[110:111], v[106:107], v[100:101]
	v_mul_f64 v[100:101], v[104:105], v[100:101]
	s_waitcnt vmcnt(0)
	v_fma_f64 v[104:105], v[104:105], v[108:109], -v[110:111]
	v_fma_f64 v[100:101], v[106:107], v[108:109], v[100:101]
	v_add_f64 v[1:2], v[1:2], v[104:105]
	v_add_f64 v[3:4], v[3:4], v[100:101]
	s_andn2_b32 exec_lo, exec_lo, s4
	s_cbranch_execnz .LBB109_176
; %bb.177:
	s_or_b32 exec_lo, exec_lo, s4
.LBB109_178:
	s_or_b32 exec_lo, exec_lo, s8
	v_mov_b32_e32 v99, 0
	ds_read_b128 v[99:102], v99 offset:368
	s_waitcnt lgkmcnt(0)
	v_mul_f64 v[104:105], v[3:4], v[101:102]
	v_mul_f64 v[101:102], v[1:2], v[101:102]
	v_fma_f64 v[1:2], v[1:2], v[99:100], -v[104:105]
	v_fma_f64 v[3:4], v[3:4], v[99:100], v[101:102]
	buffer_store_dword v2, off, s[0:3], 0 offset:372
	buffer_store_dword v1, off, s[0:3], 0 offset:368
	;; [unrolled: 1-line block ×4, first 2 shown]
.LBB109_179:
	s_or_b32 exec_lo, exec_lo, s6
	v_mov_b32_e32 v4, s31
	v_cmp_lt_u32_e64 s4, 22, v0
	s_clause 0x3
	buffer_load_dword v1, v4, s[0:3], 0 offen
	buffer_load_dword v2, v4, s[0:3], 0 offen offset:4
	buffer_load_dword v3, v4, s[0:3], 0 offen offset:8
	;; [unrolled: 1-line block ×3, first 2 shown]
	s_waitcnt vmcnt(0)
	ds_write_b128 v98, v[1:4]
	s_waitcnt lgkmcnt(0)
	s_waitcnt_vscnt null, 0x0
	s_barrier
	buffer_gl0_inv
	s_and_saveexec_b32 s6, s4
	s_cbranch_execz .LBB109_187
; %bb.180:
	ds_read_b128 v[1:4], v98
	s_andn2_b32 vcc_lo, exec_lo, s54
	s_cbranch_vccnz .LBB109_182
; %bb.181:
	s_clause 0x3
	buffer_load_dword v99, v97, s[0:3], 0 offen offset:8
	buffer_load_dword v100, v97, s[0:3], 0 offen offset:12
	buffer_load_dword v101, v97, s[0:3], 0 offen
	buffer_load_dword v102, v97, s[0:3], 0 offen offset:4
	s_waitcnt vmcnt(2) lgkmcnt(0)
	v_mul_f64 v[104:105], v[3:4], v[99:100]
	v_mul_f64 v[99:100], v[1:2], v[99:100]
	s_waitcnt vmcnt(0)
	v_fma_f64 v[1:2], v[1:2], v[101:102], -v[104:105]
	v_fma_f64 v[3:4], v[3:4], v[101:102], v[99:100]
.LBB109_182:
	s_and_saveexec_b32 s8, s5
	s_cbranch_execz .LBB109_186
; %bb.183:
	v_subrev_nc_u32_e32 v99, 23, v0
	s_movk_i32 s55, 0x450
	s_mov_b32 s5, 0
	s_mov_b32 s56, s30
	.p2align	6
.LBB109_184:                            ; =>This Inner Loop Header: Depth=1
	v_mov_b32_e32 v102, s56
	v_add_nc_u32_e32 v99, -1, v99
	s_add_i32 s56, s56, 16
	s_clause 0x3
	buffer_load_dword v100, v102, s[0:3], 0 offen offset:8
	buffer_load_dword v101, v102, s[0:3], 0 offen offset:12
	buffer_load_dword v108, v102, s[0:3], 0 offen
	buffer_load_dword v109, v102, s[0:3], 0 offen offset:4
	v_mov_b32_e32 v102, s55
	v_cmp_eq_u32_e32 vcc_lo, 0, v99
	s_add_i32 s55, s55, 16
	ds_read_b128 v[104:107], v102
	s_or_b32 s5, vcc_lo, s5
	s_waitcnt vmcnt(2) lgkmcnt(0)
	v_mul_f64 v[110:111], v[106:107], v[100:101]
	v_mul_f64 v[100:101], v[104:105], v[100:101]
	s_waitcnt vmcnt(0)
	v_fma_f64 v[104:105], v[104:105], v[108:109], -v[110:111]
	v_fma_f64 v[100:101], v[106:107], v[108:109], v[100:101]
	v_add_f64 v[1:2], v[1:2], v[104:105]
	v_add_f64 v[3:4], v[3:4], v[100:101]
	s_andn2_b32 exec_lo, exec_lo, s5
	s_cbranch_execnz .LBB109_184
; %bb.185:
	s_or_b32 exec_lo, exec_lo, s5
.LBB109_186:
	s_or_b32 exec_lo, exec_lo, s8
	v_mov_b32_e32 v99, 0
	ds_read_b128 v[99:102], v99 offset:352
	s_waitcnt lgkmcnt(0)
	v_mul_f64 v[104:105], v[3:4], v[101:102]
	v_mul_f64 v[101:102], v[1:2], v[101:102]
	v_fma_f64 v[1:2], v[1:2], v[99:100], -v[104:105]
	v_fma_f64 v[3:4], v[3:4], v[99:100], v[101:102]
	buffer_store_dword v2, off, s[0:3], 0 offset:356
	buffer_store_dword v1, off, s[0:3], 0 offset:352
	;; [unrolled: 1-line block ×4, first 2 shown]
.LBB109_187:
	s_or_b32 exec_lo, exec_lo, s6
	v_mov_b32_e32 v4, s33
	v_cmp_lt_u32_e64 s5, 21, v0
	s_clause 0x3
	buffer_load_dword v1, v4, s[0:3], 0 offen
	buffer_load_dword v2, v4, s[0:3], 0 offen offset:4
	buffer_load_dword v3, v4, s[0:3], 0 offen offset:8
	;; [unrolled: 1-line block ×3, first 2 shown]
	s_waitcnt vmcnt(0)
	ds_write_b128 v98, v[1:4]
	s_waitcnt lgkmcnt(0)
	s_waitcnt_vscnt null, 0x0
	s_barrier
	buffer_gl0_inv
	s_and_saveexec_b32 s6, s5
	s_cbranch_execz .LBB109_195
; %bb.188:
	ds_read_b128 v[1:4], v98
	s_andn2_b32 vcc_lo, exec_lo, s54
	s_cbranch_vccnz .LBB109_190
; %bb.189:
	s_clause 0x3
	buffer_load_dword v99, v97, s[0:3], 0 offen offset:8
	buffer_load_dword v100, v97, s[0:3], 0 offen offset:12
	buffer_load_dword v101, v97, s[0:3], 0 offen
	buffer_load_dword v102, v97, s[0:3], 0 offen offset:4
	s_waitcnt vmcnt(2) lgkmcnt(0)
	v_mul_f64 v[104:105], v[3:4], v[99:100]
	v_mul_f64 v[99:100], v[1:2], v[99:100]
	s_waitcnt vmcnt(0)
	v_fma_f64 v[1:2], v[1:2], v[101:102], -v[104:105]
	v_fma_f64 v[3:4], v[3:4], v[101:102], v[99:100]
.LBB109_190:
	s_and_saveexec_b32 s8, s4
	s_cbranch_execz .LBB109_194
; %bb.191:
	v_subrev_nc_u32_e32 v99, 22, v0
	s_movk_i32 s55, 0x440
	s_mov_b32 s4, 0
	s_mov_b32 s56, s31
	.p2align	6
.LBB109_192:                            ; =>This Inner Loop Header: Depth=1
	v_mov_b32_e32 v102, s56
	v_add_nc_u32_e32 v99, -1, v99
	s_add_i32 s56, s56, 16
	s_clause 0x3
	buffer_load_dword v100, v102, s[0:3], 0 offen offset:8
	buffer_load_dword v101, v102, s[0:3], 0 offen offset:12
	buffer_load_dword v108, v102, s[0:3], 0 offen
	buffer_load_dword v109, v102, s[0:3], 0 offen offset:4
	v_mov_b32_e32 v102, s55
	v_cmp_eq_u32_e32 vcc_lo, 0, v99
	s_add_i32 s55, s55, 16
	ds_read_b128 v[104:107], v102
	s_or_b32 s4, vcc_lo, s4
	s_waitcnt vmcnt(2) lgkmcnt(0)
	v_mul_f64 v[110:111], v[106:107], v[100:101]
	v_mul_f64 v[100:101], v[104:105], v[100:101]
	s_waitcnt vmcnt(0)
	v_fma_f64 v[104:105], v[104:105], v[108:109], -v[110:111]
	v_fma_f64 v[100:101], v[106:107], v[108:109], v[100:101]
	v_add_f64 v[1:2], v[1:2], v[104:105]
	v_add_f64 v[3:4], v[3:4], v[100:101]
	s_andn2_b32 exec_lo, exec_lo, s4
	s_cbranch_execnz .LBB109_192
; %bb.193:
	s_or_b32 exec_lo, exec_lo, s4
.LBB109_194:
	s_or_b32 exec_lo, exec_lo, s8
	v_mov_b32_e32 v99, 0
	ds_read_b128 v[99:102], v99 offset:336
	s_waitcnt lgkmcnt(0)
	v_mul_f64 v[104:105], v[3:4], v[101:102]
	v_mul_f64 v[101:102], v[1:2], v[101:102]
	v_fma_f64 v[1:2], v[1:2], v[99:100], -v[104:105]
	v_fma_f64 v[3:4], v[3:4], v[99:100], v[101:102]
	buffer_store_dword v2, off, s[0:3], 0 offset:340
	buffer_store_dword v1, off, s[0:3], 0 offset:336
	;; [unrolled: 1-line block ×4, first 2 shown]
.LBB109_195:
	s_or_b32 exec_lo, exec_lo, s6
	v_mov_b32_e32 v4, s34
	v_cmp_lt_u32_e64 s4, 20, v0
	s_clause 0x3
	buffer_load_dword v1, v4, s[0:3], 0 offen
	buffer_load_dword v2, v4, s[0:3], 0 offen offset:4
	buffer_load_dword v3, v4, s[0:3], 0 offen offset:8
	;; [unrolled: 1-line block ×3, first 2 shown]
	s_waitcnt vmcnt(0)
	ds_write_b128 v98, v[1:4]
	s_waitcnt lgkmcnt(0)
	s_waitcnt_vscnt null, 0x0
	s_barrier
	buffer_gl0_inv
	s_and_saveexec_b32 s6, s4
	s_cbranch_execz .LBB109_203
; %bb.196:
	ds_read_b128 v[1:4], v98
	s_andn2_b32 vcc_lo, exec_lo, s54
	s_cbranch_vccnz .LBB109_198
; %bb.197:
	s_clause 0x3
	buffer_load_dword v99, v97, s[0:3], 0 offen offset:8
	buffer_load_dword v100, v97, s[0:3], 0 offen offset:12
	buffer_load_dword v101, v97, s[0:3], 0 offen
	buffer_load_dword v102, v97, s[0:3], 0 offen offset:4
	s_waitcnt vmcnt(2) lgkmcnt(0)
	v_mul_f64 v[104:105], v[3:4], v[99:100]
	v_mul_f64 v[99:100], v[1:2], v[99:100]
	s_waitcnt vmcnt(0)
	v_fma_f64 v[1:2], v[1:2], v[101:102], -v[104:105]
	v_fma_f64 v[3:4], v[3:4], v[101:102], v[99:100]
.LBB109_198:
	s_and_saveexec_b32 s8, s5
	s_cbranch_execz .LBB109_202
; %bb.199:
	v_subrev_nc_u32_e32 v99, 21, v0
	s_movk_i32 s55, 0x430
	s_mov_b32 s5, 0
	s_mov_b32 s56, s33
	.p2align	6
.LBB109_200:                            ; =>This Inner Loop Header: Depth=1
	v_mov_b32_e32 v102, s56
	v_add_nc_u32_e32 v99, -1, v99
	s_add_i32 s56, s56, 16
	s_clause 0x3
	buffer_load_dword v100, v102, s[0:3], 0 offen offset:8
	buffer_load_dword v101, v102, s[0:3], 0 offen offset:12
	buffer_load_dword v108, v102, s[0:3], 0 offen
	buffer_load_dword v109, v102, s[0:3], 0 offen offset:4
	v_mov_b32_e32 v102, s55
	v_cmp_eq_u32_e32 vcc_lo, 0, v99
	s_add_i32 s55, s55, 16
	ds_read_b128 v[104:107], v102
	s_or_b32 s5, vcc_lo, s5
	s_waitcnt vmcnt(2) lgkmcnt(0)
	v_mul_f64 v[110:111], v[106:107], v[100:101]
	v_mul_f64 v[100:101], v[104:105], v[100:101]
	s_waitcnt vmcnt(0)
	v_fma_f64 v[104:105], v[104:105], v[108:109], -v[110:111]
	v_fma_f64 v[100:101], v[106:107], v[108:109], v[100:101]
	v_add_f64 v[1:2], v[1:2], v[104:105]
	v_add_f64 v[3:4], v[3:4], v[100:101]
	s_andn2_b32 exec_lo, exec_lo, s5
	s_cbranch_execnz .LBB109_200
; %bb.201:
	s_or_b32 exec_lo, exec_lo, s5
.LBB109_202:
	s_or_b32 exec_lo, exec_lo, s8
	v_mov_b32_e32 v99, 0
	ds_read_b128 v[99:102], v99 offset:320
	s_waitcnt lgkmcnt(0)
	v_mul_f64 v[104:105], v[3:4], v[101:102]
	v_mul_f64 v[101:102], v[1:2], v[101:102]
	v_fma_f64 v[1:2], v[1:2], v[99:100], -v[104:105]
	v_fma_f64 v[3:4], v[3:4], v[99:100], v[101:102]
	buffer_store_dword v2, off, s[0:3], 0 offset:324
	buffer_store_dword v1, off, s[0:3], 0 offset:320
	;; [unrolled: 1-line block ×4, first 2 shown]
.LBB109_203:
	s_or_b32 exec_lo, exec_lo, s6
	v_mov_b32_e32 v4, s35
	v_cmp_lt_u32_e64 s5, 19, v0
	s_clause 0x3
	buffer_load_dword v1, v4, s[0:3], 0 offen
	buffer_load_dword v2, v4, s[0:3], 0 offen offset:4
	buffer_load_dword v3, v4, s[0:3], 0 offen offset:8
	;; [unrolled: 1-line block ×3, first 2 shown]
	s_waitcnt vmcnt(0)
	ds_write_b128 v98, v[1:4]
	s_waitcnt lgkmcnt(0)
	s_waitcnt_vscnt null, 0x0
	s_barrier
	buffer_gl0_inv
	s_and_saveexec_b32 s6, s5
	s_cbranch_execz .LBB109_211
; %bb.204:
	ds_read_b128 v[1:4], v98
	s_andn2_b32 vcc_lo, exec_lo, s54
	s_cbranch_vccnz .LBB109_206
; %bb.205:
	s_clause 0x3
	buffer_load_dword v99, v97, s[0:3], 0 offen offset:8
	buffer_load_dword v100, v97, s[0:3], 0 offen offset:12
	buffer_load_dword v101, v97, s[0:3], 0 offen
	buffer_load_dword v102, v97, s[0:3], 0 offen offset:4
	s_waitcnt vmcnt(2) lgkmcnt(0)
	v_mul_f64 v[104:105], v[3:4], v[99:100]
	v_mul_f64 v[99:100], v[1:2], v[99:100]
	s_waitcnt vmcnt(0)
	v_fma_f64 v[1:2], v[1:2], v[101:102], -v[104:105]
	v_fma_f64 v[3:4], v[3:4], v[101:102], v[99:100]
.LBB109_206:
	s_and_saveexec_b32 s8, s4
	s_cbranch_execz .LBB109_210
; %bb.207:
	v_subrev_nc_u32_e32 v99, 20, v0
	s_movk_i32 s55, 0x420
	s_mov_b32 s4, 0
	s_mov_b32 s56, s34
	.p2align	6
.LBB109_208:                            ; =>This Inner Loop Header: Depth=1
	v_mov_b32_e32 v102, s56
	v_add_nc_u32_e32 v99, -1, v99
	s_add_i32 s56, s56, 16
	s_clause 0x3
	buffer_load_dword v100, v102, s[0:3], 0 offen offset:8
	buffer_load_dword v101, v102, s[0:3], 0 offen offset:12
	buffer_load_dword v108, v102, s[0:3], 0 offen
	buffer_load_dword v109, v102, s[0:3], 0 offen offset:4
	v_mov_b32_e32 v102, s55
	v_cmp_eq_u32_e32 vcc_lo, 0, v99
	s_add_i32 s55, s55, 16
	ds_read_b128 v[104:107], v102
	s_or_b32 s4, vcc_lo, s4
	s_waitcnt vmcnt(2) lgkmcnt(0)
	v_mul_f64 v[110:111], v[106:107], v[100:101]
	v_mul_f64 v[100:101], v[104:105], v[100:101]
	s_waitcnt vmcnt(0)
	v_fma_f64 v[104:105], v[104:105], v[108:109], -v[110:111]
	v_fma_f64 v[100:101], v[106:107], v[108:109], v[100:101]
	v_add_f64 v[1:2], v[1:2], v[104:105]
	v_add_f64 v[3:4], v[3:4], v[100:101]
	s_andn2_b32 exec_lo, exec_lo, s4
	s_cbranch_execnz .LBB109_208
; %bb.209:
	s_or_b32 exec_lo, exec_lo, s4
.LBB109_210:
	s_or_b32 exec_lo, exec_lo, s8
	v_mov_b32_e32 v99, 0
	ds_read_b128 v[99:102], v99 offset:304
	s_waitcnt lgkmcnt(0)
	v_mul_f64 v[104:105], v[3:4], v[101:102]
	v_mul_f64 v[101:102], v[1:2], v[101:102]
	v_fma_f64 v[1:2], v[1:2], v[99:100], -v[104:105]
	v_fma_f64 v[3:4], v[3:4], v[99:100], v[101:102]
	buffer_store_dword v2, off, s[0:3], 0 offset:308
	buffer_store_dword v1, off, s[0:3], 0 offset:304
	;; [unrolled: 1-line block ×4, first 2 shown]
.LBB109_211:
	s_or_b32 exec_lo, exec_lo, s6
	v_mov_b32_e32 v4, s36
	v_cmp_lt_u32_e64 s4, 18, v0
	s_clause 0x3
	buffer_load_dword v1, v4, s[0:3], 0 offen
	buffer_load_dword v2, v4, s[0:3], 0 offen offset:4
	buffer_load_dword v3, v4, s[0:3], 0 offen offset:8
	;; [unrolled: 1-line block ×3, first 2 shown]
	s_waitcnt vmcnt(0)
	ds_write_b128 v98, v[1:4]
	s_waitcnt lgkmcnt(0)
	s_waitcnt_vscnt null, 0x0
	s_barrier
	buffer_gl0_inv
	s_and_saveexec_b32 s6, s4
	s_cbranch_execz .LBB109_219
; %bb.212:
	ds_read_b128 v[1:4], v98
	s_andn2_b32 vcc_lo, exec_lo, s54
	s_cbranch_vccnz .LBB109_214
; %bb.213:
	s_clause 0x3
	buffer_load_dword v99, v97, s[0:3], 0 offen offset:8
	buffer_load_dword v100, v97, s[0:3], 0 offen offset:12
	buffer_load_dword v101, v97, s[0:3], 0 offen
	buffer_load_dword v102, v97, s[0:3], 0 offen offset:4
	s_waitcnt vmcnt(2) lgkmcnt(0)
	v_mul_f64 v[104:105], v[3:4], v[99:100]
	v_mul_f64 v[99:100], v[1:2], v[99:100]
	s_waitcnt vmcnt(0)
	v_fma_f64 v[1:2], v[1:2], v[101:102], -v[104:105]
	v_fma_f64 v[3:4], v[3:4], v[101:102], v[99:100]
.LBB109_214:
	s_and_saveexec_b32 s8, s5
	s_cbranch_execz .LBB109_218
; %bb.215:
	v_subrev_nc_u32_e32 v99, 19, v0
	s_movk_i32 s55, 0x410
	s_mov_b32 s5, 0
	s_mov_b32 s56, s35
	.p2align	6
.LBB109_216:                            ; =>This Inner Loop Header: Depth=1
	v_mov_b32_e32 v102, s56
	v_add_nc_u32_e32 v99, -1, v99
	s_add_i32 s56, s56, 16
	s_clause 0x3
	buffer_load_dword v100, v102, s[0:3], 0 offen offset:8
	buffer_load_dword v101, v102, s[0:3], 0 offen offset:12
	buffer_load_dword v108, v102, s[0:3], 0 offen
	buffer_load_dword v109, v102, s[0:3], 0 offen offset:4
	v_mov_b32_e32 v102, s55
	v_cmp_eq_u32_e32 vcc_lo, 0, v99
	s_add_i32 s55, s55, 16
	ds_read_b128 v[104:107], v102
	s_or_b32 s5, vcc_lo, s5
	s_waitcnt vmcnt(2) lgkmcnt(0)
	v_mul_f64 v[110:111], v[106:107], v[100:101]
	v_mul_f64 v[100:101], v[104:105], v[100:101]
	s_waitcnt vmcnt(0)
	v_fma_f64 v[104:105], v[104:105], v[108:109], -v[110:111]
	v_fma_f64 v[100:101], v[106:107], v[108:109], v[100:101]
	v_add_f64 v[1:2], v[1:2], v[104:105]
	v_add_f64 v[3:4], v[3:4], v[100:101]
	s_andn2_b32 exec_lo, exec_lo, s5
	s_cbranch_execnz .LBB109_216
; %bb.217:
	s_or_b32 exec_lo, exec_lo, s5
.LBB109_218:
	s_or_b32 exec_lo, exec_lo, s8
	v_mov_b32_e32 v99, 0
	ds_read_b128 v[99:102], v99 offset:288
	s_waitcnt lgkmcnt(0)
	v_mul_f64 v[104:105], v[3:4], v[101:102]
	v_mul_f64 v[101:102], v[1:2], v[101:102]
	v_fma_f64 v[1:2], v[1:2], v[99:100], -v[104:105]
	v_fma_f64 v[3:4], v[3:4], v[99:100], v[101:102]
	buffer_store_dword v2, off, s[0:3], 0 offset:292
	buffer_store_dword v1, off, s[0:3], 0 offset:288
	;; [unrolled: 1-line block ×4, first 2 shown]
.LBB109_219:
	s_or_b32 exec_lo, exec_lo, s6
	v_mov_b32_e32 v4, s37
	v_cmp_lt_u32_e64 s5, 17, v0
	s_clause 0x3
	buffer_load_dword v1, v4, s[0:3], 0 offen
	buffer_load_dword v2, v4, s[0:3], 0 offen offset:4
	buffer_load_dword v3, v4, s[0:3], 0 offen offset:8
	;; [unrolled: 1-line block ×3, first 2 shown]
	s_waitcnt vmcnt(0)
	ds_write_b128 v98, v[1:4]
	s_waitcnt lgkmcnt(0)
	s_waitcnt_vscnt null, 0x0
	s_barrier
	buffer_gl0_inv
	s_and_saveexec_b32 s6, s5
	s_cbranch_execz .LBB109_227
; %bb.220:
	ds_read_b128 v[1:4], v98
	s_andn2_b32 vcc_lo, exec_lo, s54
	s_cbranch_vccnz .LBB109_222
; %bb.221:
	s_clause 0x3
	buffer_load_dword v99, v97, s[0:3], 0 offen offset:8
	buffer_load_dword v100, v97, s[0:3], 0 offen offset:12
	buffer_load_dword v101, v97, s[0:3], 0 offen
	buffer_load_dword v102, v97, s[0:3], 0 offen offset:4
	s_waitcnt vmcnt(2) lgkmcnt(0)
	v_mul_f64 v[104:105], v[3:4], v[99:100]
	v_mul_f64 v[99:100], v[1:2], v[99:100]
	s_waitcnt vmcnt(0)
	v_fma_f64 v[1:2], v[1:2], v[101:102], -v[104:105]
	v_fma_f64 v[3:4], v[3:4], v[101:102], v[99:100]
.LBB109_222:
	s_and_saveexec_b32 s8, s4
	s_cbranch_execz .LBB109_226
; %bb.223:
	v_subrev_nc_u32_e32 v99, 18, v0
	s_movk_i32 s55, 0x400
	s_mov_b32 s4, 0
	s_mov_b32 s56, s36
	.p2align	6
.LBB109_224:                            ; =>This Inner Loop Header: Depth=1
	v_mov_b32_e32 v102, s56
	v_add_nc_u32_e32 v99, -1, v99
	s_add_i32 s56, s56, 16
	s_clause 0x3
	buffer_load_dword v100, v102, s[0:3], 0 offen offset:8
	buffer_load_dword v101, v102, s[0:3], 0 offen offset:12
	buffer_load_dword v108, v102, s[0:3], 0 offen
	buffer_load_dword v109, v102, s[0:3], 0 offen offset:4
	v_mov_b32_e32 v102, s55
	v_cmp_eq_u32_e32 vcc_lo, 0, v99
	s_add_i32 s55, s55, 16
	ds_read_b128 v[104:107], v102
	s_or_b32 s4, vcc_lo, s4
	s_waitcnt vmcnt(2) lgkmcnt(0)
	v_mul_f64 v[110:111], v[106:107], v[100:101]
	v_mul_f64 v[100:101], v[104:105], v[100:101]
	s_waitcnt vmcnt(0)
	v_fma_f64 v[104:105], v[104:105], v[108:109], -v[110:111]
	v_fma_f64 v[100:101], v[106:107], v[108:109], v[100:101]
	v_add_f64 v[1:2], v[1:2], v[104:105]
	v_add_f64 v[3:4], v[3:4], v[100:101]
	s_andn2_b32 exec_lo, exec_lo, s4
	s_cbranch_execnz .LBB109_224
; %bb.225:
	s_or_b32 exec_lo, exec_lo, s4
.LBB109_226:
	s_or_b32 exec_lo, exec_lo, s8
	v_mov_b32_e32 v99, 0
	ds_read_b128 v[99:102], v99 offset:272
	s_waitcnt lgkmcnt(0)
	v_mul_f64 v[104:105], v[3:4], v[101:102]
	v_mul_f64 v[101:102], v[1:2], v[101:102]
	v_fma_f64 v[1:2], v[1:2], v[99:100], -v[104:105]
	v_fma_f64 v[3:4], v[3:4], v[99:100], v[101:102]
	buffer_store_dword v2, off, s[0:3], 0 offset:276
	buffer_store_dword v1, off, s[0:3], 0 offset:272
	;; [unrolled: 1-line block ×4, first 2 shown]
.LBB109_227:
	s_or_b32 exec_lo, exec_lo, s6
	v_mov_b32_e32 v4, s38
	v_cmp_lt_u32_e64 s4, 16, v0
	s_clause 0x3
	buffer_load_dword v1, v4, s[0:3], 0 offen
	buffer_load_dword v2, v4, s[0:3], 0 offen offset:4
	buffer_load_dword v3, v4, s[0:3], 0 offen offset:8
	;; [unrolled: 1-line block ×3, first 2 shown]
	s_waitcnt vmcnt(0)
	ds_write_b128 v98, v[1:4]
	s_waitcnt lgkmcnt(0)
	s_waitcnt_vscnt null, 0x0
	s_barrier
	buffer_gl0_inv
	s_and_saveexec_b32 s6, s4
	s_cbranch_execz .LBB109_235
; %bb.228:
	ds_read_b128 v[1:4], v98
	s_andn2_b32 vcc_lo, exec_lo, s54
	s_cbranch_vccnz .LBB109_230
; %bb.229:
	s_clause 0x3
	buffer_load_dword v99, v97, s[0:3], 0 offen offset:8
	buffer_load_dword v100, v97, s[0:3], 0 offen offset:12
	buffer_load_dword v101, v97, s[0:3], 0 offen
	buffer_load_dword v102, v97, s[0:3], 0 offen offset:4
	s_waitcnt vmcnt(2) lgkmcnt(0)
	v_mul_f64 v[104:105], v[3:4], v[99:100]
	v_mul_f64 v[99:100], v[1:2], v[99:100]
	s_waitcnt vmcnt(0)
	v_fma_f64 v[1:2], v[1:2], v[101:102], -v[104:105]
	v_fma_f64 v[3:4], v[3:4], v[101:102], v[99:100]
.LBB109_230:
	s_and_saveexec_b32 s8, s5
	s_cbranch_execz .LBB109_234
; %bb.231:
	v_subrev_nc_u32_e32 v99, 17, v0
	s_movk_i32 s55, 0x3f0
	s_mov_b32 s5, 0
	s_mov_b32 s56, s37
	.p2align	6
.LBB109_232:                            ; =>This Inner Loop Header: Depth=1
	v_mov_b32_e32 v102, s56
	v_add_nc_u32_e32 v99, -1, v99
	s_add_i32 s56, s56, 16
	s_clause 0x3
	buffer_load_dword v100, v102, s[0:3], 0 offen offset:8
	buffer_load_dword v101, v102, s[0:3], 0 offen offset:12
	buffer_load_dword v108, v102, s[0:3], 0 offen
	buffer_load_dword v109, v102, s[0:3], 0 offen offset:4
	v_mov_b32_e32 v102, s55
	v_cmp_eq_u32_e32 vcc_lo, 0, v99
	s_add_i32 s55, s55, 16
	ds_read_b128 v[104:107], v102
	s_or_b32 s5, vcc_lo, s5
	s_waitcnt vmcnt(2) lgkmcnt(0)
	v_mul_f64 v[110:111], v[106:107], v[100:101]
	v_mul_f64 v[100:101], v[104:105], v[100:101]
	s_waitcnt vmcnt(0)
	v_fma_f64 v[104:105], v[104:105], v[108:109], -v[110:111]
	v_fma_f64 v[100:101], v[106:107], v[108:109], v[100:101]
	v_add_f64 v[1:2], v[1:2], v[104:105]
	v_add_f64 v[3:4], v[3:4], v[100:101]
	s_andn2_b32 exec_lo, exec_lo, s5
	s_cbranch_execnz .LBB109_232
; %bb.233:
	s_or_b32 exec_lo, exec_lo, s5
.LBB109_234:
	s_or_b32 exec_lo, exec_lo, s8
	v_mov_b32_e32 v99, 0
	ds_read_b128 v[99:102], v99 offset:256
	s_waitcnt lgkmcnt(0)
	v_mul_f64 v[104:105], v[3:4], v[101:102]
	v_mul_f64 v[101:102], v[1:2], v[101:102]
	v_fma_f64 v[1:2], v[1:2], v[99:100], -v[104:105]
	v_fma_f64 v[3:4], v[3:4], v[99:100], v[101:102]
	buffer_store_dword v2, off, s[0:3], 0 offset:260
	buffer_store_dword v1, off, s[0:3], 0 offset:256
	;; [unrolled: 1-line block ×4, first 2 shown]
.LBB109_235:
	s_or_b32 exec_lo, exec_lo, s6
	v_mov_b32_e32 v4, s39
	v_cmp_lt_u32_e64 s5, 15, v0
	s_clause 0x3
	buffer_load_dword v1, v4, s[0:3], 0 offen
	buffer_load_dword v2, v4, s[0:3], 0 offen offset:4
	buffer_load_dword v3, v4, s[0:3], 0 offen offset:8
	;; [unrolled: 1-line block ×3, first 2 shown]
	s_waitcnt vmcnt(0)
	ds_write_b128 v98, v[1:4]
	s_waitcnt lgkmcnt(0)
	s_waitcnt_vscnt null, 0x0
	s_barrier
	buffer_gl0_inv
	s_and_saveexec_b32 s6, s5
	s_cbranch_execz .LBB109_243
; %bb.236:
	ds_read_b128 v[1:4], v98
	s_andn2_b32 vcc_lo, exec_lo, s54
	s_cbranch_vccnz .LBB109_238
; %bb.237:
	s_clause 0x3
	buffer_load_dword v99, v97, s[0:3], 0 offen offset:8
	buffer_load_dword v100, v97, s[0:3], 0 offen offset:12
	buffer_load_dword v101, v97, s[0:3], 0 offen
	buffer_load_dword v102, v97, s[0:3], 0 offen offset:4
	s_waitcnt vmcnt(2) lgkmcnt(0)
	v_mul_f64 v[104:105], v[3:4], v[99:100]
	v_mul_f64 v[99:100], v[1:2], v[99:100]
	s_waitcnt vmcnt(0)
	v_fma_f64 v[1:2], v[1:2], v[101:102], -v[104:105]
	v_fma_f64 v[3:4], v[3:4], v[101:102], v[99:100]
.LBB109_238:
	s_and_saveexec_b32 s8, s4
	s_cbranch_execz .LBB109_242
; %bb.239:
	v_add_nc_u32_e32 v99, -16, v0
	s_movk_i32 s55, 0x3e0
	s_mov_b32 s4, 0
	s_mov_b32 s56, s38
	.p2align	6
.LBB109_240:                            ; =>This Inner Loop Header: Depth=1
	v_mov_b32_e32 v102, s56
	v_add_nc_u32_e32 v99, -1, v99
	s_add_i32 s56, s56, 16
	s_clause 0x3
	buffer_load_dword v100, v102, s[0:3], 0 offen offset:8
	buffer_load_dword v101, v102, s[0:3], 0 offen offset:12
	buffer_load_dword v108, v102, s[0:3], 0 offen
	buffer_load_dword v109, v102, s[0:3], 0 offen offset:4
	v_mov_b32_e32 v102, s55
	v_cmp_eq_u32_e32 vcc_lo, 0, v99
	s_add_i32 s55, s55, 16
	ds_read_b128 v[104:107], v102
	s_or_b32 s4, vcc_lo, s4
	s_waitcnt vmcnt(2) lgkmcnt(0)
	v_mul_f64 v[110:111], v[106:107], v[100:101]
	v_mul_f64 v[100:101], v[104:105], v[100:101]
	s_waitcnt vmcnt(0)
	v_fma_f64 v[104:105], v[104:105], v[108:109], -v[110:111]
	v_fma_f64 v[100:101], v[106:107], v[108:109], v[100:101]
	v_add_f64 v[1:2], v[1:2], v[104:105]
	v_add_f64 v[3:4], v[3:4], v[100:101]
	s_andn2_b32 exec_lo, exec_lo, s4
	s_cbranch_execnz .LBB109_240
; %bb.241:
	s_or_b32 exec_lo, exec_lo, s4
.LBB109_242:
	s_or_b32 exec_lo, exec_lo, s8
	v_mov_b32_e32 v99, 0
	ds_read_b128 v[99:102], v99 offset:240
	s_waitcnt lgkmcnt(0)
	v_mul_f64 v[104:105], v[3:4], v[101:102]
	v_mul_f64 v[101:102], v[1:2], v[101:102]
	v_fma_f64 v[1:2], v[1:2], v[99:100], -v[104:105]
	v_fma_f64 v[3:4], v[3:4], v[99:100], v[101:102]
	buffer_store_dword v2, off, s[0:3], 0 offset:244
	buffer_store_dword v1, off, s[0:3], 0 offset:240
	;; [unrolled: 1-line block ×4, first 2 shown]
.LBB109_243:
	s_or_b32 exec_lo, exec_lo, s6
	v_mov_b32_e32 v4, s40
	v_cmp_lt_u32_e64 s4, 14, v0
	s_clause 0x3
	buffer_load_dword v1, v4, s[0:3], 0 offen
	buffer_load_dword v2, v4, s[0:3], 0 offen offset:4
	buffer_load_dword v3, v4, s[0:3], 0 offen offset:8
	;; [unrolled: 1-line block ×3, first 2 shown]
	s_waitcnt vmcnt(0)
	ds_write_b128 v98, v[1:4]
	s_waitcnt lgkmcnt(0)
	s_waitcnt_vscnt null, 0x0
	s_barrier
	buffer_gl0_inv
	s_and_saveexec_b32 s6, s4
	s_cbranch_execz .LBB109_251
; %bb.244:
	ds_read_b128 v[1:4], v98
	s_andn2_b32 vcc_lo, exec_lo, s54
	s_cbranch_vccnz .LBB109_246
; %bb.245:
	s_clause 0x3
	buffer_load_dword v99, v97, s[0:3], 0 offen offset:8
	buffer_load_dword v100, v97, s[0:3], 0 offen offset:12
	buffer_load_dword v101, v97, s[0:3], 0 offen
	buffer_load_dword v102, v97, s[0:3], 0 offen offset:4
	s_waitcnt vmcnt(2) lgkmcnt(0)
	v_mul_f64 v[104:105], v[3:4], v[99:100]
	v_mul_f64 v[99:100], v[1:2], v[99:100]
	s_waitcnt vmcnt(0)
	v_fma_f64 v[1:2], v[1:2], v[101:102], -v[104:105]
	v_fma_f64 v[3:4], v[3:4], v[101:102], v[99:100]
.LBB109_246:
	s_and_saveexec_b32 s8, s5
	s_cbranch_execz .LBB109_250
; %bb.247:
	v_add_nc_u32_e32 v99, -15, v0
	s_movk_i32 s55, 0x3d0
	s_mov_b32 s5, 0
	s_mov_b32 s56, s39
	.p2align	6
.LBB109_248:                            ; =>This Inner Loop Header: Depth=1
	v_mov_b32_e32 v102, s56
	v_add_nc_u32_e32 v99, -1, v99
	s_add_i32 s56, s56, 16
	s_clause 0x3
	buffer_load_dword v100, v102, s[0:3], 0 offen offset:8
	buffer_load_dword v101, v102, s[0:3], 0 offen offset:12
	buffer_load_dword v108, v102, s[0:3], 0 offen
	buffer_load_dword v109, v102, s[0:3], 0 offen offset:4
	v_mov_b32_e32 v102, s55
	v_cmp_eq_u32_e32 vcc_lo, 0, v99
	s_add_i32 s55, s55, 16
	ds_read_b128 v[104:107], v102
	s_or_b32 s5, vcc_lo, s5
	s_waitcnt vmcnt(2) lgkmcnt(0)
	v_mul_f64 v[110:111], v[106:107], v[100:101]
	v_mul_f64 v[100:101], v[104:105], v[100:101]
	s_waitcnt vmcnt(0)
	v_fma_f64 v[104:105], v[104:105], v[108:109], -v[110:111]
	v_fma_f64 v[100:101], v[106:107], v[108:109], v[100:101]
	v_add_f64 v[1:2], v[1:2], v[104:105]
	v_add_f64 v[3:4], v[3:4], v[100:101]
	s_andn2_b32 exec_lo, exec_lo, s5
	s_cbranch_execnz .LBB109_248
; %bb.249:
	s_or_b32 exec_lo, exec_lo, s5
.LBB109_250:
	s_or_b32 exec_lo, exec_lo, s8
	v_mov_b32_e32 v99, 0
	ds_read_b128 v[99:102], v99 offset:224
	s_waitcnt lgkmcnt(0)
	v_mul_f64 v[104:105], v[3:4], v[101:102]
	v_mul_f64 v[101:102], v[1:2], v[101:102]
	v_fma_f64 v[1:2], v[1:2], v[99:100], -v[104:105]
	v_fma_f64 v[3:4], v[3:4], v[99:100], v[101:102]
	buffer_store_dword v2, off, s[0:3], 0 offset:228
	buffer_store_dword v1, off, s[0:3], 0 offset:224
	;; [unrolled: 1-line block ×4, first 2 shown]
.LBB109_251:
	s_or_b32 exec_lo, exec_lo, s6
	v_mov_b32_e32 v4, s41
	v_cmp_lt_u32_e64 s5, 13, v0
	s_clause 0x3
	buffer_load_dword v1, v4, s[0:3], 0 offen
	buffer_load_dword v2, v4, s[0:3], 0 offen offset:4
	buffer_load_dword v3, v4, s[0:3], 0 offen offset:8
	;; [unrolled: 1-line block ×3, first 2 shown]
	s_waitcnt vmcnt(0)
	ds_write_b128 v98, v[1:4]
	s_waitcnt lgkmcnt(0)
	s_waitcnt_vscnt null, 0x0
	s_barrier
	buffer_gl0_inv
	s_and_saveexec_b32 s6, s5
	s_cbranch_execz .LBB109_259
; %bb.252:
	ds_read_b128 v[1:4], v98
	s_andn2_b32 vcc_lo, exec_lo, s54
	s_cbranch_vccnz .LBB109_254
; %bb.253:
	s_clause 0x3
	buffer_load_dword v99, v97, s[0:3], 0 offen offset:8
	buffer_load_dword v100, v97, s[0:3], 0 offen offset:12
	buffer_load_dword v101, v97, s[0:3], 0 offen
	buffer_load_dword v102, v97, s[0:3], 0 offen offset:4
	s_waitcnt vmcnt(2) lgkmcnt(0)
	v_mul_f64 v[104:105], v[3:4], v[99:100]
	v_mul_f64 v[99:100], v[1:2], v[99:100]
	s_waitcnt vmcnt(0)
	v_fma_f64 v[1:2], v[1:2], v[101:102], -v[104:105]
	v_fma_f64 v[3:4], v[3:4], v[101:102], v[99:100]
.LBB109_254:
	s_and_saveexec_b32 s8, s4
	s_cbranch_execz .LBB109_258
; %bb.255:
	v_add_nc_u32_e32 v99, -14, v0
	s_movk_i32 s55, 0x3c0
	s_mov_b32 s4, 0
	s_mov_b32 s56, s40
	.p2align	6
.LBB109_256:                            ; =>This Inner Loop Header: Depth=1
	v_mov_b32_e32 v102, s56
	v_add_nc_u32_e32 v99, -1, v99
	s_add_i32 s56, s56, 16
	s_clause 0x3
	buffer_load_dword v100, v102, s[0:3], 0 offen offset:8
	buffer_load_dword v101, v102, s[0:3], 0 offen offset:12
	buffer_load_dword v108, v102, s[0:3], 0 offen
	buffer_load_dword v109, v102, s[0:3], 0 offen offset:4
	v_mov_b32_e32 v102, s55
	v_cmp_eq_u32_e32 vcc_lo, 0, v99
	s_add_i32 s55, s55, 16
	ds_read_b128 v[104:107], v102
	s_or_b32 s4, vcc_lo, s4
	s_waitcnt vmcnt(2) lgkmcnt(0)
	v_mul_f64 v[110:111], v[106:107], v[100:101]
	v_mul_f64 v[100:101], v[104:105], v[100:101]
	s_waitcnt vmcnt(0)
	v_fma_f64 v[104:105], v[104:105], v[108:109], -v[110:111]
	v_fma_f64 v[100:101], v[106:107], v[108:109], v[100:101]
	v_add_f64 v[1:2], v[1:2], v[104:105]
	v_add_f64 v[3:4], v[3:4], v[100:101]
	s_andn2_b32 exec_lo, exec_lo, s4
	s_cbranch_execnz .LBB109_256
; %bb.257:
	s_or_b32 exec_lo, exec_lo, s4
.LBB109_258:
	s_or_b32 exec_lo, exec_lo, s8
	v_mov_b32_e32 v99, 0
	ds_read_b128 v[99:102], v99 offset:208
	s_waitcnt lgkmcnt(0)
	v_mul_f64 v[104:105], v[3:4], v[101:102]
	v_mul_f64 v[101:102], v[1:2], v[101:102]
	v_fma_f64 v[1:2], v[1:2], v[99:100], -v[104:105]
	v_fma_f64 v[3:4], v[3:4], v[99:100], v[101:102]
	buffer_store_dword v2, off, s[0:3], 0 offset:212
	buffer_store_dword v1, off, s[0:3], 0 offset:208
	;; [unrolled: 1-line block ×4, first 2 shown]
.LBB109_259:
	s_or_b32 exec_lo, exec_lo, s6
	v_mov_b32_e32 v4, s42
	v_cmp_lt_u32_e64 s4, 12, v0
	s_clause 0x3
	buffer_load_dword v1, v4, s[0:3], 0 offen
	buffer_load_dword v2, v4, s[0:3], 0 offen offset:4
	buffer_load_dword v3, v4, s[0:3], 0 offen offset:8
	buffer_load_dword v4, v4, s[0:3], 0 offen offset:12
	s_waitcnt vmcnt(0)
	ds_write_b128 v98, v[1:4]
	s_waitcnt lgkmcnt(0)
	s_waitcnt_vscnt null, 0x0
	s_barrier
	buffer_gl0_inv
	s_and_saveexec_b32 s6, s4
	s_cbranch_execz .LBB109_267
; %bb.260:
	ds_read_b128 v[1:4], v98
	s_andn2_b32 vcc_lo, exec_lo, s54
	s_cbranch_vccnz .LBB109_262
; %bb.261:
	s_clause 0x3
	buffer_load_dword v99, v97, s[0:3], 0 offen offset:8
	buffer_load_dword v100, v97, s[0:3], 0 offen offset:12
	buffer_load_dword v101, v97, s[0:3], 0 offen
	buffer_load_dword v102, v97, s[0:3], 0 offen offset:4
	s_waitcnt vmcnt(2) lgkmcnt(0)
	v_mul_f64 v[104:105], v[3:4], v[99:100]
	v_mul_f64 v[99:100], v[1:2], v[99:100]
	s_waitcnt vmcnt(0)
	v_fma_f64 v[1:2], v[1:2], v[101:102], -v[104:105]
	v_fma_f64 v[3:4], v[3:4], v[101:102], v[99:100]
.LBB109_262:
	s_and_saveexec_b32 s8, s5
	s_cbranch_execz .LBB109_266
; %bb.263:
	v_add_nc_u32_e32 v99, -13, v0
	s_movk_i32 s55, 0x3b0
	s_mov_b32 s5, 0
	s_mov_b32 s56, s41
	.p2align	6
.LBB109_264:                            ; =>This Inner Loop Header: Depth=1
	v_mov_b32_e32 v102, s56
	v_add_nc_u32_e32 v99, -1, v99
	s_add_i32 s56, s56, 16
	s_clause 0x3
	buffer_load_dword v100, v102, s[0:3], 0 offen offset:8
	buffer_load_dword v101, v102, s[0:3], 0 offen offset:12
	buffer_load_dword v108, v102, s[0:3], 0 offen
	buffer_load_dword v109, v102, s[0:3], 0 offen offset:4
	v_mov_b32_e32 v102, s55
	v_cmp_eq_u32_e32 vcc_lo, 0, v99
	s_add_i32 s55, s55, 16
	ds_read_b128 v[104:107], v102
	s_or_b32 s5, vcc_lo, s5
	s_waitcnt vmcnt(2) lgkmcnt(0)
	v_mul_f64 v[110:111], v[106:107], v[100:101]
	v_mul_f64 v[100:101], v[104:105], v[100:101]
	s_waitcnt vmcnt(0)
	v_fma_f64 v[104:105], v[104:105], v[108:109], -v[110:111]
	v_fma_f64 v[100:101], v[106:107], v[108:109], v[100:101]
	v_add_f64 v[1:2], v[1:2], v[104:105]
	v_add_f64 v[3:4], v[3:4], v[100:101]
	s_andn2_b32 exec_lo, exec_lo, s5
	s_cbranch_execnz .LBB109_264
; %bb.265:
	s_or_b32 exec_lo, exec_lo, s5
.LBB109_266:
	s_or_b32 exec_lo, exec_lo, s8
	v_mov_b32_e32 v99, 0
	ds_read_b128 v[99:102], v99 offset:192
	s_waitcnt lgkmcnt(0)
	v_mul_f64 v[104:105], v[3:4], v[101:102]
	v_mul_f64 v[101:102], v[1:2], v[101:102]
	v_fma_f64 v[1:2], v[1:2], v[99:100], -v[104:105]
	v_fma_f64 v[3:4], v[3:4], v[99:100], v[101:102]
	buffer_store_dword v2, off, s[0:3], 0 offset:196
	buffer_store_dword v1, off, s[0:3], 0 offset:192
	;; [unrolled: 1-line block ×4, first 2 shown]
.LBB109_267:
	s_or_b32 exec_lo, exec_lo, s6
	v_mov_b32_e32 v4, s43
	v_cmp_lt_u32_e64 s5, 11, v0
	s_clause 0x3
	buffer_load_dword v1, v4, s[0:3], 0 offen
	buffer_load_dword v2, v4, s[0:3], 0 offen offset:4
	buffer_load_dword v3, v4, s[0:3], 0 offen offset:8
	;; [unrolled: 1-line block ×3, first 2 shown]
	s_waitcnt vmcnt(0)
	ds_write_b128 v98, v[1:4]
	s_waitcnt lgkmcnt(0)
	s_waitcnt_vscnt null, 0x0
	s_barrier
	buffer_gl0_inv
	s_and_saveexec_b32 s6, s5
	s_cbranch_execz .LBB109_275
; %bb.268:
	ds_read_b128 v[1:4], v98
	s_andn2_b32 vcc_lo, exec_lo, s54
	s_cbranch_vccnz .LBB109_270
; %bb.269:
	s_clause 0x3
	buffer_load_dword v99, v97, s[0:3], 0 offen offset:8
	buffer_load_dword v100, v97, s[0:3], 0 offen offset:12
	buffer_load_dword v101, v97, s[0:3], 0 offen
	buffer_load_dword v102, v97, s[0:3], 0 offen offset:4
	s_waitcnt vmcnt(2) lgkmcnt(0)
	v_mul_f64 v[104:105], v[3:4], v[99:100]
	v_mul_f64 v[99:100], v[1:2], v[99:100]
	s_waitcnt vmcnt(0)
	v_fma_f64 v[1:2], v[1:2], v[101:102], -v[104:105]
	v_fma_f64 v[3:4], v[3:4], v[101:102], v[99:100]
.LBB109_270:
	s_and_saveexec_b32 s8, s4
	s_cbranch_execz .LBB109_274
; %bb.271:
	v_add_nc_u32_e32 v99, -12, v0
	s_movk_i32 s55, 0x3a0
	s_mov_b32 s4, 0
	s_mov_b32 s56, s42
	.p2align	6
.LBB109_272:                            ; =>This Inner Loop Header: Depth=1
	v_mov_b32_e32 v102, s56
	v_add_nc_u32_e32 v99, -1, v99
	s_add_i32 s56, s56, 16
	s_clause 0x3
	buffer_load_dword v100, v102, s[0:3], 0 offen offset:8
	buffer_load_dword v101, v102, s[0:3], 0 offen offset:12
	buffer_load_dword v108, v102, s[0:3], 0 offen
	buffer_load_dword v109, v102, s[0:3], 0 offen offset:4
	v_mov_b32_e32 v102, s55
	v_cmp_eq_u32_e32 vcc_lo, 0, v99
	s_add_i32 s55, s55, 16
	ds_read_b128 v[104:107], v102
	s_or_b32 s4, vcc_lo, s4
	s_waitcnt vmcnt(2) lgkmcnt(0)
	v_mul_f64 v[110:111], v[106:107], v[100:101]
	v_mul_f64 v[100:101], v[104:105], v[100:101]
	s_waitcnt vmcnt(0)
	v_fma_f64 v[104:105], v[104:105], v[108:109], -v[110:111]
	v_fma_f64 v[100:101], v[106:107], v[108:109], v[100:101]
	v_add_f64 v[1:2], v[1:2], v[104:105]
	v_add_f64 v[3:4], v[3:4], v[100:101]
	s_andn2_b32 exec_lo, exec_lo, s4
	s_cbranch_execnz .LBB109_272
; %bb.273:
	s_or_b32 exec_lo, exec_lo, s4
.LBB109_274:
	s_or_b32 exec_lo, exec_lo, s8
	v_mov_b32_e32 v99, 0
	ds_read_b128 v[99:102], v99 offset:176
	s_waitcnt lgkmcnt(0)
	v_mul_f64 v[104:105], v[3:4], v[101:102]
	v_mul_f64 v[101:102], v[1:2], v[101:102]
	v_fma_f64 v[1:2], v[1:2], v[99:100], -v[104:105]
	v_fma_f64 v[3:4], v[3:4], v[99:100], v[101:102]
	buffer_store_dword v2, off, s[0:3], 0 offset:180
	buffer_store_dword v1, off, s[0:3], 0 offset:176
	;; [unrolled: 1-line block ×4, first 2 shown]
.LBB109_275:
	s_or_b32 exec_lo, exec_lo, s6
	v_mov_b32_e32 v4, s44
	v_cmp_lt_u32_e64 s4, 10, v0
	s_clause 0x3
	buffer_load_dword v1, v4, s[0:3], 0 offen
	buffer_load_dword v2, v4, s[0:3], 0 offen offset:4
	buffer_load_dword v3, v4, s[0:3], 0 offen offset:8
	;; [unrolled: 1-line block ×3, first 2 shown]
	s_waitcnt vmcnt(0)
	ds_write_b128 v98, v[1:4]
	s_waitcnt lgkmcnt(0)
	s_waitcnt_vscnt null, 0x0
	s_barrier
	buffer_gl0_inv
	s_and_saveexec_b32 s6, s4
	s_cbranch_execz .LBB109_283
; %bb.276:
	ds_read_b128 v[1:4], v98
	s_andn2_b32 vcc_lo, exec_lo, s54
	s_cbranch_vccnz .LBB109_278
; %bb.277:
	s_clause 0x3
	buffer_load_dword v99, v97, s[0:3], 0 offen offset:8
	buffer_load_dword v100, v97, s[0:3], 0 offen offset:12
	buffer_load_dword v101, v97, s[0:3], 0 offen
	buffer_load_dword v102, v97, s[0:3], 0 offen offset:4
	s_waitcnt vmcnt(2) lgkmcnt(0)
	v_mul_f64 v[104:105], v[3:4], v[99:100]
	v_mul_f64 v[99:100], v[1:2], v[99:100]
	s_waitcnt vmcnt(0)
	v_fma_f64 v[1:2], v[1:2], v[101:102], -v[104:105]
	v_fma_f64 v[3:4], v[3:4], v[101:102], v[99:100]
.LBB109_278:
	s_and_saveexec_b32 s8, s5
	s_cbranch_execz .LBB109_282
; %bb.279:
	v_add_nc_u32_e32 v99, -11, v0
	s_movk_i32 s55, 0x390
	s_mov_b32 s5, 0
	s_mov_b32 s56, s43
	.p2align	6
.LBB109_280:                            ; =>This Inner Loop Header: Depth=1
	v_mov_b32_e32 v102, s56
	v_add_nc_u32_e32 v99, -1, v99
	s_add_i32 s56, s56, 16
	s_clause 0x3
	buffer_load_dword v100, v102, s[0:3], 0 offen offset:8
	buffer_load_dword v101, v102, s[0:3], 0 offen offset:12
	buffer_load_dword v108, v102, s[0:3], 0 offen
	buffer_load_dword v109, v102, s[0:3], 0 offen offset:4
	v_mov_b32_e32 v102, s55
	v_cmp_eq_u32_e32 vcc_lo, 0, v99
	s_add_i32 s55, s55, 16
	ds_read_b128 v[104:107], v102
	s_or_b32 s5, vcc_lo, s5
	s_waitcnt vmcnt(2) lgkmcnt(0)
	v_mul_f64 v[110:111], v[106:107], v[100:101]
	v_mul_f64 v[100:101], v[104:105], v[100:101]
	s_waitcnt vmcnt(0)
	v_fma_f64 v[104:105], v[104:105], v[108:109], -v[110:111]
	v_fma_f64 v[100:101], v[106:107], v[108:109], v[100:101]
	v_add_f64 v[1:2], v[1:2], v[104:105]
	v_add_f64 v[3:4], v[3:4], v[100:101]
	s_andn2_b32 exec_lo, exec_lo, s5
	s_cbranch_execnz .LBB109_280
; %bb.281:
	s_or_b32 exec_lo, exec_lo, s5
.LBB109_282:
	s_or_b32 exec_lo, exec_lo, s8
	v_mov_b32_e32 v99, 0
	ds_read_b128 v[99:102], v99 offset:160
	s_waitcnt lgkmcnt(0)
	v_mul_f64 v[104:105], v[3:4], v[101:102]
	v_mul_f64 v[101:102], v[1:2], v[101:102]
	v_fma_f64 v[1:2], v[1:2], v[99:100], -v[104:105]
	v_fma_f64 v[3:4], v[3:4], v[99:100], v[101:102]
	buffer_store_dword v2, off, s[0:3], 0 offset:164
	buffer_store_dword v1, off, s[0:3], 0 offset:160
	;; [unrolled: 1-line block ×4, first 2 shown]
.LBB109_283:
	s_or_b32 exec_lo, exec_lo, s6
	v_mov_b32_e32 v4, s45
	v_cmp_lt_u32_e64 s5, 9, v0
	s_clause 0x3
	buffer_load_dword v1, v4, s[0:3], 0 offen
	buffer_load_dword v2, v4, s[0:3], 0 offen offset:4
	buffer_load_dword v3, v4, s[0:3], 0 offen offset:8
	;; [unrolled: 1-line block ×3, first 2 shown]
	s_waitcnt vmcnt(0)
	ds_write_b128 v98, v[1:4]
	s_waitcnt lgkmcnt(0)
	s_waitcnt_vscnt null, 0x0
	s_barrier
	buffer_gl0_inv
	s_and_saveexec_b32 s6, s5
	s_cbranch_execz .LBB109_291
; %bb.284:
	ds_read_b128 v[1:4], v98
	s_andn2_b32 vcc_lo, exec_lo, s54
	s_cbranch_vccnz .LBB109_286
; %bb.285:
	s_clause 0x3
	buffer_load_dword v99, v97, s[0:3], 0 offen offset:8
	buffer_load_dword v100, v97, s[0:3], 0 offen offset:12
	buffer_load_dword v101, v97, s[0:3], 0 offen
	buffer_load_dword v102, v97, s[0:3], 0 offen offset:4
	s_waitcnt vmcnt(2) lgkmcnt(0)
	v_mul_f64 v[104:105], v[3:4], v[99:100]
	v_mul_f64 v[99:100], v[1:2], v[99:100]
	s_waitcnt vmcnt(0)
	v_fma_f64 v[1:2], v[1:2], v[101:102], -v[104:105]
	v_fma_f64 v[3:4], v[3:4], v[101:102], v[99:100]
.LBB109_286:
	s_and_saveexec_b32 s8, s4
	s_cbranch_execz .LBB109_290
; %bb.287:
	v_add_nc_u32_e32 v99, -10, v0
	s_movk_i32 s55, 0x380
	s_mov_b32 s4, 0
	s_mov_b32 s56, s44
	.p2align	6
.LBB109_288:                            ; =>This Inner Loop Header: Depth=1
	v_mov_b32_e32 v102, s56
	v_add_nc_u32_e32 v99, -1, v99
	s_add_i32 s56, s56, 16
	s_clause 0x3
	buffer_load_dword v100, v102, s[0:3], 0 offen offset:8
	buffer_load_dword v101, v102, s[0:3], 0 offen offset:12
	buffer_load_dword v108, v102, s[0:3], 0 offen
	buffer_load_dword v109, v102, s[0:3], 0 offen offset:4
	v_mov_b32_e32 v102, s55
	v_cmp_eq_u32_e32 vcc_lo, 0, v99
	s_add_i32 s55, s55, 16
	ds_read_b128 v[104:107], v102
	s_or_b32 s4, vcc_lo, s4
	s_waitcnt vmcnt(2) lgkmcnt(0)
	v_mul_f64 v[110:111], v[106:107], v[100:101]
	v_mul_f64 v[100:101], v[104:105], v[100:101]
	s_waitcnt vmcnt(0)
	v_fma_f64 v[104:105], v[104:105], v[108:109], -v[110:111]
	v_fma_f64 v[100:101], v[106:107], v[108:109], v[100:101]
	v_add_f64 v[1:2], v[1:2], v[104:105]
	v_add_f64 v[3:4], v[3:4], v[100:101]
	s_andn2_b32 exec_lo, exec_lo, s4
	s_cbranch_execnz .LBB109_288
; %bb.289:
	s_or_b32 exec_lo, exec_lo, s4
.LBB109_290:
	s_or_b32 exec_lo, exec_lo, s8
	v_mov_b32_e32 v99, 0
	ds_read_b128 v[99:102], v99 offset:144
	s_waitcnt lgkmcnt(0)
	v_mul_f64 v[104:105], v[3:4], v[101:102]
	v_mul_f64 v[101:102], v[1:2], v[101:102]
	v_fma_f64 v[1:2], v[1:2], v[99:100], -v[104:105]
	v_fma_f64 v[3:4], v[3:4], v[99:100], v[101:102]
	buffer_store_dword v2, off, s[0:3], 0 offset:148
	buffer_store_dword v1, off, s[0:3], 0 offset:144
	;; [unrolled: 1-line block ×4, first 2 shown]
.LBB109_291:
	s_or_b32 exec_lo, exec_lo, s6
	v_mov_b32_e32 v4, s46
	v_cmp_lt_u32_e64 s4, 8, v0
	s_clause 0x3
	buffer_load_dword v1, v4, s[0:3], 0 offen
	buffer_load_dword v2, v4, s[0:3], 0 offen offset:4
	buffer_load_dword v3, v4, s[0:3], 0 offen offset:8
	;; [unrolled: 1-line block ×3, first 2 shown]
	s_waitcnt vmcnt(0)
	ds_write_b128 v98, v[1:4]
	s_waitcnt lgkmcnt(0)
	s_waitcnt_vscnt null, 0x0
	s_barrier
	buffer_gl0_inv
	s_and_saveexec_b32 s6, s4
	s_cbranch_execz .LBB109_299
; %bb.292:
	ds_read_b128 v[1:4], v98
	s_andn2_b32 vcc_lo, exec_lo, s54
	s_cbranch_vccnz .LBB109_294
; %bb.293:
	s_clause 0x3
	buffer_load_dword v99, v97, s[0:3], 0 offen offset:8
	buffer_load_dword v100, v97, s[0:3], 0 offen offset:12
	buffer_load_dword v101, v97, s[0:3], 0 offen
	buffer_load_dword v102, v97, s[0:3], 0 offen offset:4
	s_waitcnt vmcnt(2) lgkmcnt(0)
	v_mul_f64 v[104:105], v[3:4], v[99:100]
	v_mul_f64 v[99:100], v[1:2], v[99:100]
	s_waitcnt vmcnt(0)
	v_fma_f64 v[1:2], v[1:2], v[101:102], -v[104:105]
	v_fma_f64 v[3:4], v[3:4], v[101:102], v[99:100]
.LBB109_294:
	s_and_saveexec_b32 s8, s5
	s_cbranch_execz .LBB109_298
; %bb.295:
	v_add_nc_u32_e32 v99, -9, v0
	s_movk_i32 s55, 0x370
	s_mov_b32 s5, 0
	s_mov_b32 s56, s45
	.p2align	6
.LBB109_296:                            ; =>This Inner Loop Header: Depth=1
	v_mov_b32_e32 v102, s56
	v_add_nc_u32_e32 v99, -1, v99
	s_add_i32 s56, s56, 16
	s_clause 0x3
	buffer_load_dword v100, v102, s[0:3], 0 offen offset:8
	buffer_load_dword v101, v102, s[0:3], 0 offen offset:12
	buffer_load_dword v108, v102, s[0:3], 0 offen
	buffer_load_dword v109, v102, s[0:3], 0 offen offset:4
	v_mov_b32_e32 v102, s55
	v_cmp_eq_u32_e32 vcc_lo, 0, v99
	s_add_i32 s55, s55, 16
	ds_read_b128 v[104:107], v102
	s_or_b32 s5, vcc_lo, s5
	s_waitcnt vmcnt(2) lgkmcnt(0)
	v_mul_f64 v[110:111], v[106:107], v[100:101]
	v_mul_f64 v[100:101], v[104:105], v[100:101]
	s_waitcnt vmcnt(0)
	v_fma_f64 v[104:105], v[104:105], v[108:109], -v[110:111]
	v_fma_f64 v[100:101], v[106:107], v[108:109], v[100:101]
	v_add_f64 v[1:2], v[1:2], v[104:105]
	v_add_f64 v[3:4], v[3:4], v[100:101]
	s_andn2_b32 exec_lo, exec_lo, s5
	s_cbranch_execnz .LBB109_296
; %bb.297:
	s_or_b32 exec_lo, exec_lo, s5
.LBB109_298:
	s_or_b32 exec_lo, exec_lo, s8
	v_mov_b32_e32 v99, 0
	ds_read_b128 v[99:102], v99 offset:128
	s_waitcnt lgkmcnt(0)
	v_mul_f64 v[104:105], v[3:4], v[101:102]
	v_mul_f64 v[101:102], v[1:2], v[101:102]
	v_fma_f64 v[1:2], v[1:2], v[99:100], -v[104:105]
	v_fma_f64 v[3:4], v[3:4], v[99:100], v[101:102]
	buffer_store_dword v2, off, s[0:3], 0 offset:132
	buffer_store_dword v1, off, s[0:3], 0 offset:128
	;; [unrolled: 1-line block ×4, first 2 shown]
.LBB109_299:
	s_or_b32 exec_lo, exec_lo, s6
	v_mov_b32_e32 v4, s47
	v_cmp_lt_u32_e64 s5, 7, v0
	s_clause 0x3
	buffer_load_dword v1, v4, s[0:3], 0 offen
	buffer_load_dword v2, v4, s[0:3], 0 offen offset:4
	buffer_load_dword v3, v4, s[0:3], 0 offen offset:8
	;; [unrolled: 1-line block ×3, first 2 shown]
	s_waitcnt vmcnt(0)
	ds_write_b128 v98, v[1:4]
	s_waitcnt lgkmcnt(0)
	s_waitcnt_vscnt null, 0x0
	s_barrier
	buffer_gl0_inv
	s_and_saveexec_b32 s6, s5
	s_cbranch_execz .LBB109_307
; %bb.300:
	ds_read_b128 v[1:4], v98
	s_andn2_b32 vcc_lo, exec_lo, s54
	s_cbranch_vccnz .LBB109_302
; %bb.301:
	s_clause 0x3
	buffer_load_dword v99, v97, s[0:3], 0 offen offset:8
	buffer_load_dword v100, v97, s[0:3], 0 offen offset:12
	buffer_load_dword v101, v97, s[0:3], 0 offen
	buffer_load_dword v102, v97, s[0:3], 0 offen offset:4
	s_waitcnt vmcnt(2) lgkmcnt(0)
	v_mul_f64 v[104:105], v[3:4], v[99:100]
	v_mul_f64 v[99:100], v[1:2], v[99:100]
	s_waitcnt vmcnt(0)
	v_fma_f64 v[1:2], v[1:2], v[101:102], -v[104:105]
	v_fma_f64 v[3:4], v[3:4], v[101:102], v[99:100]
.LBB109_302:
	s_and_saveexec_b32 s8, s4
	s_cbranch_execz .LBB109_306
; %bb.303:
	v_add_nc_u32_e32 v99, -8, v0
	s_movk_i32 s55, 0x360
	s_mov_b32 s4, 0
	s_mov_b32 s56, s46
	.p2align	6
.LBB109_304:                            ; =>This Inner Loop Header: Depth=1
	v_mov_b32_e32 v102, s56
	v_add_nc_u32_e32 v99, -1, v99
	s_add_i32 s56, s56, 16
	s_clause 0x3
	buffer_load_dword v100, v102, s[0:3], 0 offen offset:8
	buffer_load_dword v101, v102, s[0:3], 0 offen offset:12
	buffer_load_dword v108, v102, s[0:3], 0 offen
	buffer_load_dword v109, v102, s[0:3], 0 offen offset:4
	v_mov_b32_e32 v102, s55
	v_cmp_eq_u32_e32 vcc_lo, 0, v99
	s_add_i32 s55, s55, 16
	ds_read_b128 v[104:107], v102
	s_or_b32 s4, vcc_lo, s4
	s_waitcnt vmcnt(2) lgkmcnt(0)
	v_mul_f64 v[110:111], v[106:107], v[100:101]
	v_mul_f64 v[100:101], v[104:105], v[100:101]
	s_waitcnt vmcnt(0)
	v_fma_f64 v[104:105], v[104:105], v[108:109], -v[110:111]
	v_fma_f64 v[100:101], v[106:107], v[108:109], v[100:101]
	v_add_f64 v[1:2], v[1:2], v[104:105]
	v_add_f64 v[3:4], v[3:4], v[100:101]
	s_andn2_b32 exec_lo, exec_lo, s4
	s_cbranch_execnz .LBB109_304
; %bb.305:
	s_or_b32 exec_lo, exec_lo, s4
.LBB109_306:
	s_or_b32 exec_lo, exec_lo, s8
	v_mov_b32_e32 v99, 0
	ds_read_b128 v[99:102], v99 offset:112
	s_waitcnt lgkmcnt(0)
	v_mul_f64 v[104:105], v[3:4], v[101:102]
	v_mul_f64 v[101:102], v[1:2], v[101:102]
	v_fma_f64 v[1:2], v[1:2], v[99:100], -v[104:105]
	v_fma_f64 v[3:4], v[3:4], v[99:100], v[101:102]
	buffer_store_dword v2, off, s[0:3], 0 offset:116
	buffer_store_dword v1, off, s[0:3], 0 offset:112
	;; [unrolled: 1-line block ×4, first 2 shown]
.LBB109_307:
	s_or_b32 exec_lo, exec_lo, s6
	v_mov_b32_e32 v4, s48
	v_cmp_lt_u32_e64 s4, 6, v0
	s_clause 0x3
	buffer_load_dword v1, v4, s[0:3], 0 offen
	buffer_load_dword v2, v4, s[0:3], 0 offen offset:4
	buffer_load_dword v3, v4, s[0:3], 0 offen offset:8
	;; [unrolled: 1-line block ×3, first 2 shown]
	s_waitcnt vmcnt(0)
	ds_write_b128 v98, v[1:4]
	s_waitcnt lgkmcnt(0)
	s_waitcnt_vscnt null, 0x0
	s_barrier
	buffer_gl0_inv
	s_and_saveexec_b32 s6, s4
	s_cbranch_execz .LBB109_315
; %bb.308:
	ds_read_b128 v[1:4], v98
	s_andn2_b32 vcc_lo, exec_lo, s54
	s_cbranch_vccnz .LBB109_310
; %bb.309:
	s_clause 0x3
	buffer_load_dword v99, v97, s[0:3], 0 offen offset:8
	buffer_load_dword v100, v97, s[0:3], 0 offen offset:12
	buffer_load_dword v101, v97, s[0:3], 0 offen
	buffer_load_dword v102, v97, s[0:3], 0 offen offset:4
	s_waitcnt vmcnt(2) lgkmcnt(0)
	v_mul_f64 v[104:105], v[3:4], v[99:100]
	v_mul_f64 v[99:100], v[1:2], v[99:100]
	s_waitcnt vmcnt(0)
	v_fma_f64 v[1:2], v[1:2], v[101:102], -v[104:105]
	v_fma_f64 v[3:4], v[3:4], v[101:102], v[99:100]
.LBB109_310:
	s_and_saveexec_b32 s8, s5
	s_cbranch_execz .LBB109_314
; %bb.311:
	v_add_nc_u32_e32 v99, -7, v0
	s_movk_i32 s55, 0x350
	s_mov_b32 s5, 0
	s_mov_b32 s56, s47
	.p2align	6
.LBB109_312:                            ; =>This Inner Loop Header: Depth=1
	v_mov_b32_e32 v102, s56
	v_add_nc_u32_e32 v99, -1, v99
	s_add_i32 s56, s56, 16
	s_clause 0x3
	buffer_load_dword v100, v102, s[0:3], 0 offen offset:8
	buffer_load_dword v101, v102, s[0:3], 0 offen offset:12
	buffer_load_dword v108, v102, s[0:3], 0 offen
	buffer_load_dword v109, v102, s[0:3], 0 offen offset:4
	v_mov_b32_e32 v102, s55
	v_cmp_eq_u32_e32 vcc_lo, 0, v99
	s_add_i32 s55, s55, 16
	ds_read_b128 v[104:107], v102
	s_or_b32 s5, vcc_lo, s5
	s_waitcnt vmcnt(2) lgkmcnt(0)
	v_mul_f64 v[110:111], v[106:107], v[100:101]
	v_mul_f64 v[100:101], v[104:105], v[100:101]
	s_waitcnt vmcnt(0)
	v_fma_f64 v[104:105], v[104:105], v[108:109], -v[110:111]
	v_fma_f64 v[100:101], v[106:107], v[108:109], v[100:101]
	v_add_f64 v[1:2], v[1:2], v[104:105]
	v_add_f64 v[3:4], v[3:4], v[100:101]
	s_andn2_b32 exec_lo, exec_lo, s5
	s_cbranch_execnz .LBB109_312
; %bb.313:
	s_or_b32 exec_lo, exec_lo, s5
.LBB109_314:
	s_or_b32 exec_lo, exec_lo, s8
	v_mov_b32_e32 v99, 0
	ds_read_b128 v[99:102], v99 offset:96
	s_waitcnt lgkmcnt(0)
	v_mul_f64 v[104:105], v[3:4], v[101:102]
	v_mul_f64 v[101:102], v[1:2], v[101:102]
	v_fma_f64 v[1:2], v[1:2], v[99:100], -v[104:105]
	v_fma_f64 v[3:4], v[3:4], v[99:100], v[101:102]
	buffer_store_dword v2, off, s[0:3], 0 offset:100
	buffer_store_dword v1, off, s[0:3], 0 offset:96
	;; [unrolled: 1-line block ×4, first 2 shown]
.LBB109_315:
	s_or_b32 exec_lo, exec_lo, s6
	v_mov_b32_e32 v4, s49
	v_cmp_lt_u32_e64 s5, 5, v0
	s_clause 0x3
	buffer_load_dword v1, v4, s[0:3], 0 offen
	buffer_load_dword v2, v4, s[0:3], 0 offen offset:4
	buffer_load_dword v3, v4, s[0:3], 0 offen offset:8
	;; [unrolled: 1-line block ×3, first 2 shown]
	s_waitcnt vmcnt(0)
	ds_write_b128 v98, v[1:4]
	s_waitcnt lgkmcnt(0)
	s_waitcnt_vscnt null, 0x0
	s_barrier
	buffer_gl0_inv
	s_and_saveexec_b32 s6, s5
	s_cbranch_execz .LBB109_323
; %bb.316:
	ds_read_b128 v[1:4], v98
	s_andn2_b32 vcc_lo, exec_lo, s54
	s_cbranch_vccnz .LBB109_318
; %bb.317:
	s_clause 0x3
	buffer_load_dword v99, v97, s[0:3], 0 offen offset:8
	buffer_load_dword v100, v97, s[0:3], 0 offen offset:12
	buffer_load_dword v101, v97, s[0:3], 0 offen
	buffer_load_dword v102, v97, s[0:3], 0 offen offset:4
	s_waitcnt vmcnt(2) lgkmcnt(0)
	v_mul_f64 v[104:105], v[3:4], v[99:100]
	v_mul_f64 v[99:100], v[1:2], v[99:100]
	s_waitcnt vmcnt(0)
	v_fma_f64 v[1:2], v[1:2], v[101:102], -v[104:105]
	v_fma_f64 v[3:4], v[3:4], v[101:102], v[99:100]
.LBB109_318:
	s_and_saveexec_b32 s8, s4
	s_cbranch_execz .LBB109_322
; %bb.319:
	v_add_nc_u32_e32 v99, -6, v0
	s_movk_i32 s55, 0x340
	s_mov_b32 s4, 0
	s_mov_b32 s56, s48
	.p2align	6
.LBB109_320:                            ; =>This Inner Loop Header: Depth=1
	v_mov_b32_e32 v102, s56
	v_add_nc_u32_e32 v99, -1, v99
	s_add_i32 s56, s56, 16
	s_clause 0x3
	buffer_load_dword v100, v102, s[0:3], 0 offen offset:8
	buffer_load_dword v101, v102, s[0:3], 0 offen offset:12
	buffer_load_dword v108, v102, s[0:3], 0 offen
	buffer_load_dword v109, v102, s[0:3], 0 offen offset:4
	v_mov_b32_e32 v102, s55
	v_cmp_eq_u32_e32 vcc_lo, 0, v99
	s_add_i32 s55, s55, 16
	ds_read_b128 v[104:107], v102
	s_or_b32 s4, vcc_lo, s4
	s_waitcnt vmcnt(2) lgkmcnt(0)
	v_mul_f64 v[110:111], v[106:107], v[100:101]
	v_mul_f64 v[100:101], v[104:105], v[100:101]
	s_waitcnt vmcnt(0)
	v_fma_f64 v[104:105], v[104:105], v[108:109], -v[110:111]
	v_fma_f64 v[100:101], v[106:107], v[108:109], v[100:101]
	v_add_f64 v[1:2], v[1:2], v[104:105]
	v_add_f64 v[3:4], v[3:4], v[100:101]
	s_andn2_b32 exec_lo, exec_lo, s4
	s_cbranch_execnz .LBB109_320
; %bb.321:
	s_or_b32 exec_lo, exec_lo, s4
.LBB109_322:
	s_or_b32 exec_lo, exec_lo, s8
	v_mov_b32_e32 v99, 0
	ds_read_b128 v[99:102], v99 offset:80
	s_waitcnt lgkmcnt(0)
	v_mul_f64 v[104:105], v[3:4], v[101:102]
	v_mul_f64 v[101:102], v[1:2], v[101:102]
	v_fma_f64 v[1:2], v[1:2], v[99:100], -v[104:105]
	v_fma_f64 v[3:4], v[3:4], v[99:100], v[101:102]
	buffer_store_dword v2, off, s[0:3], 0 offset:84
	buffer_store_dword v1, off, s[0:3], 0 offset:80
	buffer_store_dword v4, off, s[0:3], 0 offset:92
	buffer_store_dword v3, off, s[0:3], 0 offset:88
.LBB109_323:
	s_or_b32 exec_lo, exec_lo, s6
	v_mov_b32_e32 v4, s50
	v_cmp_lt_u32_e64 s4, 4, v0
	s_clause 0x3
	buffer_load_dword v1, v4, s[0:3], 0 offen
	buffer_load_dword v2, v4, s[0:3], 0 offen offset:4
	buffer_load_dword v3, v4, s[0:3], 0 offen offset:8
	;; [unrolled: 1-line block ×3, first 2 shown]
	s_waitcnt vmcnt(0)
	ds_write_b128 v98, v[1:4]
	s_waitcnt lgkmcnt(0)
	s_waitcnt_vscnt null, 0x0
	s_barrier
	buffer_gl0_inv
	s_and_saveexec_b32 s6, s4
	s_cbranch_execz .LBB109_331
; %bb.324:
	ds_read_b128 v[1:4], v98
	s_andn2_b32 vcc_lo, exec_lo, s54
	s_cbranch_vccnz .LBB109_326
; %bb.325:
	s_clause 0x3
	buffer_load_dword v99, v97, s[0:3], 0 offen offset:8
	buffer_load_dword v100, v97, s[0:3], 0 offen offset:12
	buffer_load_dword v101, v97, s[0:3], 0 offen
	buffer_load_dword v102, v97, s[0:3], 0 offen offset:4
	s_waitcnt vmcnt(2) lgkmcnt(0)
	v_mul_f64 v[104:105], v[3:4], v[99:100]
	v_mul_f64 v[99:100], v[1:2], v[99:100]
	s_waitcnt vmcnt(0)
	v_fma_f64 v[1:2], v[1:2], v[101:102], -v[104:105]
	v_fma_f64 v[3:4], v[3:4], v[101:102], v[99:100]
.LBB109_326:
	s_and_saveexec_b32 s8, s5
	s_cbranch_execz .LBB109_330
; %bb.327:
	v_add_nc_u32_e32 v99, -5, v0
	s_movk_i32 s55, 0x330
	s_mov_b32 s5, 0
	s_mov_b32 s56, s49
	.p2align	6
.LBB109_328:                            ; =>This Inner Loop Header: Depth=1
	v_mov_b32_e32 v102, s56
	v_add_nc_u32_e32 v99, -1, v99
	s_add_i32 s56, s56, 16
	s_clause 0x3
	buffer_load_dword v100, v102, s[0:3], 0 offen offset:8
	buffer_load_dword v101, v102, s[0:3], 0 offen offset:12
	buffer_load_dword v108, v102, s[0:3], 0 offen
	buffer_load_dword v109, v102, s[0:3], 0 offen offset:4
	v_mov_b32_e32 v102, s55
	v_cmp_eq_u32_e32 vcc_lo, 0, v99
	s_add_i32 s55, s55, 16
	ds_read_b128 v[104:107], v102
	s_or_b32 s5, vcc_lo, s5
	s_waitcnt vmcnt(2) lgkmcnt(0)
	v_mul_f64 v[110:111], v[106:107], v[100:101]
	v_mul_f64 v[100:101], v[104:105], v[100:101]
	s_waitcnt vmcnt(0)
	v_fma_f64 v[104:105], v[104:105], v[108:109], -v[110:111]
	v_fma_f64 v[100:101], v[106:107], v[108:109], v[100:101]
	v_add_f64 v[1:2], v[1:2], v[104:105]
	v_add_f64 v[3:4], v[3:4], v[100:101]
	s_andn2_b32 exec_lo, exec_lo, s5
	s_cbranch_execnz .LBB109_328
; %bb.329:
	s_or_b32 exec_lo, exec_lo, s5
.LBB109_330:
	s_or_b32 exec_lo, exec_lo, s8
	v_mov_b32_e32 v99, 0
	ds_read_b128 v[99:102], v99 offset:64
	s_waitcnt lgkmcnt(0)
	v_mul_f64 v[104:105], v[3:4], v[101:102]
	v_mul_f64 v[101:102], v[1:2], v[101:102]
	v_fma_f64 v[1:2], v[1:2], v[99:100], -v[104:105]
	v_fma_f64 v[3:4], v[3:4], v[99:100], v[101:102]
	buffer_store_dword v2, off, s[0:3], 0 offset:68
	buffer_store_dword v1, off, s[0:3], 0 offset:64
	;; [unrolled: 1-line block ×4, first 2 shown]
.LBB109_331:
	s_or_b32 exec_lo, exec_lo, s6
	v_mov_b32_e32 v4, s51
	v_cmp_lt_u32_e64 s5, 3, v0
	s_clause 0x3
	buffer_load_dword v1, v4, s[0:3], 0 offen
	buffer_load_dword v2, v4, s[0:3], 0 offen offset:4
	buffer_load_dword v3, v4, s[0:3], 0 offen offset:8
	;; [unrolled: 1-line block ×3, first 2 shown]
	s_waitcnt vmcnt(0)
	ds_write_b128 v98, v[1:4]
	s_waitcnt lgkmcnt(0)
	s_waitcnt_vscnt null, 0x0
	s_barrier
	buffer_gl0_inv
	s_and_saveexec_b32 s6, s5
	s_cbranch_execz .LBB109_339
; %bb.332:
	ds_read_b128 v[1:4], v98
	s_andn2_b32 vcc_lo, exec_lo, s54
	s_cbranch_vccnz .LBB109_334
; %bb.333:
	s_clause 0x3
	buffer_load_dword v99, v97, s[0:3], 0 offen offset:8
	buffer_load_dword v100, v97, s[0:3], 0 offen offset:12
	buffer_load_dword v101, v97, s[0:3], 0 offen
	buffer_load_dword v102, v97, s[0:3], 0 offen offset:4
	s_waitcnt vmcnt(2) lgkmcnt(0)
	v_mul_f64 v[104:105], v[3:4], v[99:100]
	v_mul_f64 v[99:100], v[1:2], v[99:100]
	s_waitcnt vmcnt(0)
	v_fma_f64 v[1:2], v[1:2], v[101:102], -v[104:105]
	v_fma_f64 v[3:4], v[3:4], v[101:102], v[99:100]
.LBB109_334:
	s_and_saveexec_b32 s8, s4
	s_cbranch_execz .LBB109_338
; %bb.335:
	v_add_nc_u32_e32 v99, -4, v0
	s_movk_i32 s55, 0x320
	s_mov_b32 s4, 0
	s_mov_b32 s56, s50
	.p2align	6
.LBB109_336:                            ; =>This Inner Loop Header: Depth=1
	v_mov_b32_e32 v102, s56
	v_add_nc_u32_e32 v99, -1, v99
	s_add_i32 s56, s56, 16
	s_clause 0x3
	buffer_load_dword v100, v102, s[0:3], 0 offen offset:8
	buffer_load_dword v101, v102, s[0:3], 0 offen offset:12
	buffer_load_dword v108, v102, s[0:3], 0 offen
	buffer_load_dword v109, v102, s[0:3], 0 offen offset:4
	v_mov_b32_e32 v102, s55
	v_cmp_eq_u32_e32 vcc_lo, 0, v99
	s_add_i32 s55, s55, 16
	ds_read_b128 v[104:107], v102
	s_or_b32 s4, vcc_lo, s4
	s_waitcnt vmcnt(2) lgkmcnt(0)
	v_mul_f64 v[110:111], v[106:107], v[100:101]
	v_mul_f64 v[100:101], v[104:105], v[100:101]
	s_waitcnt vmcnt(0)
	v_fma_f64 v[104:105], v[104:105], v[108:109], -v[110:111]
	v_fma_f64 v[100:101], v[106:107], v[108:109], v[100:101]
	v_add_f64 v[1:2], v[1:2], v[104:105]
	v_add_f64 v[3:4], v[3:4], v[100:101]
	s_andn2_b32 exec_lo, exec_lo, s4
	s_cbranch_execnz .LBB109_336
; %bb.337:
	s_or_b32 exec_lo, exec_lo, s4
.LBB109_338:
	s_or_b32 exec_lo, exec_lo, s8
	v_mov_b32_e32 v99, 0
	ds_read_b128 v[99:102], v99 offset:48
	s_waitcnt lgkmcnt(0)
	v_mul_f64 v[104:105], v[3:4], v[101:102]
	v_mul_f64 v[101:102], v[1:2], v[101:102]
	v_fma_f64 v[1:2], v[1:2], v[99:100], -v[104:105]
	v_fma_f64 v[3:4], v[3:4], v[99:100], v[101:102]
	buffer_store_dword v2, off, s[0:3], 0 offset:52
	buffer_store_dword v1, off, s[0:3], 0 offset:48
	;; [unrolled: 1-line block ×4, first 2 shown]
.LBB109_339:
	s_or_b32 exec_lo, exec_lo, s6
	v_mov_b32_e32 v4, s52
	v_cmp_lt_u32_e64 s6, 2, v0
	s_clause 0x3
	buffer_load_dword v1, v4, s[0:3], 0 offen
	buffer_load_dword v2, v4, s[0:3], 0 offen offset:4
	buffer_load_dword v3, v4, s[0:3], 0 offen offset:8
	;; [unrolled: 1-line block ×3, first 2 shown]
	s_waitcnt vmcnt(0)
	ds_write_b128 v98, v[1:4]
	s_waitcnt lgkmcnt(0)
	s_waitcnt_vscnt null, 0x0
	s_barrier
	buffer_gl0_inv
	s_and_saveexec_b32 s4, s6
	s_cbranch_execz .LBB109_347
; %bb.340:
	ds_read_b128 v[1:4], v98
	s_andn2_b32 vcc_lo, exec_lo, s54
	s_cbranch_vccnz .LBB109_342
; %bb.341:
	s_clause 0x3
	buffer_load_dword v99, v97, s[0:3], 0 offen offset:8
	buffer_load_dword v100, v97, s[0:3], 0 offen offset:12
	buffer_load_dword v101, v97, s[0:3], 0 offen
	buffer_load_dword v102, v97, s[0:3], 0 offen offset:4
	s_waitcnt vmcnt(2) lgkmcnt(0)
	v_mul_f64 v[104:105], v[3:4], v[99:100]
	v_mul_f64 v[99:100], v[1:2], v[99:100]
	s_waitcnt vmcnt(0)
	v_fma_f64 v[1:2], v[1:2], v[101:102], -v[104:105]
	v_fma_f64 v[3:4], v[3:4], v[101:102], v[99:100]
.LBB109_342:
	s_and_saveexec_b32 s8, s5
	s_cbranch_execz .LBB109_346
; %bb.343:
	v_add_nc_u32_e32 v99, -3, v0
	s_movk_i32 s55, 0x310
	s_mov_b32 s5, 0
	s_mov_b32 s56, s51
	.p2align	6
.LBB109_344:                            ; =>This Inner Loop Header: Depth=1
	v_mov_b32_e32 v102, s56
	v_add_nc_u32_e32 v99, -1, v99
	s_add_i32 s56, s56, 16
	s_clause 0x3
	buffer_load_dword v100, v102, s[0:3], 0 offen offset:8
	buffer_load_dword v101, v102, s[0:3], 0 offen offset:12
	buffer_load_dword v108, v102, s[0:3], 0 offen
	buffer_load_dword v109, v102, s[0:3], 0 offen offset:4
	v_mov_b32_e32 v102, s55
	v_cmp_eq_u32_e32 vcc_lo, 0, v99
	s_add_i32 s55, s55, 16
	ds_read_b128 v[104:107], v102
	s_or_b32 s5, vcc_lo, s5
	s_waitcnt vmcnt(2) lgkmcnt(0)
	v_mul_f64 v[110:111], v[106:107], v[100:101]
	v_mul_f64 v[100:101], v[104:105], v[100:101]
	s_waitcnt vmcnt(0)
	v_fma_f64 v[104:105], v[104:105], v[108:109], -v[110:111]
	v_fma_f64 v[100:101], v[106:107], v[108:109], v[100:101]
	v_add_f64 v[1:2], v[1:2], v[104:105]
	v_add_f64 v[3:4], v[3:4], v[100:101]
	s_andn2_b32 exec_lo, exec_lo, s5
	s_cbranch_execnz .LBB109_344
; %bb.345:
	s_or_b32 exec_lo, exec_lo, s5
.LBB109_346:
	s_or_b32 exec_lo, exec_lo, s8
	v_mov_b32_e32 v99, 0
	ds_read_b128 v[99:102], v99 offset:32
	s_waitcnt lgkmcnt(0)
	v_mul_f64 v[104:105], v[3:4], v[101:102]
	v_mul_f64 v[101:102], v[1:2], v[101:102]
	v_fma_f64 v[1:2], v[1:2], v[99:100], -v[104:105]
	v_fma_f64 v[3:4], v[3:4], v[99:100], v[101:102]
	buffer_store_dword v2, off, s[0:3], 0 offset:36
	buffer_store_dword v1, off, s[0:3], 0 offset:32
	;; [unrolled: 1-line block ×4, first 2 shown]
.LBB109_347:
	s_or_b32 exec_lo, exec_lo, s4
	v_mov_b32_e32 v4, s53
	v_cmp_lt_u32_e64 s4, 1, v0
	s_clause 0x3
	buffer_load_dword v1, v4, s[0:3], 0 offen
	buffer_load_dword v2, v4, s[0:3], 0 offen offset:4
	buffer_load_dword v3, v4, s[0:3], 0 offen offset:8
	;; [unrolled: 1-line block ×3, first 2 shown]
	s_waitcnt vmcnt(0)
	ds_write_b128 v98, v[1:4]
	s_waitcnt lgkmcnt(0)
	s_waitcnt_vscnt null, 0x0
	s_barrier
	buffer_gl0_inv
	s_and_saveexec_b32 s5, s4
	s_cbranch_execz .LBB109_355
; %bb.348:
	ds_read_b128 v[1:4], v98
	s_andn2_b32 vcc_lo, exec_lo, s54
	s_cbranch_vccnz .LBB109_350
; %bb.349:
	s_clause 0x3
	buffer_load_dword v99, v97, s[0:3], 0 offen offset:8
	buffer_load_dword v100, v97, s[0:3], 0 offen offset:12
	buffer_load_dword v101, v97, s[0:3], 0 offen
	buffer_load_dword v102, v97, s[0:3], 0 offen offset:4
	s_waitcnt vmcnt(2) lgkmcnt(0)
	v_mul_f64 v[104:105], v[3:4], v[99:100]
	v_mul_f64 v[99:100], v[1:2], v[99:100]
	s_waitcnt vmcnt(0)
	v_fma_f64 v[1:2], v[1:2], v[101:102], -v[104:105]
	v_fma_f64 v[3:4], v[3:4], v[101:102], v[99:100]
.LBB109_350:
	s_and_saveexec_b32 s8, s6
	s_cbranch_execz .LBB109_354
; %bb.351:
	v_add_nc_u32_e32 v99, -2, v0
	s_movk_i32 s55, 0x300
	s_mov_b32 s6, 0
	s_mov_b32 s56, s52
	.p2align	6
.LBB109_352:                            ; =>This Inner Loop Header: Depth=1
	v_mov_b32_e32 v102, s56
	v_add_nc_u32_e32 v99, -1, v99
	s_add_i32 s56, s56, 16
	s_clause 0x3
	buffer_load_dword v100, v102, s[0:3], 0 offen offset:8
	buffer_load_dword v101, v102, s[0:3], 0 offen offset:12
	buffer_load_dword v108, v102, s[0:3], 0 offen
	buffer_load_dword v109, v102, s[0:3], 0 offen offset:4
	v_mov_b32_e32 v102, s55
	v_cmp_eq_u32_e32 vcc_lo, 0, v99
	s_add_i32 s55, s55, 16
	ds_read_b128 v[104:107], v102
	s_or_b32 s6, vcc_lo, s6
	s_waitcnt vmcnt(2) lgkmcnt(0)
	v_mul_f64 v[110:111], v[106:107], v[100:101]
	v_mul_f64 v[100:101], v[104:105], v[100:101]
	s_waitcnt vmcnt(0)
	v_fma_f64 v[104:105], v[104:105], v[108:109], -v[110:111]
	v_fma_f64 v[100:101], v[106:107], v[108:109], v[100:101]
	v_add_f64 v[1:2], v[1:2], v[104:105]
	v_add_f64 v[3:4], v[3:4], v[100:101]
	s_andn2_b32 exec_lo, exec_lo, s6
	s_cbranch_execnz .LBB109_352
; %bb.353:
	s_or_b32 exec_lo, exec_lo, s6
.LBB109_354:
	s_or_b32 exec_lo, exec_lo, s8
	v_mov_b32_e32 v99, 0
	ds_read_b128 v[99:102], v99 offset:16
	s_waitcnt lgkmcnt(0)
	v_mul_f64 v[104:105], v[3:4], v[101:102]
	v_mul_f64 v[101:102], v[1:2], v[101:102]
	v_fma_f64 v[1:2], v[1:2], v[99:100], -v[104:105]
	v_fma_f64 v[3:4], v[3:4], v[99:100], v[101:102]
	buffer_store_dword v2, off, s[0:3], 0 offset:20
	buffer_store_dword v1, off, s[0:3], 0 offset:16
	;; [unrolled: 1-line block ×4, first 2 shown]
.LBB109_355:
	s_or_b32 exec_lo, exec_lo, s5
	s_clause 0x3
	buffer_load_dword v1, off, s[0:3], 0
	buffer_load_dword v2, off, s[0:3], 0 offset:4
	buffer_load_dword v3, off, s[0:3], 0 offset:8
	;; [unrolled: 1-line block ×3, first 2 shown]
	s_mov_b32 s6, 0
	s_mov_b32 s5, 0
	s_mov_b32 s8, exec_lo
                                        ; implicit-def: $sgpr55
	s_waitcnt vmcnt(0)
	ds_write_b128 v98, v[1:4]
	s_waitcnt lgkmcnt(0)
	s_waitcnt_vscnt null, 0x0
	s_barrier
	buffer_gl0_inv
                                        ; implicit-def: $vgpr1_vgpr2
	v_cmpx_ne_u32_e32 0, v0
	s_cbranch_execz .LBB109_363
; %bb.356:
	ds_read_b128 v[1:4], v98
	s_andn2_b32 vcc_lo, exec_lo, s54
	s_cbranch_vccnz .LBB109_358
; %bb.357:
	s_clause 0x3
	buffer_load_dword v99, v97, s[0:3], 0 offen offset:8
	buffer_load_dword v100, v97, s[0:3], 0 offen offset:12
	buffer_load_dword v101, v97, s[0:3], 0 offen
	buffer_load_dword v102, v97, s[0:3], 0 offen offset:4
	s_waitcnt vmcnt(2) lgkmcnt(0)
	v_mul_f64 v[104:105], v[3:4], v[99:100]
	v_mul_f64 v[99:100], v[1:2], v[99:100]
	s_waitcnt vmcnt(0)
	v_fma_f64 v[1:2], v[1:2], v[101:102], -v[104:105]
	v_fma_f64 v[3:4], v[3:4], v[101:102], v[99:100]
.LBB109_358:
	s_and_saveexec_b32 s5, s4
	s_cbranch_execz .LBB109_362
; %bb.359:
	v_add_nc_u32_e32 v99, -1, v0
	s_movk_i32 s55, 0x2f0
	s_mov_b32 s4, 0
	s_mov_b32 s56, s53
	.p2align	6
.LBB109_360:                            ; =>This Inner Loop Header: Depth=1
	v_mov_b32_e32 v102, s56
	v_add_nc_u32_e32 v99, -1, v99
	s_add_i32 s56, s56, 16
	s_clause 0x3
	buffer_load_dword v100, v102, s[0:3], 0 offen offset:8
	buffer_load_dword v101, v102, s[0:3], 0 offen offset:12
	buffer_load_dword v108, v102, s[0:3], 0 offen
	buffer_load_dword v109, v102, s[0:3], 0 offen offset:4
	v_mov_b32_e32 v102, s55
	v_cmp_eq_u32_e32 vcc_lo, 0, v99
	s_add_i32 s55, s55, 16
	ds_read_b128 v[104:107], v102
	s_or_b32 s4, vcc_lo, s4
	s_waitcnt vmcnt(2) lgkmcnt(0)
	v_mul_f64 v[110:111], v[106:107], v[100:101]
	v_mul_f64 v[100:101], v[104:105], v[100:101]
	s_waitcnt vmcnt(0)
	v_fma_f64 v[104:105], v[104:105], v[108:109], -v[110:111]
	v_fma_f64 v[100:101], v[106:107], v[108:109], v[100:101]
	v_add_f64 v[1:2], v[1:2], v[104:105]
	v_add_f64 v[3:4], v[3:4], v[100:101]
	s_andn2_b32 exec_lo, exec_lo, s4
	s_cbranch_execnz .LBB109_360
; %bb.361:
	s_or_b32 exec_lo, exec_lo, s4
.LBB109_362:
	s_or_b32 exec_lo, exec_lo, s5
	v_mov_b32_e32 v99, 0
	s_mov_b32 s5, exec_lo
	s_or_b32 s55, 0, 8
	ds_read_b128 v[99:102], v99
	s_waitcnt lgkmcnt(0)
	v_mul_f64 v[104:105], v[3:4], v[101:102]
	v_mul_f64 v[101:102], v[1:2], v[101:102]
	v_fma_f64 v[104:105], v[1:2], v[99:100], -v[104:105]
	v_fma_f64 v[1:2], v[3:4], v[99:100], v[101:102]
	buffer_store_dword v105, off, s[0:3], 0 offset:4
	buffer_store_dword v104, off, s[0:3], 0
.LBB109_363:
	s_or_b32 exec_lo, exec_lo, s8
	s_and_b32 vcc_lo, exec_lo, s6
	s_cbranch_vccnz .LBB109_365
	s_branch .LBB109_720
.LBB109_364:
	s_mov_b32 s5, 0
                                        ; implicit-def: $vgpr1_vgpr2
                                        ; implicit-def: $sgpr55
	s_cbranch_execz .LBB109_720
.LBB109_365:
	v_mov_b32_e32 v4, s53
	v_cmp_eq_u32_e64 s4, 0, v0
	v_cndmask_b32_e64 v99, 0, 1, s54
	s_clause 0x3
	buffer_load_dword v1, v4, s[0:3], 0 offen
	buffer_load_dword v2, v4, s[0:3], 0 offen offset:4
	buffer_load_dword v3, v4, s[0:3], 0 offen offset:8
	;; [unrolled: 1-line block ×3, first 2 shown]
	s_waitcnt vmcnt(0)
	ds_write_b128 v98, v[1:4]
	s_waitcnt lgkmcnt(0)
	s_waitcnt_vscnt null, 0x0
	s_barrier
	buffer_gl0_inv
	s_and_saveexec_b32 s6, s4
	s_cbranch_execz .LBB109_369
; %bb.366:
	ds_read_b128 v[1:4], v98
	s_andn2_b32 vcc_lo, exec_lo, s54
	s_cbranch_vccnz .LBB109_368
; %bb.367:
	s_clause 0x3
	buffer_load_dword v100, v97, s[0:3], 0 offen offset:8
	buffer_load_dword v101, v97, s[0:3], 0 offen offset:12
	buffer_load_dword v104, v97, s[0:3], 0 offen
	buffer_load_dword v105, v97, s[0:3], 0 offen offset:4
	s_waitcnt vmcnt(2) lgkmcnt(0)
	v_mul_f64 v[106:107], v[3:4], v[100:101]
	v_mul_f64 v[100:101], v[1:2], v[100:101]
	s_waitcnt vmcnt(0)
	v_fma_f64 v[1:2], v[1:2], v[104:105], -v[106:107]
	v_fma_f64 v[3:4], v[3:4], v[104:105], v[100:101]
.LBB109_368:
	v_mov_b32_e32 v100, 0
	ds_read_b128 v[104:107], v100 offset:16
	s_waitcnt lgkmcnt(0)
	v_mul_f64 v[100:101], v[3:4], v[106:107]
	v_mul_f64 v[106:107], v[1:2], v[106:107]
	v_fma_f64 v[1:2], v[1:2], v[104:105], -v[100:101]
	v_fma_f64 v[3:4], v[3:4], v[104:105], v[106:107]
	buffer_store_dword v2, off, s[0:3], 0 offset:20
	buffer_store_dword v1, off, s[0:3], 0 offset:16
	;; [unrolled: 1-line block ×4, first 2 shown]
.LBB109_369:
	s_or_b32 exec_lo, exec_lo, s6
	v_mov_b32_e32 v4, s52
	s_mov_b32 s6, exec_lo
	s_clause 0x3
	buffer_load_dword v1, v4, s[0:3], 0 offen
	buffer_load_dword v2, v4, s[0:3], 0 offen offset:4
	buffer_load_dword v3, v4, s[0:3], 0 offen offset:8
	;; [unrolled: 1-line block ×3, first 2 shown]
	s_waitcnt vmcnt(0)
	ds_write_b128 v98, v[1:4]
	s_waitcnt lgkmcnt(0)
	s_waitcnt_vscnt null, 0x0
	s_barrier
	buffer_gl0_inv
	v_cmpx_gt_u32_e32 2, v0
	s_cbranch_execz .LBB109_375
; %bb.370:
	ds_read_b128 v[1:4], v98
	v_cmp_ne_u32_e32 vcc_lo, 1, v99
	s_cbranch_vccnz .LBB109_372
; %bb.371:
	s_clause 0x3
	buffer_load_dword v100, v97, s[0:3], 0 offen offset:8
	buffer_load_dword v101, v97, s[0:3], 0 offen offset:12
	buffer_load_dword v104, v97, s[0:3], 0 offen
	buffer_load_dword v105, v97, s[0:3], 0 offen offset:4
	s_waitcnt vmcnt(2) lgkmcnt(0)
	v_mul_f64 v[106:107], v[3:4], v[100:101]
	v_mul_f64 v[100:101], v[1:2], v[100:101]
	s_waitcnt vmcnt(0)
	v_fma_f64 v[1:2], v[1:2], v[104:105], -v[106:107]
	v_fma_f64 v[3:4], v[3:4], v[104:105], v[100:101]
.LBB109_372:
	s_and_saveexec_b32 s8, s4
	s_cbranch_execz .LBB109_374
; %bb.373:
	s_clause 0x3
	buffer_load_dword v100, off, s[0:3], 0 offset:24
	buffer_load_dword v101, off, s[0:3], 0 offset:28
	;; [unrolled: 1-line block ×4, first 2 shown]
	v_mov_b32_e32 v102, 0
	ds_read_b128 v[104:107], v102 offset:752
	s_waitcnt vmcnt(2) lgkmcnt(0)
	v_mul_f64 v[110:111], v[106:107], v[100:101]
	v_mul_f64 v[100:101], v[104:105], v[100:101]
	s_waitcnt vmcnt(0)
	v_fma_f64 v[104:105], v[104:105], v[108:109], -v[110:111]
	v_fma_f64 v[100:101], v[106:107], v[108:109], v[100:101]
	v_add_f64 v[1:2], v[1:2], v[104:105]
	v_add_f64 v[3:4], v[3:4], v[100:101]
.LBB109_374:
	s_or_b32 exec_lo, exec_lo, s8
	v_mov_b32_e32 v100, 0
	ds_read_b128 v[104:107], v100 offset:32
	s_waitcnt lgkmcnt(0)
	v_mul_f64 v[100:101], v[3:4], v[106:107]
	v_mul_f64 v[106:107], v[1:2], v[106:107]
	v_fma_f64 v[1:2], v[1:2], v[104:105], -v[100:101]
	v_fma_f64 v[3:4], v[3:4], v[104:105], v[106:107]
	buffer_store_dword v2, off, s[0:3], 0 offset:36
	buffer_store_dword v1, off, s[0:3], 0 offset:32
	;; [unrolled: 1-line block ×4, first 2 shown]
.LBB109_375:
	s_or_b32 exec_lo, exec_lo, s6
	v_mov_b32_e32 v4, s51
	s_mov_b32 s6, exec_lo
	s_clause 0x3
	buffer_load_dword v1, v4, s[0:3], 0 offen
	buffer_load_dword v2, v4, s[0:3], 0 offen offset:4
	buffer_load_dword v3, v4, s[0:3], 0 offen offset:8
	;; [unrolled: 1-line block ×3, first 2 shown]
	s_waitcnt vmcnt(0)
	ds_write_b128 v98, v[1:4]
	s_waitcnt lgkmcnt(0)
	s_waitcnt_vscnt null, 0x0
	s_barrier
	buffer_gl0_inv
	v_cmpx_gt_u32_e32 3, v0
	s_cbranch_execz .LBB109_383
; %bb.376:
	ds_read_b128 v[1:4], v98
	v_cmp_ne_u32_e32 vcc_lo, 1, v99
	s_cbranch_vccnz .LBB109_378
; %bb.377:
	s_clause 0x3
	buffer_load_dword v100, v97, s[0:3], 0 offen offset:8
	buffer_load_dword v101, v97, s[0:3], 0 offen offset:12
	buffer_load_dword v104, v97, s[0:3], 0 offen
	buffer_load_dword v105, v97, s[0:3], 0 offen offset:4
	s_waitcnt vmcnt(2) lgkmcnt(0)
	v_mul_f64 v[106:107], v[3:4], v[100:101]
	v_mul_f64 v[100:101], v[1:2], v[100:101]
	s_waitcnt vmcnt(0)
	v_fma_f64 v[1:2], v[1:2], v[104:105], -v[106:107]
	v_fma_f64 v[3:4], v[3:4], v[104:105], v[100:101]
.LBB109_378:
	s_mov_b32 s8, exec_lo
	v_cmpx_ne_u32_e32 2, v0
	s_cbranch_execz .LBB109_382
; %bb.379:
	s_clause 0x3
	buffer_load_dword v100, v97, s[0:3], 0 offen offset:24
	buffer_load_dword v101, v97, s[0:3], 0 offen offset:28
	;; [unrolled: 1-line block ×4, first 2 shown]
	ds_read_b128 v[104:107], v98 offset:16
	s_waitcnt vmcnt(2) lgkmcnt(0)
	v_mul_f64 v[110:111], v[106:107], v[100:101]
	v_mul_f64 v[100:101], v[104:105], v[100:101]
	s_waitcnt vmcnt(0)
	v_fma_f64 v[104:105], v[104:105], v[108:109], -v[110:111]
	v_fma_f64 v[100:101], v[106:107], v[108:109], v[100:101]
	v_add_f64 v[1:2], v[1:2], v[104:105]
	v_add_f64 v[3:4], v[3:4], v[100:101]
	s_and_saveexec_b32 s54, s4
	s_cbranch_execz .LBB109_381
; %bb.380:
	s_clause 0x3
	buffer_load_dword v100, off, s[0:3], 0 offset:40
	buffer_load_dword v101, off, s[0:3], 0 offset:44
	;; [unrolled: 1-line block ×4, first 2 shown]
	v_mov_b32_e32 v102, 0
	ds_read_b128 v[104:107], v102 offset:768
	s_waitcnt vmcnt(2) lgkmcnt(0)
	v_mul_f64 v[110:111], v[104:105], v[100:101]
	v_mul_f64 v[100:101], v[106:107], v[100:101]
	s_waitcnt vmcnt(0)
	v_fma_f64 v[106:107], v[106:107], v[108:109], v[110:111]
	v_fma_f64 v[100:101], v[104:105], v[108:109], -v[100:101]
	v_add_f64 v[3:4], v[3:4], v[106:107]
	v_add_f64 v[1:2], v[1:2], v[100:101]
.LBB109_381:
	s_or_b32 exec_lo, exec_lo, s54
.LBB109_382:
	s_or_b32 exec_lo, exec_lo, s8
	v_mov_b32_e32 v100, 0
	ds_read_b128 v[104:107], v100 offset:48
	s_waitcnt lgkmcnt(0)
	v_mul_f64 v[100:101], v[3:4], v[106:107]
	v_mul_f64 v[106:107], v[1:2], v[106:107]
	v_fma_f64 v[1:2], v[1:2], v[104:105], -v[100:101]
	v_fma_f64 v[3:4], v[3:4], v[104:105], v[106:107]
	buffer_store_dword v2, off, s[0:3], 0 offset:52
	buffer_store_dword v1, off, s[0:3], 0 offset:48
	;; [unrolled: 1-line block ×4, first 2 shown]
.LBB109_383:
	s_or_b32 exec_lo, exec_lo, s6
	v_mov_b32_e32 v4, s50
	s_mov_b32 s4, exec_lo
	s_clause 0x3
	buffer_load_dword v1, v4, s[0:3], 0 offen
	buffer_load_dword v2, v4, s[0:3], 0 offen offset:4
	buffer_load_dword v3, v4, s[0:3], 0 offen offset:8
	;; [unrolled: 1-line block ×3, first 2 shown]
	s_waitcnt vmcnt(0)
	ds_write_b128 v98, v[1:4]
	s_waitcnt lgkmcnt(0)
	s_waitcnt_vscnt null, 0x0
	s_barrier
	buffer_gl0_inv
	v_cmpx_gt_u32_e32 4, v0
	s_cbranch_execz .LBB109_391
; %bb.384:
	ds_read_b128 v[1:4], v98
	v_cmp_ne_u32_e32 vcc_lo, 1, v99
	s_cbranch_vccnz .LBB109_386
; %bb.385:
	s_clause 0x3
	buffer_load_dword v100, v97, s[0:3], 0 offen offset:8
	buffer_load_dword v101, v97, s[0:3], 0 offen offset:12
	buffer_load_dword v104, v97, s[0:3], 0 offen
	buffer_load_dword v105, v97, s[0:3], 0 offen offset:4
	s_waitcnt vmcnt(2) lgkmcnt(0)
	v_mul_f64 v[106:107], v[3:4], v[100:101]
	v_mul_f64 v[100:101], v[1:2], v[100:101]
	s_waitcnt vmcnt(0)
	v_fma_f64 v[1:2], v[1:2], v[104:105], -v[106:107]
	v_fma_f64 v[3:4], v[3:4], v[104:105], v[100:101]
.LBB109_386:
	s_mov_b32 s6, exec_lo
	v_cmpx_ne_u32_e32 3, v0
	s_cbranch_execz .LBB109_390
; %bb.387:
	v_add_nc_u32_e32 v100, 0x2f0, v103
	v_add3_u32 v101, 0, v103, 16
	v_mov_b32_e32 v102, v0
	s_mov_b32 s8, 0
	.p2align	6
.LBB109_388:                            ; =>This Inner Loop Header: Depth=1
	s_clause 0x3
	buffer_load_dword v108, v101, s[0:3], 0 offen offset:8
	buffer_load_dword v109, v101, s[0:3], 0 offen offset:12
	buffer_load_dword v110, v101, s[0:3], 0 offen
	buffer_load_dword v111, v101, s[0:3], 0 offen offset:4
	ds_read_b128 v[104:107], v100
	v_add_nc_u32_e32 v102, 1, v102
	v_add_nc_u32_e32 v100, 16, v100
	;; [unrolled: 1-line block ×3, first 2 shown]
	v_cmp_lt_u32_e32 vcc_lo, 2, v102
	s_or_b32 s8, vcc_lo, s8
	s_waitcnt vmcnt(2) lgkmcnt(0)
	v_mul_f64 v[112:113], v[106:107], v[108:109]
	v_mul_f64 v[108:109], v[104:105], v[108:109]
	s_waitcnt vmcnt(0)
	v_fma_f64 v[104:105], v[104:105], v[110:111], -v[112:113]
	v_fma_f64 v[106:107], v[106:107], v[110:111], v[108:109]
	v_add_f64 v[1:2], v[1:2], v[104:105]
	v_add_f64 v[3:4], v[3:4], v[106:107]
	s_andn2_b32 exec_lo, exec_lo, s8
	s_cbranch_execnz .LBB109_388
; %bb.389:
	s_or_b32 exec_lo, exec_lo, s8
.LBB109_390:
	s_or_b32 exec_lo, exec_lo, s6
	v_mov_b32_e32 v100, 0
	ds_read_b128 v[104:107], v100 offset:64
	s_waitcnt lgkmcnt(0)
	v_mul_f64 v[100:101], v[3:4], v[106:107]
	v_mul_f64 v[106:107], v[1:2], v[106:107]
	v_fma_f64 v[1:2], v[1:2], v[104:105], -v[100:101]
	v_fma_f64 v[3:4], v[3:4], v[104:105], v[106:107]
	buffer_store_dword v2, off, s[0:3], 0 offset:68
	buffer_store_dword v1, off, s[0:3], 0 offset:64
	;; [unrolled: 1-line block ×4, first 2 shown]
.LBB109_391:
	s_or_b32 exec_lo, exec_lo, s4
	v_mov_b32_e32 v4, s49
	s_mov_b32 s4, exec_lo
	s_clause 0x3
	buffer_load_dword v1, v4, s[0:3], 0 offen
	buffer_load_dword v2, v4, s[0:3], 0 offen offset:4
	buffer_load_dword v3, v4, s[0:3], 0 offen offset:8
	;; [unrolled: 1-line block ×3, first 2 shown]
	s_waitcnt vmcnt(0)
	ds_write_b128 v98, v[1:4]
	s_waitcnt lgkmcnt(0)
	s_waitcnt_vscnt null, 0x0
	s_barrier
	buffer_gl0_inv
	v_cmpx_gt_u32_e32 5, v0
	s_cbranch_execz .LBB109_399
; %bb.392:
	ds_read_b128 v[1:4], v98
	v_cmp_ne_u32_e32 vcc_lo, 1, v99
	s_cbranch_vccnz .LBB109_394
; %bb.393:
	s_clause 0x3
	buffer_load_dword v100, v97, s[0:3], 0 offen offset:8
	buffer_load_dword v101, v97, s[0:3], 0 offen offset:12
	buffer_load_dword v104, v97, s[0:3], 0 offen
	buffer_load_dword v105, v97, s[0:3], 0 offen offset:4
	s_waitcnt vmcnt(2) lgkmcnt(0)
	v_mul_f64 v[106:107], v[3:4], v[100:101]
	v_mul_f64 v[100:101], v[1:2], v[100:101]
	s_waitcnt vmcnt(0)
	v_fma_f64 v[1:2], v[1:2], v[104:105], -v[106:107]
	v_fma_f64 v[3:4], v[3:4], v[104:105], v[100:101]
.LBB109_394:
	s_mov_b32 s6, exec_lo
	v_cmpx_ne_u32_e32 4, v0
	s_cbranch_execz .LBB109_398
; %bb.395:
	v_add_nc_u32_e32 v100, 0x2f0, v103
	v_add3_u32 v101, 0, v103, 16
	v_mov_b32_e32 v102, v0
	s_mov_b32 s8, 0
	.p2align	6
.LBB109_396:                            ; =>This Inner Loop Header: Depth=1
	s_clause 0x3
	buffer_load_dword v108, v101, s[0:3], 0 offen offset:8
	buffer_load_dword v109, v101, s[0:3], 0 offen offset:12
	buffer_load_dword v110, v101, s[0:3], 0 offen
	buffer_load_dword v111, v101, s[0:3], 0 offen offset:4
	ds_read_b128 v[104:107], v100
	v_add_nc_u32_e32 v102, 1, v102
	v_add_nc_u32_e32 v100, 16, v100
	;; [unrolled: 1-line block ×3, first 2 shown]
	v_cmp_lt_u32_e32 vcc_lo, 3, v102
	s_or_b32 s8, vcc_lo, s8
	s_waitcnt vmcnt(2) lgkmcnt(0)
	v_mul_f64 v[112:113], v[106:107], v[108:109]
	v_mul_f64 v[108:109], v[104:105], v[108:109]
	s_waitcnt vmcnt(0)
	v_fma_f64 v[104:105], v[104:105], v[110:111], -v[112:113]
	v_fma_f64 v[106:107], v[106:107], v[110:111], v[108:109]
	v_add_f64 v[1:2], v[1:2], v[104:105]
	v_add_f64 v[3:4], v[3:4], v[106:107]
	s_andn2_b32 exec_lo, exec_lo, s8
	s_cbranch_execnz .LBB109_396
; %bb.397:
	s_or_b32 exec_lo, exec_lo, s8
.LBB109_398:
	s_or_b32 exec_lo, exec_lo, s6
	v_mov_b32_e32 v100, 0
	ds_read_b128 v[104:107], v100 offset:80
	s_waitcnt lgkmcnt(0)
	v_mul_f64 v[100:101], v[3:4], v[106:107]
	v_mul_f64 v[106:107], v[1:2], v[106:107]
	v_fma_f64 v[1:2], v[1:2], v[104:105], -v[100:101]
	v_fma_f64 v[3:4], v[3:4], v[104:105], v[106:107]
	buffer_store_dword v2, off, s[0:3], 0 offset:84
	buffer_store_dword v1, off, s[0:3], 0 offset:80
	;; [unrolled: 1-line block ×4, first 2 shown]
.LBB109_399:
	s_or_b32 exec_lo, exec_lo, s4
	v_mov_b32_e32 v4, s48
	s_mov_b32 s4, exec_lo
	s_clause 0x3
	buffer_load_dword v1, v4, s[0:3], 0 offen
	buffer_load_dword v2, v4, s[0:3], 0 offen offset:4
	buffer_load_dword v3, v4, s[0:3], 0 offen offset:8
	;; [unrolled: 1-line block ×3, first 2 shown]
	s_waitcnt vmcnt(0)
	ds_write_b128 v98, v[1:4]
	s_waitcnt lgkmcnt(0)
	s_waitcnt_vscnt null, 0x0
	s_barrier
	buffer_gl0_inv
	v_cmpx_gt_u32_e32 6, v0
	s_cbranch_execz .LBB109_407
; %bb.400:
	ds_read_b128 v[1:4], v98
	v_cmp_ne_u32_e32 vcc_lo, 1, v99
	s_cbranch_vccnz .LBB109_402
; %bb.401:
	s_clause 0x3
	buffer_load_dword v100, v97, s[0:3], 0 offen offset:8
	buffer_load_dword v101, v97, s[0:3], 0 offen offset:12
	buffer_load_dword v104, v97, s[0:3], 0 offen
	buffer_load_dword v105, v97, s[0:3], 0 offen offset:4
	s_waitcnt vmcnt(2) lgkmcnt(0)
	v_mul_f64 v[106:107], v[3:4], v[100:101]
	v_mul_f64 v[100:101], v[1:2], v[100:101]
	s_waitcnt vmcnt(0)
	v_fma_f64 v[1:2], v[1:2], v[104:105], -v[106:107]
	v_fma_f64 v[3:4], v[3:4], v[104:105], v[100:101]
.LBB109_402:
	s_mov_b32 s6, exec_lo
	v_cmpx_ne_u32_e32 5, v0
	s_cbranch_execz .LBB109_406
; %bb.403:
	v_add_nc_u32_e32 v100, 0x2f0, v103
	v_add3_u32 v101, 0, v103, 16
	v_mov_b32_e32 v102, v0
	s_mov_b32 s8, 0
	.p2align	6
.LBB109_404:                            ; =>This Inner Loop Header: Depth=1
	s_clause 0x3
	buffer_load_dword v108, v101, s[0:3], 0 offen offset:8
	buffer_load_dword v109, v101, s[0:3], 0 offen offset:12
	buffer_load_dword v110, v101, s[0:3], 0 offen
	buffer_load_dword v111, v101, s[0:3], 0 offen offset:4
	ds_read_b128 v[104:107], v100
	v_add_nc_u32_e32 v102, 1, v102
	v_add_nc_u32_e32 v100, 16, v100
	;; [unrolled: 1-line block ×3, first 2 shown]
	v_cmp_lt_u32_e32 vcc_lo, 4, v102
	s_or_b32 s8, vcc_lo, s8
	s_waitcnt vmcnt(2) lgkmcnt(0)
	v_mul_f64 v[112:113], v[106:107], v[108:109]
	v_mul_f64 v[108:109], v[104:105], v[108:109]
	s_waitcnt vmcnt(0)
	v_fma_f64 v[104:105], v[104:105], v[110:111], -v[112:113]
	v_fma_f64 v[106:107], v[106:107], v[110:111], v[108:109]
	v_add_f64 v[1:2], v[1:2], v[104:105]
	v_add_f64 v[3:4], v[3:4], v[106:107]
	s_andn2_b32 exec_lo, exec_lo, s8
	s_cbranch_execnz .LBB109_404
; %bb.405:
	s_or_b32 exec_lo, exec_lo, s8
.LBB109_406:
	s_or_b32 exec_lo, exec_lo, s6
	v_mov_b32_e32 v100, 0
	ds_read_b128 v[104:107], v100 offset:96
	s_waitcnt lgkmcnt(0)
	v_mul_f64 v[100:101], v[3:4], v[106:107]
	v_mul_f64 v[106:107], v[1:2], v[106:107]
	v_fma_f64 v[1:2], v[1:2], v[104:105], -v[100:101]
	v_fma_f64 v[3:4], v[3:4], v[104:105], v[106:107]
	buffer_store_dword v2, off, s[0:3], 0 offset:100
	buffer_store_dword v1, off, s[0:3], 0 offset:96
	;; [unrolled: 1-line block ×4, first 2 shown]
.LBB109_407:
	s_or_b32 exec_lo, exec_lo, s4
	v_mov_b32_e32 v4, s47
	s_mov_b32 s4, exec_lo
	s_clause 0x3
	buffer_load_dword v1, v4, s[0:3], 0 offen
	buffer_load_dword v2, v4, s[0:3], 0 offen offset:4
	buffer_load_dword v3, v4, s[0:3], 0 offen offset:8
	;; [unrolled: 1-line block ×3, first 2 shown]
	s_waitcnt vmcnt(0)
	ds_write_b128 v98, v[1:4]
	s_waitcnt lgkmcnt(0)
	s_waitcnt_vscnt null, 0x0
	s_barrier
	buffer_gl0_inv
	v_cmpx_gt_u32_e32 7, v0
	s_cbranch_execz .LBB109_415
; %bb.408:
	ds_read_b128 v[1:4], v98
	v_cmp_ne_u32_e32 vcc_lo, 1, v99
	s_cbranch_vccnz .LBB109_410
; %bb.409:
	s_clause 0x3
	buffer_load_dword v100, v97, s[0:3], 0 offen offset:8
	buffer_load_dword v101, v97, s[0:3], 0 offen offset:12
	buffer_load_dword v104, v97, s[0:3], 0 offen
	buffer_load_dword v105, v97, s[0:3], 0 offen offset:4
	s_waitcnt vmcnt(2) lgkmcnt(0)
	v_mul_f64 v[106:107], v[3:4], v[100:101]
	v_mul_f64 v[100:101], v[1:2], v[100:101]
	s_waitcnt vmcnt(0)
	v_fma_f64 v[1:2], v[1:2], v[104:105], -v[106:107]
	v_fma_f64 v[3:4], v[3:4], v[104:105], v[100:101]
.LBB109_410:
	s_mov_b32 s6, exec_lo
	v_cmpx_ne_u32_e32 6, v0
	s_cbranch_execz .LBB109_414
; %bb.411:
	v_add_nc_u32_e32 v100, 0x2f0, v103
	v_add3_u32 v101, 0, v103, 16
	v_mov_b32_e32 v102, v0
	s_mov_b32 s8, 0
	.p2align	6
.LBB109_412:                            ; =>This Inner Loop Header: Depth=1
	s_clause 0x3
	buffer_load_dword v108, v101, s[0:3], 0 offen offset:8
	buffer_load_dword v109, v101, s[0:3], 0 offen offset:12
	buffer_load_dword v110, v101, s[0:3], 0 offen
	buffer_load_dword v111, v101, s[0:3], 0 offen offset:4
	ds_read_b128 v[104:107], v100
	v_add_nc_u32_e32 v102, 1, v102
	v_add_nc_u32_e32 v100, 16, v100
	;; [unrolled: 1-line block ×3, first 2 shown]
	v_cmp_lt_u32_e32 vcc_lo, 5, v102
	s_or_b32 s8, vcc_lo, s8
	s_waitcnt vmcnt(2) lgkmcnt(0)
	v_mul_f64 v[112:113], v[106:107], v[108:109]
	v_mul_f64 v[108:109], v[104:105], v[108:109]
	s_waitcnt vmcnt(0)
	v_fma_f64 v[104:105], v[104:105], v[110:111], -v[112:113]
	v_fma_f64 v[106:107], v[106:107], v[110:111], v[108:109]
	v_add_f64 v[1:2], v[1:2], v[104:105]
	v_add_f64 v[3:4], v[3:4], v[106:107]
	s_andn2_b32 exec_lo, exec_lo, s8
	s_cbranch_execnz .LBB109_412
; %bb.413:
	s_or_b32 exec_lo, exec_lo, s8
.LBB109_414:
	s_or_b32 exec_lo, exec_lo, s6
	v_mov_b32_e32 v100, 0
	ds_read_b128 v[104:107], v100 offset:112
	s_waitcnt lgkmcnt(0)
	v_mul_f64 v[100:101], v[3:4], v[106:107]
	v_mul_f64 v[106:107], v[1:2], v[106:107]
	v_fma_f64 v[1:2], v[1:2], v[104:105], -v[100:101]
	v_fma_f64 v[3:4], v[3:4], v[104:105], v[106:107]
	buffer_store_dword v2, off, s[0:3], 0 offset:116
	buffer_store_dword v1, off, s[0:3], 0 offset:112
	buffer_store_dword v4, off, s[0:3], 0 offset:124
	buffer_store_dword v3, off, s[0:3], 0 offset:120
.LBB109_415:
	s_or_b32 exec_lo, exec_lo, s4
	v_mov_b32_e32 v4, s46
	s_mov_b32 s4, exec_lo
	s_clause 0x3
	buffer_load_dword v1, v4, s[0:3], 0 offen
	buffer_load_dword v2, v4, s[0:3], 0 offen offset:4
	buffer_load_dword v3, v4, s[0:3], 0 offen offset:8
	buffer_load_dword v4, v4, s[0:3], 0 offen offset:12
	s_waitcnt vmcnt(0)
	ds_write_b128 v98, v[1:4]
	s_waitcnt lgkmcnt(0)
	s_waitcnt_vscnt null, 0x0
	s_barrier
	buffer_gl0_inv
	v_cmpx_gt_u32_e32 8, v0
	s_cbranch_execz .LBB109_423
; %bb.416:
	ds_read_b128 v[1:4], v98
	v_cmp_ne_u32_e32 vcc_lo, 1, v99
	s_cbranch_vccnz .LBB109_418
; %bb.417:
	s_clause 0x3
	buffer_load_dword v100, v97, s[0:3], 0 offen offset:8
	buffer_load_dword v101, v97, s[0:3], 0 offen offset:12
	buffer_load_dword v104, v97, s[0:3], 0 offen
	buffer_load_dword v105, v97, s[0:3], 0 offen offset:4
	s_waitcnt vmcnt(2) lgkmcnt(0)
	v_mul_f64 v[106:107], v[3:4], v[100:101]
	v_mul_f64 v[100:101], v[1:2], v[100:101]
	s_waitcnt vmcnt(0)
	v_fma_f64 v[1:2], v[1:2], v[104:105], -v[106:107]
	v_fma_f64 v[3:4], v[3:4], v[104:105], v[100:101]
.LBB109_418:
	s_mov_b32 s6, exec_lo
	v_cmpx_ne_u32_e32 7, v0
	s_cbranch_execz .LBB109_422
; %bb.419:
	v_add_nc_u32_e32 v100, 0x2f0, v103
	v_add3_u32 v101, 0, v103, 16
	v_mov_b32_e32 v102, v0
	s_mov_b32 s8, 0
	.p2align	6
.LBB109_420:                            ; =>This Inner Loop Header: Depth=1
	s_clause 0x3
	buffer_load_dword v108, v101, s[0:3], 0 offen offset:8
	buffer_load_dword v109, v101, s[0:3], 0 offen offset:12
	buffer_load_dword v110, v101, s[0:3], 0 offen
	buffer_load_dword v111, v101, s[0:3], 0 offen offset:4
	ds_read_b128 v[104:107], v100
	v_add_nc_u32_e32 v102, 1, v102
	v_add_nc_u32_e32 v100, 16, v100
	;; [unrolled: 1-line block ×3, first 2 shown]
	v_cmp_lt_u32_e32 vcc_lo, 6, v102
	s_or_b32 s8, vcc_lo, s8
	s_waitcnt vmcnt(2) lgkmcnt(0)
	v_mul_f64 v[112:113], v[106:107], v[108:109]
	v_mul_f64 v[108:109], v[104:105], v[108:109]
	s_waitcnt vmcnt(0)
	v_fma_f64 v[104:105], v[104:105], v[110:111], -v[112:113]
	v_fma_f64 v[106:107], v[106:107], v[110:111], v[108:109]
	v_add_f64 v[1:2], v[1:2], v[104:105]
	v_add_f64 v[3:4], v[3:4], v[106:107]
	s_andn2_b32 exec_lo, exec_lo, s8
	s_cbranch_execnz .LBB109_420
; %bb.421:
	s_or_b32 exec_lo, exec_lo, s8
.LBB109_422:
	s_or_b32 exec_lo, exec_lo, s6
	v_mov_b32_e32 v100, 0
	ds_read_b128 v[104:107], v100 offset:128
	s_waitcnt lgkmcnt(0)
	v_mul_f64 v[100:101], v[3:4], v[106:107]
	v_mul_f64 v[106:107], v[1:2], v[106:107]
	v_fma_f64 v[1:2], v[1:2], v[104:105], -v[100:101]
	v_fma_f64 v[3:4], v[3:4], v[104:105], v[106:107]
	buffer_store_dword v2, off, s[0:3], 0 offset:132
	buffer_store_dword v1, off, s[0:3], 0 offset:128
	;; [unrolled: 1-line block ×4, first 2 shown]
.LBB109_423:
	s_or_b32 exec_lo, exec_lo, s4
	v_mov_b32_e32 v4, s45
	s_mov_b32 s4, exec_lo
	s_clause 0x3
	buffer_load_dword v1, v4, s[0:3], 0 offen
	buffer_load_dword v2, v4, s[0:3], 0 offen offset:4
	buffer_load_dword v3, v4, s[0:3], 0 offen offset:8
	;; [unrolled: 1-line block ×3, first 2 shown]
	s_waitcnt vmcnt(0)
	ds_write_b128 v98, v[1:4]
	s_waitcnt lgkmcnt(0)
	s_waitcnt_vscnt null, 0x0
	s_barrier
	buffer_gl0_inv
	v_cmpx_gt_u32_e32 9, v0
	s_cbranch_execz .LBB109_431
; %bb.424:
	ds_read_b128 v[1:4], v98
	v_cmp_ne_u32_e32 vcc_lo, 1, v99
	s_cbranch_vccnz .LBB109_426
; %bb.425:
	s_clause 0x3
	buffer_load_dword v100, v97, s[0:3], 0 offen offset:8
	buffer_load_dword v101, v97, s[0:3], 0 offen offset:12
	buffer_load_dword v104, v97, s[0:3], 0 offen
	buffer_load_dword v105, v97, s[0:3], 0 offen offset:4
	s_waitcnt vmcnt(2) lgkmcnt(0)
	v_mul_f64 v[106:107], v[3:4], v[100:101]
	v_mul_f64 v[100:101], v[1:2], v[100:101]
	s_waitcnt vmcnt(0)
	v_fma_f64 v[1:2], v[1:2], v[104:105], -v[106:107]
	v_fma_f64 v[3:4], v[3:4], v[104:105], v[100:101]
.LBB109_426:
	s_mov_b32 s6, exec_lo
	v_cmpx_ne_u32_e32 8, v0
	s_cbranch_execz .LBB109_430
; %bb.427:
	v_add_nc_u32_e32 v100, 0x2f0, v103
	v_add3_u32 v101, 0, v103, 16
	v_mov_b32_e32 v102, v0
	s_mov_b32 s8, 0
	.p2align	6
.LBB109_428:                            ; =>This Inner Loop Header: Depth=1
	s_clause 0x3
	buffer_load_dword v108, v101, s[0:3], 0 offen offset:8
	buffer_load_dword v109, v101, s[0:3], 0 offen offset:12
	buffer_load_dword v110, v101, s[0:3], 0 offen
	buffer_load_dword v111, v101, s[0:3], 0 offen offset:4
	ds_read_b128 v[104:107], v100
	v_add_nc_u32_e32 v102, 1, v102
	v_add_nc_u32_e32 v100, 16, v100
	;; [unrolled: 1-line block ×3, first 2 shown]
	v_cmp_lt_u32_e32 vcc_lo, 7, v102
	s_or_b32 s8, vcc_lo, s8
	s_waitcnt vmcnt(2) lgkmcnt(0)
	v_mul_f64 v[112:113], v[106:107], v[108:109]
	v_mul_f64 v[108:109], v[104:105], v[108:109]
	s_waitcnt vmcnt(0)
	v_fma_f64 v[104:105], v[104:105], v[110:111], -v[112:113]
	v_fma_f64 v[106:107], v[106:107], v[110:111], v[108:109]
	v_add_f64 v[1:2], v[1:2], v[104:105]
	v_add_f64 v[3:4], v[3:4], v[106:107]
	s_andn2_b32 exec_lo, exec_lo, s8
	s_cbranch_execnz .LBB109_428
; %bb.429:
	s_or_b32 exec_lo, exec_lo, s8
.LBB109_430:
	s_or_b32 exec_lo, exec_lo, s6
	v_mov_b32_e32 v100, 0
	ds_read_b128 v[104:107], v100 offset:144
	s_waitcnt lgkmcnt(0)
	v_mul_f64 v[100:101], v[3:4], v[106:107]
	v_mul_f64 v[106:107], v[1:2], v[106:107]
	v_fma_f64 v[1:2], v[1:2], v[104:105], -v[100:101]
	v_fma_f64 v[3:4], v[3:4], v[104:105], v[106:107]
	buffer_store_dword v2, off, s[0:3], 0 offset:148
	buffer_store_dword v1, off, s[0:3], 0 offset:144
	;; [unrolled: 1-line block ×4, first 2 shown]
.LBB109_431:
	s_or_b32 exec_lo, exec_lo, s4
	v_mov_b32_e32 v4, s44
	s_mov_b32 s4, exec_lo
	s_clause 0x3
	buffer_load_dword v1, v4, s[0:3], 0 offen
	buffer_load_dword v2, v4, s[0:3], 0 offen offset:4
	buffer_load_dword v3, v4, s[0:3], 0 offen offset:8
	buffer_load_dword v4, v4, s[0:3], 0 offen offset:12
	s_waitcnt vmcnt(0)
	ds_write_b128 v98, v[1:4]
	s_waitcnt lgkmcnt(0)
	s_waitcnt_vscnt null, 0x0
	s_barrier
	buffer_gl0_inv
	v_cmpx_gt_u32_e32 10, v0
	s_cbranch_execz .LBB109_439
; %bb.432:
	ds_read_b128 v[1:4], v98
	v_cmp_ne_u32_e32 vcc_lo, 1, v99
	s_cbranch_vccnz .LBB109_434
; %bb.433:
	s_clause 0x3
	buffer_load_dword v100, v97, s[0:3], 0 offen offset:8
	buffer_load_dword v101, v97, s[0:3], 0 offen offset:12
	buffer_load_dword v104, v97, s[0:3], 0 offen
	buffer_load_dword v105, v97, s[0:3], 0 offen offset:4
	s_waitcnt vmcnt(2) lgkmcnt(0)
	v_mul_f64 v[106:107], v[3:4], v[100:101]
	v_mul_f64 v[100:101], v[1:2], v[100:101]
	s_waitcnt vmcnt(0)
	v_fma_f64 v[1:2], v[1:2], v[104:105], -v[106:107]
	v_fma_f64 v[3:4], v[3:4], v[104:105], v[100:101]
.LBB109_434:
	s_mov_b32 s6, exec_lo
	v_cmpx_ne_u32_e32 9, v0
	s_cbranch_execz .LBB109_438
; %bb.435:
	v_add_nc_u32_e32 v100, 0x2f0, v103
	v_add3_u32 v101, 0, v103, 16
	v_mov_b32_e32 v102, v0
	s_mov_b32 s8, 0
	.p2align	6
.LBB109_436:                            ; =>This Inner Loop Header: Depth=1
	s_clause 0x3
	buffer_load_dword v108, v101, s[0:3], 0 offen offset:8
	buffer_load_dword v109, v101, s[0:3], 0 offen offset:12
	buffer_load_dword v110, v101, s[0:3], 0 offen
	buffer_load_dword v111, v101, s[0:3], 0 offen offset:4
	ds_read_b128 v[104:107], v100
	v_add_nc_u32_e32 v102, 1, v102
	v_add_nc_u32_e32 v100, 16, v100
	;; [unrolled: 1-line block ×3, first 2 shown]
	v_cmp_lt_u32_e32 vcc_lo, 8, v102
	s_or_b32 s8, vcc_lo, s8
	s_waitcnt vmcnt(2) lgkmcnt(0)
	v_mul_f64 v[112:113], v[106:107], v[108:109]
	v_mul_f64 v[108:109], v[104:105], v[108:109]
	s_waitcnt vmcnt(0)
	v_fma_f64 v[104:105], v[104:105], v[110:111], -v[112:113]
	v_fma_f64 v[106:107], v[106:107], v[110:111], v[108:109]
	v_add_f64 v[1:2], v[1:2], v[104:105]
	v_add_f64 v[3:4], v[3:4], v[106:107]
	s_andn2_b32 exec_lo, exec_lo, s8
	s_cbranch_execnz .LBB109_436
; %bb.437:
	s_or_b32 exec_lo, exec_lo, s8
.LBB109_438:
	s_or_b32 exec_lo, exec_lo, s6
	v_mov_b32_e32 v100, 0
	ds_read_b128 v[104:107], v100 offset:160
	s_waitcnt lgkmcnt(0)
	v_mul_f64 v[100:101], v[3:4], v[106:107]
	v_mul_f64 v[106:107], v[1:2], v[106:107]
	v_fma_f64 v[1:2], v[1:2], v[104:105], -v[100:101]
	v_fma_f64 v[3:4], v[3:4], v[104:105], v[106:107]
	buffer_store_dword v2, off, s[0:3], 0 offset:164
	buffer_store_dword v1, off, s[0:3], 0 offset:160
	;; [unrolled: 1-line block ×4, first 2 shown]
.LBB109_439:
	s_or_b32 exec_lo, exec_lo, s4
	v_mov_b32_e32 v4, s43
	s_mov_b32 s4, exec_lo
	s_clause 0x3
	buffer_load_dword v1, v4, s[0:3], 0 offen
	buffer_load_dword v2, v4, s[0:3], 0 offen offset:4
	buffer_load_dword v3, v4, s[0:3], 0 offen offset:8
	;; [unrolled: 1-line block ×3, first 2 shown]
	s_waitcnt vmcnt(0)
	ds_write_b128 v98, v[1:4]
	s_waitcnt lgkmcnt(0)
	s_waitcnt_vscnt null, 0x0
	s_barrier
	buffer_gl0_inv
	v_cmpx_gt_u32_e32 11, v0
	s_cbranch_execz .LBB109_447
; %bb.440:
	ds_read_b128 v[1:4], v98
	v_cmp_ne_u32_e32 vcc_lo, 1, v99
	s_cbranch_vccnz .LBB109_442
; %bb.441:
	s_clause 0x3
	buffer_load_dword v100, v97, s[0:3], 0 offen offset:8
	buffer_load_dword v101, v97, s[0:3], 0 offen offset:12
	buffer_load_dword v104, v97, s[0:3], 0 offen
	buffer_load_dword v105, v97, s[0:3], 0 offen offset:4
	s_waitcnt vmcnt(2) lgkmcnt(0)
	v_mul_f64 v[106:107], v[3:4], v[100:101]
	v_mul_f64 v[100:101], v[1:2], v[100:101]
	s_waitcnt vmcnt(0)
	v_fma_f64 v[1:2], v[1:2], v[104:105], -v[106:107]
	v_fma_f64 v[3:4], v[3:4], v[104:105], v[100:101]
.LBB109_442:
	s_mov_b32 s6, exec_lo
	v_cmpx_ne_u32_e32 10, v0
	s_cbranch_execz .LBB109_446
; %bb.443:
	v_add_nc_u32_e32 v100, 0x2f0, v103
	v_add3_u32 v101, 0, v103, 16
	v_mov_b32_e32 v102, v0
	s_mov_b32 s8, 0
	.p2align	6
.LBB109_444:                            ; =>This Inner Loop Header: Depth=1
	s_clause 0x3
	buffer_load_dword v108, v101, s[0:3], 0 offen offset:8
	buffer_load_dword v109, v101, s[0:3], 0 offen offset:12
	buffer_load_dword v110, v101, s[0:3], 0 offen
	buffer_load_dword v111, v101, s[0:3], 0 offen offset:4
	ds_read_b128 v[104:107], v100
	v_add_nc_u32_e32 v102, 1, v102
	v_add_nc_u32_e32 v100, 16, v100
	;; [unrolled: 1-line block ×3, first 2 shown]
	v_cmp_lt_u32_e32 vcc_lo, 9, v102
	s_or_b32 s8, vcc_lo, s8
	s_waitcnt vmcnt(2) lgkmcnt(0)
	v_mul_f64 v[112:113], v[106:107], v[108:109]
	v_mul_f64 v[108:109], v[104:105], v[108:109]
	s_waitcnt vmcnt(0)
	v_fma_f64 v[104:105], v[104:105], v[110:111], -v[112:113]
	v_fma_f64 v[106:107], v[106:107], v[110:111], v[108:109]
	v_add_f64 v[1:2], v[1:2], v[104:105]
	v_add_f64 v[3:4], v[3:4], v[106:107]
	s_andn2_b32 exec_lo, exec_lo, s8
	s_cbranch_execnz .LBB109_444
; %bb.445:
	s_or_b32 exec_lo, exec_lo, s8
.LBB109_446:
	s_or_b32 exec_lo, exec_lo, s6
	v_mov_b32_e32 v100, 0
	ds_read_b128 v[104:107], v100 offset:176
	s_waitcnt lgkmcnt(0)
	v_mul_f64 v[100:101], v[3:4], v[106:107]
	v_mul_f64 v[106:107], v[1:2], v[106:107]
	v_fma_f64 v[1:2], v[1:2], v[104:105], -v[100:101]
	v_fma_f64 v[3:4], v[3:4], v[104:105], v[106:107]
	buffer_store_dword v2, off, s[0:3], 0 offset:180
	buffer_store_dword v1, off, s[0:3], 0 offset:176
	;; [unrolled: 1-line block ×4, first 2 shown]
.LBB109_447:
	s_or_b32 exec_lo, exec_lo, s4
	v_mov_b32_e32 v4, s42
	s_mov_b32 s4, exec_lo
	s_clause 0x3
	buffer_load_dword v1, v4, s[0:3], 0 offen
	buffer_load_dword v2, v4, s[0:3], 0 offen offset:4
	buffer_load_dword v3, v4, s[0:3], 0 offen offset:8
	;; [unrolled: 1-line block ×3, first 2 shown]
	s_waitcnt vmcnt(0)
	ds_write_b128 v98, v[1:4]
	s_waitcnt lgkmcnt(0)
	s_waitcnt_vscnt null, 0x0
	s_barrier
	buffer_gl0_inv
	v_cmpx_gt_u32_e32 12, v0
	s_cbranch_execz .LBB109_455
; %bb.448:
	ds_read_b128 v[1:4], v98
	v_cmp_ne_u32_e32 vcc_lo, 1, v99
	s_cbranch_vccnz .LBB109_450
; %bb.449:
	s_clause 0x3
	buffer_load_dword v100, v97, s[0:3], 0 offen offset:8
	buffer_load_dword v101, v97, s[0:3], 0 offen offset:12
	buffer_load_dword v104, v97, s[0:3], 0 offen
	buffer_load_dword v105, v97, s[0:3], 0 offen offset:4
	s_waitcnt vmcnt(2) lgkmcnt(0)
	v_mul_f64 v[106:107], v[3:4], v[100:101]
	v_mul_f64 v[100:101], v[1:2], v[100:101]
	s_waitcnt vmcnt(0)
	v_fma_f64 v[1:2], v[1:2], v[104:105], -v[106:107]
	v_fma_f64 v[3:4], v[3:4], v[104:105], v[100:101]
.LBB109_450:
	s_mov_b32 s6, exec_lo
	v_cmpx_ne_u32_e32 11, v0
	s_cbranch_execz .LBB109_454
; %bb.451:
	v_add_nc_u32_e32 v100, 0x2f0, v103
	v_add3_u32 v101, 0, v103, 16
	v_mov_b32_e32 v102, v0
	s_mov_b32 s8, 0
	.p2align	6
.LBB109_452:                            ; =>This Inner Loop Header: Depth=1
	s_clause 0x3
	buffer_load_dword v108, v101, s[0:3], 0 offen offset:8
	buffer_load_dword v109, v101, s[0:3], 0 offen offset:12
	buffer_load_dword v110, v101, s[0:3], 0 offen
	buffer_load_dword v111, v101, s[0:3], 0 offen offset:4
	ds_read_b128 v[104:107], v100
	v_add_nc_u32_e32 v102, 1, v102
	v_add_nc_u32_e32 v100, 16, v100
	;; [unrolled: 1-line block ×3, first 2 shown]
	v_cmp_lt_u32_e32 vcc_lo, 10, v102
	s_or_b32 s8, vcc_lo, s8
	s_waitcnt vmcnt(2) lgkmcnt(0)
	v_mul_f64 v[112:113], v[106:107], v[108:109]
	v_mul_f64 v[108:109], v[104:105], v[108:109]
	s_waitcnt vmcnt(0)
	v_fma_f64 v[104:105], v[104:105], v[110:111], -v[112:113]
	v_fma_f64 v[106:107], v[106:107], v[110:111], v[108:109]
	v_add_f64 v[1:2], v[1:2], v[104:105]
	v_add_f64 v[3:4], v[3:4], v[106:107]
	s_andn2_b32 exec_lo, exec_lo, s8
	s_cbranch_execnz .LBB109_452
; %bb.453:
	s_or_b32 exec_lo, exec_lo, s8
.LBB109_454:
	s_or_b32 exec_lo, exec_lo, s6
	v_mov_b32_e32 v100, 0
	ds_read_b128 v[104:107], v100 offset:192
	s_waitcnt lgkmcnt(0)
	v_mul_f64 v[100:101], v[3:4], v[106:107]
	v_mul_f64 v[106:107], v[1:2], v[106:107]
	v_fma_f64 v[1:2], v[1:2], v[104:105], -v[100:101]
	v_fma_f64 v[3:4], v[3:4], v[104:105], v[106:107]
	buffer_store_dword v2, off, s[0:3], 0 offset:196
	buffer_store_dword v1, off, s[0:3], 0 offset:192
	buffer_store_dword v4, off, s[0:3], 0 offset:204
	buffer_store_dword v3, off, s[0:3], 0 offset:200
.LBB109_455:
	s_or_b32 exec_lo, exec_lo, s4
	v_mov_b32_e32 v4, s41
	s_mov_b32 s4, exec_lo
	s_clause 0x3
	buffer_load_dword v1, v4, s[0:3], 0 offen
	buffer_load_dword v2, v4, s[0:3], 0 offen offset:4
	buffer_load_dword v3, v4, s[0:3], 0 offen offset:8
	;; [unrolled: 1-line block ×3, first 2 shown]
	s_waitcnt vmcnt(0)
	ds_write_b128 v98, v[1:4]
	s_waitcnt lgkmcnt(0)
	s_waitcnt_vscnt null, 0x0
	s_barrier
	buffer_gl0_inv
	v_cmpx_gt_u32_e32 13, v0
	s_cbranch_execz .LBB109_463
; %bb.456:
	ds_read_b128 v[1:4], v98
	v_cmp_ne_u32_e32 vcc_lo, 1, v99
	s_cbranch_vccnz .LBB109_458
; %bb.457:
	s_clause 0x3
	buffer_load_dword v100, v97, s[0:3], 0 offen offset:8
	buffer_load_dword v101, v97, s[0:3], 0 offen offset:12
	buffer_load_dword v104, v97, s[0:3], 0 offen
	buffer_load_dword v105, v97, s[0:3], 0 offen offset:4
	s_waitcnt vmcnt(2) lgkmcnt(0)
	v_mul_f64 v[106:107], v[3:4], v[100:101]
	v_mul_f64 v[100:101], v[1:2], v[100:101]
	s_waitcnt vmcnt(0)
	v_fma_f64 v[1:2], v[1:2], v[104:105], -v[106:107]
	v_fma_f64 v[3:4], v[3:4], v[104:105], v[100:101]
.LBB109_458:
	s_mov_b32 s6, exec_lo
	v_cmpx_ne_u32_e32 12, v0
	s_cbranch_execz .LBB109_462
; %bb.459:
	v_add_nc_u32_e32 v100, 0x2f0, v103
	v_add3_u32 v101, 0, v103, 16
	v_mov_b32_e32 v102, v0
	s_mov_b32 s8, 0
	.p2align	6
.LBB109_460:                            ; =>This Inner Loop Header: Depth=1
	s_clause 0x3
	buffer_load_dword v108, v101, s[0:3], 0 offen offset:8
	buffer_load_dword v109, v101, s[0:3], 0 offen offset:12
	buffer_load_dword v110, v101, s[0:3], 0 offen
	buffer_load_dword v111, v101, s[0:3], 0 offen offset:4
	ds_read_b128 v[104:107], v100
	v_add_nc_u32_e32 v102, 1, v102
	v_add_nc_u32_e32 v100, 16, v100
	;; [unrolled: 1-line block ×3, first 2 shown]
	v_cmp_lt_u32_e32 vcc_lo, 11, v102
	s_or_b32 s8, vcc_lo, s8
	s_waitcnt vmcnt(2) lgkmcnt(0)
	v_mul_f64 v[112:113], v[106:107], v[108:109]
	v_mul_f64 v[108:109], v[104:105], v[108:109]
	s_waitcnt vmcnt(0)
	v_fma_f64 v[104:105], v[104:105], v[110:111], -v[112:113]
	v_fma_f64 v[106:107], v[106:107], v[110:111], v[108:109]
	v_add_f64 v[1:2], v[1:2], v[104:105]
	v_add_f64 v[3:4], v[3:4], v[106:107]
	s_andn2_b32 exec_lo, exec_lo, s8
	s_cbranch_execnz .LBB109_460
; %bb.461:
	s_or_b32 exec_lo, exec_lo, s8
.LBB109_462:
	s_or_b32 exec_lo, exec_lo, s6
	v_mov_b32_e32 v100, 0
	ds_read_b128 v[104:107], v100 offset:208
	s_waitcnt lgkmcnt(0)
	v_mul_f64 v[100:101], v[3:4], v[106:107]
	v_mul_f64 v[106:107], v[1:2], v[106:107]
	v_fma_f64 v[1:2], v[1:2], v[104:105], -v[100:101]
	v_fma_f64 v[3:4], v[3:4], v[104:105], v[106:107]
	buffer_store_dword v2, off, s[0:3], 0 offset:212
	buffer_store_dword v1, off, s[0:3], 0 offset:208
	;; [unrolled: 1-line block ×4, first 2 shown]
.LBB109_463:
	s_or_b32 exec_lo, exec_lo, s4
	v_mov_b32_e32 v4, s40
	s_mov_b32 s4, exec_lo
	s_clause 0x3
	buffer_load_dword v1, v4, s[0:3], 0 offen
	buffer_load_dword v2, v4, s[0:3], 0 offen offset:4
	buffer_load_dword v3, v4, s[0:3], 0 offen offset:8
	;; [unrolled: 1-line block ×3, first 2 shown]
	s_waitcnt vmcnt(0)
	ds_write_b128 v98, v[1:4]
	s_waitcnt lgkmcnt(0)
	s_waitcnt_vscnt null, 0x0
	s_barrier
	buffer_gl0_inv
	v_cmpx_gt_u32_e32 14, v0
	s_cbranch_execz .LBB109_471
; %bb.464:
	ds_read_b128 v[1:4], v98
	v_cmp_ne_u32_e32 vcc_lo, 1, v99
	s_cbranch_vccnz .LBB109_466
; %bb.465:
	s_clause 0x3
	buffer_load_dword v100, v97, s[0:3], 0 offen offset:8
	buffer_load_dword v101, v97, s[0:3], 0 offen offset:12
	buffer_load_dword v104, v97, s[0:3], 0 offen
	buffer_load_dword v105, v97, s[0:3], 0 offen offset:4
	s_waitcnt vmcnt(2) lgkmcnt(0)
	v_mul_f64 v[106:107], v[3:4], v[100:101]
	v_mul_f64 v[100:101], v[1:2], v[100:101]
	s_waitcnt vmcnt(0)
	v_fma_f64 v[1:2], v[1:2], v[104:105], -v[106:107]
	v_fma_f64 v[3:4], v[3:4], v[104:105], v[100:101]
.LBB109_466:
	s_mov_b32 s6, exec_lo
	v_cmpx_ne_u32_e32 13, v0
	s_cbranch_execz .LBB109_470
; %bb.467:
	v_add_nc_u32_e32 v100, 0x2f0, v103
	v_add3_u32 v101, 0, v103, 16
	v_mov_b32_e32 v102, v0
	s_mov_b32 s8, 0
	.p2align	6
.LBB109_468:                            ; =>This Inner Loop Header: Depth=1
	s_clause 0x3
	buffer_load_dword v108, v101, s[0:3], 0 offen offset:8
	buffer_load_dword v109, v101, s[0:3], 0 offen offset:12
	buffer_load_dword v110, v101, s[0:3], 0 offen
	buffer_load_dword v111, v101, s[0:3], 0 offen offset:4
	ds_read_b128 v[104:107], v100
	v_add_nc_u32_e32 v102, 1, v102
	v_add_nc_u32_e32 v100, 16, v100
	;; [unrolled: 1-line block ×3, first 2 shown]
	v_cmp_lt_u32_e32 vcc_lo, 12, v102
	s_or_b32 s8, vcc_lo, s8
	s_waitcnt vmcnt(2) lgkmcnt(0)
	v_mul_f64 v[112:113], v[106:107], v[108:109]
	v_mul_f64 v[108:109], v[104:105], v[108:109]
	s_waitcnt vmcnt(0)
	v_fma_f64 v[104:105], v[104:105], v[110:111], -v[112:113]
	v_fma_f64 v[106:107], v[106:107], v[110:111], v[108:109]
	v_add_f64 v[1:2], v[1:2], v[104:105]
	v_add_f64 v[3:4], v[3:4], v[106:107]
	s_andn2_b32 exec_lo, exec_lo, s8
	s_cbranch_execnz .LBB109_468
; %bb.469:
	s_or_b32 exec_lo, exec_lo, s8
.LBB109_470:
	s_or_b32 exec_lo, exec_lo, s6
	v_mov_b32_e32 v100, 0
	ds_read_b128 v[104:107], v100 offset:224
	s_waitcnt lgkmcnt(0)
	v_mul_f64 v[100:101], v[3:4], v[106:107]
	v_mul_f64 v[106:107], v[1:2], v[106:107]
	v_fma_f64 v[1:2], v[1:2], v[104:105], -v[100:101]
	v_fma_f64 v[3:4], v[3:4], v[104:105], v[106:107]
	buffer_store_dword v2, off, s[0:3], 0 offset:228
	buffer_store_dword v1, off, s[0:3], 0 offset:224
	;; [unrolled: 1-line block ×4, first 2 shown]
.LBB109_471:
	s_or_b32 exec_lo, exec_lo, s4
	v_mov_b32_e32 v4, s39
	s_mov_b32 s4, exec_lo
	s_clause 0x3
	buffer_load_dword v1, v4, s[0:3], 0 offen
	buffer_load_dword v2, v4, s[0:3], 0 offen offset:4
	buffer_load_dword v3, v4, s[0:3], 0 offen offset:8
	;; [unrolled: 1-line block ×3, first 2 shown]
	s_waitcnt vmcnt(0)
	ds_write_b128 v98, v[1:4]
	s_waitcnt lgkmcnt(0)
	s_waitcnt_vscnt null, 0x0
	s_barrier
	buffer_gl0_inv
	v_cmpx_gt_u32_e32 15, v0
	s_cbranch_execz .LBB109_479
; %bb.472:
	ds_read_b128 v[1:4], v98
	v_cmp_ne_u32_e32 vcc_lo, 1, v99
	s_cbranch_vccnz .LBB109_474
; %bb.473:
	s_clause 0x3
	buffer_load_dword v100, v97, s[0:3], 0 offen offset:8
	buffer_load_dword v101, v97, s[0:3], 0 offen offset:12
	buffer_load_dword v104, v97, s[0:3], 0 offen
	buffer_load_dword v105, v97, s[0:3], 0 offen offset:4
	s_waitcnt vmcnt(2) lgkmcnt(0)
	v_mul_f64 v[106:107], v[3:4], v[100:101]
	v_mul_f64 v[100:101], v[1:2], v[100:101]
	s_waitcnt vmcnt(0)
	v_fma_f64 v[1:2], v[1:2], v[104:105], -v[106:107]
	v_fma_f64 v[3:4], v[3:4], v[104:105], v[100:101]
.LBB109_474:
	s_mov_b32 s6, exec_lo
	v_cmpx_ne_u32_e32 14, v0
	s_cbranch_execz .LBB109_478
; %bb.475:
	v_add_nc_u32_e32 v100, 0x2f0, v103
	v_add3_u32 v101, 0, v103, 16
	v_mov_b32_e32 v102, v0
	s_mov_b32 s8, 0
	.p2align	6
.LBB109_476:                            ; =>This Inner Loop Header: Depth=1
	s_clause 0x3
	buffer_load_dword v108, v101, s[0:3], 0 offen offset:8
	buffer_load_dword v109, v101, s[0:3], 0 offen offset:12
	buffer_load_dword v110, v101, s[0:3], 0 offen
	buffer_load_dword v111, v101, s[0:3], 0 offen offset:4
	ds_read_b128 v[104:107], v100
	v_add_nc_u32_e32 v102, 1, v102
	v_add_nc_u32_e32 v100, 16, v100
	;; [unrolled: 1-line block ×3, first 2 shown]
	v_cmp_lt_u32_e32 vcc_lo, 13, v102
	s_or_b32 s8, vcc_lo, s8
	s_waitcnt vmcnt(2) lgkmcnt(0)
	v_mul_f64 v[112:113], v[106:107], v[108:109]
	v_mul_f64 v[108:109], v[104:105], v[108:109]
	s_waitcnt vmcnt(0)
	v_fma_f64 v[104:105], v[104:105], v[110:111], -v[112:113]
	v_fma_f64 v[106:107], v[106:107], v[110:111], v[108:109]
	v_add_f64 v[1:2], v[1:2], v[104:105]
	v_add_f64 v[3:4], v[3:4], v[106:107]
	s_andn2_b32 exec_lo, exec_lo, s8
	s_cbranch_execnz .LBB109_476
; %bb.477:
	s_or_b32 exec_lo, exec_lo, s8
.LBB109_478:
	s_or_b32 exec_lo, exec_lo, s6
	v_mov_b32_e32 v100, 0
	ds_read_b128 v[104:107], v100 offset:240
	s_waitcnt lgkmcnt(0)
	v_mul_f64 v[100:101], v[3:4], v[106:107]
	v_mul_f64 v[106:107], v[1:2], v[106:107]
	v_fma_f64 v[1:2], v[1:2], v[104:105], -v[100:101]
	v_fma_f64 v[3:4], v[3:4], v[104:105], v[106:107]
	buffer_store_dword v2, off, s[0:3], 0 offset:244
	buffer_store_dword v1, off, s[0:3], 0 offset:240
	;; [unrolled: 1-line block ×4, first 2 shown]
.LBB109_479:
	s_or_b32 exec_lo, exec_lo, s4
	v_mov_b32_e32 v4, s38
	s_mov_b32 s4, exec_lo
	s_clause 0x3
	buffer_load_dword v1, v4, s[0:3], 0 offen
	buffer_load_dword v2, v4, s[0:3], 0 offen offset:4
	buffer_load_dword v3, v4, s[0:3], 0 offen offset:8
	buffer_load_dword v4, v4, s[0:3], 0 offen offset:12
	s_waitcnt vmcnt(0)
	ds_write_b128 v98, v[1:4]
	s_waitcnt lgkmcnt(0)
	s_waitcnt_vscnt null, 0x0
	s_barrier
	buffer_gl0_inv
	v_cmpx_gt_u32_e32 16, v0
	s_cbranch_execz .LBB109_487
; %bb.480:
	ds_read_b128 v[1:4], v98
	v_cmp_ne_u32_e32 vcc_lo, 1, v99
	s_cbranch_vccnz .LBB109_482
; %bb.481:
	s_clause 0x3
	buffer_load_dword v100, v97, s[0:3], 0 offen offset:8
	buffer_load_dword v101, v97, s[0:3], 0 offen offset:12
	buffer_load_dword v104, v97, s[0:3], 0 offen
	buffer_load_dword v105, v97, s[0:3], 0 offen offset:4
	s_waitcnt vmcnt(2) lgkmcnt(0)
	v_mul_f64 v[106:107], v[3:4], v[100:101]
	v_mul_f64 v[100:101], v[1:2], v[100:101]
	s_waitcnt vmcnt(0)
	v_fma_f64 v[1:2], v[1:2], v[104:105], -v[106:107]
	v_fma_f64 v[3:4], v[3:4], v[104:105], v[100:101]
.LBB109_482:
	s_mov_b32 s6, exec_lo
	v_cmpx_ne_u32_e32 15, v0
	s_cbranch_execz .LBB109_486
; %bb.483:
	v_add_nc_u32_e32 v100, 0x2f0, v103
	v_add3_u32 v101, 0, v103, 16
	v_mov_b32_e32 v102, v0
	s_mov_b32 s8, 0
	.p2align	6
.LBB109_484:                            ; =>This Inner Loop Header: Depth=1
	s_clause 0x3
	buffer_load_dword v108, v101, s[0:3], 0 offen offset:8
	buffer_load_dword v109, v101, s[0:3], 0 offen offset:12
	buffer_load_dword v110, v101, s[0:3], 0 offen
	buffer_load_dword v111, v101, s[0:3], 0 offen offset:4
	ds_read_b128 v[104:107], v100
	v_add_nc_u32_e32 v102, 1, v102
	v_add_nc_u32_e32 v100, 16, v100
	;; [unrolled: 1-line block ×3, first 2 shown]
	v_cmp_lt_u32_e32 vcc_lo, 14, v102
	s_or_b32 s8, vcc_lo, s8
	s_waitcnt vmcnt(2) lgkmcnt(0)
	v_mul_f64 v[112:113], v[106:107], v[108:109]
	v_mul_f64 v[108:109], v[104:105], v[108:109]
	s_waitcnt vmcnt(0)
	v_fma_f64 v[104:105], v[104:105], v[110:111], -v[112:113]
	v_fma_f64 v[106:107], v[106:107], v[110:111], v[108:109]
	v_add_f64 v[1:2], v[1:2], v[104:105]
	v_add_f64 v[3:4], v[3:4], v[106:107]
	s_andn2_b32 exec_lo, exec_lo, s8
	s_cbranch_execnz .LBB109_484
; %bb.485:
	s_or_b32 exec_lo, exec_lo, s8
.LBB109_486:
	s_or_b32 exec_lo, exec_lo, s6
	v_mov_b32_e32 v100, 0
	ds_read_b128 v[104:107], v100 offset:256
	s_waitcnt lgkmcnt(0)
	v_mul_f64 v[100:101], v[3:4], v[106:107]
	v_mul_f64 v[106:107], v[1:2], v[106:107]
	v_fma_f64 v[1:2], v[1:2], v[104:105], -v[100:101]
	v_fma_f64 v[3:4], v[3:4], v[104:105], v[106:107]
	buffer_store_dword v2, off, s[0:3], 0 offset:260
	buffer_store_dword v1, off, s[0:3], 0 offset:256
	;; [unrolled: 1-line block ×4, first 2 shown]
.LBB109_487:
	s_or_b32 exec_lo, exec_lo, s4
	v_mov_b32_e32 v4, s37
	s_mov_b32 s4, exec_lo
	s_clause 0x3
	buffer_load_dword v1, v4, s[0:3], 0 offen
	buffer_load_dword v2, v4, s[0:3], 0 offen offset:4
	buffer_load_dword v3, v4, s[0:3], 0 offen offset:8
	;; [unrolled: 1-line block ×3, first 2 shown]
	s_waitcnt vmcnt(0)
	ds_write_b128 v98, v[1:4]
	s_waitcnt lgkmcnt(0)
	s_waitcnt_vscnt null, 0x0
	s_barrier
	buffer_gl0_inv
	v_cmpx_gt_u32_e32 17, v0
	s_cbranch_execz .LBB109_495
; %bb.488:
	ds_read_b128 v[1:4], v98
	v_cmp_ne_u32_e32 vcc_lo, 1, v99
	s_cbranch_vccnz .LBB109_490
; %bb.489:
	s_clause 0x3
	buffer_load_dword v100, v97, s[0:3], 0 offen offset:8
	buffer_load_dword v101, v97, s[0:3], 0 offen offset:12
	buffer_load_dword v104, v97, s[0:3], 0 offen
	buffer_load_dword v105, v97, s[0:3], 0 offen offset:4
	s_waitcnt vmcnt(2) lgkmcnt(0)
	v_mul_f64 v[106:107], v[3:4], v[100:101]
	v_mul_f64 v[100:101], v[1:2], v[100:101]
	s_waitcnt vmcnt(0)
	v_fma_f64 v[1:2], v[1:2], v[104:105], -v[106:107]
	v_fma_f64 v[3:4], v[3:4], v[104:105], v[100:101]
.LBB109_490:
	s_mov_b32 s6, exec_lo
	v_cmpx_ne_u32_e32 16, v0
	s_cbranch_execz .LBB109_494
; %bb.491:
	v_add_nc_u32_e32 v100, 0x2f0, v103
	v_add3_u32 v101, 0, v103, 16
	v_mov_b32_e32 v102, v0
	s_mov_b32 s8, 0
	.p2align	6
.LBB109_492:                            ; =>This Inner Loop Header: Depth=1
	s_clause 0x3
	buffer_load_dword v108, v101, s[0:3], 0 offen offset:8
	buffer_load_dword v109, v101, s[0:3], 0 offen offset:12
	buffer_load_dword v110, v101, s[0:3], 0 offen
	buffer_load_dword v111, v101, s[0:3], 0 offen offset:4
	ds_read_b128 v[104:107], v100
	v_add_nc_u32_e32 v102, 1, v102
	v_add_nc_u32_e32 v100, 16, v100
	;; [unrolled: 1-line block ×3, first 2 shown]
	v_cmp_lt_u32_e32 vcc_lo, 15, v102
	s_or_b32 s8, vcc_lo, s8
	s_waitcnt vmcnt(2) lgkmcnt(0)
	v_mul_f64 v[112:113], v[106:107], v[108:109]
	v_mul_f64 v[108:109], v[104:105], v[108:109]
	s_waitcnt vmcnt(0)
	v_fma_f64 v[104:105], v[104:105], v[110:111], -v[112:113]
	v_fma_f64 v[106:107], v[106:107], v[110:111], v[108:109]
	v_add_f64 v[1:2], v[1:2], v[104:105]
	v_add_f64 v[3:4], v[3:4], v[106:107]
	s_andn2_b32 exec_lo, exec_lo, s8
	s_cbranch_execnz .LBB109_492
; %bb.493:
	s_or_b32 exec_lo, exec_lo, s8
.LBB109_494:
	s_or_b32 exec_lo, exec_lo, s6
	v_mov_b32_e32 v100, 0
	ds_read_b128 v[104:107], v100 offset:272
	s_waitcnt lgkmcnt(0)
	v_mul_f64 v[100:101], v[3:4], v[106:107]
	v_mul_f64 v[106:107], v[1:2], v[106:107]
	v_fma_f64 v[1:2], v[1:2], v[104:105], -v[100:101]
	v_fma_f64 v[3:4], v[3:4], v[104:105], v[106:107]
	buffer_store_dword v2, off, s[0:3], 0 offset:276
	buffer_store_dword v1, off, s[0:3], 0 offset:272
	buffer_store_dword v4, off, s[0:3], 0 offset:284
	buffer_store_dword v3, off, s[0:3], 0 offset:280
.LBB109_495:
	s_or_b32 exec_lo, exec_lo, s4
	v_mov_b32_e32 v4, s36
	s_mov_b32 s4, exec_lo
	s_clause 0x3
	buffer_load_dword v1, v4, s[0:3], 0 offen
	buffer_load_dword v2, v4, s[0:3], 0 offen offset:4
	buffer_load_dword v3, v4, s[0:3], 0 offen offset:8
	;; [unrolled: 1-line block ×3, first 2 shown]
	s_waitcnt vmcnt(0)
	ds_write_b128 v98, v[1:4]
	s_waitcnt lgkmcnt(0)
	s_waitcnt_vscnt null, 0x0
	s_barrier
	buffer_gl0_inv
	v_cmpx_gt_u32_e32 18, v0
	s_cbranch_execz .LBB109_503
; %bb.496:
	ds_read_b128 v[1:4], v98
	v_cmp_ne_u32_e32 vcc_lo, 1, v99
	s_cbranch_vccnz .LBB109_498
; %bb.497:
	s_clause 0x3
	buffer_load_dword v100, v97, s[0:3], 0 offen offset:8
	buffer_load_dword v101, v97, s[0:3], 0 offen offset:12
	buffer_load_dword v104, v97, s[0:3], 0 offen
	buffer_load_dword v105, v97, s[0:3], 0 offen offset:4
	s_waitcnt vmcnt(2) lgkmcnt(0)
	v_mul_f64 v[106:107], v[3:4], v[100:101]
	v_mul_f64 v[100:101], v[1:2], v[100:101]
	s_waitcnt vmcnt(0)
	v_fma_f64 v[1:2], v[1:2], v[104:105], -v[106:107]
	v_fma_f64 v[3:4], v[3:4], v[104:105], v[100:101]
.LBB109_498:
	s_mov_b32 s6, exec_lo
	v_cmpx_ne_u32_e32 17, v0
	s_cbranch_execz .LBB109_502
; %bb.499:
	v_add_nc_u32_e32 v100, 0x2f0, v103
	v_add3_u32 v101, 0, v103, 16
	v_mov_b32_e32 v102, v0
	s_mov_b32 s8, 0
	.p2align	6
.LBB109_500:                            ; =>This Inner Loop Header: Depth=1
	s_clause 0x3
	buffer_load_dword v108, v101, s[0:3], 0 offen offset:8
	buffer_load_dword v109, v101, s[0:3], 0 offen offset:12
	buffer_load_dword v110, v101, s[0:3], 0 offen
	buffer_load_dword v111, v101, s[0:3], 0 offen offset:4
	ds_read_b128 v[104:107], v100
	v_add_nc_u32_e32 v102, 1, v102
	v_add_nc_u32_e32 v100, 16, v100
	;; [unrolled: 1-line block ×3, first 2 shown]
	v_cmp_lt_u32_e32 vcc_lo, 16, v102
	s_or_b32 s8, vcc_lo, s8
	s_waitcnt vmcnt(2) lgkmcnt(0)
	v_mul_f64 v[112:113], v[106:107], v[108:109]
	v_mul_f64 v[108:109], v[104:105], v[108:109]
	s_waitcnt vmcnt(0)
	v_fma_f64 v[104:105], v[104:105], v[110:111], -v[112:113]
	v_fma_f64 v[106:107], v[106:107], v[110:111], v[108:109]
	v_add_f64 v[1:2], v[1:2], v[104:105]
	v_add_f64 v[3:4], v[3:4], v[106:107]
	s_andn2_b32 exec_lo, exec_lo, s8
	s_cbranch_execnz .LBB109_500
; %bb.501:
	s_or_b32 exec_lo, exec_lo, s8
.LBB109_502:
	s_or_b32 exec_lo, exec_lo, s6
	v_mov_b32_e32 v100, 0
	ds_read_b128 v[104:107], v100 offset:288
	s_waitcnt lgkmcnt(0)
	v_mul_f64 v[100:101], v[3:4], v[106:107]
	v_mul_f64 v[106:107], v[1:2], v[106:107]
	v_fma_f64 v[1:2], v[1:2], v[104:105], -v[100:101]
	v_fma_f64 v[3:4], v[3:4], v[104:105], v[106:107]
	buffer_store_dword v2, off, s[0:3], 0 offset:292
	buffer_store_dword v1, off, s[0:3], 0 offset:288
	buffer_store_dword v4, off, s[0:3], 0 offset:300
	buffer_store_dword v3, off, s[0:3], 0 offset:296
.LBB109_503:
	s_or_b32 exec_lo, exec_lo, s4
	v_mov_b32_e32 v4, s35
	s_mov_b32 s4, exec_lo
	s_clause 0x3
	buffer_load_dword v1, v4, s[0:3], 0 offen
	buffer_load_dword v2, v4, s[0:3], 0 offen offset:4
	buffer_load_dword v3, v4, s[0:3], 0 offen offset:8
	;; [unrolled: 1-line block ×3, first 2 shown]
	s_waitcnt vmcnt(0)
	ds_write_b128 v98, v[1:4]
	s_waitcnt lgkmcnt(0)
	s_waitcnt_vscnt null, 0x0
	s_barrier
	buffer_gl0_inv
	v_cmpx_gt_u32_e32 19, v0
	s_cbranch_execz .LBB109_511
; %bb.504:
	ds_read_b128 v[1:4], v98
	v_cmp_ne_u32_e32 vcc_lo, 1, v99
	s_cbranch_vccnz .LBB109_506
; %bb.505:
	s_clause 0x3
	buffer_load_dword v100, v97, s[0:3], 0 offen offset:8
	buffer_load_dword v101, v97, s[0:3], 0 offen offset:12
	buffer_load_dword v104, v97, s[0:3], 0 offen
	buffer_load_dword v105, v97, s[0:3], 0 offen offset:4
	s_waitcnt vmcnt(2) lgkmcnt(0)
	v_mul_f64 v[106:107], v[3:4], v[100:101]
	v_mul_f64 v[100:101], v[1:2], v[100:101]
	s_waitcnt vmcnt(0)
	v_fma_f64 v[1:2], v[1:2], v[104:105], -v[106:107]
	v_fma_f64 v[3:4], v[3:4], v[104:105], v[100:101]
.LBB109_506:
	s_mov_b32 s6, exec_lo
	v_cmpx_ne_u32_e32 18, v0
	s_cbranch_execz .LBB109_510
; %bb.507:
	v_add_nc_u32_e32 v100, 0x2f0, v103
	v_add3_u32 v101, 0, v103, 16
	v_mov_b32_e32 v102, v0
	s_mov_b32 s8, 0
	.p2align	6
.LBB109_508:                            ; =>This Inner Loop Header: Depth=1
	s_clause 0x3
	buffer_load_dword v108, v101, s[0:3], 0 offen offset:8
	buffer_load_dword v109, v101, s[0:3], 0 offen offset:12
	buffer_load_dword v110, v101, s[0:3], 0 offen
	buffer_load_dword v111, v101, s[0:3], 0 offen offset:4
	ds_read_b128 v[104:107], v100
	v_add_nc_u32_e32 v102, 1, v102
	v_add_nc_u32_e32 v100, 16, v100
	;; [unrolled: 1-line block ×3, first 2 shown]
	v_cmp_lt_u32_e32 vcc_lo, 17, v102
	s_or_b32 s8, vcc_lo, s8
	s_waitcnt vmcnt(2) lgkmcnt(0)
	v_mul_f64 v[112:113], v[106:107], v[108:109]
	v_mul_f64 v[108:109], v[104:105], v[108:109]
	s_waitcnt vmcnt(0)
	v_fma_f64 v[104:105], v[104:105], v[110:111], -v[112:113]
	v_fma_f64 v[106:107], v[106:107], v[110:111], v[108:109]
	v_add_f64 v[1:2], v[1:2], v[104:105]
	v_add_f64 v[3:4], v[3:4], v[106:107]
	s_andn2_b32 exec_lo, exec_lo, s8
	s_cbranch_execnz .LBB109_508
; %bb.509:
	s_or_b32 exec_lo, exec_lo, s8
.LBB109_510:
	s_or_b32 exec_lo, exec_lo, s6
	v_mov_b32_e32 v100, 0
	ds_read_b128 v[104:107], v100 offset:304
	s_waitcnt lgkmcnt(0)
	v_mul_f64 v[100:101], v[3:4], v[106:107]
	v_mul_f64 v[106:107], v[1:2], v[106:107]
	v_fma_f64 v[1:2], v[1:2], v[104:105], -v[100:101]
	v_fma_f64 v[3:4], v[3:4], v[104:105], v[106:107]
	buffer_store_dword v2, off, s[0:3], 0 offset:308
	buffer_store_dword v1, off, s[0:3], 0 offset:304
	;; [unrolled: 1-line block ×4, first 2 shown]
.LBB109_511:
	s_or_b32 exec_lo, exec_lo, s4
	v_mov_b32_e32 v4, s34
	s_mov_b32 s4, exec_lo
	s_clause 0x3
	buffer_load_dword v1, v4, s[0:3], 0 offen
	buffer_load_dword v2, v4, s[0:3], 0 offen offset:4
	buffer_load_dword v3, v4, s[0:3], 0 offen offset:8
	;; [unrolled: 1-line block ×3, first 2 shown]
	s_waitcnt vmcnt(0)
	ds_write_b128 v98, v[1:4]
	s_waitcnt lgkmcnt(0)
	s_waitcnt_vscnt null, 0x0
	s_barrier
	buffer_gl0_inv
	v_cmpx_gt_u32_e32 20, v0
	s_cbranch_execz .LBB109_519
; %bb.512:
	ds_read_b128 v[1:4], v98
	v_cmp_ne_u32_e32 vcc_lo, 1, v99
	s_cbranch_vccnz .LBB109_514
; %bb.513:
	s_clause 0x3
	buffer_load_dword v100, v97, s[0:3], 0 offen offset:8
	buffer_load_dword v101, v97, s[0:3], 0 offen offset:12
	buffer_load_dword v104, v97, s[0:3], 0 offen
	buffer_load_dword v105, v97, s[0:3], 0 offen offset:4
	s_waitcnt vmcnt(2) lgkmcnt(0)
	v_mul_f64 v[106:107], v[3:4], v[100:101]
	v_mul_f64 v[100:101], v[1:2], v[100:101]
	s_waitcnt vmcnt(0)
	v_fma_f64 v[1:2], v[1:2], v[104:105], -v[106:107]
	v_fma_f64 v[3:4], v[3:4], v[104:105], v[100:101]
.LBB109_514:
	s_mov_b32 s6, exec_lo
	v_cmpx_ne_u32_e32 19, v0
	s_cbranch_execz .LBB109_518
; %bb.515:
	v_add_nc_u32_e32 v100, 0x2f0, v103
	v_add3_u32 v101, 0, v103, 16
	v_mov_b32_e32 v102, v0
	s_mov_b32 s8, 0
	.p2align	6
.LBB109_516:                            ; =>This Inner Loop Header: Depth=1
	s_clause 0x3
	buffer_load_dword v108, v101, s[0:3], 0 offen offset:8
	buffer_load_dword v109, v101, s[0:3], 0 offen offset:12
	buffer_load_dword v110, v101, s[0:3], 0 offen
	buffer_load_dword v111, v101, s[0:3], 0 offen offset:4
	ds_read_b128 v[104:107], v100
	v_add_nc_u32_e32 v102, 1, v102
	v_add_nc_u32_e32 v100, 16, v100
	;; [unrolled: 1-line block ×3, first 2 shown]
	v_cmp_lt_u32_e32 vcc_lo, 18, v102
	s_or_b32 s8, vcc_lo, s8
	s_waitcnt vmcnt(2) lgkmcnt(0)
	v_mul_f64 v[112:113], v[106:107], v[108:109]
	v_mul_f64 v[108:109], v[104:105], v[108:109]
	s_waitcnt vmcnt(0)
	v_fma_f64 v[104:105], v[104:105], v[110:111], -v[112:113]
	v_fma_f64 v[106:107], v[106:107], v[110:111], v[108:109]
	v_add_f64 v[1:2], v[1:2], v[104:105]
	v_add_f64 v[3:4], v[3:4], v[106:107]
	s_andn2_b32 exec_lo, exec_lo, s8
	s_cbranch_execnz .LBB109_516
; %bb.517:
	s_or_b32 exec_lo, exec_lo, s8
.LBB109_518:
	s_or_b32 exec_lo, exec_lo, s6
	v_mov_b32_e32 v100, 0
	ds_read_b128 v[104:107], v100 offset:320
	s_waitcnt lgkmcnt(0)
	v_mul_f64 v[100:101], v[3:4], v[106:107]
	v_mul_f64 v[106:107], v[1:2], v[106:107]
	v_fma_f64 v[1:2], v[1:2], v[104:105], -v[100:101]
	v_fma_f64 v[3:4], v[3:4], v[104:105], v[106:107]
	buffer_store_dword v2, off, s[0:3], 0 offset:324
	buffer_store_dword v1, off, s[0:3], 0 offset:320
	;; [unrolled: 1-line block ×4, first 2 shown]
.LBB109_519:
	s_or_b32 exec_lo, exec_lo, s4
	v_mov_b32_e32 v4, s33
	s_mov_b32 s4, exec_lo
	s_clause 0x3
	buffer_load_dword v1, v4, s[0:3], 0 offen
	buffer_load_dword v2, v4, s[0:3], 0 offen offset:4
	buffer_load_dword v3, v4, s[0:3], 0 offen offset:8
	;; [unrolled: 1-line block ×3, first 2 shown]
	s_waitcnt vmcnt(0)
	ds_write_b128 v98, v[1:4]
	s_waitcnt lgkmcnt(0)
	s_waitcnt_vscnt null, 0x0
	s_barrier
	buffer_gl0_inv
	v_cmpx_gt_u32_e32 21, v0
	s_cbranch_execz .LBB109_527
; %bb.520:
	ds_read_b128 v[1:4], v98
	v_cmp_ne_u32_e32 vcc_lo, 1, v99
	s_cbranch_vccnz .LBB109_522
; %bb.521:
	s_clause 0x3
	buffer_load_dword v100, v97, s[0:3], 0 offen offset:8
	buffer_load_dword v101, v97, s[0:3], 0 offen offset:12
	buffer_load_dword v104, v97, s[0:3], 0 offen
	buffer_load_dword v105, v97, s[0:3], 0 offen offset:4
	s_waitcnt vmcnt(2) lgkmcnt(0)
	v_mul_f64 v[106:107], v[3:4], v[100:101]
	v_mul_f64 v[100:101], v[1:2], v[100:101]
	s_waitcnt vmcnt(0)
	v_fma_f64 v[1:2], v[1:2], v[104:105], -v[106:107]
	v_fma_f64 v[3:4], v[3:4], v[104:105], v[100:101]
.LBB109_522:
	s_mov_b32 s6, exec_lo
	v_cmpx_ne_u32_e32 20, v0
	s_cbranch_execz .LBB109_526
; %bb.523:
	v_add_nc_u32_e32 v100, 0x2f0, v103
	v_add3_u32 v101, 0, v103, 16
	v_mov_b32_e32 v102, v0
	s_mov_b32 s8, 0
	.p2align	6
.LBB109_524:                            ; =>This Inner Loop Header: Depth=1
	s_clause 0x3
	buffer_load_dword v108, v101, s[0:3], 0 offen offset:8
	buffer_load_dword v109, v101, s[0:3], 0 offen offset:12
	buffer_load_dword v110, v101, s[0:3], 0 offen
	buffer_load_dword v111, v101, s[0:3], 0 offen offset:4
	ds_read_b128 v[104:107], v100
	v_add_nc_u32_e32 v102, 1, v102
	v_add_nc_u32_e32 v100, 16, v100
	;; [unrolled: 1-line block ×3, first 2 shown]
	v_cmp_lt_u32_e32 vcc_lo, 19, v102
	s_or_b32 s8, vcc_lo, s8
	s_waitcnt vmcnt(2) lgkmcnt(0)
	v_mul_f64 v[112:113], v[106:107], v[108:109]
	v_mul_f64 v[108:109], v[104:105], v[108:109]
	s_waitcnt vmcnt(0)
	v_fma_f64 v[104:105], v[104:105], v[110:111], -v[112:113]
	v_fma_f64 v[106:107], v[106:107], v[110:111], v[108:109]
	v_add_f64 v[1:2], v[1:2], v[104:105]
	v_add_f64 v[3:4], v[3:4], v[106:107]
	s_andn2_b32 exec_lo, exec_lo, s8
	s_cbranch_execnz .LBB109_524
; %bb.525:
	s_or_b32 exec_lo, exec_lo, s8
.LBB109_526:
	s_or_b32 exec_lo, exec_lo, s6
	v_mov_b32_e32 v100, 0
	ds_read_b128 v[104:107], v100 offset:336
	s_waitcnt lgkmcnt(0)
	v_mul_f64 v[100:101], v[3:4], v[106:107]
	v_mul_f64 v[106:107], v[1:2], v[106:107]
	v_fma_f64 v[1:2], v[1:2], v[104:105], -v[100:101]
	v_fma_f64 v[3:4], v[3:4], v[104:105], v[106:107]
	buffer_store_dword v2, off, s[0:3], 0 offset:340
	buffer_store_dword v1, off, s[0:3], 0 offset:336
	;; [unrolled: 1-line block ×4, first 2 shown]
.LBB109_527:
	s_or_b32 exec_lo, exec_lo, s4
	v_mov_b32_e32 v4, s31
	s_mov_b32 s4, exec_lo
	s_clause 0x3
	buffer_load_dword v1, v4, s[0:3], 0 offen
	buffer_load_dword v2, v4, s[0:3], 0 offen offset:4
	buffer_load_dword v3, v4, s[0:3], 0 offen offset:8
	;; [unrolled: 1-line block ×3, first 2 shown]
	s_waitcnt vmcnt(0)
	ds_write_b128 v98, v[1:4]
	s_waitcnt lgkmcnt(0)
	s_waitcnt_vscnt null, 0x0
	s_barrier
	buffer_gl0_inv
	v_cmpx_gt_u32_e32 22, v0
	s_cbranch_execz .LBB109_535
; %bb.528:
	ds_read_b128 v[1:4], v98
	v_cmp_ne_u32_e32 vcc_lo, 1, v99
	s_cbranch_vccnz .LBB109_530
; %bb.529:
	s_clause 0x3
	buffer_load_dword v100, v97, s[0:3], 0 offen offset:8
	buffer_load_dword v101, v97, s[0:3], 0 offen offset:12
	buffer_load_dword v104, v97, s[0:3], 0 offen
	buffer_load_dword v105, v97, s[0:3], 0 offen offset:4
	s_waitcnt vmcnt(2) lgkmcnt(0)
	v_mul_f64 v[106:107], v[3:4], v[100:101]
	v_mul_f64 v[100:101], v[1:2], v[100:101]
	s_waitcnt vmcnt(0)
	v_fma_f64 v[1:2], v[1:2], v[104:105], -v[106:107]
	v_fma_f64 v[3:4], v[3:4], v[104:105], v[100:101]
.LBB109_530:
	s_mov_b32 s6, exec_lo
	v_cmpx_ne_u32_e32 21, v0
	s_cbranch_execz .LBB109_534
; %bb.531:
	v_add_nc_u32_e32 v100, 0x2f0, v103
	v_add3_u32 v101, 0, v103, 16
	v_mov_b32_e32 v102, v0
	s_mov_b32 s8, 0
	.p2align	6
.LBB109_532:                            ; =>This Inner Loop Header: Depth=1
	s_clause 0x3
	buffer_load_dword v108, v101, s[0:3], 0 offen offset:8
	buffer_load_dword v109, v101, s[0:3], 0 offen offset:12
	buffer_load_dword v110, v101, s[0:3], 0 offen
	buffer_load_dword v111, v101, s[0:3], 0 offen offset:4
	ds_read_b128 v[104:107], v100
	v_add_nc_u32_e32 v102, 1, v102
	v_add_nc_u32_e32 v100, 16, v100
	;; [unrolled: 1-line block ×3, first 2 shown]
	v_cmp_lt_u32_e32 vcc_lo, 20, v102
	s_or_b32 s8, vcc_lo, s8
	s_waitcnt vmcnt(2) lgkmcnt(0)
	v_mul_f64 v[112:113], v[106:107], v[108:109]
	v_mul_f64 v[108:109], v[104:105], v[108:109]
	s_waitcnt vmcnt(0)
	v_fma_f64 v[104:105], v[104:105], v[110:111], -v[112:113]
	v_fma_f64 v[106:107], v[106:107], v[110:111], v[108:109]
	v_add_f64 v[1:2], v[1:2], v[104:105]
	v_add_f64 v[3:4], v[3:4], v[106:107]
	s_andn2_b32 exec_lo, exec_lo, s8
	s_cbranch_execnz .LBB109_532
; %bb.533:
	s_or_b32 exec_lo, exec_lo, s8
.LBB109_534:
	s_or_b32 exec_lo, exec_lo, s6
	v_mov_b32_e32 v100, 0
	ds_read_b128 v[104:107], v100 offset:352
	s_waitcnt lgkmcnt(0)
	v_mul_f64 v[100:101], v[3:4], v[106:107]
	v_mul_f64 v[106:107], v[1:2], v[106:107]
	v_fma_f64 v[1:2], v[1:2], v[104:105], -v[100:101]
	v_fma_f64 v[3:4], v[3:4], v[104:105], v[106:107]
	buffer_store_dword v2, off, s[0:3], 0 offset:356
	buffer_store_dword v1, off, s[0:3], 0 offset:352
	;; [unrolled: 1-line block ×4, first 2 shown]
.LBB109_535:
	s_or_b32 exec_lo, exec_lo, s4
	v_mov_b32_e32 v4, s30
	s_mov_b32 s4, exec_lo
	s_clause 0x3
	buffer_load_dword v1, v4, s[0:3], 0 offen
	buffer_load_dword v2, v4, s[0:3], 0 offen offset:4
	buffer_load_dword v3, v4, s[0:3], 0 offen offset:8
	;; [unrolled: 1-line block ×3, first 2 shown]
	s_waitcnt vmcnt(0)
	ds_write_b128 v98, v[1:4]
	s_waitcnt lgkmcnt(0)
	s_waitcnt_vscnt null, 0x0
	s_barrier
	buffer_gl0_inv
	v_cmpx_gt_u32_e32 23, v0
	s_cbranch_execz .LBB109_543
; %bb.536:
	ds_read_b128 v[1:4], v98
	v_cmp_ne_u32_e32 vcc_lo, 1, v99
	s_cbranch_vccnz .LBB109_538
; %bb.537:
	s_clause 0x3
	buffer_load_dword v100, v97, s[0:3], 0 offen offset:8
	buffer_load_dword v101, v97, s[0:3], 0 offen offset:12
	buffer_load_dword v104, v97, s[0:3], 0 offen
	buffer_load_dword v105, v97, s[0:3], 0 offen offset:4
	s_waitcnt vmcnt(2) lgkmcnt(0)
	v_mul_f64 v[106:107], v[3:4], v[100:101]
	v_mul_f64 v[100:101], v[1:2], v[100:101]
	s_waitcnt vmcnt(0)
	v_fma_f64 v[1:2], v[1:2], v[104:105], -v[106:107]
	v_fma_f64 v[3:4], v[3:4], v[104:105], v[100:101]
.LBB109_538:
	s_mov_b32 s6, exec_lo
	v_cmpx_ne_u32_e32 22, v0
	s_cbranch_execz .LBB109_542
; %bb.539:
	v_add_nc_u32_e32 v100, 0x2f0, v103
	v_add3_u32 v101, 0, v103, 16
	v_mov_b32_e32 v102, v0
	s_mov_b32 s8, 0
	.p2align	6
.LBB109_540:                            ; =>This Inner Loop Header: Depth=1
	s_clause 0x3
	buffer_load_dword v108, v101, s[0:3], 0 offen offset:8
	buffer_load_dword v109, v101, s[0:3], 0 offen offset:12
	buffer_load_dword v110, v101, s[0:3], 0 offen
	buffer_load_dword v111, v101, s[0:3], 0 offen offset:4
	ds_read_b128 v[104:107], v100
	v_add_nc_u32_e32 v102, 1, v102
	v_add_nc_u32_e32 v100, 16, v100
	;; [unrolled: 1-line block ×3, first 2 shown]
	v_cmp_lt_u32_e32 vcc_lo, 21, v102
	s_or_b32 s8, vcc_lo, s8
	s_waitcnt vmcnt(2) lgkmcnt(0)
	v_mul_f64 v[112:113], v[106:107], v[108:109]
	v_mul_f64 v[108:109], v[104:105], v[108:109]
	s_waitcnt vmcnt(0)
	v_fma_f64 v[104:105], v[104:105], v[110:111], -v[112:113]
	v_fma_f64 v[106:107], v[106:107], v[110:111], v[108:109]
	v_add_f64 v[1:2], v[1:2], v[104:105]
	v_add_f64 v[3:4], v[3:4], v[106:107]
	s_andn2_b32 exec_lo, exec_lo, s8
	s_cbranch_execnz .LBB109_540
; %bb.541:
	s_or_b32 exec_lo, exec_lo, s8
.LBB109_542:
	s_or_b32 exec_lo, exec_lo, s6
	v_mov_b32_e32 v100, 0
	ds_read_b128 v[104:107], v100 offset:368
	s_waitcnt lgkmcnt(0)
	v_mul_f64 v[100:101], v[3:4], v[106:107]
	v_mul_f64 v[106:107], v[1:2], v[106:107]
	v_fma_f64 v[1:2], v[1:2], v[104:105], -v[100:101]
	v_fma_f64 v[3:4], v[3:4], v[104:105], v[106:107]
	buffer_store_dword v2, off, s[0:3], 0 offset:372
	buffer_store_dword v1, off, s[0:3], 0 offset:368
	;; [unrolled: 1-line block ×4, first 2 shown]
.LBB109_543:
	s_or_b32 exec_lo, exec_lo, s4
	v_mov_b32_e32 v4, s29
	s_mov_b32 s4, exec_lo
	s_clause 0x3
	buffer_load_dword v1, v4, s[0:3], 0 offen
	buffer_load_dword v2, v4, s[0:3], 0 offen offset:4
	buffer_load_dword v3, v4, s[0:3], 0 offen offset:8
	;; [unrolled: 1-line block ×3, first 2 shown]
	s_waitcnt vmcnt(0)
	ds_write_b128 v98, v[1:4]
	s_waitcnt lgkmcnt(0)
	s_waitcnt_vscnt null, 0x0
	s_barrier
	buffer_gl0_inv
	v_cmpx_gt_u32_e32 24, v0
	s_cbranch_execz .LBB109_551
; %bb.544:
	ds_read_b128 v[1:4], v98
	v_cmp_ne_u32_e32 vcc_lo, 1, v99
	s_cbranch_vccnz .LBB109_546
; %bb.545:
	s_clause 0x3
	buffer_load_dword v100, v97, s[0:3], 0 offen offset:8
	buffer_load_dword v101, v97, s[0:3], 0 offen offset:12
	buffer_load_dword v104, v97, s[0:3], 0 offen
	buffer_load_dword v105, v97, s[0:3], 0 offen offset:4
	s_waitcnt vmcnt(2) lgkmcnt(0)
	v_mul_f64 v[106:107], v[3:4], v[100:101]
	v_mul_f64 v[100:101], v[1:2], v[100:101]
	s_waitcnt vmcnt(0)
	v_fma_f64 v[1:2], v[1:2], v[104:105], -v[106:107]
	v_fma_f64 v[3:4], v[3:4], v[104:105], v[100:101]
.LBB109_546:
	s_mov_b32 s6, exec_lo
	v_cmpx_ne_u32_e32 23, v0
	s_cbranch_execz .LBB109_550
; %bb.547:
	v_add_nc_u32_e32 v100, 0x2f0, v103
	v_add3_u32 v101, 0, v103, 16
	v_mov_b32_e32 v102, v0
	s_mov_b32 s8, 0
	.p2align	6
.LBB109_548:                            ; =>This Inner Loop Header: Depth=1
	s_clause 0x3
	buffer_load_dword v108, v101, s[0:3], 0 offen offset:8
	buffer_load_dword v109, v101, s[0:3], 0 offen offset:12
	buffer_load_dword v110, v101, s[0:3], 0 offen
	buffer_load_dword v111, v101, s[0:3], 0 offen offset:4
	ds_read_b128 v[104:107], v100
	v_add_nc_u32_e32 v102, 1, v102
	v_add_nc_u32_e32 v100, 16, v100
	;; [unrolled: 1-line block ×3, first 2 shown]
	v_cmp_lt_u32_e32 vcc_lo, 22, v102
	s_or_b32 s8, vcc_lo, s8
	s_waitcnt vmcnt(2) lgkmcnt(0)
	v_mul_f64 v[112:113], v[106:107], v[108:109]
	v_mul_f64 v[108:109], v[104:105], v[108:109]
	s_waitcnt vmcnt(0)
	v_fma_f64 v[104:105], v[104:105], v[110:111], -v[112:113]
	v_fma_f64 v[106:107], v[106:107], v[110:111], v[108:109]
	v_add_f64 v[1:2], v[1:2], v[104:105]
	v_add_f64 v[3:4], v[3:4], v[106:107]
	s_andn2_b32 exec_lo, exec_lo, s8
	s_cbranch_execnz .LBB109_548
; %bb.549:
	s_or_b32 exec_lo, exec_lo, s8
.LBB109_550:
	s_or_b32 exec_lo, exec_lo, s6
	v_mov_b32_e32 v100, 0
	ds_read_b128 v[104:107], v100 offset:384
	s_waitcnt lgkmcnt(0)
	v_mul_f64 v[100:101], v[3:4], v[106:107]
	v_mul_f64 v[106:107], v[1:2], v[106:107]
	v_fma_f64 v[1:2], v[1:2], v[104:105], -v[100:101]
	v_fma_f64 v[3:4], v[3:4], v[104:105], v[106:107]
	buffer_store_dword v2, off, s[0:3], 0 offset:388
	buffer_store_dword v1, off, s[0:3], 0 offset:384
	;; [unrolled: 1-line block ×4, first 2 shown]
.LBB109_551:
	s_or_b32 exec_lo, exec_lo, s4
	v_mov_b32_e32 v4, s28
	s_mov_b32 s4, exec_lo
	s_clause 0x3
	buffer_load_dword v1, v4, s[0:3], 0 offen
	buffer_load_dword v2, v4, s[0:3], 0 offen offset:4
	buffer_load_dword v3, v4, s[0:3], 0 offen offset:8
	;; [unrolled: 1-line block ×3, first 2 shown]
	s_waitcnt vmcnt(0)
	ds_write_b128 v98, v[1:4]
	s_waitcnt lgkmcnt(0)
	s_waitcnt_vscnt null, 0x0
	s_barrier
	buffer_gl0_inv
	v_cmpx_gt_u32_e32 25, v0
	s_cbranch_execz .LBB109_559
; %bb.552:
	ds_read_b128 v[1:4], v98
	v_cmp_ne_u32_e32 vcc_lo, 1, v99
	s_cbranch_vccnz .LBB109_554
; %bb.553:
	s_clause 0x3
	buffer_load_dword v100, v97, s[0:3], 0 offen offset:8
	buffer_load_dword v101, v97, s[0:3], 0 offen offset:12
	buffer_load_dword v104, v97, s[0:3], 0 offen
	buffer_load_dword v105, v97, s[0:3], 0 offen offset:4
	s_waitcnt vmcnt(2) lgkmcnt(0)
	v_mul_f64 v[106:107], v[3:4], v[100:101]
	v_mul_f64 v[100:101], v[1:2], v[100:101]
	s_waitcnt vmcnt(0)
	v_fma_f64 v[1:2], v[1:2], v[104:105], -v[106:107]
	v_fma_f64 v[3:4], v[3:4], v[104:105], v[100:101]
.LBB109_554:
	s_mov_b32 s6, exec_lo
	v_cmpx_ne_u32_e32 24, v0
	s_cbranch_execz .LBB109_558
; %bb.555:
	v_add_nc_u32_e32 v100, 0x2f0, v103
	v_add3_u32 v101, 0, v103, 16
	v_mov_b32_e32 v102, v0
	s_mov_b32 s8, 0
	.p2align	6
.LBB109_556:                            ; =>This Inner Loop Header: Depth=1
	s_clause 0x3
	buffer_load_dword v108, v101, s[0:3], 0 offen offset:8
	buffer_load_dword v109, v101, s[0:3], 0 offen offset:12
	buffer_load_dword v110, v101, s[0:3], 0 offen
	buffer_load_dword v111, v101, s[0:3], 0 offen offset:4
	ds_read_b128 v[104:107], v100
	v_add_nc_u32_e32 v102, 1, v102
	v_add_nc_u32_e32 v100, 16, v100
	;; [unrolled: 1-line block ×3, first 2 shown]
	v_cmp_lt_u32_e32 vcc_lo, 23, v102
	s_or_b32 s8, vcc_lo, s8
	s_waitcnt vmcnt(2) lgkmcnt(0)
	v_mul_f64 v[112:113], v[106:107], v[108:109]
	v_mul_f64 v[108:109], v[104:105], v[108:109]
	s_waitcnt vmcnt(0)
	v_fma_f64 v[104:105], v[104:105], v[110:111], -v[112:113]
	v_fma_f64 v[106:107], v[106:107], v[110:111], v[108:109]
	v_add_f64 v[1:2], v[1:2], v[104:105]
	v_add_f64 v[3:4], v[3:4], v[106:107]
	s_andn2_b32 exec_lo, exec_lo, s8
	s_cbranch_execnz .LBB109_556
; %bb.557:
	s_or_b32 exec_lo, exec_lo, s8
.LBB109_558:
	s_or_b32 exec_lo, exec_lo, s6
	v_mov_b32_e32 v100, 0
	ds_read_b128 v[104:107], v100 offset:400
	s_waitcnt lgkmcnt(0)
	v_mul_f64 v[100:101], v[3:4], v[106:107]
	v_mul_f64 v[106:107], v[1:2], v[106:107]
	v_fma_f64 v[1:2], v[1:2], v[104:105], -v[100:101]
	v_fma_f64 v[3:4], v[3:4], v[104:105], v[106:107]
	buffer_store_dword v2, off, s[0:3], 0 offset:404
	buffer_store_dword v1, off, s[0:3], 0 offset:400
	;; [unrolled: 1-line block ×4, first 2 shown]
.LBB109_559:
	s_or_b32 exec_lo, exec_lo, s4
	v_mov_b32_e32 v4, s27
	s_mov_b32 s4, exec_lo
	s_clause 0x3
	buffer_load_dword v1, v4, s[0:3], 0 offen
	buffer_load_dword v2, v4, s[0:3], 0 offen offset:4
	buffer_load_dword v3, v4, s[0:3], 0 offen offset:8
	;; [unrolled: 1-line block ×3, first 2 shown]
	s_waitcnt vmcnt(0)
	ds_write_b128 v98, v[1:4]
	s_waitcnt lgkmcnt(0)
	s_waitcnt_vscnt null, 0x0
	s_barrier
	buffer_gl0_inv
	v_cmpx_gt_u32_e32 26, v0
	s_cbranch_execz .LBB109_567
; %bb.560:
	ds_read_b128 v[1:4], v98
	v_cmp_ne_u32_e32 vcc_lo, 1, v99
	s_cbranch_vccnz .LBB109_562
; %bb.561:
	s_clause 0x3
	buffer_load_dword v100, v97, s[0:3], 0 offen offset:8
	buffer_load_dword v101, v97, s[0:3], 0 offen offset:12
	buffer_load_dword v104, v97, s[0:3], 0 offen
	buffer_load_dword v105, v97, s[0:3], 0 offen offset:4
	s_waitcnt vmcnt(2) lgkmcnt(0)
	v_mul_f64 v[106:107], v[3:4], v[100:101]
	v_mul_f64 v[100:101], v[1:2], v[100:101]
	s_waitcnt vmcnt(0)
	v_fma_f64 v[1:2], v[1:2], v[104:105], -v[106:107]
	v_fma_f64 v[3:4], v[3:4], v[104:105], v[100:101]
.LBB109_562:
	s_mov_b32 s6, exec_lo
	v_cmpx_ne_u32_e32 25, v0
	s_cbranch_execz .LBB109_566
; %bb.563:
	v_add_nc_u32_e32 v100, 0x2f0, v103
	v_add3_u32 v101, 0, v103, 16
	v_mov_b32_e32 v102, v0
	s_mov_b32 s8, 0
	.p2align	6
.LBB109_564:                            ; =>This Inner Loop Header: Depth=1
	s_clause 0x3
	buffer_load_dword v108, v101, s[0:3], 0 offen offset:8
	buffer_load_dword v109, v101, s[0:3], 0 offen offset:12
	buffer_load_dword v110, v101, s[0:3], 0 offen
	buffer_load_dword v111, v101, s[0:3], 0 offen offset:4
	ds_read_b128 v[104:107], v100
	v_add_nc_u32_e32 v102, 1, v102
	v_add_nc_u32_e32 v100, 16, v100
	;; [unrolled: 1-line block ×3, first 2 shown]
	v_cmp_lt_u32_e32 vcc_lo, 24, v102
	s_or_b32 s8, vcc_lo, s8
	s_waitcnt vmcnt(2) lgkmcnt(0)
	v_mul_f64 v[112:113], v[106:107], v[108:109]
	v_mul_f64 v[108:109], v[104:105], v[108:109]
	s_waitcnt vmcnt(0)
	v_fma_f64 v[104:105], v[104:105], v[110:111], -v[112:113]
	v_fma_f64 v[106:107], v[106:107], v[110:111], v[108:109]
	v_add_f64 v[1:2], v[1:2], v[104:105]
	v_add_f64 v[3:4], v[3:4], v[106:107]
	s_andn2_b32 exec_lo, exec_lo, s8
	s_cbranch_execnz .LBB109_564
; %bb.565:
	s_or_b32 exec_lo, exec_lo, s8
.LBB109_566:
	s_or_b32 exec_lo, exec_lo, s6
	v_mov_b32_e32 v100, 0
	ds_read_b128 v[104:107], v100 offset:416
	s_waitcnt lgkmcnt(0)
	v_mul_f64 v[100:101], v[3:4], v[106:107]
	v_mul_f64 v[106:107], v[1:2], v[106:107]
	v_fma_f64 v[1:2], v[1:2], v[104:105], -v[100:101]
	v_fma_f64 v[3:4], v[3:4], v[104:105], v[106:107]
	buffer_store_dword v2, off, s[0:3], 0 offset:420
	buffer_store_dword v1, off, s[0:3], 0 offset:416
	buffer_store_dword v4, off, s[0:3], 0 offset:428
	buffer_store_dword v3, off, s[0:3], 0 offset:424
.LBB109_567:
	s_or_b32 exec_lo, exec_lo, s4
	v_mov_b32_e32 v4, s26
	s_mov_b32 s4, exec_lo
	s_clause 0x3
	buffer_load_dword v1, v4, s[0:3], 0 offen
	buffer_load_dword v2, v4, s[0:3], 0 offen offset:4
	buffer_load_dword v3, v4, s[0:3], 0 offen offset:8
	;; [unrolled: 1-line block ×3, first 2 shown]
	s_waitcnt vmcnt(0)
	ds_write_b128 v98, v[1:4]
	s_waitcnt lgkmcnt(0)
	s_waitcnt_vscnt null, 0x0
	s_barrier
	buffer_gl0_inv
	v_cmpx_gt_u32_e32 27, v0
	s_cbranch_execz .LBB109_575
; %bb.568:
	ds_read_b128 v[1:4], v98
	v_cmp_ne_u32_e32 vcc_lo, 1, v99
	s_cbranch_vccnz .LBB109_570
; %bb.569:
	s_clause 0x3
	buffer_load_dword v100, v97, s[0:3], 0 offen offset:8
	buffer_load_dword v101, v97, s[0:3], 0 offen offset:12
	buffer_load_dword v104, v97, s[0:3], 0 offen
	buffer_load_dword v105, v97, s[0:3], 0 offen offset:4
	s_waitcnt vmcnt(2) lgkmcnt(0)
	v_mul_f64 v[106:107], v[3:4], v[100:101]
	v_mul_f64 v[100:101], v[1:2], v[100:101]
	s_waitcnt vmcnt(0)
	v_fma_f64 v[1:2], v[1:2], v[104:105], -v[106:107]
	v_fma_f64 v[3:4], v[3:4], v[104:105], v[100:101]
.LBB109_570:
	s_mov_b32 s6, exec_lo
	v_cmpx_ne_u32_e32 26, v0
	s_cbranch_execz .LBB109_574
; %bb.571:
	v_add_nc_u32_e32 v100, 0x2f0, v103
	v_add3_u32 v101, 0, v103, 16
	v_mov_b32_e32 v102, v0
	s_mov_b32 s8, 0
	.p2align	6
.LBB109_572:                            ; =>This Inner Loop Header: Depth=1
	s_clause 0x3
	buffer_load_dword v108, v101, s[0:3], 0 offen offset:8
	buffer_load_dword v109, v101, s[0:3], 0 offen offset:12
	buffer_load_dword v110, v101, s[0:3], 0 offen
	buffer_load_dword v111, v101, s[0:3], 0 offen offset:4
	ds_read_b128 v[104:107], v100
	v_add_nc_u32_e32 v102, 1, v102
	v_add_nc_u32_e32 v100, 16, v100
	;; [unrolled: 1-line block ×3, first 2 shown]
	v_cmp_lt_u32_e32 vcc_lo, 25, v102
	s_or_b32 s8, vcc_lo, s8
	s_waitcnt vmcnt(2) lgkmcnt(0)
	v_mul_f64 v[112:113], v[106:107], v[108:109]
	v_mul_f64 v[108:109], v[104:105], v[108:109]
	s_waitcnt vmcnt(0)
	v_fma_f64 v[104:105], v[104:105], v[110:111], -v[112:113]
	v_fma_f64 v[106:107], v[106:107], v[110:111], v[108:109]
	v_add_f64 v[1:2], v[1:2], v[104:105]
	v_add_f64 v[3:4], v[3:4], v[106:107]
	s_andn2_b32 exec_lo, exec_lo, s8
	s_cbranch_execnz .LBB109_572
; %bb.573:
	s_or_b32 exec_lo, exec_lo, s8
.LBB109_574:
	s_or_b32 exec_lo, exec_lo, s6
	v_mov_b32_e32 v100, 0
	ds_read_b128 v[104:107], v100 offset:432
	s_waitcnt lgkmcnt(0)
	v_mul_f64 v[100:101], v[3:4], v[106:107]
	v_mul_f64 v[106:107], v[1:2], v[106:107]
	v_fma_f64 v[1:2], v[1:2], v[104:105], -v[100:101]
	v_fma_f64 v[3:4], v[3:4], v[104:105], v[106:107]
	buffer_store_dword v2, off, s[0:3], 0 offset:436
	buffer_store_dword v1, off, s[0:3], 0 offset:432
	;; [unrolled: 1-line block ×4, first 2 shown]
.LBB109_575:
	s_or_b32 exec_lo, exec_lo, s4
	v_mov_b32_e32 v4, s25
	s_mov_b32 s4, exec_lo
	s_clause 0x3
	buffer_load_dword v1, v4, s[0:3], 0 offen
	buffer_load_dword v2, v4, s[0:3], 0 offen offset:4
	buffer_load_dword v3, v4, s[0:3], 0 offen offset:8
	buffer_load_dword v4, v4, s[0:3], 0 offen offset:12
	s_waitcnt vmcnt(0)
	ds_write_b128 v98, v[1:4]
	s_waitcnt lgkmcnt(0)
	s_waitcnt_vscnt null, 0x0
	s_barrier
	buffer_gl0_inv
	v_cmpx_gt_u32_e32 28, v0
	s_cbranch_execz .LBB109_583
; %bb.576:
	ds_read_b128 v[1:4], v98
	v_cmp_ne_u32_e32 vcc_lo, 1, v99
	s_cbranch_vccnz .LBB109_578
; %bb.577:
	s_clause 0x3
	buffer_load_dword v100, v97, s[0:3], 0 offen offset:8
	buffer_load_dword v101, v97, s[0:3], 0 offen offset:12
	buffer_load_dword v104, v97, s[0:3], 0 offen
	buffer_load_dword v105, v97, s[0:3], 0 offen offset:4
	s_waitcnt vmcnt(2) lgkmcnt(0)
	v_mul_f64 v[106:107], v[3:4], v[100:101]
	v_mul_f64 v[100:101], v[1:2], v[100:101]
	s_waitcnt vmcnt(0)
	v_fma_f64 v[1:2], v[1:2], v[104:105], -v[106:107]
	v_fma_f64 v[3:4], v[3:4], v[104:105], v[100:101]
.LBB109_578:
	s_mov_b32 s6, exec_lo
	v_cmpx_ne_u32_e32 27, v0
	s_cbranch_execz .LBB109_582
; %bb.579:
	v_add_nc_u32_e32 v100, 0x2f0, v103
	v_add3_u32 v101, 0, v103, 16
	v_mov_b32_e32 v102, v0
	s_mov_b32 s8, 0
	.p2align	6
.LBB109_580:                            ; =>This Inner Loop Header: Depth=1
	s_clause 0x3
	buffer_load_dword v108, v101, s[0:3], 0 offen offset:8
	buffer_load_dword v109, v101, s[0:3], 0 offen offset:12
	buffer_load_dword v110, v101, s[0:3], 0 offen
	buffer_load_dword v111, v101, s[0:3], 0 offen offset:4
	ds_read_b128 v[104:107], v100
	v_add_nc_u32_e32 v102, 1, v102
	v_add_nc_u32_e32 v100, 16, v100
	;; [unrolled: 1-line block ×3, first 2 shown]
	v_cmp_lt_u32_e32 vcc_lo, 26, v102
	s_or_b32 s8, vcc_lo, s8
	s_waitcnt vmcnt(2) lgkmcnt(0)
	v_mul_f64 v[112:113], v[106:107], v[108:109]
	v_mul_f64 v[108:109], v[104:105], v[108:109]
	s_waitcnt vmcnt(0)
	v_fma_f64 v[104:105], v[104:105], v[110:111], -v[112:113]
	v_fma_f64 v[106:107], v[106:107], v[110:111], v[108:109]
	v_add_f64 v[1:2], v[1:2], v[104:105]
	v_add_f64 v[3:4], v[3:4], v[106:107]
	s_andn2_b32 exec_lo, exec_lo, s8
	s_cbranch_execnz .LBB109_580
; %bb.581:
	s_or_b32 exec_lo, exec_lo, s8
.LBB109_582:
	s_or_b32 exec_lo, exec_lo, s6
	v_mov_b32_e32 v100, 0
	ds_read_b128 v[104:107], v100 offset:448
	s_waitcnt lgkmcnt(0)
	v_mul_f64 v[100:101], v[3:4], v[106:107]
	v_mul_f64 v[106:107], v[1:2], v[106:107]
	v_fma_f64 v[1:2], v[1:2], v[104:105], -v[100:101]
	v_fma_f64 v[3:4], v[3:4], v[104:105], v[106:107]
	buffer_store_dword v2, off, s[0:3], 0 offset:452
	buffer_store_dword v1, off, s[0:3], 0 offset:448
	;; [unrolled: 1-line block ×4, first 2 shown]
.LBB109_583:
	s_or_b32 exec_lo, exec_lo, s4
	v_mov_b32_e32 v4, s24
	s_mov_b32 s4, exec_lo
	s_clause 0x3
	buffer_load_dword v1, v4, s[0:3], 0 offen
	buffer_load_dword v2, v4, s[0:3], 0 offen offset:4
	buffer_load_dword v3, v4, s[0:3], 0 offen offset:8
	;; [unrolled: 1-line block ×3, first 2 shown]
	s_waitcnt vmcnt(0)
	ds_write_b128 v98, v[1:4]
	s_waitcnt lgkmcnt(0)
	s_waitcnt_vscnt null, 0x0
	s_barrier
	buffer_gl0_inv
	v_cmpx_gt_u32_e32 29, v0
	s_cbranch_execz .LBB109_591
; %bb.584:
	ds_read_b128 v[1:4], v98
	v_cmp_ne_u32_e32 vcc_lo, 1, v99
	s_cbranch_vccnz .LBB109_586
; %bb.585:
	s_clause 0x3
	buffer_load_dword v100, v97, s[0:3], 0 offen offset:8
	buffer_load_dword v101, v97, s[0:3], 0 offen offset:12
	buffer_load_dword v104, v97, s[0:3], 0 offen
	buffer_load_dword v105, v97, s[0:3], 0 offen offset:4
	s_waitcnt vmcnt(2) lgkmcnt(0)
	v_mul_f64 v[106:107], v[3:4], v[100:101]
	v_mul_f64 v[100:101], v[1:2], v[100:101]
	s_waitcnt vmcnt(0)
	v_fma_f64 v[1:2], v[1:2], v[104:105], -v[106:107]
	v_fma_f64 v[3:4], v[3:4], v[104:105], v[100:101]
.LBB109_586:
	s_mov_b32 s6, exec_lo
	v_cmpx_ne_u32_e32 28, v0
	s_cbranch_execz .LBB109_590
; %bb.587:
	v_add_nc_u32_e32 v100, 0x2f0, v103
	v_add3_u32 v101, 0, v103, 16
	v_mov_b32_e32 v102, v0
	s_mov_b32 s8, 0
	.p2align	6
.LBB109_588:                            ; =>This Inner Loop Header: Depth=1
	s_clause 0x3
	buffer_load_dword v108, v101, s[0:3], 0 offen offset:8
	buffer_load_dword v109, v101, s[0:3], 0 offen offset:12
	buffer_load_dword v110, v101, s[0:3], 0 offen
	buffer_load_dword v111, v101, s[0:3], 0 offen offset:4
	ds_read_b128 v[104:107], v100
	v_add_nc_u32_e32 v102, 1, v102
	v_add_nc_u32_e32 v100, 16, v100
	;; [unrolled: 1-line block ×3, first 2 shown]
	v_cmp_lt_u32_e32 vcc_lo, 27, v102
	s_or_b32 s8, vcc_lo, s8
	s_waitcnt vmcnt(2) lgkmcnt(0)
	v_mul_f64 v[112:113], v[106:107], v[108:109]
	v_mul_f64 v[108:109], v[104:105], v[108:109]
	s_waitcnt vmcnt(0)
	v_fma_f64 v[104:105], v[104:105], v[110:111], -v[112:113]
	v_fma_f64 v[106:107], v[106:107], v[110:111], v[108:109]
	v_add_f64 v[1:2], v[1:2], v[104:105]
	v_add_f64 v[3:4], v[3:4], v[106:107]
	s_andn2_b32 exec_lo, exec_lo, s8
	s_cbranch_execnz .LBB109_588
; %bb.589:
	s_or_b32 exec_lo, exec_lo, s8
.LBB109_590:
	s_or_b32 exec_lo, exec_lo, s6
	v_mov_b32_e32 v100, 0
	ds_read_b128 v[104:107], v100 offset:464
	s_waitcnt lgkmcnt(0)
	v_mul_f64 v[100:101], v[3:4], v[106:107]
	v_mul_f64 v[106:107], v[1:2], v[106:107]
	v_fma_f64 v[1:2], v[1:2], v[104:105], -v[100:101]
	v_fma_f64 v[3:4], v[3:4], v[104:105], v[106:107]
	buffer_store_dword v2, off, s[0:3], 0 offset:468
	buffer_store_dword v1, off, s[0:3], 0 offset:464
	;; [unrolled: 1-line block ×4, first 2 shown]
.LBB109_591:
	s_or_b32 exec_lo, exec_lo, s4
	v_mov_b32_e32 v4, s23
	s_mov_b32 s4, exec_lo
	s_clause 0x3
	buffer_load_dword v1, v4, s[0:3], 0 offen
	buffer_load_dword v2, v4, s[0:3], 0 offen offset:4
	buffer_load_dword v3, v4, s[0:3], 0 offen offset:8
	;; [unrolled: 1-line block ×3, first 2 shown]
	s_waitcnt vmcnt(0)
	ds_write_b128 v98, v[1:4]
	s_waitcnt lgkmcnt(0)
	s_waitcnt_vscnt null, 0x0
	s_barrier
	buffer_gl0_inv
	v_cmpx_gt_u32_e32 30, v0
	s_cbranch_execz .LBB109_599
; %bb.592:
	ds_read_b128 v[1:4], v98
	v_cmp_ne_u32_e32 vcc_lo, 1, v99
	s_cbranch_vccnz .LBB109_594
; %bb.593:
	s_clause 0x3
	buffer_load_dword v100, v97, s[0:3], 0 offen offset:8
	buffer_load_dword v101, v97, s[0:3], 0 offen offset:12
	buffer_load_dword v104, v97, s[0:3], 0 offen
	buffer_load_dword v105, v97, s[0:3], 0 offen offset:4
	s_waitcnt vmcnt(2) lgkmcnt(0)
	v_mul_f64 v[106:107], v[3:4], v[100:101]
	v_mul_f64 v[100:101], v[1:2], v[100:101]
	s_waitcnt vmcnt(0)
	v_fma_f64 v[1:2], v[1:2], v[104:105], -v[106:107]
	v_fma_f64 v[3:4], v[3:4], v[104:105], v[100:101]
.LBB109_594:
	s_mov_b32 s6, exec_lo
	v_cmpx_ne_u32_e32 29, v0
	s_cbranch_execz .LBB109_598
; %bb.595:
	v_add_nc_u32_e32 v100, 0x2f0, v103
	v_add3_u32 v101, 0, v103, 16
	v_mov_b32_e32 v102, v0
	s_mov_b32 s8, 0
	.p2align	6
.LBB109_596:                            ; =>This Inner Loop Header: Depth=1
	s_clause 0x3
	buffer_load_dword v108, v101, s[0:3], 0 offen offset:8
	buffer_load_dword v109, v101, s[0:3], 0 offen offset:12
	buffer_load_dword v110, v101, s[0:3], 0 offen
	buffer_load_dword v111, v101, s[0:3], 0 offen offset:4
	ds_read_b128 v[104:107], v100
	v_add_nc_u32_e32 v102, 1, v102
	v_add_nc_u32_e32 v100, 16, v100
	;; [unrolled: 1-line block ×3, first 2 shown]
	v_cmp_lt_u32_e32 vcc_lo, 28, v102
	s_or_b32 s8, vcc_lo, s8
	s_waitcnt vmcnt(2) lgkmcnt(0)
	v_mul_f64 v[112:113], v[106:107], v[108:109]
	v_mul_f64 v[108:109], v[104:105], v[108:109]
	s_waitcnt vmcnt(0)
	v_fma_f64 v[104:105], v[104:105], v[110:111], -v[112:113]
	v_fma_f64 v[106:107], v[106:107], v[110:111], v[108:109]
	v_add_f64 v[1:2], v[1:2], v[104:105]
	v_add_f64 v[3:4], v[3:4], v[106:107]
	s_andn2_b32 exec_lo, exec_lo, s8
	s_cbranch_execnz .LBB109_596
; %bb.597:
	s_or_b32 exec_lo, exec_lo, s8
.LBB109_598:
	s_or_b32 exec_lo, exec_lo, s6
	v_mov_b32_e32 v100, 0
	ds_read_b128 v[104:107], v100 offset:480
	s_waitcnt lgkmcnt(0)
	v_mul_f64 v[100:101], v[3:4], v[106:107]
	v_mul_f64 v[106:107], v[1:2], v[106:107]
	v_fma_f64 v[1:2], v[1:2], v[104:105], -v[100:101]
	v_fma_f64 v[3:4], v[3:4], v[104:105], v[106:107]
	buffer_store_dword v2, off, s[0:3], 0 offset:484
	buffer_store_dword v1, off, s[0:3], 0 offset:480
	;; [unrolled: 1-line block ×4, first 2 shown]
.LBB109_599:
	s_or_b32 exec_lo, exec_lo, s4
	v_mov_b32_e32 v4, s22
	s_mov_b32 s4, exec_lo
	s_clause 0x3
	buffer_load_dword v1, v4, s[0:3], 0 offen
	buffer_load_dword v2, v4, s[0:3], 0 offen offset:4
	buffer_load_dword v3, v4, s[0:3], 0 offen offset:8
	;; [unrolled: 1-line block ×3, first 2 shown]
	s_waitcnt vmcnt(0)
	ds_write_b128 v98, v[1:4]
	s_waitcnt lgkmcnt(0)
	s_waitcnt_vscnt null, 0x0
	s_barrier
	buffer_gl0_inv
	v_cmpx_gt_u32_e32 31, v0
	s_cbranch_execz .LBB109_607
; %bb.600:
	ds_read_b128 v[1:4], v98
	v_cmp_ne_u32_e32 vcc_lo, 1, v99
	s_cbranch_vccnz .LBB109_602
; %bb.601:
	s_clause 0x3
	buffer_load_dword v100, v97, s[0:3], 0 offen offset:8
	buffer_load_dword v101, v97, s[0:3], 0 offen offset:12
	buffer_load_dword v104, v97, s[0:3], 0 offen
	buffer_load_dword v105, v97, s[0:3], 0 offen offset:4
	s_waitcnt vmcnt(2) lgkmcnt(0)
	v_mul_f64 v[106:107], v[3:4], v[100:101]
	v_mul_f64 v[100:101], v[1:2], v[100:101]
	s_waitcnt vmcnt(0)
	v_fma_f64 v[1:2], v[1:2], v[104:105], -v[106:107]
	v_fma_f64 v[3:4], v[3:4], v[104:105], v[100:101]
.LBB109_602:
	s_mov_b32 s6, exec_lo
	v_cmpx_ne_u32_e32 30, v0
	s_cbranch_execz .LBB109_606
; %bb.603:
	v_add_nc_u32_e32 v100, 0x2f0, v103
	v_add3_u32 v101, 0, v103, 16
	v_mov_b32_e32 v102, v0
	s_mov_b32 s8, 0
	.p2align	6
.LBB109_604:                            ; =>This Inner Loop Header: Depth=1
	s_clause 0x3
	buffer_load_dword v108, v101, s[0:3], 0 offen offset:8
	buffer_load_dword v109, v101, s[0:3], 0 offen offset:12
	buffer_load_dword v110, v101, s[0:3], 0 offen
	buffer_load_dword v111, v101, s[0:3], 0 offen offset:4
	ds_read_b128 v[104:107], v100
	v_add_nc_u32_e32 v102, 1, v102
	v_add_nc_u32_e32 v100, 16, v100
	;; [unrolled: 1-line block ×3, first 2 shown]
	v_cmp_lt_u32_e32 vcc_lo, 29, v102
	s_or_b32 s8, vcc_lo, s8
	s_waitcnt vmcnt(2) lgkmcnt(0)
	v_mul_f64 v[112:113], v[106:107], v[108:109]
	v_mul_f64 v[108:109], v[104:105], v[108:109]
	s_waitcnt vmcnt(0)
	v_fma_f64 v[104:105], v[104:105], v[110:111], -v[112:113]
	v_fma_f64 v[106:107], v[106:107], v[110:111], v[108:109]
	v_add_f64 v[1:2], v[1:2], v[104:105]
	v_add_f64 v[3:4], v[3:4], v[106:107]
	s_andn2_b32 exec_lo, exec_lo, s8
	s_cbranch_execnz .LBB109_604
; %bb.605:
	s_or_b32 exec_lo, exec_lo, s8
.LBB109_606:
	s_or_b32 exec_lo, exec_lo, s6
	v_mov_b32_e32 v100, 0
	ds_read_b128 v[104:107], v100 offset:496
	s_waitcnt lgkmcnt(0)
	v_mul_f64 v[100:101], v[3:4], v[106:107]
	v_mul_f64 v[106:107], v[1:2], v[106:107]
	v_fma_f64 v[1:2], v[1:2], v[104:105], -v[100:101]
	v_fma_f64 v[3:4], v[3:4], v[104:105], v[106:107]
	buffer_store_dword v2, off, s[0:3], 0 offset:500
	buffer_store_dword v1, off, s[0:3], 0 offset:496
	;; [unrolled: 1-line block ×4, first 2 shown]
.LBB109_607:
	s_or_b32 exec_lo, exec_lo, s4
	v_mov_b32_e32 v4, s21
	s_mov_b32 s4, exec_lo
	s_clause 0x3
	buffer_load_dword v1, v4, s[0:3], 0 offen
	buffer_load_dword v2, v4, s[0:3], 0 offen offset:4
	buffer_load_dword v3, v4, s[0:3], 0 offen offset:8
	;; [unrolled: 1-line block ×3, first 2 shown]
	s_waitcnt vmcnt(0)
	ds_write_b128 v98, v[1:4]
	s_waitcnt lgkmcnt(0)
	s_waitcnt_vscnt null, 0x0
	s_barrier
	buffer_gl0_inv
	v_cmpx_gt_u32_e32 32, v0
	s_cbranch_execz .LBB109_615
; %bb.608:
	ds_read_b128 v[1:4], v98
	v_cmp_ne_u32_e32 vcc_lo, 1, v99
	s_cbranch_vccnz .LBB109_610
; %bb.609:
	s_clause 0x3
	buffer_load_dword v100, v97, s[0:3], 0 offen offset:8
	buffer_load_dword v101, v97, s[0:3], 0 offen offset:12
	buffer_load_dword v104, v97, s[0:3], 0 offen
	buffer_load_dword v105, v97, s[0:3], 0 offen offset:4
	s_waitcnt vmcnt(2) lgkmcnt(0)
	v_mul_f64 v[106:107], v[3:4], v[100:101]
	v_mul_f64 v[100:101], v[1:2], v[100:101]
	s_waitcnt vmcnt(0)
	v_fma_f64 v[1:2], v[1:2], v[104:105], -v[106:107]
	v_fma_f64 v[3:4], v[3:4], v[104:105], v[100:101]
.LBB109_610:
	s_mov_b32 s6, exec_lo
	v_cmpx_ne_u32_e32 31, v0
	s_cbranch_execz .LBB109_614
; %bb.611:
	v_add_nc_u32_e32 v100, 0x2f0, v103
	v_add3_u32 v101, 0, v103, 16
	v_mov_b32_e32 v102, v0
	s_mov_b32 s8, 0
	.p2align	6
.LBB109_612:                            ; =>This Inner Loop Header: Depth=1
	s_clause 0x3
	buffer_load_dword v108, v101, s[0:3], 0 offen offset:8
	buffer_load_dword v109, v101, s[0:3], 0 offen offset:12
	buffer_load_dword v110, v101, s[0:3], 0 offen
	buffer_load_dword v111, v101, s[0:3], 0 offen offset:4
	ds_read_b128 v[104:107], v100
	v_add_nc_u32_e32 v102, 1, v102
	v_add_nc_u32_e32 v100, 16, v100
	;; [unrolled: 1-line block ×3, first 2 shown]
	v_cmp_lt_u32_e32 vcc_lo, 30, v102
	s_or_b32 s8, vcc_lo, s8
	s_waitcnt vmcnt(2) lgkmcnt(0)
	v_mul_f64 v[112:113], v[106:107], v[108:109]
	v_mul_f64 v[108:109], v[104:105], v[108:109]
	s_waitcnt vmcnt(0)
	v_fma_f64 v[104:105], v[104:105], v[110:111], -v[112:113]
	v_fma_f64 v[106:107], v[106:107], v[110:111], v[108:109]
	v_add_f64 v[1:2], v[1:2], v[104:105]
	v_add_f64 v[3:4], v[3:4], v[106:107]
	s_andn2_b32 exec_lo, exec_lo, s8
	s_cbranch_execnz .LBB109_612
; %bb.613:
	s_or_b32 exec_lo, exec_lo, s8
.LBB109_614:
	s_or_b32 exec_lo, exec_lo, s6
	v_mov_b32_e32 v100, 0
	ds_read_b128 v[104:107], v100 offset:512
	s_waitcnt lgkmcnt(0)
	v_mul_f64 v[100:101], v[3:4], v[106:107]
	v_mul_f64 v[106:107], v[1:2], v[106:107]
	v_fma_f64 v[1:2], v[1:2], v[104:105], -v[100:101]
	v_fma_f64 v[3:4], v[3:4], v[104:105], v[106:107]
	buffer_store_dword v2, off, s[0:3], 0 offset:516
	buffer_store_dword v1, off, s[0:3], 0 offset:512
	buffer_store_dword v4, off, s[0:3], 0 offset:524
	buffer_store_dword v3, off, s[0:3], 0 offset:520
.LBB109_615:
	s_or_b32 exec_lo, exec_lo, s4
	v_mov_b32_e32 v4, s20
	s_mov_b32 s4, exec_lo
	s_clause 0x3
	buffer_load_dword v1, v4, s[0:3], 0 offen
	buffer_load_dword v2, v4, s[0:3], 0 offen offset:4
	buffer_load_dword v3, v4, s[0:3], 0 offen offset:8
	buffer_load_dword v4, v4, s[0:3], 0 offen offset:12
	s_waitcnt vmcnt(0)
	ds_write_b128 v98, v[1:4]
	s_waitcnt lgkmcnt(0)
	s_waitcnt_vscnt null, 0x0
	s_barrier
	buffer_gl0_inv
	v_cmpx_gt_u32_e32 33, v0
	s_cbranch_execz .LBB109_623
; %bb.616:
	ds_read_b128 v[1:4], v98
	v_cmp_ne_u32_e32 vcc_lo, 1, v99
	s_cbranch_vccnz .LBB109_618
; %bb.617:
	s_clause 0x3
	buffer_load_dword v100, v97, s[0:3], 0 offen offset:8
	buffer_load_dword v101, v97, s[0:3], 0 offen offset:12
	buffer_load_dword v104, v97, s[0:3], 0 offen
	buffer_load_dword v105, v97, s[0:3], 0 offen offset:4
	s_waitcnt vmcnt(2) lgkmcnt(0)
	v_mul_f64 v[106:107], v[3:4], v[100:101]
	v_mul_f64 v[100:101], v[1:2], v[100:101]
	s_waitcnt vmcnt(0)
	v_fma_f64 v[1:2], v[1:2], v[104:105], -v[106:107]
	v_fma_f64 v[3:4], v[3:4], v[104:105], v[100:101]
.LBB109_618:
	s_mov_b32 s6, exec_lo
	v_cmpx_ne_u32_e32 32, v0
	s_cbranch_execz .LBB109_622
; %bb.619:
	v_add_nc_u32_e32 v100, 0x2f0, v103
	v_add3_u32 v101, 0, v103, 16
	v_mov_b32_e32 v102, v0
	s_mov_b32 s8, 0
	.p2align	6
.LBB109_620:                            ; =>This Inner Loop Header: Depth=1
	s_clause 0x3
	buffer_load_dword v108, v101, s[0:3], 0 offen offset:8
	buffer_load_dword v109, v101, s[0:3], 0 offen offset:12
	buffer_load_dword v110, v101, s[0:3], 0 offen
	buffer_load_dword v111, v101, s[0:3], 0 offen offset:4
	ds_read_b128 v[104:107], v100
	v_add_nc_u32_e32 v102, 1, v102
	v_add_nc_u32_e32 v100, 16, v100
	;; [unrolled: 1-line block ×3, first 2 shown]
	v_cmp_lt_u32_e32 vcc_lo, 31, v102
	s_or_b32 s8, vcc_lo, s8
	s_waitcnt vmcnt(2) lgkmcnt(0)
	v_mul_f64 v[112:113], v[106:107], v[108:109]
	v_mul_f64 v[108:109], v[104:105], v[108:109]
	s_waitcnt vmcnt(0)
	v_fma_f64 v[104:105], v[104:105], v[110:111], -v[112:113]
	v_fma_f64 v[106:107], v[106:107], v[110:111], v[108:109]
	v_add_f64 v[1:2], v[1:2], v[104:105]
	v_add_f64 v[3:4], v[3:4], v[106:107]
	s_andn2_b32 exec_lo, exec_lo, s8
	s_cbranch_execnz .LBB109_620
; %bb.621:
	s_or_b32 exec_lo, exec_lo, s8
.LBB109_622:
	s_or_b32 exec_lo, exec_lo, s6
	v_mov_b32_e32 v100, 0
	ds_read_b128 v[104:107], v100 offset:528
	s_waitcnt lgkmcnt(0)
	v_mul_f64 v[100:101], v[3:4], v[106:107]
	v_mul_f64 v[106:107], v[1:2], v[106:107]
	v_fma_f64 v[1:2], v[1:2], v[104:105], -v[100:101]
	v_fma_f64 v[3:4], v[3:4], v[104:105], v[106:107]
	buffer_store_dword v2, off, s[0:3], 0 offset:532
	buffer_store_dword v1, off, s[0:3], 0 offset:528
	;; [unrolled: 1-line block ×4, first 2 shown]
.LBB109_623:
	s_or_b32 exec_lo, exec_lo, s4
	v_mov_b32_e32 v4, s19
	s_mov_b32 s4, exec_lo
	s_clause 0x3
	buffer_load_dword v1, v4, s[0:3], 0 offen
	buffer_load_dword v2, v4, s[0:3], 0 offen offset:4
	buffer_load_dword v3, v4, s[0:3], 0 offen offset:8
	buffer_load_dword v4, v4, s[0:3], 0 offen offset:12
	s_waitcnt vmcnt(0)
	ds_write_b128 v98, v[1:4]
	s_waitcnt lgkmcnt(0)
	s_waitcnt_vscnt null, 0x0
	s_barrier
	buffer_gl0_inv
	v_cmpx_gt_u32_e32 34, v0
	s_cbranch_execz .LBB109_631
; %bb.624:
	ds_read_b128 v[1:4], v98
	v_cmp_ne_u32_e32 vcc_lo, 1, v99
	s_cbranch_vccnz .LBB109_626
; %bb.625:
	s_clause 0x3
	buffer_load_dword v100, v97, s[0:3], 0 offen offset:8
	buffer_load_dword v101, v97, s[0:3], 0 offen offset:12
	buffer_load_dword v104, v97, s[0:3], 0 offen
	buffer_load_dword v105, v97, s[0:3], 0 offen offset:4
	s_waitcnt vmcnt(2) lgkmcnt(0)
	v_mul_f64 v[106:107], v[3:4], v[100:101]
	v_mul_f64 v[100:101], v[1:2], v[100:101]
	s_waitcnt vmcnt(0)
	v_fma_f64 v[1:2], v[1:2], v[104:105], -v[106:107]
	v_fma_f64 v[3:4], v[3:4], v[104:105], v[100:101]
.LBB109_626:
	s_mov_b32 s6, exec_lo
	v_cmpx_ne_u32_e32 33, v0
	s_cbranch_execz .LBB109_630
; %bb.627:
	v_add_nc_u32_e32 v100, 0x2f0, v103
	v_add3_u32 v101, 0, v103, 16
	v_mov_b32_e32 v102, v0
	s_mov_b32 s8, 0
	.p2align	6
.LBB109_628:                            ; =>This Inner Loop Header: Depth=1
	s_clause 0x3
	buffer_load_dword v108, v101, s[0:3], 0 offen offset:8
	buffer_load_dword v109, v101, s[0:3], 0 offen offset:12
	buffer_load_dword v110, v101, s[0:3], 0 offen
	buffer_load_dword v111, v101, s[0:3], 0 offen offset:4
	ds_read_b128 v[104:107], v100
	v_add_nc_u32_e32 v102, 1, v102
	v_add_nc_u32_e32 v100, 16, v100
	;; [unrolled: 1-line block ×3, first 2 shown]
	v_cmp_lt_u32_e32 vcc_lo, 32, v102
	s_or_b32 s8, vcc_lo, s8
	s_waitcnt vmcnt(2) lgkmcnt(0)
	v_mul_f64 v[112:113], v[106:107], v[108:109]
	v_mul_f64 v[108:109], v[104:105], v[108:109]
	s_waitcnt vmcnt(0)
	v_fma_f64 v[104:105], v[104:105], v[110:111], -v[112:113]
	v_fma_f64 v[106:107], v[106:107], v[110:111], v[108:109]
	v_add_f64 v[1:2], v[1:2], v[104:105]
	v_add_f64 v[3:4], v[3:4], v[106:107]
	s_andn2_b32 exec_lo, exec_lo, s8
	s_cbranch_execnz .LBB109_628
; %bb.629:
	s_or_b32 exec_lo, exec_lo, s8
.LBB109_630:
	s_or_b32 exec_lo, exec_lo, s6
	v_mov_b32_e32 v100, 0
	ds_read_b128 v[104:107], v100 offset:544
	s_waitcnt lgkmcnt(0)
	v_mul_f64 v[100:101], v[3:4], v[106:107]
	v_mul_f64 v[106:107], v[1:2], v[106:107]
	v_fma_f64 v[1:2], v[1:2], v[104:105], -v[100:101]
	v_fma_f64 v[3:4], v[3:4], v[104:105], v[106:107]
	buffer_store_dword v2, off, s[0:3], 0 offset:548
	buffer_store_dword v1, off, s[0:3], 0 offset:544
	;; [unrolled: 1-line block ×4, first 2 shown]
.LBB109_631:
	s_or_b32 exec_lo, exec_lo, s4
	v_mov_b32_e32 v4, s18
	s_mov_b32 s4, exec_lo
	s_clause 0x3
	buffer_load_dword v1, v4, s[0:3], 0 offen
	buffer_load_dword v2, v4, s[0:3], 0 offen offset:4
	buffer_load_dword v3, v4, s[0:3], 0 offen offset:8
	buffer_load_dword v4, v4, s[0:3], 0 offen offset:12
	s_waitcnt vmcnt(0)
	ds_write_b128 v98, v[1:4]
	s_waitcnt lgkmcnt(0)
	s_waitcnt_vscnt null, 0x0
	s_barrier
	buffer_gl0_inv
	v_cmpx_gt_u32_e32 35, v0
	s_cbranch_execz .LBB109_639
; %bb.632:
	ds_read_b128 v[1:4], v98
	v_cmp_ne_u32_e32 vcc_lo, 1, v99
	s_cbranch_vccnz .LBB109_634
; %bb.633:
	s_clause 0x3
	buffer_load_dword v100, v97, s[0:3], 0 offen offset:8
	buffer_load_dword v101, v97, s[0:3], 0 offen offset:12
	buffer_load_dword v104, v97, s[0:3], 0 offen
	buffer_load_dword v105, v97, s[0:3], 0 offen offset:4
	s_waitcnt vmcnt(2) lgkmcnt(0)
	v_mul_f64 v[106:107], v[3:4], v[100:101]
	v_mul_f64 v[100:101], v[1:2], v[100:101]
	s_waitcnt vmcnt(0)
	v_fma_f64 v[1:2], v[1:2], v[104:105], -v[106:107]
	v_fma_f64 v[3:4], v[3:4], v[104:105], v[100:101]
.LBB109_634:
	s_mov_b32 s6, exec_lo
	v_cmpx_ne_u32_e32 34, v0
	s_cbranch_execz .LBB109_638
; %bb.635:
	v_add_nc_u32_e32 v100, 0x2f0, v103
	v_add3_u32 v101, 0, v103, 16
	v_mov_b32_e32 v102, v0
	s_mov_b32 s8, 0
	.p2align	6
.LBB109_636:                            ; =>This Inner Loop Header: Depth=1
	s_clause 0x3
	buffer_load_dword v108, v101, s[0:3], 0 offen offset:8
	buffer_load_dword v109, v101, s[0:3], 0 offen offset:12
	buffer_load_dword v110, v101, s[0:3], 0 offen
	buffer_load_dword v111, v101, s[0:3], 0 offen offset:4
	ds_read_b128 v[104:107], v100
	v_add_nc_u32_e32 v102, 1, v102
	v_add_nc_u32_e32 v100, 16, v100
	;; [unrolled: 1-line block ×3, first 2 shown]
	v_cmp_lt_u32_e32 vcc_lo, 33, v102
	s_or_b32 s8, vcc_lo, s8
	s_waitcnt vmcnt(2) lgkmcnt(0)
	v_mul_f64 v[112:113], v[106:107], v[108:109]
	v_mul_f64 v[108:109], v[104:105], v[108:109]
	s_waitcnt vmcnt(0)
	v_fma_f64 v[104:105], v[104:105], v[110:111], -v[112:113]
	v_fma_f64 v[106:107], v[106:107], v[110:111], v[108:109]
	v_add_f64 v[1:2], v[1:2], v[104:105]
	v_add_f64 v[3:4], v[3:4], v[106:107]
	s_andn2_b32 exec_lo, exec_lo, s8
	s_cbranch_execnz .LBB109_636
; %bb.637:
	s_or_b32 exec_lo, exec_lo, s8
.LBB109_638:
	s_or_b32 exec_lo, exec_lo, s6
	v_mov_b32_e32 v100, 0
	ds_read_b128 v[104:107], v100 offset:560
	s_waitcnt lgkmcnt(0)
	v_mul_f64 v[100:101], v[3:4], v[106:107]
	v_mul_f64 v[106:107], v[1:2], v[106:107]
	v_fma_f64 v[1:2], v[1:2], v[104:105], -v[100:101]
	v_fma_f64 v[3:4], v[3:4], v[104:105], v[106:107]
	buffer_store_dword v2, off, s[0:3], 0 offset:564
	buffer_store_dword v1, off, s[0:3], 0 offset:560
	;; [unrolled: 1-line block ×4, first 2 shown]
.LBB109_639:
	s_or_b32 exec_lo, exec_lo, s4
	v_mov_b32_e32 v4, s17
	s_mov_b32 s4, exec_lo
	s_clause 0x3
	buffer_load_dword v1, v4, s[0:3], 0 offen
	buffer_load_dword v2, v4, s[0:3], 0 offen offset:4
	buffer_load_dword v3, v4, s[0:3], 0 offen offset:8
	;; [unrolled: 1-line block ×3, first 2 shown]
	s_waitcnt vmcnt(0)
	ds_write_b128 v98, v[1:4]
	s_waitcnt lgkmcnt(0)
	s_waitcnt_vscnt null, 0x0
	s_barrier
	buffer_gl0_inv
	v_cmpx_gt_u32_e32 36, v0
	s_cbranch_execz .LBB109_647
; %bb.640:
	ds_read_b128 v[1:4], v98
	v_cmp_ne_u32_e32 vcc_lo, 1, v99
	s_cbranch_vccnz .LBB109_642
; %bb.641:
	s_clause 0x3
	buffer_load_dword v100, v97, s[0:3], 0 offen offset:8
	buffer_load_dword v101, v97, s[0:3], 0 offen offset:12
	buffer_load_dword v104, v97, s[0:3], 0 offen
	buffer_load_dword v105, v97, s[0:3], 0 offen offset:4
	s_waitcnt vmcnt(2) lgkmcnt(0)
	v_mul_f64 v[106:107], v[3:4], v[100:101]
	v_mul_f64 v[100:101], v[1:2], v[100:101]
	s_waitcnt vmcnt(0)
	v_fma_f64 v[1:2], v[1:2], v[104:105], -v[106:107]
	v_fma_f64 v[3:4], v[3:4], v[104:105], v[100:101]
.LBB109_642:
	s_mov_b32 s6, exec_lo
	v_cmpx_ne_u32_e32 35, v0
	s_cbranch_execz .LBB109_646
; %bb.643:
	v_add_nc_u32_e32 v100, 0x2f0, v103
	v_add3_u32 v101, 0, v103, 16
	v_mov_b32_e32 v102, v0
	s_mov_b32 s8, 0
	.p2align	6
.LBB109_644:                            ; =>This Inner Loop Header: Depth=1
	s_clause 0x3
	buffer_load_dword v108, v101, s[0:3], 0 offen offset:8
	buffer_load_dword v109, v101, s[0:3], 0 offen offset:12
	buffer_load_dword v110, v101, s[0:3], 0 offen
	buffer_load_dword v111, v101, s[0:3], 0 offen offset:4
	ds_read_b128 v[104:107], v100
	v_add_nc_u32_e32 v102, 1, v102
	v_add_nc_u32_e32 v100, 16, v100
	;; [unrolled: 1-line block ×3, first 2 shown]
	v_cmp_lt_u32_e32 vcc_lo, 34, v102
	s_or_b32 s8, vcc_lo, s8
	s_waitcnt vmcnt(2) lgkmcnt(0)
	v_mul_f64 v[112:113], v[106:107], v[108:109]
	v_mul_f64 v[108:109], v[104:105], v[108:109]
	s_waitcnt vmcnt(0)
	v_fma_f64 v[104:105], v[104:105], v[110:111], -v[112:113]
	v_fma_f64 v[106:107], v[106:107], v[110:111], v[108:109]
	v_add_f64 v[1:2], v[1:2], v[104:105]
	v_add_f64 v[3:4], v[3:4], v[106:107]
	s_andn2_b32 exec_lo, exec_lo, s8
	s_cbranch_execnz .LBB109_644
; %bb.645:
	s_or_b32 exec_lo, exec_lo, s8
.LBB109_646:
	s_or_b32 exec_lo, exec_lo, s6
	v_mov_b32_e32 v100, 0
	ds_read_b128 v[104:107], v100 offset:576
	s_waitcnt lgkmcnt(0)
	v_mul_f64 v[100:101], v[3:4], v[106:107]
	v_mul_f64 v[106:107], v[1:2], v[106:107]
	v_fma_f64 v[1:2], v[1:2], v[104:105], -v[100:101]
	v_fma_f64 v[3:4], v[3:4], v[104:105], v[106:107]
	buffer_store_dword v2, off, s[0:3], 0 offset:580
	buffer_store_dword v1, off, s[0:3], 0 offset:576
	buffer_store_dword v4, off, s[0:3], 0 offset:588
	buffer_store_dword v3, off, s[0:3], 0 offset:584
.LBB109_647:
	s_or_b32 exec_lo, exec_lo, s4
	v_mov_b32_e32 v4, s16
	s_mov_b32 s4, exec_lo
	s_clause 0x3
	buffer_load_dword v1, v4, s[0:3], 0 offen
	buffer_load_dword v2, v4, s[0:3], 0 offen offset:4
	buffer_load_dword v3, v4, s[0:3], 0 offen offset:8
	buffer_load_dword v4, v4, s[0:3], 0 offen offset:12
	s_waitcnt vmcnt(0)
	ds_write_b128 v98, v[1:4]
	s_waitcnt lgkmcnt(0)
	s_waitcnt_vscnt null, 0x0
	s_barrier
	buffer_gl0_inv
	v_cmpx_gt_u32_e32 37, v0
	s_cbranch_execz .LBB109_655
; %bb.648:
	ds_read_b128 v[1:4], v98
	v_cmp_ne_u32_e32 vcc_lo, 1, v99
	s_cbranch_vccnz .LBB109_650
; %bb.649:
	s_clause 0x3
	buffer_load_dword v100, v97, s[0:3], 0 offen offset:8
	buffer_load_dword v101, v97, s[0:3], 0 offen offset:12
	buffer_load_dword v104, v97, s[0:3], 0 offen
	buffer_load_dword v105, v97, s[0:3], 0 offen offset:4
	s_waitcnt vmcnt(2) lgkmcnt(0)
	v_mul_f64 v[106:107], v[3:4], v[100:101]
	v_mul_f64 v[100:101], v[1:2], v[100:101]
	s_waitcnt vmcnt(0)
	v_fma_f64 v[1:2], v[1:2], v[104:105], -v[106:107]
	v_fma_f64 v[3:4], v[3:4], v[104:105], v[100:101]
.LBB109_650:
	s_mov_b32 s6, exec_lo
	v_cmpx_ne_u32_e32 36, v0
	s_cbranch_execz .LBB109_654
; %bb.651:
	v_add_nc_u32_e32 v100, 0x2f0, v103
	v_add3_u32 v101, 0, v103, 16
	v_mov_b32_e32 v102, v0
	s_mov_b32 s8, 0
	.p2align	6
.LBB109_652:                            ; =>This Inner Loop Header: Depth=1
	s_clause 0x3
	buffer_load_dword v108, v101, s[0:3], 0 offen offset:8
	buffer_load_dword v109, v101, s[0:3], 0 offen offset:12
	buffer_load_dword v110, v101, s[0:3], 0 offen
	buffer_load_dword v111, v101, s[0:3], 0 offen offset:4
	ds_read_b128 v[104:107], v100
	v_add_nc_u32_e32 v102, 1, v102
	v_add_nc_u32_e32 v100, 16, v100
	;; [unrolled: 1-line block ×3, first 2 shown]
	v_cmp_lt_u32_e32 vcc_lo, 35, v102
	s_or_b32 s8, vcc_lo, s8
	s_waitcnt vmcnt(2) lgkmcnt(0)
	v_mul_f64 v[112:113], v[106:107], v[108:109]
	v_mul_f64 v[108:109], v[104:105], v[108:109]
	s_waitcnt vmcnt(0)
	v_fma_f64 v[104:105], v[104:105], v[110:111], -v[112:113]
	v_fma_f64 v[106:107], v[106:107], v[110:111], v[108:109]
	v_add_f64 v[1:2], v[1:2], v[104:105]
	v_add_f64 v[3:4], v[3:4], v[106:107]
	s_andn2_b32 exec_lo, exec_lo, s8
	s_cbranch_execnz .LBB109_652
; %bb.653:
	s_or_b32 exec_lo, exec_lo, s8
.LBB109_654:
	s_or_b32 exec_lo, exec_lo, s6
	v_mov_b32_e32 v100, 0
	ds_read_b128 v[104:107], v100 offset:592
	s_waitcnt lgkmcnt(0)
	v_mul_f64 v[100:101], v[3:4], v[106:107]
	v_mul_f64 v[106:107], v[1:2], v[106:107]
	v_fma_f64 v[1:2], v[1:2], v[104:105], -v[100:101]
	v_fma_f64 v[3:4], v[3:4], v[104:105], v[106:107]
	buffer_store_dword v2, off, s[0:3], 0 offset:596
	buffer_store_dword v1, off, s[0:3], 0 offset:592
	;; [unrolled: 1-line block ×4, first 2 shown]
.LBB109_655:
	s_or_b32 exec_lo, exec_lo, s4
	v_mov_b32_e32 v4, s15
	s_mov_b32 s4, exec_lo
	s_clause 0x3
	buffer_load_dword v1, v4, s[0:3], 0 offen
	buffer_load_dword v2, v4, s[0:3], 0 offen offset:4
	buffer_load_dword v3, v4, s[0:3], 0 offen offset:8
	;; [unrolled: 1-line block ×3, first 2 shown]
	s_waitcnt vmcnt(0)
	ds_write_b128 v98, v[1:4]
	s_waitcnt lgkmcnt(0)
	s_waitcnt_vscnt null, 0x0
	s_barrier
	buffer_gl0_inv
	v_cmpx_gt_u32_e32 38, v0
	s_cbranch_execz .LBB109_663
; %bb.656:
	ds_read_b128 v[1:4], v98
	v_cmp_ne_u32_e32 vcc_lo, 1, v99
	s_cbranch_vccnz .LBB109_658
; %bb.657:
	s_clause 0x3
	buffer_load_dword v100, v97, s[0:3], 0 offen offset:8
	buffer_load_dword v101, v97, s[0:3], 0 offen offset:12
	buffer_load_dword v104, v97, s[0:3], 0 offen
	buffer_load_dword v105, v97, s[0:3], 0 offen offset:4
	s_waitcnt vmcnt(2) lgkmcnt(0)
	v_mul_f64 v[106:107], v[3:4], v[100:101]
	v_mul_f64 v[100:101], v[1:2], v[100:101]
	s_waitcnt vmcnt(0)
	v_fma_f64 v[1:2], v[1:2], v[104:105], -v[106:107]
	v_fma_f64 v[3:4], v[3:4], v[104:105], v[100:101]
.LBB109_658:
	s_mov_b32 s6, exec_lo
	v_cmpx_ne_u32_e32 37, v0
	s_cbranch_execz .LBB109_662
; %bb.659:
	v_add_nc_u32_e32 v100, 0x2f0, v103
	v_add3_u32 v101, 0, v103, 16
	v_mov_b32_e32 v102, v0
	s_mov_b32 s8, 0
	.p2align	6
.LBB109_660:                            ; =>This Inner Loop Header: Depth=1
	s_clause 0x3
	buffer_load_dword v108, v101, s[0:3], 0 offen offset:8
	buffer_load_dword v109, v101, s[0:3], 0 offen offset:12
	buffer_load_dword v110, v101, s[0:3], 0 offen
	buffer_load_dword v111, v101, s[0:3], 0 offen offset:4
	ds_read_b128 v[104:107], v100
	v_add_nc_u32_e32 v102, 1, v102
	v_add_nc_u32_e32 v100, 16, v100
	;; [unrolled: 1-line block ×3, first 2 shown]
	v_cmp_lt_u32_e32 vcc_lo, 36, v102
	s_or_b32 s8, vcc_lo, s8
	s_waitcnt vmcnt(2) lgkmcnt(0)
	v_mul_f64 v[112:113], v[106:107], v[108:109]
	v_mul_f64 v[108:109], v[104:105], v[108:109]
	s_waitcnt vmcnt(0)
	v_fma_f64 v[104:105], v[104:105], v[110:111], -v[112:113]
	v_fma_f64 v[106:107], v[106:107], v[110:111], v[108:109]
	v_add_f64 v[1:2], v[1:2], v[104:105]
	v_add_f64 v[3:4], v[3:4], v[106:107]
	s_andn2_b32 exec_lo, exec_lo, s8
	s_cbranch_execnz .LBB109_660
; %bb.661:
	s_or_b32 exec_lo, exec_lo, s8
.LBB109_662:
	s_or_b32 exec_lo, exec_lo, s6
	v_mov_b32_e32 v100, 0
	ds_read_b128 v[104:107], v100 offset:608
	s_waitcnt lgkmcnt(0)
	v_mul_f64 v[100:101], v[3:4], v[106:107]
	v_mul_f64 v[106:107], v[1:2], v[106:107]
	v_fma_f64 v[1:2], v[1:2], v[104:105], -v[100:101]
	v_fma_f64 v[3:4], v[3:4], v[104:105], v[106:107]
	buffer_store_dword v2, off, s[0:3], 0 offset:612
	buffer_store_dword v1, off, s[0:3], 0 offset:608
	buffer_store_dword v4, off, s[0:3], 0 offset:620
	buffer_store_dword v3, off, s[0:3], 0 offset:616
.LBB109_663:
	s_or_b32 exec_lo, exec_lo, s4
	v_mov_b32_e32 v4, s14
	s_mov_b32 s4, exec_lo
	s_clause 0x3
	buffer_load_dword v1, v4, s[0:3], 0 offen
	buffer_load_dword v2, v4, s[0:3], 0 offen offset:4
	buffer_load_dword v3, v4, s[0:3], 0 offen offset:8
	buffer_load_dword v4, v4, s[0:3], 0 offen offset:12
	s_waitcnt vmcnt(0)
	ds_write_b128 v98, v[1:4]
	s_waitcnt lgkmcnt(0)
	s_waitcnt_vscnt null, 0x0
	s_barrier
	buffer_gl0_inv
	v_cmpx_gt_u32_e32 39, v0
	s_cbranch_execz .LBB109_671
; %bb.664:
	ds_read_b128 v[1:4], v98
	v_cmp_ne_u32_e32 vcc_lo, 1, v99
	s_cbranch_vccnz .LBB109_666
; %bb.665:
	s_clause 0x3
	buffer_load_dword v100, v97, s[0:3], 0 offen offset:8
	buffer_load_dword v101, v97, s[0:3], 0 offen offset:12
	buffer_load_dword v104, v97, s[0:3], 0 offen
	buffer_load_dword v105, v97, s[0:3], 0 offen offset:4
	s_waitcnt vmcnt(2) lgkmcnt(0)
	v_mul_f64 v[106:107], v[3:4], v[100:101]
	v_mul_f64 v[100:101], v[1:2], v[100:101]
	s_waitcnt vmcnt(0)
	v_fma_f64 v[1:2], v[1:2], v[104:105], -v[106:107]
	v_fma_f64 v[3:4], v[3:4], v[104:105], v[100:101]
.LBB109_666:
	s_mov_b32 s6, exec_lo
	v_cmpx_ne_u32_e32 38, v0
	s_cbranch_execz .LBB109_670
; %bb.667:
	v_add_nc_u32_e32 v100, 0x2f0, v103
	v_add3_u32 v101, 0, v103, 16
	v_mov_b32_e32 v102, v0
	s_mov_b32 s8, 0
	.p2align	6
.LBB109_668:                            ; =>This Inner Loop Header: Depth=1
	s_clause 0x3
	buffer_load_dword v108, v101, s[0:3], 0 offen offset:8
	buffer_load_dword v109, v101, s[0:3], 0 offen offset:12
	buffer_load_dword v110, v101, s[0:3], 0 offen
	buffer_load_dword v111, v101, s[0:3], 0 offen offset:4
	ds_read_b128 v[104:107], v100
	v_add_nc_u32_e32 v102, 1, v102
	v_add_nc_u32_e32 v100, 16, v100
	;; [unrolled: 1-line block ×3, first 2 shown]
	v_cmp_lt_u32_e32 vcc_lo, 37, v102
	s_or_b32 s8, vcc_lo, s8
	s_waitcnt vmcnt(2) lgkmcnt(0)
	v_mul_f64 v[112:113], v[106:107], v[108:109]
	v_mul_f64 v[108:109], v[104:105], v[108:109]
	s_waitcnt vmcnt(0)
	v_fma_f64 v[104:105], v[104:105], v[110:111], -v[112:113]
	v_fma_f64 v[106:107], v[106:107], v[110:111], v[108:109]
	v_add_f64 v[1:2], v[1:2], v[104:105]
	v_add_f64 v[3:4], v[3:4], v[106:107]
	s_andn2_b32 exec_lo, exec_lo, s8
	s_cbranch_execnz .LBB109_668
; %bb.669:
	s_or_b32 exec_lo, exec_lo, s8
.LBB109_670:
	s_or_b32 exec_lo, exec_lo, s6
	v_mov_b32_e32 v100, 0
	ds_read_b128 v[104:107], v100 offset:624
	s_waitcnt lgkmcnt(0)
	v_mul_f64 v[100:101], v[3:4], v[106:107]
	v_mul_f64 v[106:107], v[1:2], v[106:107]
	v_fma_f64 v[1:2], v[1:2], v[104:105], -v[100:101]
	v_fma_f64 v[3:4], v[3:4], v[104:105], v[106:107]
	buffer_store_dword v2, off, s[0:3], 0 offset:628
	buffer_store_dword v1, off, s[0:3], 0 offset:624
	;; [unrolled: 1-line block ×4, first 2 shown]
.LBB109_671:
	s_or_b32 exec_lo, exec_lo, s4
	v_mov_b32_e32 v4, s13
	s_mov_b32 s4, exec_lo
	s_clause 0x3
	buffer_load_dword v1, v4, s[0:3], 0 offen
	buffer_load_dword v2, v4, s[0:3], 0 offen offset:4
	buffer_load_dword v3, v4, s[0:3], 0 offen offset:8
	;; [unrolled: 1-line block ×3, first 2 shown]
	s_waitcnt vmcnt(0)
	ds_write_b128 v98, v[1:4]
	s_waitcnt lgkmcnt(0)
	s_waitcnt_vscnt null, 0x0
	s_barrier
	buffer_gl0_inv
	v_cmpx_gt_u32_e32 40, v0
	s_cbranch_execz .LBB109_679
; %bb.672:
	ds_read_b128 v[1:4], v98
	v_cmp_ne_u32_e32 vcc_lo, 1, v99
	s_cbranch_vccnz .LBB109_674
; %bb.673:
	s_clause 0x3
	buffer_load_dword v100, v97, s[0:3], 0 offen offset:8
	buffer_load_dword v101, v97, s[0:3], 0 offen offset:12
	buffer_load_dword v104, v97, s[0:3], 0 offen
	buffer_load_dword v105, v97, s[0:3], 0 offen offset:4
	s_waitcnt vmcnt(2) lgkmcnt(0)
	v_mul_f64 v[106:107], v[3:4], v[100:101]
	v_mul_f64 v[100:101], v[1:2], v[100:101]
	s_waitcnt vmcnt(0)
	v_fma_f64 v[1:2], v[1:2], v[104:105], -v[106:107]
	v_fma_f64 v[3:4], v[3:4], v[104:105], v[100:101]
.LBB109_674:
	s_mov_b32 s6, exec_lo
	v_cmpx_ne_u32_e32 39, v0
	s_cbranch_execz .LBB109_678
; %bb.675:
	v_add_nc_u32_e32 v100, 0x2f0, v103
	v_add3_u32 v101, 0, v103, 16
	v_mov_b32_e32 v102, v0
	s_mov_b32 s8, 0
	.p2align	6
.LBB109_676:                            ; =>This Inner Loop Header: Depth=1
	s_clause 0x3
	buffer_load_dword v108, v101, s[0:3], 0 offen offset:8
	buffer_load_dword v109, v101, s[0:3], 0 offen offset:12
	buffer_load_dword v110, v101, s[0:3], 0 offen
	buffer_load_dword v111, v101, s[0:3], 0 offen offset:4
	ds_read_b128 v[104:107], v100
	v_add_nc_u32_e32 v102, 1, v102
	v_add_nc_u32_e32 v100, 16, v100
	;; [unrolled: 1-line block ×3, first 2 shown]
	v_cmp_lt_u32_e32 vcc_lo, 38, v102
	s_or_b32 s8, vcc_lo, s8
	s_waitcnt vmcnt(2) lgkmcnt(0)
	v_mul_f64 v[112:113], v[106:107], v[108:109]
	v_mul_f64 v[108:109], v[104:105], v[108:109]
	s_waitcnt vmcnt(0)
	v_fma_f64 v[104:105], v[104:105], v[110:111], -v[112:113]
	v_fma_f64 v[106:107], v[106:107], v[110:111], v[108:109]
	v_add_f64 v[1:2], v[1:2], v[104:105]
	v_add_f64 v[3:4], v[3:4], v[106:107]
	s_andn2_b32 exec_lo, exec_lo, s8
	s_cbranch_execnz .LBB109_676
; %bb.677:
	s_or_b32 exec_lo, exec_lo, s8
.LBB109_678:
	s_or_b32 exec_lo, exec_lo, s6
	v_mov_b32_e32 v100, 0
	ds_read_b128 v[104:107], v100 offset:640
	s_waitcnt lgkmcnt(0)
	v_mul_f64 v[100:101], v[3:4], v[106:107]
	v_mul_f64 v[106:107], v[1:2], v[106:107]
	v_fma_f64 v[1:2], v[1:2], v[104:105], -v[100:101]
	v_fma_f64 v[3:4], v[3:4], v[104:105], v[106:107]
	buffer_store_dword v2, off, s[0:3], 0 offset:644
	buffer_store_dword v1, off, s[0:3], 0 offset:640
	;; [unrolled: 1-line block ×4, first 2 shown]
.LBB109_679:
	s_or_b32 exec_lo, exec_lo, s4
	v_mov_b32_e32 v4, s12
	s_mov_b32 s4, exec_lo
	s_clause 0x3
	buffer_load_dword v1, v4, s[0:3], 0 offen
	buffer_load_dword v2, v4, s[0:3], 0 offen offset:4
	buffer_load_dword v3, v4, s[0:3], 0 offen offset:8
	;; [unrolled: 1-line block ×3, first 2 shown]
	s_waitcnt vmcnt(0)
	ds_write_b128 v98, v[1:4]
	s_waitcnt lgkmcnt(0)
	s_waitcnt_vscnt null, 0x0
	s_barrier
	buffer_gl0_inv
	v_cmpx_gt_u32_e32 41, v0
	s_cbranch_execz .LBB109_687
; %bb.680:
	ds_read_b128 v[1:4], v98
	v_cmp_ne_u32_e32 vcc_lo, 1, v99
	s_cbranch_vccnz .LBB109_682
; %bb.681:
	s_clause 0x3
	buffer_load_dword v100, v97, s[0:3], 0 offen offset:8
	buffer_load_dword v101, v97, s[0:3], 0 offen offset:12
	buffer_load_dword v104, v97, s[0:3], 0 offen
	buffer_load_dword v105, v97, s[0:3], 0 offen offset:4
	s_waitcnt vmcnt(2) lgkmcnt(0)
	v_mul_f64 v[106:107], v[3:4], v[100:101]
	v_mul_f64 v[100:101], v[1:2], v[100:101]
	s_waitcnt vmcnt(0)
	v_fma_f64 v[1:2], v[1:2], v[104:105], -v[106:107]
	v_fma_f64 v[3:4], v[3:4], v[104:105], v[100:101]
.LBB109_682:
	s_mov_b32 s6, exec_lo
	v_cmpx_ne_u32_e32 40, v0
	s_cbranch_execz .LBB109_686
; %bb.683:
	v_add_nc_u32_e32 v100, 0x2f0, v103
	v_add3_u32 v101, 0, v103, 16
	v_mov_b32_e32 v102, v0
	s_mov_b32 s8, 0
	.p2align	6
.LBB109_684:                            ; =>This Inner Loop Header: Depth=1
	s_clause 0x3
	buffer_load_dword v108, v101, s[0:3], 0 offen offset:8
	buffer_load_dword v109, v101, s[0:3], 0 offen offset:12
	buffer_load_dword v110, v101, s[0:3], 0 offen
	buffer_load_dword v111, v101, s[0:3], 0 offen offset:4
	ds_read_b128 v[104:107], v100
	v_add_nc_u32_e32 v102, 1, v102
	v_add_nc_u32_e32 v100, 16, v100
	;; [unrolled: 1-line block ×3, first 2 shown]
	v_cmp_lt_u32_e32 vcc_lo, 39, v102
	s_or_b32 s8, vcc_lo, s8
	s_waitcnt vmcnt(2) lgkmcnt(0)
	v_mul_f64 v[112:113], v[106:107], v[108:109]
	v_mul_f64 v[108:109], v[104:105], v[108:109]
	s_waitcnt vmcnt(0)
	v_fma_f64 v[104:105], v[104:105], v[110:111], -v[112:113]
	v_fma_f64 v[106:107], v[106:107], v[110:111], v[108:109]
	v_add_f64 v[1:2], v[1:2], v[104:105]
	v_add_f64 v[3:4], v[3:4], v[106:107]
	s_andn2_b32 exec_lo, exec_lo, s8
	s_cbranch_execnz .LBB109_684
; %bb.685:
	s_or_b32 exec_lo, exec_lo, s8
.LBB109_686:
	s_or_b32 exec_lo, exec_lo, s6
	v_mov_b32_e32 v100, 0
	ds_read_b128 v[104:107], v100 offset:656
	s_waitcnt lgkmcnt(0)
	v_mul_f64 v[100:101], v[3:4], v[106:107]
	v_mul_f64 v[106:107], v[1:2], v[106:107]
	v_fma_f64 v[1:2], v[1:2], v[104:105], -v[100:101]
	v_fma_f64 v[3:4], v[3:4], v[104:105], v[106:107]
	buffer_store_dword v2, off, s[0:3], 0 offset:660
	buffer_store_dword v1, off, s[0:3], 0 offset:656
	;; [unrolled: 1-line block ×4, first 2 shown]
.LBB109_687:
	s_or_b32 exec_lo, exec_lo, s4
	v_mov_b32_e32 v4, s11
	s_mov_b32 s4, exec_lo
	s_clause 0x3
	buffer_load_dword v1, v4, s[0:3], 0 offen
	buffer_load_dword v2, v4, s[0:3], 0 offen offset:4
	buffer_load_dword v3, v4, s[0:3], 0 offen offset:8
	buffer_load_dword v4, v4, s[0:3], 0 offen offset:12
	s_waitcnt vmcnt(0)
	ds_write_b128 v98, v[1:4]
	s_waitcnt lgkmcnt(0)
	s_waitcnt_vscnt null, 0x0
	s_barrier
	buffer_gl0_inv
	v_cmpx_gt_u32_e32 42, v0
	s_cbranch_execz .LBB109_695
; %bb.688:
	ds_read_b128 v[1:4], v98
	v_cmp_ne_u32_e32 vcc_lo, 1, v99
	s_cbranch_vccnz .LBB109_690
; %bb.689:
	s_clause 0x3
	buffer_load_dword v100, v97, s[0:3], 0 offen offset:8
	buffer_load_dword v101, v97, s[0:3], 0 offen offset:12
	buffer_load_dword v104, v97, s[0:3], 0 offen
	buffer_load_dword v105, v97, s[0:3], 0 offen offset:4
	s_waitcnt vmcnt(2) lgkmcnt(0)
	v_mul_f64 v[106:107], v[3:4], v[100:101]
	v_mul_f64 v[100:101], v[1:2], v[100:101]
	s_waitcnt vmcnt(0)
	v_fma_f64 v[1:2], v[1:2], v[104:105], -v[106:107]
	v_fma_f64 v[3:4], v[3:4], v[104:105], v[100:101]
.LBB109_690:
	s_mov_b32 s6, exec_lo
	v_cmpx_ne_u32_e32 41, v0
	s_cbranch_execz .LBB109_694
; %bb.691:
	v_add_nc_u32_e32 v100, 0x2f0, v103
	v_add3_u32 v101, 0, v103, 16
	v_mov_b32_e32 v102, v0
	s_mov_b32 s8, 0
	.p2align	6
.LBB109_692:                            ; =>This Inner Loop Header: Depth=1
	s_clause 0x3
	buffer_load_dword v108, v101, s[0:3], 0 offen offset:8
	buffer_load_dword v109, v101, s[0:3], 0 offen offset:12
	buffer_load_dword v110, v101, s[0:3], 0 offen
	buffer_load_dword v111, v101, s[0:3], 0 offen offset:4
	ds_read_b128 v[104:107], v100
	v_add_nc_u32_e32 v102, 1, v102
	v_add_nc_u32_e32 v100, 16, v100
	;; [unrolled: 1-line block ×3, first 2 shown]
	v_cmp_lt_u32_e32 vcc_lo, 40, v102
	s_or_b32 s8, vcc_lo, s8
	s_waitcnt vmcnt(2) lgkmcnt(0)
	v_mul_f64 v[112:113], v[106:107], v[108:109]
	v_mul_f64 v[108:109], v[104:105], v[108:109]
	s_waitcnt vmcnt(0)
	v_fma_f64 v[104:105], v[104:105], v[110:111], -v[112:113]
	v_fma_f64 v[106:107], v[106:107], v[110:111], v[108:109]
	v_add_f64 v[1:2], v[1:2], v[104:105]
	v_add_f64 v[3:4], v[3:4], v[106:107]
	s_andn2_b32 exec_lo, exec_lo, s8
	s_cbranch_execnz .LBB109_692
; %bb.693:
	s_or_b32 exec_lo, exec_lo, s8
.LBB109_694:
	s_or_b32 exec_lo, exec_lo, s6
	v_mov_b32_e32 v100, 0
	ds_read_b128 v[104:107], v100 offset:672
	s_waitcnt lgkmcnt(0)
	v_mul_f64 v[100:101], v[3:4], v[106:107]
	v_mul_f64 v[106:107], v[1:2], v[106:107]
	v_fma_f64 v[1:2], v[1:2], v[104:105], -v[100:101]
	v_fma_f64 v[3:4], v[3:4], v[104:105], v[106:107]
	buffer_store_dword v2, off, s[0:3], 0 offset:676
	buffer_store_dword v1, off, s[0:3], 0 offset:672
	;; [unrolled: 1-line block ×4, first 2 shown]
.LBB109_695:
	s_or_b32 exec_lo, exec_lo, s4
	v_mov_b32_e32 v4, s10
	s_mov_b32 s4, exec_lo
	s_clause 0x3
	buffer_load_dword v1, v4, s[0:3], 0 offen
	buffer_load_dword v2, v4, s[0:3], 0 offen offset:4
	buffer_load_dword v3, v4, s[0:3], 0 offen offset:8
	;; [unrolled: 1-line block ×3, first 2 shown]
	s_waitcnt vmcnt(0)
	ds_write_b128 v98, v[1:4]
	s_waitcnt lgkmcnt(0)
	s_waitcnt_vscnt null, 0x0
	s_barrier
	buffer_gl0_inv
	v_cmpx_gt_u32_e32 43, v0
	s_cbranch_execz .LBB109_703
; %bb.696:
	ds_read_b128 v[1:4], v98
	v_cmp_ne_u32_e32 vcc_lo, 1, v99
	s_cbranch_vccnz .LBB109_698
; %bb.697:
	s_clause 0x3
	buffer_load_dword v100, v97, s[0:3], 0 offen offset:8
	buffer_load_dword v101, v97, s[0:3], 0 offen offset:12
	buffer_load_dword v104, v97, s[0:3], 0 offen
	buffer_load_dword v105, v97, s[0:3], 0 offen offset:4
	s_waitcnt vmcnt(2) lgkmcnt(0)
	v_mul_f64 v[106:107], v[3:4], v[100:101]
	v_mul_f64 v[100:101], v[1:2], v[100:101]
	s_waitcnt vmcnt(0)
	v_fma_f64 v[1:2], v[1:2], v[104:105], -v[106:107]
	v_fma_f64 v[3:4], v[3:4], v[104:105], v[100:101]
.LBB109_698:
	s_mov_b32 s6, exec_lo
	v_cmpx_ne_u32_e32 42, v0
	s_cbranch_execz .LBB109_702
; %bb.699:
	v_add_nc_u32_e32 v100, 0x2f0, v103
	v_add3_u32 v101, 0, v103, 16
	v_mov_b32_e32 v102, v0
	s_mov_b32 s8, 0
	.p2align	6
.LBB109_700:                            ; =>This Inner Loop Header: Depth=1
	s_clause 0x3
	buffer_load_dword v108, v101, s[0:3], 0 offen offset:8
	buffer_load_dword v109, v101, s[0:3], 0 offen offset:12
	buffer_load_dword v110, v101, s[0:3], 0 offen
	buffer_load_dword v111, v101, s[0:3], 0 offen offset:4
	ds_read_b128 v[104:107], v100
	v_add_nc_u32_e32 v102, 1, v102
	v_add_nc_u32_e32 v100, 16, v100
	;; [unrolled: 1-line block ×3, first 2 shown]
	v_cmp_lt_u32_e32 vcc_lo, 41, v102
	s_or_b32 s8, vcc_lo, s8
	s_waitcnt vmcnt(2) lgkmcnt(0)
	v_mul_f64 v[112:113], v[106:107], v[108:109]
	v_mul_f64 v[108:109], v[104:105], v[108:109]
	s_waitcnt vmcnt(0)
	v_fma_f64 v[104:105], v[104:105], v[110:111], -v[112:113]
	v_fma_f64 v[106:107], v[106:107], v[110:111], v[108:109]
	v_add_f64 v[1:2], v[1:2], v[104:105]
	v_add_f64 v[3:4], v[3:4], v[106:107]
	s_andn2_b32 exec_lo, exec_lo, s8
	s_cbranch_execnz .LBB109_700
; %bb.701:
	s_or_b32 exec_lo, exec_lo, s8
.LBB109_702:
	s_or_b32 exec_lo, exec_lo, s6
	v_mov_b32_e32 v100, 0
	ds_read_b128 v[104:107], v100 offset:688
	s_waitcnt lgkmcnt(0)
	v_mul_f64 v[100:101], v[3:4], v[106:107]
	v_mul_f64 v[106:107], v[1:2], v[106:107]
	v_fma_f64 v[1:2], v[1:2], v[104:105], -v[100:101]
	v_fma_f64 v[3:4], v[3:4], v[104:105], v[106:107]
	buffer_store_dword v2, off, s[0:3], 0 offset:692
	buffer_store_dword v1, off, s[0:3], 0 offset:688
	;; [unrolled: 1-line block ×4, first 2 shown]
.LBB109_703:
	s_or_b32 exec_lo, exec_lo, s4
	v_mov_b32_e32 v4, s9
	v_cmp_gt_u32_e64 s4, 44, v0
	s_clause 0x3
	buffer_load_dword v1, v4, s[0:3], 0 offen
	buffer_load_dword v2, v4, s[0:3], 0 offen offset:4
	buffer_load_dword v3, v4, s[0:3], 0 offen offset:8
	;; [unrolled: 1-line block ×3, first 2 shown]
	s_waitcnt vmcnt(0)
	ds_write_b128 v98, v[1:4]
	s_waitcnt lgkmcnt(0)
	s_waitcnt_vscnt null, 0x0
	s_barrier
	buffer_gl0_inv
	s_and_saveexec_b32 s6, s4
	s_cbranch_execz .LBB109_711
; %bb.704:
	ds_read_b128 v[1:4], v98
	v_cmp_ne_u32_e32 vcc_lo, 1, v99
	s_cbranch_vccnz .LBB109_706
; %bb.705:
	s_clause 0x3
	buffer_load_dword v100, v97, s[0:3], 0 offen offset:8
	buffer_load_dword v101, v97, s[0:3], 0 offen offset:12
	buffer_load_dword v104, v97, s[0:3], 0 offen
	buffer_load_dword v105, v97, s[0:3], 0 offen offset:4
	s_waitcnt vmcnt(2) lgkmcnt(0)
	v_mul_f64 v[106:107], v[3:4], v[100:101]
	v_mul_f64 v[100:101], v[1:2], v[100:101]
	s_waitcnt vmcnt(0)
	v_fma_f64 v[1:2], v[1:2], v[104:105], -v[106:107]
	v_fma_f64 v[3:4], v[3:4], v[104:105], v[100:101]
.LBB109_706:
	s_mov_b32 s8, exec_lo
	v_cmpx_ne_u32_e32 43, v0
	s_cbranch_execz .LBB109_710
; %bb.707:
	v_add_nc_u32_e32 v100, 0x2f0, v103
	v_add3_u32 v101, 0, v103, 16
	v_mov_b32_e32 v102, v0
	s_mov_b32 s54, 0
	.p2align	6
.LBB109_708:                            ; =>This Inner Loop Header: Depth=1
	s_clause 0x3
	buffer_load_dword v108, v101, s[0:3], 0 offen offset:8
	buffer_load_dword v109, v101, s[0:3], 0 offen offset:12
	buffer_load_dword v110, v101, s[0:3], 0 offen
	buffer_load_dword v111, v101, s[0:3], 0 offen offset:4
	ds_read_b128 v[104:107], v100
	v_add_nc_u32_e32 v102, 1, v102
	v_add_nc_u32_e32 v100, 16, v100
	;; [unrolled: 1-line block ×3, first 2 shown]
	v_cmp_lt_u32_e32 vcc_lo, 42, v102
	s_or_b32 s54, vcc_lo, s54
	s_waitcnt vmcnt(2) lgkmcnt(0)
	v_mul_f64 v[112:113], v[106:107], v[108:109]
	v_mul_f64 v[108:109], v[104:105], v[108:109]
	s_waitcnt vmcnt(0)
	v_fma_f64 v[104:105], v[104:105], v[110:111], -v[112:113]
	v_fma_f64 v[106:107], v[106:107], v[110:111], v[108:109]
	v_add_f64 v[1:2], v[1:2], v[104:105]
	v_add_f64 v[3:4], v[3:4], v[106:107]
	s_andn2_b32 exec_lo, exec_lo, s54
	s_cbranch_execnz .LBB109_708
; %bb.709:
	s_or_b32 exec_lo, exec_lo, s54
.LBB109_710:
	s_or_b32 exec_lo, exec_lo, s8
	v_mov_b32_e32 v100, 0
	ds_read_b128 v[104:107], v100 offset:704
	s_waitcnt lgkmcnt(0)
	v_mul_f64 v[100:101], v[3:4], v[106:107]
	v_mul_f64 v[106:107], v[1:2], v[106:107]
	v_fma_f64 v[1:2], v[1:2], v[104:105], -v[100:101]
	v_fma_f64 v[3:4], v[3:4], v[104:105], v[106:107]
	buffer_store_dword v2, off, s[0:3], 0 offset:708
	buffer_store_dword v1, off, s[0:3], 0 offset:704
	;; [unrolled: 1-line block ×4, first 2 shown]
.LBB109_711:
	s_or_b32 exec_lo, exec_lo, s6
	v_mov_b32_e32 v4, s7
	s_mov_b32 s6, exec_lo
                                        ; implicit-def: $sgpr55
	s_clause 0x3
	buffer_load_dword v1, v4, s[0:3], 0 offen
	buffer_load_dword v2, v4, s[0:3], 0 offen offset:4
	buffer_load_dword v3, v4, s[0:3], 0 offen offset:8
	;; [unrolled: 1-line block ×3, first 2 shown]
	s_waitcnt vmcnt(0)
	ds_write_b128 v98, v[1:4]
	s_waitcnt lgkmcnt(0)
	s_waitcnt_vscnt null, 0x0
	s_barrier
	buffer_gl0_inv
                                        ; implicit-def: $vgpr1_vgpr2
	v_cmpx_ne_u32_e32 45, v0
	s_cbranch_execz .LBB109_719
; %bb.712:
	ds_read_b128 v[1:4], v98
	v_cmp_ne_u32_e32 vcc_lo, 1, v99
	s_cbranch_vccnz .LBB109_714
; %bb.713:
	s_clause 0x3
	buffer_load_dword v98, v97, s[0:3], 0 offen offset:8
	buffer_load_dword v99, v97, s[0:3], 0 offen offset:12
	buffer_load_dword v100, v97, s[0:3], 0 offen
	buffer_load_dword v101, v97, s[0:3], 0 offen offset:4
	s_waitcnt vmcnt(2) lgkmcnt(0)
	v_mul_f64 v[104:105], v[3:4], v[98:99]
	v_mul_f64 v[97:98], v[1:2], v[98:99]
	s_waitcnt vmcnt(0)
	v_fma_f64 v[1:2], v[1:2], v[100:101], -v[104:105]
	v_fma_f64 v[3:4], v[3:4], v[100:101], v[97:98]
.LBB109_714:
	s_and_saveexec_b32 s8, s4
	s_cbranch_execz .LBB109_718
; %bb.715:
	v_add_nc_u32_e32 v97, 0x2f0, v103
	v_add3_u32 v98, 0, v103, 16
	s_mov_b32 s4, 0
	.p2align	6
.LBB109_716:                            ; =>This Inner Loop Header: Depth=1
	s_clause 0x3
	buffer_load_dword v103, v98, s[0:3], 0 offen offset:8
	buffer_load_dword v104, v98, s[0:3], 0 offen offset:12
	buffer_load_dword v105, v98, s[0:3], 0 offen
	buffer_load_dword v106, v98, s[0:3], 0 offen offset:4
	ds_read_b128 v[99:102], v97
	v_add_nc_u32_e32 v0, 1, v0
	v_add_nc_u32_e32 v97, 16, v97
	v_add_nc_u32_e32 v98, 16, v98
	v_cmp_lt_u32_e32 vcc_lo, 43, v0
	s_or_b32 s4, vcc_lo, s4
	s_waitcnt vmcnt(2) lgkmcnt(0)
	v_mul_f64 v[107:108], v[101:102], v[103:104]
	v_mul_f64 v[103:104], v[99:100], v[103:104]
	s_waitcnt vmcnt(0)
	v_fma_f64 v[99:100], v[99:100], v[105:106], -v[107:108]
	v_fma_f64 v[101:102], v[101:102], v[105:106], v[103:104]
	v_add_f64 v[1:2], v[1:2], v[99:100]
	v_add_f64 v[3:4], v[3:4], v[101:102]
	s_andn2_b32 exec_lo, exec_lo, s4
	s_cbranch_execnz .LBB109_716
; %bb.717:
	s_or_b32 exec_lo, exec_lo, s4
.LBB109_718:
	s_or_b32 exec_lo, exec_lo, s8
	v_mov_b32_e32 v0, 0
	s_movk_i32 s55, 0x2d8
	s_or_b32 s5, s5, exec_lo
	ds_read_b128 v[97:100], v0 offset:720
	s_waitcnt lgkmcnt(0)
	v_mul_f64 v[101:102], v[3:4], v[99:100]
	v_mul_f64 v[99:100], v[1:2], v[99:100]
	v_fma_f64 v[101:102], v[1:2], v[97:98], -v[101:102]
	v_fma_f64 v[1:2], v[3:4], v[97:98], v[99:100]
	buffer_store_dword v102, off, s[0:3], 0 offset:724
	buffer_store_dword v101, off, s[0:3], 0 offset:720
.LBB109_719:
	s_or_b32 exec_lo, exec_lo, s6
.LBB109_720:
	s_and_saveexec_b32 s4, s5
	s_cbranch_execz .LBB109_722
; %bb.721:
	v_mov_b32_e32 v0, s55
	buffer_store_dword v2, v0, s[0:3], 0 offen offset:4
	buffer_store_dword v1, v0, s[0:3], 0 offen
.LBB109_722:
	s_or_b32 exec_lo, exec_lo, s4
	s_clause 0x3
	buffer_load_dword v0, off, s[0:3], 0
	buffer_load_dword v1, off, s[0:3], 0 offset:4
	buffer_load_dword v2, off, s[0:3], 0 offset:8
	;; [unrolled: 1-line block ×3, first 2 shown]
	v_mov_b32_e32 v4, s53
	s_waitcnt vmcnt(0)
	flat_store_dwordx4 v[5:6], v[0:3]
	s_clause 0x3
	buffer_load_dword v0, v4, s[0:3], 0 offen
	buffer_load_dword v1, v4, s[0:3], 0 offen offset:4
	buffer_load_dword v2, v4, s[0:3], 0 offen offset:8
	buffer_load_dword v3, v4, s[0:3], 0 offen offset:12
	v_mov_b32_e32 v4, s52
	s_waitcnt vmcnt(0)
	flat_store_dwordx4 v[59:60], v[0:3]
	s_clause 0x3
	buffer_load_dword v0, v4, s[0:3], 0 offen
	buffer_load_dword v1, v4, s[0:3], 0 offen offset:4
	buffer_load_dword v2, v4, s[0:3], 0 offen offset:8
	buffer_load_dword v3, v4, s[0:3], 0 offen offset:12
	;; [unrolled: 8-line block ×45, first 2 shown]
	s_waitcnt vmcnt(0)
	flat_store_dwordx4 v[95:96], v[0:3]
.LBB109_723:
	s_endpgm
	.section	.rodata,"a",@progbits
	.p2align	6, 0x0
	.amdhsa_kernel _ZN9rocsolver6v33100L18trti2_kernel_smallILi46E19rocblas_complex_numIdEPKPS3_EEv13rocblas_fill_17rocblas_diagonal_T1_iil
		.amdhsa_group_segment_fixed_size 1472
		.amdhsa_private_segment_fixed_size 752
		.amdhsa_kernarg_size 32
		.amdhsa_user_sgpr_count 6
		.amdhsa_user_sgpr_private_segment_buffer 1
		.amdhsa_user_sgpr_dispatch_ptr 0
		.amdhsa_user_sgpr_queue_ptr 0
		.amdhsa_user_sgpr_kernarg_segment_ptr 1
		.amdhsa_user_sgpr_dispatch_id 0
		.amdhsa_user_sgpr_flat_scratch_init 0
		.amdhsa_user_sgpr_private_segment_size 0
		.amdhsa_wavefront_size32 1
		.amdhsa_uses_dynamic_stack 0
		.amdhsa_system_sgpr_private_segment_wavefront_offset 1
		.amdhsa_system_sgpr_workgroup_id_x 1
		.amdhsa_system_sgpr_workgroup_id_y 0
		.amdhsa_system_sgpr_workgroup_id_z 0
		.amdhsa_system_sgpr_workgroup_info 0
		.amdhsa_system_vgpr_workitem_id 0
		.amdhsa_next_free_vgpr 114
		.amdhsa_next_free_sgpr 74
		.amdhsa_reserve_vcc 1
		.amdhsa_reserve_flat_scratch 0
		.amdhsa_float_round_mode_32 0
		.amdhsa_float_round_mode_16_64 0
		.amdhsa_float_denorm_mode_32 3
		.amdhsa_float_denorm_mode_16_64 3
		.amdhsa_dx10_clamp 1
		.amdhsa_ieee_mode 1
		.amdhsa_fp16_overflow 0
		.amdhsa_workgroup_processor_mode 1
		.amdhsa_memory_ordered 1
		.amdhsa_forward_progress 1
		.amdhsa_shared_vgpr_count 0
		.amdhsa_exception_fp_ieee_invalid_op 0
		.amdhsa_exception_fp_denorm_src 0
		.amdhsa_exception_fp_ieee_div_zero 0
		.amdhsa_exception_fp_ieee_overflow 0
		.amdhsa_exception_fp_ieee_underflow 0
		.amdhsa_exception_fp_ieee_inexact 0
		.amdhsa_exception_int_div_zero 0
	.end_amdhsa_kernel
	.section	.text._ZN9rocsolver6v33100L18trti2_kernel_smallILi46E19rocblas_complex_numIdEPKPS3_EEv13rocblas_fill_17rocblas_diagonal_T1_iil,"axG",@progbits,_ZN9rocsolver6v33100L18trti2_kernel_smallILi46E19rocblas_complex_numIdEPKPS3_EEv13rocblas_fill_17rocblas_diagonal_T1_iil,comdat
.Lfunc_end109:
	.size	_ZN9rocsolver6v33100L18trti2_kernel_smallILi46E19rocblas_complex_numIdEPKPS3_EEv13rocblas_fill_17rocblas_diagonal_T1_iil, .Lfunc_end109-_ZN9rocsolver6v33100L18trti2_kernel_smallILi46E19rocblas_complex_numIdEPKPS3_EEv13rocblas_fill_17rocblas_diagonal_T1_iil
                                        ; -- End function
	.set _ZN9rocsolver6v33100L18trti2_kernel_smallILi46E19rocblas_complex_numIdEPKPS3_EEv13rocblas_fill_17rocblas_diagonal_T1_iil.num_vgpr, 114
	.set _ZN9rocsolver6v33100L18trti2_kernel_smallILi46E19rocblas_complex_numIdEPKPS3_EEv13rocblas_fill_17rocblas_diagonal_T1_iil.num_agpr, 0
	.set _ZN9rocsolver6v33100L18trti2_kernel_smallILi46E19rocblas_complex_numIdEPKPS3_EEv13rocblas_fill_17rocblas_diagonal_T1_iil.numbered_sgpr, 74
	.set _ZN9rocsolver6v33100L18trti2_kernel_smallILi46E19rocblas_complex_numIdEPKPS3_EEv13rocblas_fill_17rocblas_diagonal_T1_iil.num_named_barrier, 0
	.set _ZN9rocsolver6v33100L18trti2_kernel_smallILi46E19rocblas_complex_numIdEPKPS3_EEv13rocblas_fill_17rocblas_diagonal_T1_iil.private_seg_size, 752
	.set _ZN9rocsolver6v33100L18trti2_kernel_smallILi46E19rocblas_complex_numIdEPKPS3_EEv13rocblas_fill_17rocblas_diagonal_T1_iil.uses_vcc, 1
	.set _ZN9rocsolver6v33100L18trti2_kernel_smallILi46E19rocblas_complex_numIdEPKPS3_EEv13rocblas_fill_17rocblas_diagonal_T1_iil.uses_flat_scratch, 0
	.set _ZN9rocsolver6v33100L18trti2_kernel_smallILi46E19rocblas_complex_numIdEPKPS3_EEv13rocblas_fill_17rocblas_diagonal_T1_iil.has_dyn_sized_stack, 0
	.set _ZN9rocsolver6v33100L18trti2_kernel_smallILi46E19rocblas_complex_numIdEPKPS3_EEv13rocblas_fill_17rocblas_diagonal_T1_iil.has_recursion, 0
	.set _ZN9rocsolver6v33100L18trti2_kernel_smallILi46E19rocblas_complex_numIdEPKPS3_EEv13rocblas_fill_17rocblas_diagonal_T1_iil.has_indirect_call, 0
	.section	.AMDGPU.csdata,"",@progbits
; Kernel info:
; codeLenInByte = 46796
; TotalNumSgprs: 76
; NumVgprs: 114
; ScratchSize: 752
; MemoryBound: 0
; FloatMode: 240
; IeeeMode: 1
; LDSByteSize: 1472 bytes/workgroup (compile time only)
; SGPRBlocks: 0
; VGPRBlocks: 14
; NumSGPRsForWavesPerEU: 76
; NumVGPRsForWavesPerEU: 114
; Occupancy: 8
; WaveLimiterHint : 1
; COMPUTE_PGM_RSRC2:SCRATCH_EN: 1
; COMPUTE_PGM_RSRC2:USER_SGPR: 6
; COMPUTE_PGM_RSRC2:TRAP_HANDLER: 0
; COMPUTE_PGM_RSRC2:TGID_X_EN: 1
; COMPUTE_PGM_RSRC2:TGID_Y_EN: 0
; COMPUTE_PGM_RSRC2:TGID_Z_EN: 0
; COMPUTE_PGM_RSRC2:TIDIG_COMP_CNT: 0
	.section	.text._ZN9rocsolver6v33100L18trti2_kernel_smallILi47E19rocblas_complex_numIdEPKPS3_EEv13rocblas_fill_17rocblas_diagonal_T1_iil,"axG",@progbits,_ZN9rocsolver6v33100L18trti2_kernel_smallILi47E19rocblas_complex_numIdEPKPS3_EEv13rocblas_fill_17rocblas_diagonal_T1_iil,comdat
	.globl	_ZN9rocsolver6v33100L18trti2_kernel_smallILi47E19rocblas_complex_numIdEPKPS3_EEv13rocblas_fill_17rocblas_diagonal_T1_iil ; -- Begin function _ZN9rocsolver6v33100L18trti2_kernel_smallILi47E19rocblas_complex_numIdEPKPS3_EEv13rocblas_fill_17rocblas_diagonal_T1_iil
	.p2align	8
	.type	_ZN9rocsolver6v33100L18trti2_kernel_smallILi47E19rocblas_complex_numIdEPKPS3_EEv13rocblas_fill_17rocblas_diagonal_T1_iil,@function
_ZN9rocsolver6v33100L18trti2_kernel_smallILi47E19rocblas_complex_numIdEPKPS3_EEv13rocblas_fill_17rocblas_diagonal_T1_iil: ; @_ZN9rocsolver6v33100L18trti2_kernel_smallILi47E19rocblas_complex_numIdEPKPS3_EEv13rocblas_fill_17rocblas_diagonal_T1_iil
; %bb.0:
	s_add_u32 s0, s0, s7
	s_addc_u32 s1, s1, 0
	s_mov_b32 s7, exec_lo
	v_cmpx_gt_u32_e32 47, v0
	s_cbranch_execz .LBB110_739
; %bb.1:
	s_clause 0x1
	s_load_dwordx2 s[12:13], s[4:5], 0x10
	s_load_dwordx4 s[8:11], s[4:5], 0x0
	s_ashr_i32 s7, s6, 31
	v_lshlrev_b32_e32 v105, 4, v0
	s_lshl_b64 s[4:5], s[6:7], 3
	s_movk_i32 s14, 0xd0
	s_movk_i32 s15, 0xe0
	;; [unrolled: 1-line block ×15, first 2 shown]
	s_waitcnt lgkmcnt(0)
	s_ashr_i32 s7, s12, 31
	s_add_u32 s4, s10, s4
	s_addc_u32 s5, s11, s5
	s_mov_b32 s6, s12
	s_load_dwordx2 s[4:5], s[4:5], 0x0
	s_lshl_b64 s[6:7], s[6:7], 4
	v_add3_u32 v7, s13, s13, v0
	s_movk_i32 s10, 0x90
	s_movk_i32 s11, 0xa0
	;; [unrolled: 1-line block ×4, first 2 shown]
	v_ashrrev_i32_e32 v8, 31, v7
	s_movk_i32 s57, 0x1d0
	s_movk_i32 s58, 0x1e0
	;; [unrolled: 1-line block ×4, first 2 shown]
	v_lshlrev_b64 v[8:9], 4, v[7:8]
	v_add_nc_u32_e32 v7, s13, v7
	s_movk_i32 s61, 0x210
	s_movk_i32 s62, 0x220
	;; [unrolled: 1-line block ×6, first 2 shown]
	s_waitcnt lgkmcnt(0)
	s_add_u32 s6, s4, s6
	s_addc_u32 s7, s5, s7
	v_add_co_u32 v5, s4, s6, v105
	v_add_co_ci_u32_e64 v6, null, s7, 0, s4
	s_mov_b32 s4, s13
	s_ashr_i32 s5, s13, 31
	s_movk_i32 s67, 0x270
	flat_load_dwordx4 v[1:4], v[5:6]
	s_lshl_b64 s[4:5], s[4:5], 4
	s_cmpk_lg_i32 s9, 0x84
	v_add_co_u32 v59, vcc_lo, v5, s4
	v_add_co_ci_u32_e64 v60, null, s5, v6, vcc_lo
	v_add_co_u32 v57, vcc_lo, s6, v8
	v_add_co_ci_u32_e64 v58, null, s7, v9, vcc_lo
	v_ashrrev_i32_e32 v8, 31, v7
	s_movk_i32 s4, 0x50
	s_movk_i32 s5, 0x60
	;; [unrolled: 1-line block ×4, first 2 shown]
	v_lshlrev_b64 v[8:9], 4, v[7:8]
	v_add_nc_u32_e32 v7, s13, v7
	s_movk_i32 s70, 0x2a0
	s_movk_i32 s71, 0x2b0
	;; [unrolled: 1-line block ×4, first 2 shown]
	v_add_co_u32 v55, vcc_lo, s6, v8
	v_add_co_ci_u32_e64 v56, null, s7, v9, vcc_lo
	v_ashrrev_i32_e32 v8, 31, v7
	s_movk_i32 s74, 0x2e0
	s_cselect_b32 s54, -1, 0
	s_cmpk_eq_i32 s9, 0x84
	s_waitcnt vmcnt(0) lgkmcnt(0)
	buffer_store_dword v4, off, s[0:3], 0 offset:12
	buffer_store_dword v3, off, s[0:3], 0 offset:8
	;; [unrolled: 1-line block ×3, first 2 shown]
	buffer_store_dword v1, off, s[0:3], 0
	flat_load_dwordx4 v[1:4], v[59:60]
	v_lshlrev_b64 v[8:9], 4, v[7:8]
	v_add_nc_u32_e32 v7, s13, v7
	s_waitcnt vmcnt(0) lgkmcnt(0)
	buffer_store_dword v4, off, s[0:3], 0 offset:28
	buffer_store_dword v3, off, s[0:3], 0 offset:24
	;; [unrolled: 1-line block ×4, first 2 shown]
	flat_load_dwordx4 v[1:4], v[57:58]
	v_add_co_u32 v53, vcc_lo, s6, v8
	v_add_co_ci_u32_e64 v54, null, s7, v9, vcc_lo
	v_ashrrev_i32_e32 v8, 31, v7
	s_waitcnt vmcnt(0) lgkmcnt(0)
	buffer_store_dword v4, off, s[0:3], 0 offset:44
	buffer_store_dword v3, off, s[0:3], 0 offset:40
	;; [unrolled: 1-line block ×4, first 2 shown]
	flat_load_dwordx4 v[1:4], v[55:56]
	v_lshlrev_b64 v[8:9], 4, v[7:8]
	v_add_nc_u32_e32 v7, s13, v7
	s_waitcnt vmcnt(0) lgkmcnt(0)
	buffer_store_dword v4, off, s[0:3], 0 offset:60
	buffer_store_dword v3, off, s[0:3], 0 offset:56
	;; [unrolled: 1-line block ×4, first 2 shown]
	flat_load_dwordx4 v[1:4], v[53:54]
	v_add_co_u32 v49, vcc_lo, s6, v8
	v_add_co_ci_u32_e64 v50, null, s7, v9, vcc_lo
	v_ashrrev_i32_e32 v8, 31, v7
	s_waitcnt vmcnt(0) lgkmcnt(0)
	buffer_store_dword v4, off, s[0:3], 0 offset:76
	buffer_store_dword v3, off, s[0:3], 0 offset:72
	;; [unrolled: 1-line block ×4, first 2 shown]
	flat_load_dwordx4 v[1:4], v[49:50]
	v_lshlrev_b64 v[8:9], 4, v[7:8]
	v_add_nc_u32_e32 v7, s13, v7
	s_waitcnt vmcnt(0) lgkmcnt(0)
	buffer_store_dword v4, off, s[0:3], 0 offset:92
	buffer_store_dword v3, off, s[0:3], 0 offset:88
	;; [unrolled: 1-line block ×4, first 2 shown]
	v_add_co_u32 v47, vcc_lo, s6, v8
	v_add_co_ci_u32_e64 v48, null, s7, v9, vcc_lo
	v_ashrrev_i32_e32 v8, 31, v7
	flat_load_dwordx4 v[1:4], v[47:48]
	s_waitcnt vmcnt(0) lgkmcnt(0)
	buffer_store_dword v4, off, s[0:3], 0 offset:108
	buffer_store_dword v3, off, s[0:3], 0 offset:104
	buffer_store_dword v2, off, s[0:3], 0 offset:100
	buffer_store_dword v1, off, s[0:3], 0 offset:96
	v_lshlrev_b64 v[8:9], 4, v[7:8]
	v_add_nc_u32_e32 v7, s13, v7
	v_add_co_u32 v45, vcc_lo, s6, v8
	v_add_co_ci_u32_e64 v46, null, s7, v9, vcc_lo
	v_ashrrev_i32_e32 v8, 31, v7
	flat_load_dwordx4 v[1:4], v[45:46]
	s_waitcnt vmcnt(0) lgkmcnt(0)
	buffer_store_dword v4, off, s[0:3], 0 offset:124
	buffer_store_dword v3, off, s[0:3], 0 offset:120
	buffer_store_dword v2, off, s[0:3], 0 offset:116
	buffer_store_dword v1, off, s[0:3], 0 offset:112
	v_lshlrev_b64 v[8:9], 4, v[7:8]
	v_add_nc_u32_e32 v7, s13, v7
	;; [unrolled: 11-line block ×17, first 2 shown]
	v_add_co_u32 v11, vcc_lo, s6, v8
	v_add_co_ci_u32_e64 v12, null, s7, v9, vcc_lo
	v_ashrrev_i32_e32 v8, 31, v7
	v_add_nc_u32_e32 v33, s13, v7
	flat_load_dwordx4 v[1:4], v[11:12]
	s_waitcnt vmcnt(0) lgkmcnt(0)
	buffer_store_dword v4, off, s[0:3], 0 offset:380
	buffer_store_dword v3, off, s[0:3], 0 offset:376
	;; [unrolled: 1-line block ×4, first 2 shown]
	v_lshlrev_b64 v[9:10], 4, v[7:8]
	v_ashrrev_i32_e32 v34, 31, v33
	v_add_nc_u32_e32 v51, s13, v33
	v_add_co_u32 v9, vcc_lo, s6, v9
	v_add_co_ci_u32_e64 v10, null, s7, v10, vcc_lo
	v_lshlrev_b64 v[7:8], 4, v[33:34]
	v_ashrrev_i32_e32 v52, 31, v51
	v_add_nc_u32_e32 v61, s13, v51
	flat_load_dwordx4 v[1:4], v[9:10]
	s_waitcnt vmcnt(0) lgkmcnt(0)
	buffer_store_dword v4, off, s[0:3], 0 offset:396
	buffer_store_dword v3, off, s[0:3], 0 offset:392
	buffer_store_dword v2, off, s[0:3], 0 offset:388
	buffer_store_dword v1, off, s[0:3], 0 offset:384
	v_add_co_u32 v7, vcc_lo, s6, v7
	v_add_co_ci_u32_e64 v8, null, s7, v8, vcc_lo
	v_lshlrev_b64 v[33:34], 4, v[51:52]
	v_ashrrev_i32_e32 v62, 31, v61
	v_add_nc_u32_e32 v63, s13, v61
	flat_load_dwordx4 v[1:4], v[7:8]
	s_waitcnt vmcnt(0) lgkmcnt(0)
	buffer_store_dword v4, off, s[0:3], 0 offset:412
	buffer_store_dword v3, off, s[0:3], 0 offset:408
	buffer_store_dword v2, off, s[0:3], 0 offset:404
	buffer_store_dword v1, off, s[0:3], 0 offset:400
	;; [unrolled: 11-line block ×19, first 2 shown]
	v_add_co_u32 v91, vcc_lo, s6, v91
	v_add_co_ci_u32_e64 v92, null, s7, v92, vcc_lo
	v_lshlrev_b64 v[93:94], 4, v[95:96]
	v_ashrrev_i32_e32 v98, 31, v97
	flat_load_dwordx4 v[1:4], v[91:92]
	s_waitcnt vmcnt(0) lgkmcnt(0)
	buffer_store_dword v4, off, s[0:3], 0 offset:700
	buffer_store_dword v3, off, s[0:3], 0 offset:696
	;; [unrolled: 1-line block ×4, first 2 shown]
	v_add_co_u32 v93, vcc_lo, s6, v93
	v_add_co_ci_u32_e64 v94, null, s7, v94, vcc_lo
	v_lshlrev_b64 v[95:96], 4, v[97:98]
	v_add_nc_u32_e32 v97, s13, v97
	s_movk_i32 s13, 0xc0
	flat_load_dwordx4 v[1:4], v[93:94]
	s_waitcnt vmcnt(0) lgkmcnt(0)
	buffer_store_dword v4, off, s[0:3], 0 offset:716
	buffer_store_dword v3, off, s[0:3], 0 offset:712
	;; [unrolled: 1-line block ×4, first 2 shown]
	v_add_co_u32 v95, vcc_lo, s6, v95
	v_add_co_ci_u32_e64 v96, null, s7, v96, vcc_lo
	v_ashrrev_i32_e32 v98, 31, v97
	flat_load_dwordx4 v[1:4], v[95:96]
	s_waitcnt vmcnt(0) lgkmcnt(0)
	buffer_store_dword v4, off, s[0:3], 0 offset:732
	buffer_store_dword v3, off, s[0:3], 0 offset:728
	buffer_store_dword v2, off, s[0:3], 0 offset:724
	buffer_store_dword v1, off, s[0:3], 0 offset:720
	v_lshlrev_b64 v[97:98], 4, v[97:98]
	v_add_co_u32 v97, vcc_lo, s6, v97
	v_add_co_ci_u32_e64 v98, null, s7, v98, vcc_lo
	s_movk_i32 s6, 0x70
	s_movk_i32 s7, 0x80
	flat_load_dwordx4 v[1:4], v[97:98]
	s_waitcnt vmcnt(0) lgkmcnt(0)
	buffer_store_dword v4, off, s[0:3], 0 offset:748
	buffer_store_dword v3, off, s[0:3], 0 offset:744
	;; [unrolled: 1-line block ×4, first 2 shown]
	s_cbranch_scc1 .LBB110_7
; %bb.2:
	v_lshl_add_u32 v106, v0, 4, 0
                                        ; implicit-def: $vgpr101_vgpr102
                                        ; implicit-def: $vgpr3_vgpr4
	s_clause 0x3
	buffer_load_dword v99, v106, s[0:3], 0 offen
	buffer_load_dword v100, v106, s[0:3], 0 offen offset:4
	buffer_load_dword v103, v106, s[0:3], 0 offen offset:8
	;; [unrolled: 1-line block ×3, first 2 shown]
	s_waitcnt vmcnt(0)
	v_cmp_ngt_f64_e64 s9, |v[99:100]|, |v[103:104]|
	s_and_saveexec_b32 s28, s9
	s_xor_b32 s9, exec_lo, s28
	s_cbranch_execz .LBB110_4
; %bb.3:
	v_div_scale_f64 v[1:2], null, v[103:104], v[103:104], v[99:100]
	v_div_scale_f64 v[107:108], vcc_lo, v[99:100], v[103:104], v[99:100]
	v_rcp_f64_e32 v[3:4], v[1:2]
	v_fma_f64 v[101:102], -v[1:2], v[3:4], 1.0
	v_fma_f64 v[3:4], v[3:4], v[101:102], v[3:4]
	v_fma_f64 v[101:102], -v[1:2], v[3:4], 1.0
	v_fma_f64 v[3:4], v[3:4], v[101:102], v[3:4]
	v_mul_f64 v[101:102], v[107:108], v[3:4]
	v_fma_f64 v[1:2], -v[1:2], v[101:102], v[107:108]
	v_div_fmas_f64 v[1:2], v[1:2], v[3:4], v[101:102]
	v_div_fixup_f64 v[1:2], v[1:2], v[103:104], v[99:100]
	v_fma_f64 v[3:4], v[99:100], v[1:2], v[103:104]
	v_div_scale_f64 v[99:100], null, v[3:4], v[3:4], 1.0
	v_div_scale_f64 v[107:108], vcc_lo, 1.0, v[3:4], 1.0
	v_rcp_f64_e32 v[101:102], v[99:100]
	v_fma_f64 v[103:104], -v[99:100], v[101:102], 1.0
	v_fma_f64 v[101:102], v[101:102], v[103:104], v[101:102]
	v_fma_f64 v[103:104], -v[99:100], v[101:102], 1.0
	v_fma_f64 v[101:102], v[101:102], v[103:104], v[101:102]
	v_mul_f64 v[103:104], v[107:108], v[101:102]
	v_fma_f64 v[99:100], -v[99:100], v[103:104], v[107:108]
	v_div_fmas_f64 v[99:100], v[99:100], v[101:102], v[103:104]
                                        ; implicit-def: $vgpr103_vgpr104
	v_div_fixup_f64 v[3:4], v[99:100], v[3:4], 1.0
                                        ; implicit-def: $vgpr99_vgpr100
	v_mul_f64 v[101:102], v[1:2], v[3:4]
	v_xor_b32_e32 v4, 0x80000000, v4
	v_xor_b32_e32 v2, 0x80000000, v102
	v_mov_b32_e32 v1, v101
.LBB110_4:
	s_andn2_saveexec_b32 s9, s9
	s_cbranch_execz .LBB110_6
; %bb.5:
	v_div_scale_f64 v[1:2], null, v[99:100], v[99:100], v[103:104]
	v_div_scale_f64 v[107:108], vcc_lo, v[103:104], v[99:100], v[103:104]
	v_rcp_f64_e32 v[3:4], v[1:2]
	v_fma_f64 v[101:102], -v[1:2], v[3:4], 1.0
	v_fma_f64 v[3:4], v[3:4], v[101:102], v[3:4]
	v_fma_f64 v[101:102], -v[1:2], v[3:4], 1.0
	v_fma_f64 v[3:4], v[3:4], v[101:102], v[3:4]
	v_mul_f64 v[101:102], v[107:108], v[3:4]
	v_fma_f64 v[1:2], -v[1:2], v[101:102], v[107:108]
	v_div_fmas_f64 v[1:2], v[1:2], v[3:4], v[101:102]
	v_div_fixup_f64 v[1:2], v[1:2], v[99:100], v[103:104]
	v_fma_f64 v[3:4], v[103:104], v[1:2], v[99:100]
	v_div_scale_f64 v[99:100], null, v[3:4], v[3:4], 1.0
	v_rcp_f64_e32 v[101:102], v[99:100]
	v_fma_f64 v[103:104], -v[99:100], v[101:102], 1.0
	v_fma_f64 v[101:102], v[101:102], v[103:104], v[101:102]
	v_fma_f64 v[103:104], -v[99:100], v[101:102], 1.0
	v_fma_f64 v[101:102], v[101:102], v[103:104], v[101:102]
	v_div_scale_f64 v[103:104], vcc_lo, 1.0, v[3:4], 1.0
	v_mul_f64 v[107:108], v[103:104], v[101:102]
	v_fma_f64 v[99:100], -v[99:100], v[107:108], v[103:104]
	v_div_fmas_f64 v[99:100], v[99:100], v[101:102], v[107:108]
	v_div_fixup_f64 v[101:102], v[99:100], v[3:4], 1.0
	v_mul_f64 v[3:4], v[1:2], -v[101:102]
	v_xor_b32_e32 v2, 0x80000000, v102
	v_mov_b32_e32 v1, v101
.LBB110_6:
	s_or_b32 exec_lo, exec_lo, s9
	buffer_store_dword v4, v106, s[0:3], 0 offen offset:12
	v_xor_b32_e32 v4, 0x80000000, v4
	buffer_store_dword v102, v106, s[0:3], 0 offen offset:4
	buffer_store_dword v101, v106, s[0:3], 0 offen
	buffer_store_dword v3, v106, s[0:3], 0 offen offset:8
	s_branch .LBB110_8
.LBB110_7:
	v_mov_b32_e32 v1, 0
	v_mov_b32_e32 v3, 0
	;; [unrolled: 1-line block ×4, first 2 shown]
.LBB110_8:
	v_add_nc_u32_e32 v100, 0x2f0, v105
	v_mov_b32_e32 v99, v105
	s_mov_b32 s53, 16
	s_mov_b32 s52, 32
	s_mov_b32 s51, 48
	s_mov_b32 s50, 64
	s_mov_b32 s49, s4
	s_mov_b32 s48, s5
	s_mov_b32 s47, s6
	s_mov_b32 s46, s7
	s_mov_b32 s45, s10
	s_mov_b32 s44, s11
	s_mov_b32 s43, s12
	s_mov_b32 s42, s13
	s_mov_b32 s41, s14
	s_mov_b32 s40, s15
	s_mov_b32 s39, s16
	s_mov_b32 s38, s17
	s_mov_b32 s37, s18
	s_mov_b32 s36, s19
	s_mov_b32 s35, s20
	s_mov_b32 s34, s21
	s_mov_b32 s33, s22
	s_mov_b32 s31, s23
	s_mov_b32 s30, s24
	s_mov_b32 s29, s25
	s_mov_b32 s28, s26
	s_mov_b32 s26, s55
	s_mov_b32 s25, s56
	s_mov_b32 s24, s57
	s_mov_b32 s23, s58
	s_mov_b32 s22, s59
	s_mov_b32 s21, s60
	s_mov_b32 s20, s61
	s_mov_b32 s19, s62
	s_mov_b32 s18, s63
	s_mov_b32 s17, s64
	s_mov_b32 s16, s65
	s_mov_b32 s15, s66
	s_mov_b32 s14, s67
	s_mov_b32 s13, s68
	s_mov_b32 s12, s69
	s_mov_b32 s11, s70
	s_mov_b32 s10, s71
	s_mov_b32 s9, s72
	s_mov_b32 s7, s73
	s_mov_b32 s6, s74
	s_cmpk_eq_i32 s8, 0x79
	ds_write_b128 v105, v[1:4]
	s_cbranch_scc1 .LBB110_372
; %bb.9:
	v_mov_b32_e32 v4, s7
	v_cmp_eq_u32_e64 s4, 46, v0
	s_clause 0x3
	buffer_load_dword v1, v4, s[0:3], 0 offen
	buffer_load_dword v2, v4, s[0:3], 0 offen offset:4
	buffer_load_dword v3, v4, s[0:3], 0 offen offset:8
	;; [unrolled: 1-line block ×3, first 2 shown]
	s_waitcnt vmcnt(0)
	ds_write_b128 v100, v[1:4]
	s_waitcnt lgkmcnt(0)
	s_waitcnt_vscnt null, 0x0
	s_barrier
	buffer_gl0_inv
	s_and_saveexec_b32 s5, s4
	s_cbranch_execz .LBB110_13
; %bb.10:
	ds_read_b128 v[1:4], v100
	s_andn2_b32 vcc_lo, exec_lo, s54
	s_cbranch_vccnz .LBB110_12
; %bb.11:
	s_clause 0x3
	buffer_load_dword v101, v99, s[0:3], 0 offen offset:8
	buffer_load_dword v102, v99, s[0:3], 0 offen offset:12
	buffer_load_dword v103, v99, s[0:3], 0 offen
	buffer_load_dword v104, v99, s[0:3], 0 offen offset:4
	s_waitcnt vmcnt(2) lgkmcnt(0)
	v_mul_f64 v[106:107], v[3:4], v[101:102]
	v_mul_f64 v[101:102], v[1:2], v[101:102]
	s_waitcnt vmcnt(0)
	v_fma_f64 v[1:2], v[1:2], v[103:104], -v[106:107]
	v_fma_f64 v[3:4], v[3:4], v[103:104], v[101:102]
.LBB110_12:
	v_mov_b32_e32 v101, 0
	ds_read_b128 v[101:104], v101 offset:720
	s_waitcnt lgkmcnt(0)
	v_mul_f64 v[106:107], v[3:4], v[103:104]
	v_mul_f64 v[103:104], v[1:2], v[103:104]
	v_fma_f64 v[1:2], v[1:2], v[101:102], -v[106:107]
	v_fma_f64 v[3:4], v[3:4], v[101:102], v[103:104]
	buffer_store_dword v2, off, s[0:3], 0 offset:724
	buffer_store_dword v1, off, s[0:3], 0 offset:720
	;; [unrolled: 1-line block ×4, first 2 shown]
.LBB110_13:
	s_or_b32 exec_lo, exec_lo, s5
	v_mov_b32_e32 v4, s9
	v_cmp_lt_u32_e64 s5, 44, v0
	s_clause 0x3
	buffer_load_dword v1, v4, s[0:3], 0 offen
	buffer_load_dword v2, v4, s[0:3], 0 offen offset:4
	buffer_load_dword v3, v4, s[0:3], 0 offen offset:8
	;; [unrolled: 1-line block ×3, first 2 shown]
	s_waitcnt vmcnt(0)
	ds_write_b128 v100, v[1:4]
	s_waitcnt lgkmcnt(0)
	s_waitcnt_vscnt null, 0x0
	s_barrier
	buffer_gl0_inv
	s_and_saveexec_b32 s8, s5
	s_cbranch_execz .LBB110_19
; %bb.14:
	ds_read_b128 v[1:4], v100
	s_andn2_b32 vcc_lo, exec_lo, s54
	s_cbranch_vccnz .LBB110_16
; %bb.15:
	s_clause 0x3
	buffer_load_dword v101, v99, s[0:3], 0 offen offset:8
	buffer_load_dword v102, v99, s[0:3], 0 offen offset:12
	buffer_load_dword v103, v99, s[0:3], 0 offen
	buffer_load_dword v104, v99, s[0:3], 0 offen offset:4
	s_waitcnt vmcnt(2) lgkmcnt(0)
	v_mul_f64 v[106:107], v[3:4], v[101:102]
	v_mul_f64 v[101:102], v[1:2], v[101:102]
	s_waitcnt vmcnt(0)
	v_fma_f64 v[1:2], v[1:2], v[103:104], -v[106:107]
	v_fma_f64 v[3:4], v[3:4], v[103:104], v[101:102]
.LBB110_16:
	s_and_saveexec_b32 s55, s4
	s_cbranch_execz .LBB110_18
; %bb.17:
	s_clause 0x3
	buffer_load_dword v106, off, s[0:3], 0 offset:728
	buffer_load_dword v107, off, s[0:3], 0 offset:732
	;; [unrolled: 1-line block ×4, first 2 shown]
	v_mov_b32_e32 v101, 0
	ds_read_b128 v[101:104], v101 offset:1472
	s_waitcnt vmcnt(2) lgkmcnt(0)
	v_mul_f64 v[110:111], v[101:102], v[106:107]
	v_mul_f64 v[106:107], v[103:104], v[106:107]
	s_waitcnt vmcnt(0)
	v_fma_f64 v[103:104], v[103:104], v[108:109], v[110:111]
	v_fma_f64 v[101:102], v[101:102], v[108:109], -v[106:107]
	v_add_f64 v[3:4], v[3:4], v[103:104]
	v_add_f64 v[1:2], v[1:2], v[101:102]
.LBB110_18:
	s_or_b32 exec_lo, exec_lo, s55
	v_mov_b32_e32 v101, 0
	ds_read_b128 v[101:104], v101 offset:704
	s_waitcnt lgkmcnt(0)
	v_mul_f64 v[106:107], v[3:4], v[103:104]
	v_mul_f64 v[103:104], v[1:2], v[103:104]
	v_fma_f64 v[1:2], v[1:2], v[101:102], -v[106:107]
	v_fma_f64 v[3:4], v[3:4], v[101:102], v[103:104]
	buffer_store_dword v2, off, s[0:3], 0 offset:708
	buffer_store_dword v1, off, s[0:3], 0 offset:704
	buffer_store_dword v4, off, s[0:3], 0 offset:716
	buffer_store_dword v3, off, s[0:3], 0 offset:712
.LBB110_19:
	s_or_b32 exec_lo, exec_lo, s8
	v_mov_b32_e32 v4, s10
	v_cmp_lt_u32_e64 s4, 43, v0
	s_clause 0x3
	buffer_load_dword v1, v4, s[0:3], 0 offen
	buffer_load_dword v2, v4, s[0:3], 0 offen offset:4
	buffer_load_dword v3, v4, s[0:3], 0 offen offset:8
	;; [unrolled: 1-line block ×3, first 2 shown]
	s_waitcnt vmcnt(0)
	ds_write_b128 v100, v[1:4]
	s_waitcnt lgkmcnt(0)
	s_waitcnt_vscnt null, 0x0
	s_barrier
	buffer_gl0_inv
	s_and_saveexec_b32 s8, s4
	s_cbranch_execz .LBB110_27
; %bb.20:
	ds_read_b128 v[1:4], v100
	s_andn2_b32 vcc_lo, exec_lo, s54
	s_cbranch_vccnz .LBB110_22
; %bb.21:
	s_clause 0x3
	buffer_load_dword v101, v99, s[0:3], 0 offen offset:8
	buffer_load_dword v102, v99, s[0:3], 0 offen offset:12
	buffer_load_dword v103, v99, s[0:3], 0 offen
	buffer_load_dword v104, v99, s[0:3], 0 offen offset:4
	s_waitcnt vmcnt(2) lgkmcnt(0)
	v_mul_f64 v[106:107], v[3:4], v[101:102]
	v_mul_f64 v[101:102], v[1:2], v[101:102]
	s_waitcnt vmcnt(0)
	v_fma_f64 v[1:2], v[1:2], v[103:104], -v[106:107]
	v_fma_f64 v[3:4], v[3:4], v[103:104], v[101:102]
.LBB110_22:
	s_and_saveexec_b32 s55, s5
	s_cbranch_execz .LBB110_26
; %bb.23:
	v_subrev_nc_u32_e32 v101, 44, v0
	s_movk_i32 s56, 0x5b0
	s_mov_b32 s5, 0
	s_mov_b32 s57, s9
	.p2align	6
.LBB110_24:                             ; =>This Inner Loop Header: Depth=1
	v_mov_b32_e32 v104, s57
	v_add_nc_u32_e32 v101, -1, v101
	s_add_i32 s57, s57, 16
	s_clause 0x3
	buffer_load_dword v102, v104, s[0:3], 0 offen offset:8
	buffer_load_dword v103, v104, s[0:3], 0 offen offset:12
	buffer_load_dword v110, v104, s[0:3], 0 offen
	buffer_load_dword v111, v104, s[0:3], 0 offen offset:4
	v_mov_b32_e32 v104, s56
	v_cmp_eq_u32_e32 vcc_lo, 0, v101
	s_add_i32 s56, s56, 16
	ds_read_b128 v[106:109], v104
	s_or_b32 s5, vcc_lo, s5
	s_waitcnt vmcnt(2) lgkmcnt(0)
	v_mul_f64 v[112:113], v[108:109], v[102:103]
	v_mul_f64 v[102:103], v[106:107], v[102:103]
	s_waitcnt vmcnt(0)
	v_fma_f64 v[106:107], v[106:107], v[110:111], -v[112:113]
	v_fma_f64 v[102:103], v[108:109], v[110:111], v[102:103]
	v_add_f64 v[1:2], v[1:2], v[106:107]
	v_add_f64 v[3:4], v[3:4], v[102:103]
	s_andn2_b32 exec_lo, exec_lo, s5
	s_cbranch_execnz .LBB110_24
; %bb.25:
	s_or_b32 exec_lo, exec_lo, s5
.LBB110_26:
	s_or_b32 exec_lo, exec_lo, s55
	v_mov_b32_e32 v101, 0
	ds_read_b128 v[101:104], v101 offset:688
	s_waitcnt lgkmcnt(0)
	v_mul_f64 v[106:107], v[3:4], v[103:104]
	v_mul_f64 v[103:104], v[1:2], v[103:104]
	v_fma_f64 v[1:2], v[1:2], v[101:102], -v[106:107]
	v_fma_f64 v[3:4], v[3:4], v[101:102], v[103:104]
	buffer_store_dword v2, off, s[0:3], 0 offset:692
	buffer_store_dword v1, off, s[0:3], 0 offset:688
	;; [unrolled: 1-line block ×4, first 2 shown]
.LBB110_27:
	s_or_b32 exec_lo, exec_lo, s8
	v_mov_b32_e32 v4, s11
	v_cmp_lt_u32_e64 s5, 42, v0
	s_clause 0x3
	buffer_load_dword v1, v4, s[0:3], 0 offen
	buffer_load_dword v2, v4, s[0:3], 0 offen offset:4
	buffer_load_dword v3, v4, s[0:3], 0 offen offset:8
	;; [unrolled: 1-line block ×3, first 2 shown]
	s_waitcnt vmcnt(0)
	ds_write_b128 v100, v[1:4]
	s_waitcnt lgkmcnt(0)
	s_waitcnt_vscnt null, 0x0
	s_barrier
	buffer_gl0_inv
	s_and_saveexec_b32 s8, s5
	s_cbranch_execz .LBB110_35
; %bb.28:
	ds_read_b128 v[1:4], v100
	s_andn2_b32 vcc_lo, exec_lo, s54
	s_cbranch_vccnz .LBB110_30
; %bb.29:
	s_clause 0x3
	buffer_load_dword v101, v99, s[0:3], 0 offen offset:8
	buffer_load_dword v102, v99, s[0:3], 0 offen offset:12
	buffer_load_dword v103, v99, s[0:3], 0 offen
	buffer_load_dword v104, v99, s[0:3], 0 offen offset:4
	s_waitcnt vmcnt(2) lgkmcnt(0)
	v_mul_f64 v[106:107], v[3:4], v[101:102]
	v_mul_f64 v[101:102], v[1:2], v[101:102]
	s_waitcnt vmcnt(0)
	v_fma_f64 v[1:2], v[1:2], v[103:104], -v[106:107]
	v_fma_f64 v[3:4], v[3:4], v[103:104], v[101:102]
.LBB110_30:
	s_and_saveexec_b32 s55, s4
	s_cbranch_execz .LBB110_34
; %bb.31:
	v_subrev_nc_u32_e32 v101, 43, v0
	s_movk_i32 s56, 0x5a0
	s_mov_b32 s4, 0
	s_mov_b32 s57, s10
	.p2align	6
.LBB110_32:                             ; =>This Inner Loop Header: Depth=1
	v_mov_b32_e32 v104, s57
	v_add_nc_u32_e32 v101, -1, v101
	s_add_i32 s57, s57, 16
	s_clause 0x3
	buffer_load_dword v102, v104, s[0:3], 0 offen offset:8
	buffer_load_dword v103, v104, s[0:3], 0 offen offset:12
	buffer_load_dword v110, v104, s[0:3], 0 offen
	buffer_load_dword v111, v104, s[0:3], 0 offen offset:4
	v_mov_b32_e32 v104, s56
	v_cmp_eq_u32_e32 vcc_lo, 0, v101
	s_add_i32 s56, s56, 16
	ds_read_b128 v[106:109], v104
	s_or_b32 s4, vcc_lo, s4
	s_waitcnt vmcnt(2) lgkmcnt(0)
	v_mul_f64 v[112:113], v[108:109], v[102:103]
	v_mul_f64 v[102:103], v[106:107], v[102:103]
	s_waitcnt vmcnt(0)
	v_fma_f64 v[106:107], v[106:107], v[110:111], -v[112:113]
	v_fma_f64 v[102:103], v[108:109], v[110:111], v[102:103]
	v_add_f64 v[1:2], v[1:2], v[106:107]
	v_add_f64 v[3:4], v[3:4], v[102:103]
	s_andn2_b32 exec_lo, exec_lo, s4
	s_cbranch_execnz .LBB110_32
; %bb.33:
	s_or_b32 exec_lo, exec_lo, s4
.LBB110_34:
	s_or_b32 exec_lo, exec_lo, s55
	v_mov_b32_e32 v101, 0
	ds_read_b128 v[101:104], v101 offset:672
	s_waitcnt lgkmcnt(0)
	v_mul_f64 v[106:107], v[3:4], v[103:104]
	v_mul_f64 v[103:104], v[1:2], v[103:104]
	v_fma_f64 v[1:2], v[1:2], v[101:102], -v[106:107]
	v_fma_f64 v[3:4], v[3:4], v[101:102], v[103:104]
	buffer_store_dword v2, off, s[0:3], 0 offset:676
	buffer_store_dword v1, off, s[0:3], 0 offset:672
	;; [unrolled: 1-line block ×4, first 2 shown]
.LBB110_35:
	s_or_b32 exec_lo, exec_lo, s8
	v_mov_b32_e32 v4, s12
	v_cmp_lt_u32_e64 s4, 41, v0
	s_clause 0x3
	buffer_load_dword v1, v4, s[0:3], 0 offen
	buffer_load_dword v2, v4, s[0:3], 0 offen offset:4
	buffer_load_dword v3, v4, s[0:3], 0 offen offset:8
	;; [unrolled: 1-line block ×3, first 2 shown]
	s_waitcnt vmcnt(0)
	ds_write_b128 v100, v[1:4]
	s_waitcnt lgkmcnt(0)
	s_waitcnt_vscnt null, 0x0
	s_barrier
	buffer_gl0_inv
	s_and_saveexec_b32 s8, s4
	s_cbranch_execz .LBB110_43
; %bb.36:
	ds_read_b128 v[1:4], v100
	s_andn2_b32 vcc_lo, exec_lo, s54
	s_cbranch_vccnz .LBB110_38
; %bb.37:
	s_clause 0x3
	buffer_load_dword v101, v99, s[0:3], 0 offen offset:8
	buffer_load_dword v102, v99, s[0:3], 0 offen offset:12
	buffer_load_dword v103, v99, s[0:3], 0 offen
	buffer_load_dword v104, v99, s[0:3], 0 offen offset:4
	s_waitcnt vmcnt(2) lgkmcnt(0)
	v_mul_f64 v[106:107], v[3:4], v[101:102]
	v_mul_f64 v[101:102], v[1:2], v[101:102]
	s_waitcnt vmcnt(0)
	v_fma_f64 v[1:2], v[1:2], v[103:104], -v[106:107]
	v_fma_f64 v[3:4], v[3:4], v[103:104], v[101:102]
.LBB110_38:
	s_and_saveexec_b32 s55, s5
	s_cbranch_execz .LBB110_42
; %bb.39:
	v_subrev_nc_u32_e32 v101, 42, v0
	s_movk_i32 s56, 0x590
	s_mov_b32 s5, 0
	s_mov_b32 s57, s11
	.p2align	6
.LBB110_40:                             ; =>This Inner Loop Header: Depth=1
	v_mov_b32_e32 v104, s57
	v_add_nc_u32_e32 v101, -1, v101
	s_add_i32 s57, s57, 16
	s_clause 0x3
	buffer_load_dword v102, v104, s[0:3], 0 offen offset:8
	buffer_load_dword v103, v104, s[0:3], 0 offen offset:12
	buffer_load_dword v110, v104, s[0:3], 0 offen
	buffer_load_dword v111, v104, s[0:3], 0 offen offset:4
	v_mov_b32_e32 v104, s56
	v_cmp_eq_u32_e32 vcc_lo, 0, v101
	s_add_i32 s56, s56, 16
	ds_read_b128 v[106:109], v104
	s_or_b32 s5, vcc_lo, s5
	s_waitcnt vmcnt(2) lgkmcnt(0)
	v_mul_f64 v[112:113], v[108:109], v[102:103]
	v_mul_f64 v[102:103], v[106:107], v[102:103]
	s_waitcnt vmcnt(0)
	v_fma_f64 v[106:107], v[106:107], v[110:111], -v[112:113]
	v_fma_f64 v[102:103], v[108:109], v[110:111], v[102:103]
	v_add_f64 v[1:2], v[1:2], v[106:107]
	v_add_f64 v[3:4], v[3:4], v[102:103]
	s_andn2_b32 exec_lo, exec_lo, s5
	s_cbranch_execnz .LBB110_40
; %bb.41:
	s_or_b32 exec_lo, exec_lo, s5
.LBB110_42:
	s_or_b32 exec_lo, exec_lo, s55
	v_mov_b32_e32 v101, 0
	ds_read_b128 v[101:104], v101 offset:656
	s_waitcnt lgkmcnt(0)
	v_mul_f64 v[106:107], v[3:4], v[103:104]
	v_mul_f64 v[103:104], v[1:2], v[103:104]
	v_fma_f64 v[1:2], v[1:2], v[101:102], -v[106:107]
	v_fma_f64 v[3:4], v[3:4], v[101:102], v[103:104]
	buffer_store_dword v2, off, s[0:3], 0 offset:660
	buffer_store_dword v1, off, s[0:3], 0 offset:656
	;; [unrolled: 1-line block ×4, first 2 shown]
.LBB110_43:
	s_or_b32 exec_lo, exec_lo, s8
	v_mov_b32_e32 v4, s13
	v_cmp_lt_u32_e64 s5, 40, v0
	s_clause 0x3
	buffer_load_dword v1, v4, s[0:3], 0 offen
	buffer_load_dword v2, v4, s[0:3], 0 offen offset:4
	buffer_load_dword v3, v4, s[0:3], 0 offen offset:8
	;; [unrolled: 1-line block ×3, first 2 shown]
	s_waitcnt vmcnt(0)
	ds_write_b128 v100, v[1:4]
	s_waitcnt lgkmcnt(0)
	s_waitcnt_vscnt null, 0x0
	s_barrier
	buffer_gl0_inv
	s_and_saveexec_b32 s8, s5
	s_cbranch_execz .LBB110_51
; %bb.44:
	ds_read_b128 v[1:4], v100
	s_andn2_b32 vcc_lo, exec_lo, s54
	s_cbranch_vccnz .LBB110_46
; %bb.45:
	s_clause 0x3
	buffer_load_dword v101, v99, s[0:3], 0 offen offset:8
	buffer_load_dword v102, v99, s[0:3], 0 offen offset:12
	buffer_load_dword v103, v99, s[0:3], 0 offen
	buffer_load_dword v104, v99, s[0:3], 0 offen offset:4
	s_waitcnt vmcnt(2) lgkmcnt(0)
	v_mul_f64 v[106:107], v[3:4], v[101:102]
	v_mul_f64 v[101:102], v[1:2], v[101:102]
	s_waitcnt vmcnt(0)
	v_fma_f64 v[1:2], v[1:2], v[103:104], -v[106:107]
	v_fma_f64 v[3:4], v[3:4], v[103:104], v[101:102]
.LBB110_46:
	s_and_saveexec_b32 s55, s4
	s_cbranch_execz .LBB110_50
; %bb.47:
	v_subrev_nc_u32_e32 v101, 41, v0
	s_movk_i32 s56, 0x580
	s_mov_b32 s4, 0
	s_mov_b32 s57, s12
	.p2align	6
.LBB110_48:                             ; =>This Inner Loop Header: Depth=1
	v_mov_b32_e32 v104, s57
	v_add_nc_u32_e32 v101, -1, v101
	s_add_i32 s57, s57, 16
	s_clause 0x3
	buffer_load_dword v102, v104, s[0:3], 0 offen offset:8
	buffer_load_dword v103, v104, s[0:3], 0 offen offset:12
	buffer_load_dword v110, v104, s[0:3], 0 offen
	buffer_load_dword v111, v104, s[0:3], 0 offen offset:4
	v_mov_b32_e32 v104, s56
	v_cmp_eq_u32_e32 vcc_lo, 0, v101
	s_add_i32 s56, s56, 16
	ds_read_b128 v[106:109], v104
	s_or_b32 s4, vcc_lo, s4
	s_waitcnt vmcnt(2) lgkmcnt(0)
	v_mul_f64 v[112:113], v[108:109], v[102:103]
	v_mul_f64 v[102:103], v[106:107], v[102:103]
	s_waitcnt vmcnt(0)
	v_fma_f64 v[106:107], v[106:107], v[110:111], -v[112:113]
	v_fma_f64 v[102:103], v[108:109], v[110:111], v[102:103]
	v_add_f64 v[1:2], v[1:2], v[106:107]
	v_add_f64 v[3:4], v[3:4], v[102:103]
	s_andn2_b32 exec_lo, exec_lo, s4
	s_cbranch_execnz .LBB110_48
; %bb.49:
	s_or_b32 exec_lo, exec_lo, s4
.LBB110_50:
	s_or_b32 exec_lo, exec_lo, s55
	v_mov_b32_e32 v101, 0
	ds_read_b128 v[101:104], v101 offset:640
	s_waitcnt lgkmcnt(0)
	v_mul_f64 v[106:107], v[3:4], v[103:104]
	v_mul_f64 v[103:104], v[1:2], v[103:104]
	v_fma_f64 v[1:2], v[1:2], v[101:102], -v[106:107]
	v_fma_f64 v[3:4], v[3:4], v[101:102], v[103:104]
	buffer_store_dword v2, off, s[0:3], 0 offset:644
	buffer_store_dword v1, off, s[0:3], 0 offset:640
	;; [unrolled: 1-line block ×4, first 2 shown]
.LBB110_51:
	s_or_b32 exec_lo, exec_lo, s8
	v_mov_b32_e32 v4, s14
	v_cmp_lt_u32_e64 s4, 39, v0
	s_clause 0x3
	buffer_load_dword v1, v4, s[0:3], 0 offen
	buffer_load_dword v2, v4, s[0:3], 0 offen offset:4
	buffer_load_dword v3, v4, s[0:3], 0 offen offset:8
	;; [unrolled: 1-line block ×3, first 2 shown]
	s_waitcnt vmcnt(0)
	ds_write_b128 v100, v[1:4]
	s_waitcnt lgkmcnt(0)
	s_waitcnt_vscnt null, 0x0
	s_barrier
	buffer_gl0_inv
	s_and_saveexec_b32 s8, s4
	s_cbranch_execz .LBB110_59
; %bb.52:
	ds_read_b128 v[1:4], v100
	s_andn2_b32 vcc_lo, exec_lo, s54
	s_cbranch_vccnz .LBB110_54
; %bb.53:
	s_clause 0x3
	buffer_load_dword v101, v99, s[0:3], 0 offen offset:8
	buffer_load_dword v102, v99, s[0:3], 0 offen offset:12
	buffer_load_dword v103, v99, s[0:3], 0 offen
	buffer_load_dword v104, v99, s[0:3], 0 offen offset:4
	s_waitcnt vmcnt(2) lgkmcnt(0)
	v_mul_f64 v[106:107], v[3:4], v[101:102]
	v_mul_f64 v[101:102], v[1:2], v[101:102]
	s_waitcnt vmcnt(0)
	v_fma_f64 v[1:2], v[1:2], v[103:104], -v[106:107]
	v_fma_f64 v[3:4], v[3:4], v[103:104], v[101:102]
.LBB110_54:
	s_and_saveexec_b32 s55, s5
	s_cbranch_execz .LBB110_58
; %bb.55:
	v_subrev_nc_u32_e32 v101, 40, v0
	s_movk_i32 s56, 0x570
	s_mov_b32 s5, 0
	s_mov_b32 s57, s13
	.p2align	6
.LBB110_56:                             ; =>This Inner Loop Header: Depth=1
	v_mov_b32_e32 v104, s57
	v_add_nc_u32_e32 v101, -1, v101
	s_add_i32 s57, s57, 16
	s_clause 0x3
	buffer_load_dword v102, v104, s[0:3], 0 offen offset:8
	buffer_load_dword v103, v104, s[0:3], 0 offen offset:12
	buffer_load_dword v110, v104, s[0:3], 0 offen
	buffer_load_dword v111, v104, s[0:3], 0 offen offset:4
	v_mov_b32_e32 v104, s56
	v_cmp_eq_u32_e32 vcc_lo, 0, v101
	s_add_i32 s56, s56, 16
	ds_read_b128 v[106:109], v104
	s_or_b32 s5, vcc_lo, s5
	s_waitcnt vmcnt(2) lgkmcnt(0)
	v_mul_f64 v[112:113], v[108:109], v[102:103]
	v_mul_f64 v[102:103], v[106:107], v[102:103]
	s_waitcnt vmcnt(0)
	v_fma_f64 v[106:107], v[106:107], v[110:111], -v[112:113]
	v_fma_f64 v[102:103], v[108:109], v[110:111], v[102:103]
	v_add_f64 v[1:2], v[1:2], v[106:107]
	v_add_f64 v[3:4], v[3:4], v[102:103]
	s_andn2_b32 exec_lo, exec_lo, s5
	s_cbranch_execnz .LBB110_56
; %bb.57:
	s_or_b32 exec_lo, exec_lo, s5
.LBB110_58:
	s_or_b32 exec_lo, exec_lo, s55
	v_mov_b32_e32 v101, 0
	ds_read_b128 v[101:104], v101 offset:624
	s_waitcnt lgkmcnt(0)
	v_mul_f64 v[106:107], v[3:4], v[103:104]
	v_mul_f64 v[103:104], v[1:2], v[103:104]
	v_fma_f64 v[1:2], v[1:2], v[101:102], -v[106:107]
	v_fma_f64 v[3:4], v[3:4], v[101:102], v[103:104]
	buffer_store_dword v2, off, s[0:3], 0 offset:628
	buffer_store_dword v1, off, s[0:3], 0 offset:624
	buffer_store_dword v4, off, s[0:3], 0 offset:636
	buffer_store_dword v3, off, s[0:3], 0 offset:632
.LBB110_59:
	s_or_b32 exec_lo, exec_lo, s8
	v_mov_b32_e32 v4, s15
	v_cmp_lt_u32_e64 s5, 38, v0
	s_clause 0x3
	buffer_load_dword v1, v4, s[0:3], 0 offen
	buffer_load_dword v2, v4, s[0:3], 0 offen offset:4
	buffer_load_dword v3, v4, s[0:3], 0 offen offset:8
	;; [unrolled: 1-line block ×3, first 2 shown]
	s_waitcnt vmcnt(0)
	ds_write_b128 v100, v[1:4]
	s_waitcnt lgkmcnt(0)
	s_waitcnt_vscnt null, 0x0
	s_barrier
	buffer_gl0_inv
	s_and_saveexec_b32 s8, s5
	s_cbranch_execz .LBB110_67
; %bb.60:
	ds_read_b128 v[1:4], v100
	s_andn2_b32 vcc_lo, exec_lo, s54
	s_cbranch_vccnz .LBB110_62
; %bb.61:
	s_clause 0x3
	buffer_load_dword v101, v99, s[0:3], 0 offen offset:8
	buffer_load_dword v102, v99, s[0:3], 0 offen offset:12
	buffer_load_dword v103, v99, s[0:3], 0 offen
	buffer_load_dword v104, v99, s[0:3], 0 offen offset:4
	s_waitcnt vmcnt(2) lgkmcnt(0)
	v_mul_f64 v[106:107], v[3:4], v[101:102]
	v_mul_f64 v[101:102], v[1:2], v[101:102]
	s_waitcnt vmcnt(0)
	v_fma_f64 v[1:2], v[1:2], v[103:104], -v[106:107]
	v_fma_f64 v[3:4], v[3:4], v[103:104], v[101:102]
.LBB110_62:
	s_and_saveexec_b32 s55, s4
	s_cbranch_execz .LBB110_66
; %bb.63:
	v_subrev_nc_u32_e32 v101, 39, v0
	s_movk_i32 s56, 0x560
	s_mov_b32 s4, 0
	s_mov_b32 s57, s14
	.p2align	6
.LBB110_64:                             ; =>This Inner Loop Header: Depth=1
	v_mov_b32_e32 v104, s57
	v_add_nc_u32_e32 v101, -1, v101
	s_add_i32 s57, s57, 16
	s_clause 0x3
	buffer_load_dword v102, v104, s[0:3], 0 offen offset:8
	buffer_load_dword v103, v104, s[0:3], 0 offen offset:12
	buffer_load_dword v110, v104, s[0:3], 0 offen
	buffer_load_dword v111, v104, s[0:3], 0 offen offset:4
	v_mov_b32_e32 v104, s56
	v_cmp_eq_u32_e32 vcc_lo, 0, v101
	s_add_i32 s56, s56, 16
	ds_read_b128 v[106:109], v104
	s_or_b32 s4, vcc_lo, s4
	s_waitcnt vmcnt(2) lgkmcnt(0)
	v_mul_f64 v[112:113], v[108:109], v[102:103]
	v_mul_f64 v[102:103], v[106:107], v[102:103]
	s_waitcnt vmcnt(0)
	v_fma_f64 v[106:107], v[106:107], v[110:111], -v[112:113]
	v_fma_f64 v[102:103], v[108:109], v[110:111], v[102:103]
	v_add_f64 v[1:2], v[1:2], v[106:107]
	v_add_f64 v[3:4], v[3:4], v[102:103]
	s_andn2_b32 exec_lo, exec_lo, s4
	s_cbranch_execnz .LBB110_64
; %bb.65:
	s_or_b32 exec_lo, exec_lo, s4
.LBB110_66:
	s_or_b32 exec_lo, exec_lo, s55
	v_mov_b32_e32 v101, 0
	ds_read_b128 v[101:104], v101 offset:608
	s_waitcnt lgkmcnt(0)
	v_mul_f64 v[106:107], v[3:4], v[103:104]
	v_mul_f64 v[103:104], v[1:2], v[103:104]
	v_fma_f64 v[1:2], v[1:2], v[101:102], -v[106:107]
	v_fma_f64 v[3:4], v[3:4], v[101:102], v[103:104]
	buffer_store_dword v2, off, s[0:3], 0 offset:612
	buffer_store_dword v1, off, s[0:3], 0 offset:608
	;; [unrolled: 1-line block ×4, first 2 shown]
.LBB110_67:
	s_or_b32 exec_lo, exec_lo, s8
	v_mov_b32_e32 v4, s16
	v_cmp_lt_u32_e64 s4, 37, v0
	s_clause 0x3
	buffer_load_dword v1, v4, s[0:3], 0 offen
	buffer_load_dword v2, v4, s[0:3], 0 offen offset:4
	buffer_load_dword v3, v4, s[0:3], 0 offen offset:8
	;; [unrolled: 1-line block ×3, first 2 shown]
	s_waitcnt vmcnt(0)
	ds_write_b128 v100, v[1:4]
	s_waitcnt lgkmcnt(0)
	s_waitcnt_vscnt null, 0x0
	s_barrier
	buffer_gl0_inv
	s_and_saveexec_b32 s8, s4
	s_cbranch_execz .LBB110_75
; %bb.68:
	ds_read_b128 v[1:4], v100
	s_andn2_b32 vcc_lo, exec_lo, s54
	s_cbranch_vccnz .LBB110_70
; %bb.69:
	s_clause 0x3
	buffer_load_dword v101, v99, s[0:3], 0 offen offset:8
	buffer_load_dword v102, v99, s[0:3], 0 offen offset:12
	buffer_load_dword v103, v99, s[0:3], 0 offen
	buffer_load_dword v104, v99, s[0:3], 0 offen offset:4
	s_waitcnt vmcnt(2) lgkmcnt(0)
	v_mul_f64 v[106:107], v[3:4], v[101:102]
	v_mul_f64 v[101:102], v[1:2], v[101:102]
	s_waitcnt vmcnt(0)
	v_fma_f64 v[1:2], v[1:2], v[103:104], -v[106:107]
	v_fma_f64 v[3:4], v[3:4], v[103:104], v[101:102]
.LBB110_70:
	s_and_saveexec_b32 s55, s5
	s_cbranch_execz .LBB110_74
; %bb.71:
	v_subrev_nc_u32_e32 v101, 38, v0
	s_movk_i32 s56, 0x550
	s_mov_b32 s5, 0
	s_mov_b32 s57, s15
	.p2align	6
.LBB110_72:                             ; =>This Inner Loop Header: Depth=1
	v_mov_b32_e32 v104, s57
	v_add_nc_u32_e32 v101, -1, v101
	s_add_i32 s57, s57, 16
	s_clause 0x3
	buffer_load_dword v102, v104, s[0:3], 0 offen offset:8
	buffer_load_dword v103, v104, s[0:3], 0 offen offset:12
	buffer_load_dword v110, v104, s[0:3], 0 offen
	buffer_load_dword v111, v104, s[0:3], 0 offen offset:4
	v_mov_b32_e32 v104, s56
	v_cmp_eq_u32_e32 vcc_lo, 0, v101
	s_add_i32 s56, s56, 16
	ds_read_b128 v[106:109], v104
	s_or_b32 s5, vcc_lo, s5
	s_waitcnt vmcnt(2) lgkmcnt(0)
	v_mul_f64 v[112:113], v[108:109], v[102:103]
	v_mul_f64 v[102:103], v[106:107], v[102:103]
	s_waitcnt vmcnt(0)
	v_fma_f64 v[106:107], v[106:107], v[110:111], -v[112:113]
	v_fma_f64 v[102:103], v[108:109], v[110:111], v[102:103]
	v_add_f64 v[1:2], v[1:2], v[106:107]
	v_add_f64 v[3:4], v[3:4], v[102:103]
	s_andn2_b32 exec_lo, exec_lo, s5
	s_cbranch_execnz .LBB110_72
; %bb.73:
	s_or_b32 exec_lo, exec_lo, s5
.LBB110_74:
	s_or_b32 exec_lo, exec_lo, s55
	v_mov_b32_e32 v101, 0
	ds_read_b128 v[101:104], v101 offset:592
	s_waitcnt lgkmcnt(0)
	v_mul_f64 v[106:107], v[3:4], v[103:104]
	v_mul_f64 v[103:104], v[1:2], v[103:104]
	v_fma_f64 v[1:2], v[1:2], v[101:102], -v[106:107]
	v_fma_f64 v[3:4], v[3:4], v[101:102], v[103:104]
	buffer_store_dword v2, off, s[0:3], 0 offset:596
	buffer_store_dword v1, off, s[0:3], 0 offset:592
	;; [unrolled: 1-line block ×4, first 2 shown]
.LBB110_75:
	s_or_b32 exec_lo, exec_lo, s8
	v_mov_b32_e32 v4, s17
	v_cmp_lt_u32_e64 s5, 36, v0
	s_clause 0x3
	buffer_load_dword v1, v4, s[0:3], 0 offen
	buffer_load_dword v2, v4, s[0:3], 0 offen offset:4
	buffer_load_dword v3, v4, s[0:3], 0 offen offset:8
	;; [unrolled: 1-line block ×3, first 2 shown]
	s_waitcnt vmcnt(0)
	ds_write_b128 v100, v[1:4]
	s_waitcnt lgkmcnt(0)
	s_waitcnt_vscnt null, 0x0
	s_barrier
	buffer_gl0_inv
	s_and_saveexec_b32 s8, s5
	s_cbranch_execz .LBB110_83
; %bb.76:
	ds_read_b128 v[1:4], v100
	s_andn2_b32 vcc_lo, exec_lo, s54
	s_cbranch_vccnz .LBB110_78
; %bb.77:
	s_clause 0x3
	buffer_load_dword v101, v99, s[0:3], 0 offen offset:8
	buffer_load_dword v102, v99, s[0:3], 0 offen offset:12
	buffer_load_dword v103, v99, s[0:3], 0 offen
	buffer_load_dword v104, v99, s[0:3], 0 offen offset:4
	s_waitcnt vmcnt(2) lgkmcnt(0)
	v_mul_f64 v[106:107], v[3:4], v[101:102]
	v_mul_f64 v[101:102], v[1:2], v[101:102]
	s_waitcnt vmcnt(0)
	v_fma_f64 v[1:2], v[1:2], v[103:104], -v[106:107]
	v_fma_f64 v[3:4], v[3:4], v[103:104], v[101:102]
.LBB110_78:
	s_and_saveexec_b32 s55, s4
	s_cbranch_execz .LBB110_82
; %bb.79:
	v_subrev_nc_u32_e32 v101, 37, v0
	s_movk_i32 s56, 0x540
	s_mov_b32 s4, 0
	s_mov_b32 s57, s16
	.p2align	6
.LBB110_80:                             ; =>This Inner Loop Header: Depth=1
	v_mov_b32_e32 v104, s57
	v_add_nc_u32_e32 v101, -1, v101
	s_add_i32 s57, s57, 16
	s_clause 0x3
	buffer_load_dword v102, v104, s[0:3], 0 offen offset:8
	buffer_load_dword v103, v104, s[0:3], 0 offen offset:12
	buffer_load_dword v110, v104, s[0:3], 0 offen
	buffer_load_dword v111, v104, s[0:3], 0 offen offset:4
	v_mov_b32_e32 v104, s56
	v_cmp_eq_u32_e32 vcc_lo, 0, v101
	s_add_i32 s56, s56, 16
	ds_read_b128 v[106:109], v104
	s_or_b32 s4, vcc_lo, s4
	s_waitcnt vmcnt(2) lgkmcnt(0)
	v_mul_f64 v[112:113], v[108:109], v[102:103]
	v_mul_f64 v[102:103], v[106:107], v[102:103]
	s_waitcnt vmcnt(0)
	v_fma_f64 v[106:107], v[106:107], v[110:111], -v[112:113]
	v_fma_f64 v[102:103], v[108:109], v[110:111], v[102:103]
	v_add_f64 v[1:2], v[1:2], v[106:107]
	v_add_f64 v[3:4], v[3:4], v[102:103]
	s_andn2_b32 exec_lo, exec_lo, s4
	s_cbranch_execnz .LBB110_80
; %bb.81:
	s_or_b32 exec_lo, exec_lo, s4
.LBB110_82:
	s_or_b32 exec_lo, exec_lo, s55
	v_mov_b32_e32 v101, 0
	ds_read_b128 v[101:104], v101 offset:576
	s_waitcnt lgkmcnt(0)
	v_mul_f64 v[106:107], v[3:4], v[103:104]
	v_mul_f64 v[103:104], v[1:2], v[103:104]
	v_fma_f64 v[1:2], v[1:2], v[101:102], -v[106:107]
	v_fma_f64 v[3:4], v[3:4], v[101:102], v[103:104]
	buffer_store_dword v2, off, s[0:3], 0 offset:580
	buffer_store_dword v1, off, s[0:3], 0 offset:576
	;; [unrolled: 1-line block ×4, first 2 shown]
.LBB110_83:
	s_or_b32 exec_lo, exec_lo, s8
	v_mov_b32_e32 v4, s18
	v_cmp_lt_u32_e64 s4, 35, v0
	s_clause 0x3
	buffer_load_dword v1, v4, s[0:3], 0 offen
	buffer_load_dword v2, v4, s[0:3], 0 offen offset:4
	buffer_load_dword v3, v4, s[0:3], 0 offen offset:8
	;; [unrolled: 1-line block ×3, first 2 shown]
	s_waitcnt vmcnt(0)
	ds_write_b128 v100, v[1:4]
	s_waitcnt lgkmcnt(0)
	s_waitcnt_vscnt null, 0x0
	s_barrier
	buffer_gl0_inv
	s_and_saveexec_b32 s8, s4
	s_cbranch_execz .LBB110_91
; %bb.84:
	ds_read_b128 v[1:4], v100
	s_andn2_b32 vcc_lo, exec_lo, s54
	s_cbranch_vccnz .LBB110_86
; %bb.85:
	s_clause 0x3
	buffer_load_dword v101, v99, s[0:3], 0 offen offset:8
	buffer_load_dword v102, v99, s[0:3], 0 offen offset:12
	buffer_load_dword v103, v99, s[0:3], 0 offen
	buffer_load_dword v104, v99, s[0:3], 0 offen offset:4
	s_waitcnt vmcnt(2) lgkmcnt(0)
	v_mul_f64 v[106:107], v[3:4], v[101:102]
	v_mul_f64 v[101:102], v[1:2], v[101:102]
	s_waitcnt vmcnt(0)
	v_fma_f64 v[1:2], v[1:2], v[103:104], -v[106:107]
	v_fma_f64 v[3:4], v[3:4], v[103:104], v[101:102]
.LBB110_86:
	s_and_saveexec_b32 s55, s5
	s_cbranch_execz .LBB110_90
; %bb.87:
	v_subrev_nc_u32_e32 v101, 36, v0
	s_movk_i32 s56, 0x530
	s_mov_b32 s5, 0
	s_mov_b32 s57, s17
	.p2align	6
.LBB110_88:                             ; =>This Inner Loop Header: Depth=1
	v_mov_b32_e32 v104, s57
	v_add_nc_u32_e32 v101, -1, v101
	s_add_i32 s57, s57, 16
	s_clause 0x3
	buffer_load_dword v102, v104, s[0:3], 0 offen offset:8
	buffer_load_dword v103, v104, s[0:3], 0 offen offset:12
	buffer_load_dword v110, v104, s[0:3], 0 offen
	buffer_load_dword v111, v104, s[0:3], 0 offen offset:4
	v_mov_b32_e32 v104, s56
	v_cmp_eq_u32_e32 vcc_lo, 0, v101
	s_add_i32 s56, s56, 16
	ds_read_b128 v[106:109], v104
	s_or_b32 s5, vcc_lo, s5
	s_waitcnt vmcnt(2) lgkmcnt(0)
	v_mul_f64 v[112:113], v[108:109], v[102:103]
	v_mul_f64 v[102:103], v[106:107], v[102:103]
	s_waitcnt vmcnt(0)
	v_fma_f64 v[106:107], v[106:107], v[110:111], -v[112:113]
	v_fma_f64 v[102:103], v[108:109], v[110:111], v[102:103]
	v_add_f64 v[1:2], v[1:2], v[106:107]
	v_add_f64 v[3:4], v[3:4], v[102:103]
	s_andn2_b32 exec_lo, exec_lo, s5
	s_cbranch_execnz .LBB110_88
; %bb.89:
	s_or_b32 exec_lo, exec_lo, s5
.LBB110_90:
	s_or_b32 exec_lo, exec_lo, s55
	v_mov_b32_e32 v101, 0
	ds_read_b128 v[101:104], v101 offset:560
	s_waitcnt lgkmcnt(0)
	v_mul_f64 v[106:107], v[3:4], v[103:104]
	v_mul_f64 v[103:104], v[1:2], v[103:104]
	v_fma_f64 v[1:2], v[1:2], v[101:102], -v[106:107]
	v_fma_f64 v[3:4], v[3:4], v[101:102], v[103:104]
	buffer_store_dword v2, off, s[0:3], 0 offset:564
	buffer_store_dword v1, off, s[0:3], 0 offset:560
	;; [unrolled: 1-line block ×4, first 2 shown]
.LBB110_91:
	s_or_b32 exec_lo, exec_lo, s8
	v_mov_b32_e32 v4, s19
	v_cmp_lt_u32_e64 s5, 34, v0
	s_clause 0x3
	buffer_load_dword v1, v4, s[0:3], 0 offen
	buffer_load_dword v2, v4, s[0:3], 0 offen offset:4
	buffer_load_dword v3, v4, s[0:3], 0 offen offset:8
	;; [unrolled: 1-line block ×3, first 2 shown]
	s_waitcnt vmcnt(0)
	ds_write_b128 v100, v[1:4]
	s_waitcnt lgkmcnt(0)
	s_waitcnt_vscnt null, 0x0
	s_barrier
	buffer_gl0_inv
	s_and_saveexec_b32 s8, s5
	s_cbranch_execz .LBB110_99
; %bb.92:
	ds_read_b128 v[1:4], v100
	s_andn2_b32 vcc_lo, exec_lo, s54
	s_cbranch_vccnz .LBB110_94
; %bb.93:
	s_clause 0x3
	buffer_load_dword v101, v99, s[0:3], 0 offen offset:8
	buffer_load_dword v102, v99, s[0:3], 0 offen offset:12
	buffer_load_dword v103, v99, s[0:3], 0 offen
	buffer_load_dword v104, v99, s[0:3], 0 offen offset:4
	s_waitcnt vmcnt(2) lgkmcnt(0)
	v_mul_f64 v[106:107], v[3:4], v[101:102]
	v_mul_f64 v[101:102], v[1:2], v[101:102]
	s_waitcnt vmcnt(0)
	v_fma_f64 v[1:2], v[1:2], v[103:104], -v[106:107]
	v_fma_f64 v[3:4], v[3:4], v[103:104], v[101:102]
.LBB110_94:
	s_and_saveexec_b32 s55, s4
	s_cbranch_execz .LBB110_98
; %bb.95:
	v_subrev_nc_u32_e32 v101, 35, v0
	s_movk_i32 s56, 0x520
	s_mov_b32 s4, 0
	s_mov_b32 s57, s18
	.p2align	6
.LBB110_96:                             ; =>This Inner Loop Header: Depth=1
	v_mov_b32_e32 v104, s57
	v_add_nc_u32_e32 v101, -1, v101
	s_add_i32 s57, s57, 16
	s_clause 0x3
	buffer_load_dword v102, v104, s[0:3], 0 offen offset:8
	buffer_load_dword v103, v104, s[0:3], 0 offen offset:12
	buffer_load_dword v110, v104, s[0:3], 0 offen
	buffer_load_dword v111, v104, s[0:3], 0 offen offset:4
	v_mov_b32_e32 v104, s56
	v_cmp_eq_u32_e32 vcc_lo, 0, v101
	s_add_i32 s56, s56, 16
	ds_read_b128 v[106:109], v104
	s_or_b32 s4, vcc_lo, s4
	s_waitcnt vmcnt(2) lgkmcnt(0)
	v_mul_f64 v[112:113], v[108:109], v[102:103]
	v_mul_f64 v[102:103], v[106:107], v[102:103]
	s_waitcnt vmcnt(0)
	v_fma_f64 v[106:107], v[106:107], v[110:111], -v[112:113]
	v_fma_f64 v[102:103], v[108:109], v[110:111], v[102:103]
	v_add_f64 v[1:2], v[1:2], v[106:107]
	v_add_f64 v[3:4], v[3:4], v[102:103]
	s_andn2_b32 exec_lo, exec_lo, s4
	s_cbranch_execnz .LBB110_96
; %bb.97:
	s_or_b32 exec_lo, exec_lo, s4
.LBB110_98:
	s_or_b32 exec_lo, exec_lo, s55
	v_mov_b32_e32 v101, 0
	ds_read_b128 v[101:104], v101 offset:544
	s_waitcnt lgkmcnt(0)
	v_mul_f64 v[106:107], v[3:4], v[103:104]
	v_mul_f64 v[103:104], v[1:2], v[103:104]
	v_fma_f64 v[1:2], v[1:2], v[101:102], -v[106:107]
	v_fma_f64 v[3:4], v[3:4], v[101:102], v[103:104]
	buffer_store_dword v2, off, s[0:3], 0 offset:548
	buffer_store_dword v1, off, s[0:3], 0 offset:544
	;; [unrolled: 1-line block ×4, first 2 shown]
.LBB110_99:
	s_or_b32 exec_lo, exec_lo, s8
	v_mov_b32_e32 v4, s20
	v_cmp_lt_u32_e64 s4, 33, v0
	s_clause 0x3
	buffer_load_dword v1, v4, s[0:3], 0 offen
	buffer_load_dword v2, v4, s[0:3], 0 offen offset:4
	buffer_load_dword v3, v4, s[0:3], 0 offen offset:8
	buffer_load_dword v4, v4, s[0:3], 0 offen offset:12
	s_waitcnt vmcnt(0)
	ds_write_b128 v100, v[1:4]
	s_waitcnt lgkmcnt(0)
	s_waitcnt_vscnt null, 0x0
	s_barrier
	buffer_gl0_inv
	s_and_saveexec_b32 s8, s4
	s_cbranch_execz .LBB110_107
; %bb.100:
	ds_read_b128 v[1:4], v100
	s_andn2_b32 vcc_lo, exec_lo, s54
	s_cbranch_vccnz .LBB110_102
; %bb.101:
	s_clause 0x3
	buffer_load_dword v101, v99, s[0:3], 0 offen offset:8
	buffer_load_dword v102, v99, s[0:3], 0 offen offset:12
	buffer_load_dword v103, v99, s[0:3], 0 offen
	buffer_load_dword v104, v99, s[0:3], 0 offen offset:4
	s_waitcnt vmcnt(2) lgkmcnt(0)
	v_mul_f64 v[106:107], v[3:4], v[101:102]
	v_mul_f64 v[101:102], v[1:2], v[101:102]
	s_waitcnt vmcnt(0)
	v_fma_f64 v[1:2], v[1:2], v[103:104], -v[106:107]
	v_fma_f64 v[3:4], v[3:4], v[103:104], v[101:102]
.LBB110_102:
	s_and_saveexec_b32 s55, s5
	s_cbranch_execz .LBB110_106
; %bb.103:
	v_subrev_nc_u32_e32 v101, 34, v0
	s_movk_i32 s56, 0x510
	s_mov_b32 s5, 0
	s_mov_b32 s57, s19
	.p2align	6
.LBB110_104:                            ; =>This Inner Loop Header: Depth=1
	v_mov_b32_e32 v104, s57
	v_add_nc_u32_e32 v101, -1, v101
	s_add_i32 s57, s57, 16
	s_clause 0x3
	buffer_load_dword v102, v104, s[0:3], 0 offen offset:8
	buffer_load_dword v103, v104, s[0:3], 0 offen offset:12
	buffer_load_dword v110, v104, s[0:3], 0 offen
	buffer_load_dword v111, v104, s[0:3], 0 offen offset:4
	v_mov_b32_e32 v104, s56
	v_cmp_eq_u32_e32 vcc_lo, 0, v101
	s_add_i32 s56, s56, 16
	ds_read_b128 v[106:109], v104
	s_or_b32 s5, vcc_lo, s5
	s_waitcnt vmcnt(2) lgkmcnt(0)
	v_mul_f64 v[112:113], v[108:109], v[102:103]
	v_mul_f64 v[102:103], v[106:107], v[102:103]
	s_waitcnt vmcnt(0)
	v_fma_f64 v[106:107], v[106:107], v[110:111], -v[112:113]
	v_fma_f64 v[102:103], v[108:109], v[110:111], v[102:103]
	v_add_f64 v[1:2], v[1:2], v[106:107]
	v_add_f64 v[3:4], v[3:4], v[102:103]
	s_andn2_b32 exec_lo, exec_lo, s5
	s_cbranch_execnz .LBB110_104
; %bb.105:
	s_or_b32 exec_lo, exec_lo, s5
.LBB110_106:
	s_or_b32 exec_lo, exec_lo, s55
	v_mov_b32_e32 v101, 0
	ds_read_b128 v[101:104], v101 offset:528
	s_waitcnt lgkmcnt(0)
	v_mul_f64 v[106:107], v[3:4], v[103:104]
	v_mul_f64 v[103:104], v[1:2], v[103:104]
	v_fma_f64 v[1:2], v[1:2], v[101:102], -v[106:107]
	v_fma_f64 v[3:4], v[3:4], v[101:102], v[103:104]
	buffer_store_dword v2, off, s[0:3], 0 offset:532
	buffer_store_dword v1, off, s[0:3], 0 offset:528
	;; [unrolled: 1-line block ×4, first 2 shown]
.LBB110_107:
	s_or_b32 exec_lo, exec_lo, s8
	v_mov_b32_e32 v4, s21
	v_cmp_lt_u32_e64 s5, 32, v0
	s_clause 0x3
	buffer_load_dword v1, v4, s[0:3], 0 offen
	buffer_load_dword v2, v4, s[0:3], 0 offen offset:4
	buffer_load_dword v3, v4, s[0:3], 0 offen offset:8
	;; [unrolled: 1-line block ×3, first 2 shown]
	s_waitcnt vmcnt(0)
	ds_write_b128 v100, v[1:4]
	s_waitcnt lgkmcnt(0)
	s_waitcnt_vscnt null, 0x0
	s_barrier
	buffer_gl0_inv
	s_and_saveexec_b32 s8, s5
	s_cbranch_execz .LBB110_115
; %bb.108:
	ds_read_b128 v[1:4], v100
	s_andn2_b32 vcc_lo, exec_lo, s54
	s_cbranch_vccnz .LBB110_110
; %bb.109:
	s_clause 0x3
	buffer_load_dword v101, v99, s[0:3], 0 offen offset:8
	buffer_load_dword v102, v99, s[0:3], 0 offen offset:12
	buffer_load_dword v103, v99, s[0:3], 0 offen
	buffer_load_dword v104, v99, s[0:3], 0 offen offset:4
	s_waitcnt vmcnt(2) lgkmcnt(0)
	v_mul_f64 v[106:107], v[3:4], v[101:102]
	v_mul_f64 v[101:102], v[1:2], v[101:102]
	s_waitcnt vmcnt(0)
	v_fma_f64 v[1:2], v[1:2], v[103:104], -v[106:107]
	v_fma_f64 v[3:4], v[3:4], v[103:104], v[101:102]
.LBB110_110:
	s_and_saveexec_b32 s55, s4
	s_cbranch_execz .LBB110_114
; %bb.111:
	v_subrev_nc_u32_e32 v101, 33, v0
	s_movk_i32 s56, 0x500
	s_mov_b32 s4, 0
	s_mov_b32 s57, s20
	.p2align	6
.LBB110_112:                            ; =>This Inner Loop Header: Depth=1
	v_mov_b32_e32 v104, s57
	v_add_nc_u32_e32 v101, -1, v101
	s_add_i32 s57, s57, 16
	s_clause 0x3
	buffer_load_dword v102, v104, s[0:3], 0 offen offset:8
	buffer_load_dword v103, v104, s[0:3], 0 offen offset:12
	buffer_load_dword v110, v104, s[0:3], 0 offen
	buffer_load_dword v111, v104, s[0:3], 0 offen offset:4
	v_mov_b32_e32 v104, s56
	v_cmp_eq_u32_e32 vcc_lo, 0, v101
	s_add_i32 s56, s56, 16
	ds_read_b128 v[106:109], v104
	s_or_b32 s4, vcc_lo, s4
	s_waitcnt vmcnt(2) lgkmcnt(0)
	v_mul_f64 v[112:113], v[108:109], v[102:103]
	v_mul_f64 v[102:103], v[106:107], v[102:103]
	s_waitcnt vmcnt(0)
	v_fma_f64 v[106:107], v[106:107], v[110:111], -v[112:113]
	v_fma_f64 v[102:103], v[108:109], v[110:111], v[102:103]
	v_add_f64 v[1:2], v[1:2], v[106:107]
	v_add_f64 v[3:4], v[3:4], v[102:103]
	s_andn2_b32 exec_lo, exec_lo, s4
	s_cbranch_execnz .LBB110_112
; %bb.113:
	s_or_b32 exec_lo, exec_lo, s4
.LBB110_114:
	s_or_b32 exec_lo, exec_lo, s55
	v_mov_b32_e32 v101, 0
	ds_read_b128 v[101:104], v101 offset:512
	s_waitcnt lgkmcnt(0)
	v_mul_f64 v[106:107], v[3:4], v[103:104]
	v_mul_f64 v[103:104], v[1:2], v[103:104]
	v_fma_f64 v[1:2], v[1:2], v[101:102], -v[106:107]
	v_fma_f64 v[3:4], v[3:4], v[101:102], v[103:104]
	buffer_store_dword v2, off, s[0:3], 0 offset:516
	buffer_store_dword v1, off, s[0:3], 0 offset:512
	;; [unrolled: 1-line block ×4, first 2 shown]
.LBB110_115:
	s_or_b32 exec_lo, exec_lo, s8
	v_mov_b32_e32 v4, s22
	v_cmp_lt_u32_e64 s4, 31, v0
	s_clause 0x3
	buffer_load_dword v1, v4, s[0:3], 0 offen
	buffer_load_dword v2, v4, s[0:3], 0 offen offset:4
	buffer_load_dword v3, v4, s[0:3], 0 offen offset:8
	;; [unrolled: 1-line block ×3, first 2 shown]
	s_waitcnt vmcnt(0)
	ds_write_b128 v100, v[1:4]
	s_waitcnt lgkmcnt(0)
	s_waitcnt_vscnt null, 0x0
	s_barrier
	buffer_gl0_inv
	s_and_saveexec_b32 s8, s4
	s_cbranch_execz .LBB110_123
; %bb.116:
	ds_read_b128 v[1:4], v100
	s_andn2_b32 vcc_lo, exec_lo, s54
	s_cbranch_vccnz .LBB110_118
; %bb.117:
	s_clause 0x3
	buffer_load_dword v101, v99, s[0:3], 0 offen offset:8
	buffer_load_dword v102, v99, s[0:3], 0 offen offset:12
	buffer_load_dword v103, v99, s[0:3], 0 offen
	buffer_load_dword v104, v99, s[0:3], 0 offen offset:4
	s_waitcnt vmcnt(2) lgkmcnt(0)
	v_mul_f64 v[106:107], v[3:4], v[101:102]
	v_mul_f64 v[101:102], v[1:2], v[101:102]
	s_waitcnt vmcnt(0)
	v_fma_f64 v[1:2], v[1:2], v[103:104], -v[106:107]
	v_fma_f64 v[3:4], v[3:4], v[103:104], v[101:102]
.LBB110_118:
	s_and_saveexec_b32 s55, s5
	s_cbranch_execz .LBB110_122
; %bb.119:
	v_subrev_nc_u32_e32 v101, 32, v0
	s_movk_i32 s56, 0x4f0
	s_mov_b32 s5, 0
	s_mov_b32 s57, s21
	.p2align	6
.LBB110_120:                            ; =>This Inner Loop Header: Depth=1
	v_mov_b32_e32 v104, s57
	v_add_nc_u32_e32 v101, -1, v101
	s_add_i32 s57, s57, 16
	s_clause 0x3
	buffer_load_dword v102, v104, s[0:3], 0 offen offset:8
	buffer_load_dword v103, v104, s[0:3], 0 offen offset:12
	buffer_load_dword v110, v104, s[0:3], 0 offen
	buffer_load_dword v111, v104, s[0:3], 0 offen offset:4
	v_mov_b32_e32 v104, s56
	v_cmp_eq_u32_e32 vcc_lo, 0, v101
	s_add_i32 s56, s56, 16
	ds_read_b128 v[106:109], v104
	s_or_b32 s5, vcc_lo, s5
	s_waitcnt vmcnt(2) lgkmcnt(0)
	v_mul_f64 v[112:113], v[108:109], v[102:103]
	v_mul_f64 v[102:103], v[106:107], v[102:103]
	s_waitcnt vmcnt(0)
	v_fma_f64 v[106:107], v[106:107], v[110:111], -v[112:113]
	v_fma_f64 v[102:103], v[108:109], v[110:111], v[102:103]
	v_add_f64 v[1:2], v[1:2], v[106:107]
	v_add_f64 v[3:4], v[3:4], v[102:103]
	s_andn2_b32 exec_lo, exec_lo, s5
	s_cbranch_execnz .LBB110_120
; %bb.121:
	s_or_b32 exec_lo, exec_lo, s5
.LBB110_122:
	s_or_b32 exec_lo, exec_lo, s55
	v_mov_b32_e32 v101, 0
	ds_read_b128 v[101:104], v101 offset:496
	s_waitcnt lgkmcnt(0)
	v_mul_f64 v[106:107], v[3:4], v[103:104]
	v_mul_f64 v[103:104], v[1:2], v[103:104]
	v_fma_f64 v[1:2], v[1:2], v[101:102], -v[106:107]
	v_fma_f64 v[3:4], v[3:4], v[101:102], v[103:104]
	buffer_store_dword v2, off, s[0:3], 0 offset:500
	buffer_store_dword v1, off, s[0:3], 0 offset:496
	;; [unrolled: 1-line block ×4, first 2 shown]
.LBB110_123:
	s_or_b32 exec_lo, exec_lo, s8
	v_mov_b32_e32 v4, s23
	v_cmp_lt_u32_e64 s5, 30, v0
	s_clause 0x3
	buffer_load_dword v1, v4, s[0:3], 0 offen
	buffer_load_dword v2, v4, s[0:3], 0 offen offset:4
	buffer_load_dword v3, v4, s[0:3], 0 offen offset:8
	;; [unrolled: 1-line block ×3, first 2 shown]
	s_waitcnt vmcnt(0)
	ds_write_b128 v100, v[1:4]
	s_waitcnt lgkmcnt(0)
	s_waitcnt_vscnt null, 0x0
	s_barrier
	buffer_gl0_inv
	s_and_saveexec_b32 s8, s5
	s_cbranch_execz .LBB110_131
; %bb.124:
	ds_read_b128 v[1:4], v100
	s_andn2_b32 vcc_lo, exec_lo, s54
	s_cbranch_vccnz .LBB110_126
; %bb.125:
	s_clause 0x3
	buffer_load_dword v101, v99, s[0:3], 0 offen offset:8
	buffer_load_dword v102, v99, s[0:3], 0 offen offset:12
	buffer_load_dword v103, v99, s[0:3], 0 offen
	buffer_load_dword v104, v99, s[0:3], 0 offen offset:4
	s_waitcnt vmcnt(2) lgkmcnt(0)
	v_mul_f64 v[106:107], v[3:4], v[101:102]
	v_mul_f64 v[101:102], v[1:2], v[101:102]
	s_waitcnt vmcnt(0)
	v_fma_f64 v[1:2], v[1:2], v[103:104], -v[106:107]
	v_fma_f64 v[3:4], v[3:4], v[103:104], v[101:102]
.LBB110_126:
	s_and_saveexec_b32 s55, s4
	s_cbranch_execz .LBB110_130
; %bb.127:
	v_subrev_nc_u32_e32 v101, 31, v0
	s_movk_i32 s56, 0x4e0
	s_mov_b32 s4, 0
	s_mov_b32 s57, s22
	.p2align	6
.LBB110_128:                            ; =>This Inner Loop Header: Depth=1
	v_mov_b32_e32 v104, s57
	v_add_nc_u32_e32 v101, -1, v101
	s_add_i32 s57, s57, 16
	s_clause 0x3
	buffer_load_dword v102, v104, s[0:3], 0 offen offset:8
	buffer_load_dword v103, v104, s[0:3], 0 offen offset:12
	buffer_load_dword v110, v104, s[0:3], 0 offen
	buffer_load_dword v111, v104, s[0:3], 0 offen offset:4
	v_mov_b32_e32 v104, s56
	v_cmp_eq_u32_e32 vcc_lo, 0, v101
	s_add_i32 s56, s56, 16
	ds_read_b128 v[106:109], v104
	s_or_b32 s4, vcc_lo, s4
	s_waitcnt vmcnt(2) lgkmcnt(0)
	v_mul_f64 v[112:113], v[108:109], v[102:103]
	v_mul_f64 v[102:103], v[106:107], v[102:103]
	s_waitcnt vmcnt(0)
	v_fma_f64 v[106:107], v[106:107], v[110:111], -v[112:113]
	v_fma_f64 v[102:103], v[108:109], v[110:111], v[102:103]
	v_add_f64 v[1:2], v[1:2], v[106:107]
	v_add_f64 v[3:4], v[3:4], v[102:103]
	s_andn2_b32 exec_lo, exec_lo, s4
	s_cbranch_execnz .LBB110_128
; %bb.129:
	s_or_b32 exec_lo, exec_lo, s4
.LBB110_130:
	s_or_b32 exec_lo, exec_lo, s55
	v_mov_b32_e32 v101, 0
	ds_read_b128 v[101:104], v101 offset:480
	s_waitcnt lgkmcnt(0)
	v_mul_f64 v[106:107], v[3:4], v[103:104]
	v_mul_f64 v[103:104], v[1:2], v[103:104]
	v_fma_f64 v[1:2], v[1:2], v[101:102], -v[106:107]
	v_fma_f64 v[3:4], v[3:4], v[101:102], v[103:104]
	buffer_store_dword v2, off, s[0:3], 0 offset:484
	buffer_store_dword v1, off, s[0:3], 0 offset:480
	;; [unrolled: 1-line block ×4, first 2 shown]
.LBB110_131:
	s_or_b32 exec_lo, exec_lo, s8
	v_mov_b32_e32 v4, s24
	v_cmp_lt_u32_e64 s4, 29, v0
	s_clause 0x3
	buffer_load_dword v1, v4, s[0:3], 0 offen
	buffer_load_dword v2, v4, s[0:3], 0 offen offset:4
	buffer_load_dword v3, v4, s[0:3], 0 offen offset:8
	;; [unrolled: 1-line block ×3, first 2 shown]
	s_waitcnt vmcnt(0)
	ds_write_b128 v100, v[1:4]
	s_waitcnt lgkmcnt(0)
	s_waitcnt_vscnt null, 0x0
	s_barrier
	buffer_gl0_inv
	s_and_saveexec_b32 s8, s4
	s_cbranch_execz .LBB110_139
; %bb.132:
	ds_read_b128 v[1:4], v100
	s_andn2_b32 vcc_lo, exec_lo, s54
	s_cbranch_vccnz .LBB110_134
; %bb.133:
	s_clause 0x3
	buffer_load_dword v101, v99, s[0:3], 0 offen offset:8
	buffer_load_dword v102, v99, s[0:3], 0 offen offset:12
	buffer_load_dword v103, v99, s[0:3], 0 offen
	buffer_load_dword v104, v99, s[0:3], 0 offen offset:4
	s_waitcnt vmcnt(2) lgkmcnt(0)
	v_mul_f64 v[106:107], v[3:4], v[101:102]
	v_mul_f64 v[101:102], v[1:2], v[101:102]
	s_waitcnt vmcnt(0)
	v_fma_f64 v[1:2], v[1:2], v[103:104], -v[106:107]
	v_fma_f64 v[3:4], v[3:4], v[103:104], v[101:102]
.LBB110_134:
	s_and_saveexec_b32 s55, s5
	s_cbranch_execz .LBB110_138
; %bb.135:
	v_subrev_nc_u32_e32 v101, 30, v0
	s_movk_i32 s56, 0x4d0
	s_mov_b32 s5, 0
	s_mov_b32 s57, s23
	.p2align	6
.LBB110_136:                            ; =>This Inner Loop Header: Depth=1
	v_mov_b32_e32 v104, s57
	v_add_nc_u32_e32 v101, -1, v101
	s_add_i32 s57, s57, 16
	s_clause 0x3
	buffer_load_dword v102, v104, s[0:3], 0 offen offset:8
	buffer_load_dword v103, v104, s[0:3], 0 offen offset:12
	buffer_load_dword v110, v104, s[0:3], 0 offen
	buffer_load_dword v111, v104, s[0:3], 0 offen offset:4
	v_mov_b32_e32 v104, s56
	v_cmp_eq_u32_e32 vcc_lo, 0, v101
	s_add_i32 s56, s56, 16
	ds_read_b128 v[106:109], v104
	s_or_b32 s5, vcc_lo, s5
	s_waitcnt vmcnt(2) lgkmcnt(0)
	v_mul_f64 v[112:113], v[108:109], v[102:103]
	v_mul_f64 v[102:103], v[106:107], v[102:103]
	s_waitcnt vmcnt(0)
	v_fma_f64 v[106:107], v[106:107], v[110:111], -v[112:113]
	v_fma_f64 v[102:103], v[108:109], v[110:111], v[102:103]
	v_add_f64 v[1:2], v[1:2], v[106:107]
	v_add_f64 v[3:4], v[3:4], v[102:103]
	s_andn2_b32 exec_lo, exec_lo, s5
	s_cbranch_execnz .LBB110_136
; %bb.137:
	s_or_b32 exec_lo, exec_lo, s5
.LBB110_138:
	s_or_b32 exec_lo, exec_lo, s55
	v_mov_b32_e32 v101, 0
	ds_read_b128 v[101:104], v101 offset:464
	s_waitcnt lgkmcnt(0)
	v_mul_f64 v[106:107], v[3:4], v[103:104]
	v_mul_f64 v[103:104], v[1:2], v[103:104]
	v_fma_f64 v[1:2], v[1:2], v[101:102], -v[106:107]
	v_fma_f64 v[3:4], v[3:4], v[101:102], v[103:104]
	buffer_store_dword v2, off, s[0:3], 0 offset:468
	buffer_store_dword v1, off, s[0:3], 0 offset:464
	;; [unrolled: 1-line block ×4, first 2 shown]
.LBB110_139:
	s_or_b32 exec_lo, exec_lo, s8
	v_mov_b32_e32 v4, s25
	v_cmp_lt_u32_e64 s5, 28, v0
	s_clause 0x3
	buffer_load_dword v1, v4, s[0:3], 0 offen
	buffer_load_dword v2, v4, s[0:3], 0 offen offset:4
	buffer_load_dword v3, v4, s[0:3], 0 offen offset:8
	;; [unrolled: 1-line block ×3, first 2 shown]
	s_waitcnt vmcnt(0)
	ds_write_b128 v100, v[1:4]
	s_waitcnt lgkmcnt(0)
	s_waitcnt_vscnt null, 0x0
	s_barrier
	buffer_gl0_inv
	s_and_saveexec_b32 s8, s5
	s_cbranch_execz .LBB110_147
; %bb.140:
	ds_read_b128 v[1:4], v100
	s_andn2_b32 vcc_lo, exec_lo, s54
	s_cbranch_vccnz .LBB110_142
; %bb.141:
	s_clause 0x3
	buffer_load_dword v101, v99, s[0:3], 0 offen offset:8
	buffer_load_dword v102, v99, s[0:3], 0 offen offset:12
	buffer_load_dword v103, v99, s[0:3], 0 offen
	buffer_load_dword v104, v99, s[0:3], 0 offen offset:4
	s_waitcnt vmcnt(2) lgkmcnt(0)
	v_mul_f64 v[106:107], v[3:4], v[101:102]
	v_mul_f64 v[101:102], v[1:2], v[101:102]
	s_waitcnt vmcnt(0)
	v_fma_f64 v[1:2], v[1:2], v[103:104], -v[106:107]
	v_fma_f64 v[3:4], v[3:4], v[103:104], v[101:102]
.LBB110_142:
	s_and_saveexec_b32 s55, s4
	s_cbranch_execz .LBB110_146
; %bb.143:
	v_subrev_nc_u32_e32 v101, 29, v0
	s_movk_i32 s56, 0x4c0
	s_mov_b32 s4, 0
	s_mov_b32 s57, s24
	.p2align	6
.LBB110_144:                            ; =>This Inner Loop Header: Depth=1
	v_mov_b32_e32 v104, s57
	v_add_nc_u32_e32 v101, -1, v101
	s_add_i32 s57, s57, 16
	s_clause 0x3
	buffer_load_dword v102, v104, s[0:3], 0 offen offset:8
	buffer_load_dword v103, v104, s[0:3], 0 offen offset:12
	buffer_load_dword v110, v104, s[0:3], 0 offen
	buffer_load_dword v111, v104, s[0:3], 0 offen offset:4
	v_mov_b32_e32 v104, s56
	v_cmp_eq_u32_e32 vcc_lo, 0, v101
	s_add_i32 s56, s56, 16
	ds_read_b128 v[106:109], v104
	s_or_b32 s4, vcc_lo, s4
	s_waitcnt vmcnt(2) lgkmcnt(0)
	v_mul_f64 v[112:113], v[108:109], v[102:103]
	v_mul_f64 v[102:103], v[106:107], v[102:103]
	s_waitcnt vmcnt(0)
	v_fma_f64 v[106:107], v[106:107], v[110:111], -v[112:113]
	v_fma_f64 v[102:103], v[108:109], v[110:111], v[102:103]
	v_add_f64 v[1:2], v[1:2], v[106:107]
	v_add_f64 v[3:4], v[3:4], v[102:103]
	s_andn2_b32 exec_lo, exec_lo, s4
	s_cbranch_execnz .LBB110_144
; %bb.145:
	s_or_b32 exec_lo, exec_lo, s4
.LBB110_146:
	s_or_b32 exec_lo, exec_lo, s55
	v_mov_b32_e32 v101, 0
	ds_read_b128 v[101:104], v101 offset:448
	s_waitcnt lgkmcnt(0)
	v_mul_f64 v[106:107], v[3:4], v[103:104]
	v_mul_f64 v[103:104], v[1:2], v[103:104]
	v_fma_f64 v[1:2], v[1:2], v[101:102], -v[106:107]
	v_fma_f64 v[3:4], v[3:4], v[101:102], v[103:104]
	buffer_store_dword v2, off, s[0:3], 0 offset:452
	buffer_store_dword v1, off, s[0:3], 0 offset:448
	;; [unrolled: 1-line block ×4, first 2 shown]
.LBB110_147:
	s_or_b32 exec_lo, exec_lo, s8
	v_mov_b32_e32 v4, s26
	v_cmp_lt_u32_e64 s4, 27, v0
	s_clause 0x3
	buffer_load_dword v1, v4, s[0:3], 0 offen
	buffer_load_dword v2, v4, s[0:3], 0 offen offset:4
	buffer_load_dword v3, v4, s[0:3], 0 offen offset:8
	buffer_load_dword v4, v4, s[0:3], 0 offen offset:12
	s_waitcnt vmcnt(0)
	ds_write_b128 v100, v[1:4]
	s_waitcnt lgkmcnt(0)
	s_waitcnt_vscnt null, 0x0
	s_barrier
	buffer_gl0_inv
	s_and_saveexec_b32 s8, s4
	s_cbranch_execz .LBB110_155
; %bb.148:
	ds_read_b128 v[1:4], v100
	s_andn2_b32 vcc_lo, exec_lo, s54
	s_cbranch_vccnz .LBB110_150
; %bb.149:
	s_clause 0x3
	buffer_load_dword v101, v99, s[0:3], 0 offen offset:8
	buffer_load_dword v102, v99, s[0:3], 0 offen offset:12
	buffer_load_dword v103, v99, s[0:3], 0 offen
	buffer_load_dword v104, v99, s[0:3], 0 offen offset:4
	s_waitcnt vmcnt(2) lgkmcnt(0)
	v_mul_f64 v[106:107], v[3:4], v[101:102]
	v_mul_f64 v[101:102], v[1:2], v[101:102]
	s_waitcnt vmcnt(0)
	v_fma_f64 v[1:2], v[1:2], v[103:104], -v[106:107]
	v_fma_f64 v[3:4], v[3:4], v[103:104], v[101:102]
.LBB110_150:
	s_and_saveexec_b32 s55, s5
	s_cbranch_execz .LBB110_154
; %bb.151:
	v_subrev_nc_u32_e32 v101, 28, v0
	s_movk_i32 s56, 0x4b0
	s_mov_b32 s5, 0
	s_mov_b32 s57, s25
	.p2align	6
.LBB110_152:                            ; =>This Inner Loop Header: Depth=1
	v_mov_b32_e32 v104, s57
	v_add_nc_u32_e32 v101, -1, v101
	s_add_i32 s57, s57, 16
	s_clause 0x3
	buffer_load_dword v102, v104, s[0:3], 0 offen offset:8
	buffer_load_dword v103, v104, s[0:3], 0 offen offset:12
	buffer_load_dword v110, v104, s[0:3], 0 offen
	buffer_load_dword v111, v104, s[0:3], 0 offen offset:4
	v_mov_b32_e32 v104, s56
	v_cmp_eq_u32_e32 vcc_lo, 0, v101
	s_add_i32 s56, s56, 16
	ds_read_b128 v[106:109], v104
	s_or_b32 s5, vcc_lo, s5
	s_waitcnt vmcnt(2) lgkmcnt(0)
	v_mul_f64 v[112:113], v[108:109], v[102:103]
	v_mul_f64 v[102:103], v[106:107], v[102:103]
	s_waitcnt vmcnt(0)
	v_fma_f64 v[106:107], v[106:107], v[110:111], -v[112:113]
	v_fma_f64 v[102:103], v[108:109], v[110:111], v[102:103]
	v_add_f64 v[1:2], v[1:2], v[106:107]
	v_add_f64 v[3:4], v[3:4], v[102:103]
	s_andn2_b32 exec_lo, exec_lo, s5
	s_cbranch_execnz .LBB110_152
; %bb.153:
	s_or_b32 exec_lo, exec_lo, s5
.LBB110_154:
	s_or_b32 exec_lo, exec_lo, s55
	v_mov_b32_e32 v101, 0
	ds_read_b128 v[101:104], v101 offset:432
	s_waitcnt lgkmcnt(0)
	v_mul_f64 v[106:107], v[3:4], v[103:104]
	v_mul_f64 v[103:104], v[1:2], v[103:104]
	v_fma_f64 v[1:2], v[1:2], v[101:102], -v[106:107]
	v_fma_f64 v[3:4], v[3:4], v[101:102], v[103:104]
	buffer_store_dword v2, off, s[0:3], 0 offset:436
	buffer_store_dword v1, off, s[0:3], 0 offset:432
	;; [unrolled: 1-line block ×4, first 2 shown]
.LBB110_155:
	s_or_b32 exec_lo, exec_lo, s8
	v_mov_b32_e32 v4, s27
	v_cmp_lt_u32_e64 s5, 26, v0
	s_clause 0x3
	buffer_load_dword v1, v4, s[0:3], 0 offen
	buffer_load_dword v2, v4, s[0:3], 0 offen offset:4
	buffer_load_dword v3, v4, s[0:3], 0 offen offset:8
	buffer_load_dword v4, v4, s[0:3], 0 offen offset:12
	s_waitcnt vmcnt(0)
	ds_write_b128 v100, v[1:4]
	s_waitcnt lgkmcnt(0)
	s_waitcnt_vscnt null, 0x0
	s_barrier
	buffer_gl0_inv
	s_and_saveexec_b32 s8, s5
	s_cbranch_execz .LBB110_163
; %bb.156:
	ds_read_b128 v[1:4], v100
	s_andn2_b32 vcc_lo, exec_lo, s54
	s_cbranch_vccnz .LBB110_158
; %bb.157:
	s_clause 0x3
	buffer_load_dword v101, v99, s[0:3], 0 offen offset:8
	buffer_load_dword v102, v99, s[0:3], 0 offen offset:12
	buffer_load_dword v103, v99, s[0:3], 0 offen
	buffer_load_dword v104, v99, s[0:3], 0 offen offset:4
	s_waitcnt vmcnt(2) lgkmcnt(0)
	v_mul_f64 v[106:107], v[3:4], v[101:102]
	v_mul_f64 v[101:102], v[1:2], v[101:102]
	s_waitcnt vmcnt(0)
	v_fma_f64 v[1:2], v[1:2], v[103:104], -v[106:107]
	v_fma_f64 v[3:4], v[3:4], v[103:104], v[101:102]
.LBB110_158:
	s_and_saveexec_b32 s55, s4
	s_cbranch_execz .LBB110_162
; %bb.159:
	v_subrev_nc_u32_e32 v101, 27, v0
	s_movk_i32 s56, 0x4a0
	s_mov_b32 s4, 0
	s_mov_b32 s57, s26
	.p2align	6
.LBB110_160:                            ; =>This Inner Loop Header: Depth=1
	v_mov_b32_e32 v104, s57
	v_add_nc_u32_e32 v101, -1, v101
	s_add_i32 s57, s57, 16
	s_clause 0x3
	buffer_load_dword v102, v104, s[0:3], 0 offen offset:8
	buffer_load_dword v103, v104, s[0:3], 0 offen offset:12
	buffer_load_dword v110, v104, s[0:3], 0 offen
	buffer_load_dword v111, v104, s[0:3], 0 offen offset:4
	v_mov_b32_e32 v104, s56
	v_cmp_eq_u32_e32 vcc_lo, 0, v101
	s_add_i32 s56, s56, 16
	ds_read_b128 v[106:109], v104
	s_or_b32 s4, vcc_lo, s4
	s_waitcnt vmcnt(2) lgkmcnt(0)
	v_mul_f64 v[112:113], v[108:109], v[102:103]
	v_mul_f64 v[102:103], v[106:107], v[102:103]
	s_waitcnt vmcnt(0)
	v_fma_f64 v[106:107], v[106:107], v[110:111], -v[112:113]
	v_fma_f64 v[102:103], v[108:109], v[110:111], v[102:103]
	v_add_f64 v[1:2], v[1:2], v[106:107]
	v_add_f64 v[3:4], v[3:4], v[102:103]
	s_andn2_b32 exec_lo, exec_lo, s4
	s_cbranch_execnz .LBB110_160
; %bb.161:
	s_or_b32 exec_lo, exec_lo, s4
.LBB110_162:
	s_or_b32 exec_lo, exec_lo, s55
	v_mov_b32_e32 v101, 0
	ds_read_b128 v[101:104], v101 offset:416
	s_waitcnt lgkmcnt(0)
	v_mul_f64 v[106:107], v[3:4], v[103:104]
	v_mul_f64 v[103:104], v[1:2], v[103:104]
	v_fma_f64 v[1:2], v[1:2], v[101:102], -v[106:107]
	v_fma_f64 v[3:4], v[3:4], v[101:102], v[103:104]
	buffer_store_dword v2, off, s[0:3], 0 offset:420
	buffer_store_dword v1, off, s[0:3], 0 offset:416
	;; [unrolled: 1-line block ×4, first 2 shown]
.LBB110_163:
	s_or_b32 exec_lo, exec_lo, s8
	v_mov_b32_e32 v4, s28
	v_cmp_lt_u32_e64 s4, 25, v0
	s_clause 0x3
	buffer_load_dword v1, v4, s[0:3], 0 offen
	buffer_load_dword v2, v4, s[0:3], 0 offen offset:4
	buffer_load_dword v3, v4, s[0:3], 0 offen offset:8
	;; [unrolled: 1-line block ×3, first 2 shown]
	s_waitcnt vmcnt(0)
	ds_write_b128 v100, v[1:4]
	s_waitcnt lgkmcnt(0)
	s_waitcnt_vscnt null, 0x0
	s_barrier
	buffer_gl0_inv
	s_and_saveexec_b32 s8, s4
	s_cbranch_execz .LBB110_171
; %bb.164:
	ds_read_b128 v[1:4], v100
	s_andn2_b32 vcc_lo, exec_lo, s54
	s_cbranch_vccnz .LBB110_166
; %bb.165:
	s_clause 0x3
	buffer_load_dword v101, v99, s[0:3], 0 offen offset:8
	buffer_load_dword v102, v99, s[0:3], 0 offen offset:12
	buffer_load_dword v103, v99, s[0:3], 0 offen
	buffer_load_dword v104, v99, s[0:3], 0 offen offset:4
	s_waitcnt vmcnt(2) lgkmcnt(0)
	v_mul_f64 v[106:107], v[3:4], v[101:102]
	v_mul_f64 v[101:102], v[1:2], v[101:102]
	s_waitcnt vmcnt(0)
	v_fma_f64 v[1:2], v[1:2], v[103:104], -v[106:107]
	v_fma_f64 v[3:4], v[3:4], v[103:104], v[101:102]
.LBB110_166:
	s_and_saveexec_b32 s55, s5
	s_cbranch_execz .LBB110_170
; %bb.167:
	v_subrev_nc_u32_e32 v101, 26, v0
	s_movk_i32 s56, 0x490
	s_mov_b32 s5, 0
	s_mov_b32 s57, s27
	.p2align	6
.LBB110_168:                            ; =>This Inner Loop Header: Depth=1
	v_mov_b32_e32 v104, s57
	v_add_nc_u32_e32 v101, -1, v101
	s_add_i32 s57, s57, 16
	s_clause 0x3
	buffer_load_dword v102, v104, s[0:3], 0 offen offset:8
	buffer_load_dword v103, v104, s[0:3], 0 offen offset:12
	buffer_load_dword v110, v104, s[0:3], 0 offen
	buffer_load_dword v111, v104, s[0:3], 0 offen offset:4
	v_mov_b32_e32 v104, s56
	v_cmp_eq_u32_e32 vcc_lo, 0, v101
	s_add_i32 s56, s56, 16
	ds_read_b128 v[106:109], v104
	s_or_b32 s5, vcc_lo, s5
	s_waitcnt vmcnt(2) lgkmcnt(0)
	v_mul_f64 v[112:113], v[108:109], v[102:103]
	v_mul_f64 v[102:103], v[106:107], v[102:103]
	s_waitcnt vmcnt(0)
	v_fma_f64 v[106:107], v[106:107], v[110:111], -v[112:113]
	v_fma_f64 v[102:103], v[108:109], v[110:111], v[102:103]
	v_add_f64 v[1:2], v[1:2], v[106:107]
	v_add_f64 v[3:4], v[3:4], v[102:103]
	s_andn2_b32 exec_lo, exec_lo, s5
	s_cbranch_execnz .LBB110_168
; %bb.169:
	s_or_b32 exec_lo, exec_lo, s5
.LBB110_170:
	s_or_b32 exec_lo, exec_lo, s55
	v_mov_b32_e32 v101, 0
	ds_read_b128 v[101:104], v101 offset:400
	s_waitcnt lgkmcnt(0)
	v_mul_f64 v[106:107], v[3:4], v[103:104]
	v_mul_f64 v[103:104], v[1:2], v[103:104]
	v_fma_f64 v[1:2], v[1:2], v[101:102], -v[106:107]
	v_fma_f64 v[3:4], v[3:4], v[101:102], v[103:104]
	buffer_store_dword v2, off, s[0:3], 0 offset:404
	buffer_store_dword v1, off, s[0:3], 0 offset:400
	;; [unrolled: 1-line block ×4, first 2 shown]
.LBB110_171:
	s_or_b32 exec_lo, exec_lo, s8
	v_mov_b32_e32 v4, s29
	v_cmp_lt_u32_e64 s5, 24, v0
	s_clause 0x3
	buffer_load_dword v1, v4, s[0:3], 0 offen
	buffer_load_dword v2, v4, s[0:3], 0 offen offset:4
	buffer_load_dword v3, v4, s[0:3], 0 offen offset:8
	;; [unrolled: 1-line block ×3, first 2 shown]
	s_waitcnt vmcnt(0)
	ds_write_b128 v100, v[1:4]
	s_waitcnt lgkmcnt(0)
	s_waitcnt_vscnt null, 0x0
	s_barrier
	buffer_gl0_inv
	s_and_saveexec_b32 s8, s5
	s_cbranch_execz .LBB110_179
; %bb.172:
	ds_read_b128 v[1:4], v100
	s_andn2_b32 vcc_lo, exec_lo, s54
	s_cbranch_vccnz .LBB110_174
; %bb.173:
	s_clause 0x3
	buffer_load_dword v101, v99, s[0:3], 0 offen offset:8
	buffer_load_dword v102, v99, s[0:3], 0 offen offset:12
	buffer_load_dword v103, v99, s[0:3], 0 offen
	buffer_load_dword v104, v99, s[0:3], 0 offen offset:4
	s_waitcnt vmcnt(2) lgkmcnt(0)
	v_mul_f64 v[106:107], v[3:4], v[101:102]
	v_mul_f64 v[101:102], v[1:2], v[101:102]
	s_waitcnt vmcnt(0)
	v_fma_f64 v[1:2], v[1:2], v[103:104], -v[106:107]
	v_fma_f64 v[3:4], v[3:4], v[103:104], v[101:102]
.LBB110_174:
	s_and_saveexec_b32 s55, s4
	s_cbranch_execz .LBB110_178
; %bb.175:
	v_subrev_nc_u32_e32 v101, 25, v0
	s_movk_i32 s56, 0x480
	s_mov_b32 s4, 0
	s_mov_b32 s57, s28
	.p2align	6
.LBB110_176:                            ; =>This Inner Loop Header: Depth=1
	v_mov_b32_e32 v104, s57
	v_add_nc_u32_e32 v101, -1, v101
	s_add_i32 s57, s57, 16
	s_clause 0x3
	buffer_load_dword v102, v104, s[0:3], 0 offen offset:8
	buffer_load_dword v103, v104, s[0:3], 0 offen offset:12
	buffer_load_dword v110, v104, s[0:3], 0 offen
	buffer_load_dword v111, v104, s[0:3], 0 offen offset:4
	v_mov_b32_e32 v104, s56
	v_cmp_eq_u32_e32 vcc_lo, 0, v101
	s_add_i32 s56, s56, 16
	ds_read_b128 v[106:109], v104
	s_or_b32 s4, vcc_lo, s4
	s_waitcnt vmcnt(2) lgkmcnt(0)
	v_mul_f64 v[112:113], v[108:109], v[102:103]
	v_mul_f64 v[102:103], v[106:107], v[102:103]
	s_waitcnt vmcnt(0)
	v_fma_f64 v[106:107], v[106:107], v[110:111], -v[112:113]
	v_fma_f64 v[102:103], v[108:109], v[110:111], v[102:103]
	v_add_f64 v[1:2], v[1:2], v[106:107]
	v_add_f64 v[3:4], v[3:4], v[102:103]
	s_andn2_b32 exec_lo, exec_lo, s4
	s_cbranch_execnz .LBB110_176
; %bb.177:
	s_or_b32 exec_lo, exec_lo, s4
.LBB110_178:
	s_or_b32 exec_lo, exec_lo, s55
	v_mov_b32_e32 v101, 0
	ds_read_b128 v[101:104], v101 offset:384
	s_waitcnt lgkmcnt(0)
	v_mul_f64 v[106:107], v[3:4], v[103:104]
	v_mul_f64 v[103:104], v[1:2], v[103:104]
	v_fma_f64 v[1:2], v[1:2], v[101:102], -v[106:107]
	v_fma_f64 v[3:4], v[3:4], v[101:102], v[103:104]
	buffer_store_dword v2, off, s[0:3], 0 offset:388
	buffer_store_dword v1, off, s[0:3], 0 offset:384
	;; [unrolled: 1-line block ×4, first 2 shown]
.LBB110_179:
	s_or_b32 exec_lo, exec_lo, s8
	v_mov_b32_e32 v4, s30
	v_cmp_lt_u32_e64 s4, 23, v0
	s_clause 0x3
	buffer_load_dword v1, v4, s[0:3], 0 offen
	buffer_load_dword v2, v4, s[0:3], 0 offen offset:4
	buffer_load_dword v3, v4, s[0:3], 0 offen offset:8
	;; [unrolled: 1-line block ×3, first 2 shown]
	s_waitcnt vmcnt(0)
	ds_write_b128 v100, v[1:4]
	s_waitcnt lgkmcnt(0)
	s_waitcnt_vscnt null, 0x0
	s_barrier
	buffer_gl0_inv
	s_and_saveexec_b32 s8, s4
	s_cbranch_execz .LBB110_187
; %bb.180:
	ds_read_b128 v[1:4], v100
	s_andn2_b32 vcc_lo, exec_lo, s54
	s_cbranch_vccnz .LBB110_182
; %bb.181:
	s_clause 0x3
	buffer_load_dword v101, v99, s[0:3], 0 offen offset:8
	buffer_load_dword v102, v99, s[0:3], 0 offen offset:12
	buffer_load_dword v103, v99, s[0:3], 0 offen
	buffer_load_dword v104, v99, s[0:3], 0 offen offset:4
	s_waitcnt vmcnt(2) lgkmcnt(0)
	v_mul_f64 v[106:107], v[3:4], v[101:102]
	v_mul_f64 v[101:102], v[1:2], v[101:102]
	s_waitcnt vmcnt(0)
	v_fma_f64 v[1:2], v[1:2], v[103:104], -v[106:107]
	v_fma_f64 v[3:4], v[3:4], v[103:104], v[101:102]
.LBB110_182:
	s_and_saveexec_b32 s55, s5
	s_cbranch_execz .LBB110_186
; %bb.183:
	v_subrev_nc_u32_e32 v101, 24, v0
	s_movk_i32 s56, 0x470
	s_mov_b32 s5, 0
	s_mov_b32 s57, s29
	.p2align	6
.LBB110_184:                            ; =>This Inner Loop Header: Depth=1
	v_mov_b32_e32 v104, s57
	v_add_nc_u32_e32 v101, -1, v101
	s_add_i32 s57, s57, 16
	s_clause 0x3
	buffer_load_dword v102, v104, s[0:3], 0 offen offset:8
	buffer_load_dword v103, v104, s[0:3], 0 offen offset:12
	buffer_load_dword v110, v104, s[0:3], 0 offen
	buffer_load_dword v111, v104, s[0:3], 0 offen offset:4
	v_mov_b32_e32 v104, s56
	v_cmp_eq_u32_e32 vcc_lo, 0, v101
	s_add_i32 s56, s56, 16
	ds_read_b128 v[106:109], v104
	s_or_b32 s5, vcc_lo, s5
	s_waitcnt vmcnt(2) lgkmcnt(0)
	v_mul_f64 v[112:113], v[108:109], v[102:103]
	v_mul_f64 v[102:103], v[106:107], v[102:103]
	s_waitcnt vmcnt(0)
	v_fma_f64 v[106:107], v[106:107], v[110:111], -v[112:113]
	v_fma_f64 v[102:103], v[108:109], v[110:111], v[102:103]
	v_add_f64 v[1:2], v[1:2], v[106:107]
	v_add_f64 v[3:4], v[3:4], v[102:103]
	s_andn2_b32 exec_lo, exec_lo, s5
	s_cbranch_execnz .LBB110_184
; %bb.185:
	s_or_b32 exec_lo, exec_lo, s5
.LBB110_186:
	s_or_b32 exec_lo, exec_lo, s55
	v_mov_b32_e32 v101, 0
	ds_read_b128 v[101:104], v101 offset:368
	s_waitcnt lgkmcnt(0)
	v_mul_f64 v[106:107], v[3:4], v[103:104]
	v_mul_f64 v[103:104], v[1:2], v[103:104]
	v_fma_f64 v[1:2], v[1:2], v[101:102], -v[106:107]
	v_fma_f64 v[3:4], v[3:4], v[101:102], v[103:104]
	buffer_store_dword v2, off, s[0:3], 0 offset:372
	buffer_store_dword v1, off, s[0:3], 0 offset:368
	;; [unrolled: 1-line block ×4, first 2 shown]
.LBB110_187:
	s_or_b32 exec_lo, exec_lo, s8
	v_mov_b32_e32 v4, s31
	v_cmp_lt_u32_e64 s5, 22, v0
	s_clause 0x3
	buffer_load_dword v1, v4, s[0:3], 0 offen
	buffer_load_dword v2, v4, s[0:3], 0 offen offset:4
	buffer_load_dword v3, v4, s[0:3], 0 offen offset:8
	;; [unrolled: 1-line block ×3, first 2 shown]
	s_waitcnt vmcnt(0)
	ds_write_b128 v100, v[1:4]
	s_waitcnt lgkmcnt(0)
	s_waitcnt_vscnt null, 0x0
	s_barrier
	buffer_gl0_inv
	s_and_saveexec_b32 s8, s5
	s_cbranch_execz .LBB110_195
; %bb.188:
	ds_read_b128 v[1:4], v100
	s_andn2_b32 vcc_lo, exec_lo, s54
	s_cbranch_vccnz .LBB110_190
; %bb.189:
	s_clause 0x3
	buffer_load_dword v101, v99, s[0:3], 0 offen offset:8
	buffer_load_dword v102, v99, s[0:3], 0 offen offset:12
	buffer_load_dword v103, v99, s[0:3], 0 offen
	buffer_load_dword v104, v99, s[0:3], 0 offen offset:4
	s_waitcnt vmcnt(2) lgkmcnt(0)
	v_mul_f64 v[106:107], v[3:4], v[101:102]
	v_mul_f64 v[101:102], v[1:2], v[101:102]
	s_waitcnt vmcnt(0)
	v_fma_f64 v[1:2], v[1:2], v[103:104], -v[106:107]
	v_fma_f64 v[3:4], v[3:4], v[103:104], v[101:102]
.LBB110_190:
	s_and_saveexec_b32 s55, s4
	s_cbranch_execz .LBB110_194
; %bb.191:
	v_subrev_nc_u32_e32 v101, 23, v0
	s_movk_i32 s56, 0x460
	s_mov_b32 s4, 0
	s_mov_b32 s57, s30
	.p2align	6
.LBB110_192:                            ; =>This Inner Loop Header: Depth=1
	v_mov_b32_e32 v104, s57
	v_add_nc_u32_e32 v101, -1, v101
	s_add_i32 s57, s57, 16
	s_clause 0x3
	buffer_load_dword v102, v104, s[0:3], 0 offen offset:8
	buffer_load_dword v103, v104, s[0:3], 0 offen offset:12
	buffer_load_dword v110, v104, s[0:3], 0 offen
	buffer_load_dword v111, v104, s[0:3], 0 offen offset:4
	v_mov_b32_e32 v104, s56
	v_cmp_eq_u32_e32 vcc_lo, 0, v101
	s_add_i32 s56, s56, 16
	ds_read_b128 v[106:109], v104
	s_or_b32 s4, vcc_lo, s4
	s_waitcnt vmcnt(2) lgkmcnt(0)
	v_mul_f64 v[112:113], v[108:109], v[102:103]
	v_mul_f64 v[102:103], v[106:107], v[102:103]
	s_waitcnt vmcnt(0)
	v_fma_f64 v[106:107], v[106:107], v[110:111], -v[112:113]
	v_fma_f64 v[102:103], v[108:109], v[110:111], v[102:103]
	v_add_f64 v[1:2], v[1:2], v[106:107]
	v_add_f64 v[3:4], v[3:4], v[102:103]
	s_andn2_b32 exec_lo, exec_lo, s4
	s_cbranch_execnz .LBB110_192
; %bb.193:
	s_or_b32 exec_lo, exec_lo, s4
.LBB110_194:
	s_or_b32 exec_lo, exec_lo, s55
	v_mov_b32_e32 v101, 0
	ds_read_b128 v[101:104], v101 offset:352
	s_waitcnt lgkmcnt(0)
	v_mul_f64 v[106:107], v[3:4], v[103:104]
	v_mul_f64 v[103:104], v[1:2], v[103:104]
	v_fma_f64 v[1:2], v[1:2], v[101:102], -v[106:107]
	v_fma_f64 v[3:4], v[3:4], v[101:102], v[103:104]
	buffer_store_dword v2, off, s[0:3], 0 offset:356
	buffer_store_dword v1, off, s[0:3], 0 offset:352
	buffer_store_dword v4, off, s[0:3], 0 offset:364
	buffer_store_dword v3, off, s[0:3], 0 offset:360
.LBB110_195:
	s_or_b32 exec_lo, exec_lo, s8
	v_mov_b32_e32 v4, s33
	v_cmp_lt_u32_e64 s4, 21, v0
	s_clause 0x3
	buffer_load_dword v1, v4, s[0:3], 0 offen
	buffer_load_dword v2, v4, s[0:3], 0 offen offset:4
	buffer_load_dword v3, v4, s[0:3], 0 offen offset:8
	;; [unrolled: 1-line block ×3, first 2 shown]
	s_waitcnt vmcnt(0)
	ds_write_b128 v100, v[1:4]
	s_waitcnt lgkmcnt(0)
	s_waitcnt_vscnt null, 0x0
	s_barrier
	buffer_gl0_inv
	s_and_saveexec_b32 s8, s4
	s_cbranch_execz .LBB110_203
; %bb.196:
	ds_read_b128 v[1:4], v100
	s_andn2_b32 vcc_lo, exec_lo, s54
	s_cbranch_vccnz .LBB110_198
; %bb.197:
	s_clause 0x3
	buffer_load_dword v101, v99, s[0:3], 0 offen offset:8
	buffer_load_dword v102, v99, s[0:3], 0 offen offset:12
	buffer_load_dword v103, v99, s[0:3], 0 offen
	buffer_load_dword v104, v99, s[0:3], 0 offen offset:4
	s_waitcnt vmcnt(2) lgkmcnt(0)
	v_mul_f64 v[106:107], v[3:4], v[101:102]
	v_mul_f64 v[101:102], v[1:2], v[101:102]
	s_waitcnt vmcnt(0)
	v_fma_f64 v[1:2], v[1:2], v[103:104], -v[106:107]
	v_fma_f64 v[3:4], v[3:4], v[103:104], v[101:102]
.LBB110_198:
	s_and_saveexec_b32 s55, s5
	s_cbranch_execz .LBB110_202
; %bb.199:
	v_subrev_nc_u32_e32 v101, 22, v0
	s_movk_i32 s56, 0x450
	s_mov_b32 s5, 0
	s_mov_b32 s57, s31
	.p2align	6
.LBB110_200:                            ; =>This Inner Loop Header: Depth=1
	v_mov_b32_e32 v104, s57
	v_add_nc_u32_e32 v101, -1, v101
	s_add_i32 s57, s57, 16
	s_clause 0x3
	buffer_load_dword v102, v104, s[0:3], 0 offen offset:8
	buffer_load_dword v103, v104, s[0:3], 0 offen offset:12
	buffer_load_dword v110, v104, s[0:3], 0 offen
	buffer_load_dword v111, v104, s[0:3], 0 offen offset:4
	v_mov_b32_e32 v104, s56
	v_cmp_eq_u32_e32 vcc_lo, 0, v101
	s_add_i32 s56, s56, 16
	ds_read_b128 v[106:109], v104
	s_or_b32 s5, vcc_lo, s5
	s_waitcnt vmcnt(2) lgkmcnt(0)
	v_mul_f64 v[112:113], v[108:109], v[102:103]
	v_mul_f64 v[102:103], v[106:107], v[102:103]
	s_waitcnt vmcnt(0)
	v_fma_f64 v[106:107], v[106:107], v[110:111], -v[112:113]
	v_fma_f64 v[102:103], v[108:109], v[110:111], v[102:103]
	v_add_f64 v[1:2], v[1:2], v[106:107]
	v_add_f64 v[3:4], v[3:4], v[102:103]
	s_andn2_b32 exec_lo, exec_lo, s5
	s_cbranch_execnz .LBB110_200
; %bb.201:
	s_or_b32 exec_lo, exec_lo, s5
.LBB110_202:
	s_or_b32 exec_lo, exec_lo, s55
	v_mov_b32_e32 v101, 0
	ds_read_b128 v[101:104], v101 offset:336
	s_waitcnt lgkmcnt(0)
	v_mul_f64 v[106:107], v[3:4], v[103:104]
	v_mul_f64 v[103:104], v[1:2], v[103:104]
	v_fma_f64 v[1:2], v[1:2], v[101:102], -v[106:107]
	v_fma_f64 v[3:4], v[3:4], v[101:102], v[103:104]
	buffer_store_dword v2, off, s[0:3], 0 offset:340
	buffer_store_dword v1, off, s[0:3], 0 offset:336
	;; [unrolled: 1-line block ×4, first 2 shown]
.LBB110_203:
	s_or_b32 exec_lo, exec_lo, s8
	v_mov_b32_e32 v4, s34
	v_cmp_lt_u32_e64 s5, 20, v0
	s_clause 0x3
	buffer_load_dword v1, v4, s[0:3], 0 offen
	buffer_load_dword v2, v4, s[0:3], 0 offen offset:4
	buffer_load_dword v3, v4, s[0:3], 0 offen offset:8
	;; [unrolled: 1-line block ×3, first 2 shown]
	s_waitcnt vmcnt(0)
	ds_write_b128 v100, v[1:4]
	s_waitcnt lgkmcnt(0)
	s_waitcnt_vscnt null, 0x0
	s_barrier
	buffer_gl0_inv
	s_and_saveexec_b32 s8, s5
	s_cbranch_execz .LBB110_211
; %bb.204:
	ds_read_b128 v[1:4], v100
	s_andn2_b32 vcc_lo, exec_lo, s54
	s_cbranch_vccnz .LBB110_206
; %bb.205:
	s_clause 0x3
	buffer_load_dword v101, v99, s[0:3], 0 offen offset:8
	buffer_load_dword v102, v99, s[0:3], 0 offen offset:12
	buffer_load_dword v103, v99, s[0:3], 0 offen
	buffer_load_dword v104, v99, s[0:3], 0 offen offset:4
	s_waitcnt vmcnt(2) lgkmcnt(0)
	v_mul_f64 v[106:107], v[3:4], v[101:102]
	v_mul_f64 v[101:102], v[1:2], v[101:102]
	s_waitcnt vmcnt(0)
	v_fma_f64 v[1:2], v[1:2], v[103:104], -v[106:107]
	v_fma_f64 v[3:4], v[3:4], v[103:104], v[101:102]
.LBB110_206:
	s_and_saveexec_b32 s55, s4
	s_cbranch_execz .LBB110_210
; %bb.207:
	v_subrev_nc_u32_e32 v101, 21, v0
	s_movk_i32 s56, 0x440
	s_mov_b32 s4, 0
	s_mov_b32 s57, s33
	.p2align	6
.LBB110_208:                            ; =>This Inner Loop Header: Depth=1
	v_mov_b32_e32 v104, s57
	v_add_nc_u32_e32 v101, -1, v101
	s_add_i32 s57, s57, 16
	s_clause 0x3
	buffer_load_dword v102, v104, s[0:3], 0 offen offset:8
	buffer_load_dword v103, v104, s[0:3], 0 offen offset:12
	buffer_load_dword v110, v104, s[0:3], 0 offen
	buffer_load_dword v111, v104, s[0:3], 0 offen offset:4
	v_mov_b32_e32 v104, s56
	v_cmp_eq_u32_e32 vcc_lo, 0, v101
	s_add_i32 s56, s56, 16
	ds_read_b128 v[106:109], v104
	s_or_b32 s4, vcc_lo, s4
	s_waitcnt vmcnt(2) lgkmcnt(0)
	v_mul_f64 v[112:113], v[108:109], v[102:103]
	v_mul_f64 v[102:103], v[106:107], v[102:103]
	s_waitcnt vmcnt(0)
	v_fma_f64 v[106:107], v[106:107], v[110:111], -v[112:113]
	v_fma_f64 v[102:103], v[108:109], v[110:111], v[102:103]
	v_add_f64 v[1:2], v[1:2], v[106:107]
	v_add_f64 v[3:4], v[3:4], v[102:103]
	s_andn2_b32 exec_lo, exec_lo, s4
	s_cbranch_execnz .LBB110_208
; %bb.209:
	s_or_b32 exec_lo, exec_lo, s4
.LBB110_210:
	s_or_b32 exec_lo, exec_lo, s55
	v_mov_b32_e32 v101, 0
	ds_read_b128 v[101:104], v101 offset:320
	s_waitcnt lgkmcnt(0)
	v_mul_f64 v[106:107], v[3:4], v[103:104]
	v_mul_f64 v[103:104], v[1:2], v[103:104]
	v_fma_f64 v[1:2], v[1:2], v[101:102], -v[106:107]
	v_fma_f64 v[3:4], v[3:4], v[101:102], v[103:104]
	buffer_store_dword v2, off, s[0:3], 0 offset:324
	buffer_store_dword v1, off, s[0:3], 0 offset:320
	;; [unrolled: 1-line block ×4, first 2 shown]
.LBB110_211:
	s_or_b32 exec_lo, exec_lo, s8
	v_mov_b32_e32 v4, s35
	v_cmp_lt_u32_e64 s4, 19, v0
	s_clause 0x3
	buffer_load_dword v1, v4, s[0:3], 0 offen
	buffer_load_dword v2, v4, s[0:3], 0 offen offset:4
	buffer_load_dword v3, v4, s[0:3], 0 offen offset:8
	;; [unrolled: 1-line block ×3, first 2 shown]
	s_waitcnt vmcnt(0)
	ds_write_b128 v100, v[1:4]
	s_waitcnt lgkmcnt(0)
	s_waitcnt_vscnt null, 0x0
	s_barrier
	buffer_gl0_inv
	s_and_saveexec_b32 s8, s4
	s_cbranch_execz .LBB110_219
; %bb.212:
	ds_read_b128 v[1:4], v100
	s_andn2_b32 vcc_lo, exec_lo, s54
	s_cbranch_vccnz .LBB110_214
; %bb.213:
	s_clause 0x3
	buffer_load_dword v101, v99, s[0:3], 0 offen offset:8
	buffer_load_dword v102, v99, s[0:3], 0 offen offset:12
	buffer_load_dword v103, v99, s[0:3], 0 offen
	buffer_load_dword v104, v99, s[0:3], 0 offen offset:4
	s_waitcnt vmcnt(2) lgkmcnt(0)
	v_mul_f64 v[106:107], v[3:4], v[101:102]
	v_mul_f64 v[101:102], v[1:2], v[101:102]
	s_waitcnt vmcnt(0)
	v_fma_f64 v[1:2], v[1:2], v[103:104], -v[106:107]
	v_fma_f64 v[3:4], v[3:4], v[103:104], v[101:102]
.LBB110_214:
	s_and_saveexec_b32 s55, s5
	s_cbranch_execz .LBB110_218
; %bb.215:
	v_subrev_nc_u32_e32 v101, 20, v0
	s_movk_i32 s56, 0x430
	s_mov_b32 s5, 0
	s_mov_b32 s57, s34
	.p2align	6
.LBB110_216:                            ; =>This Inner Loop Header: Depth=1
	v_mov_b32_e32 v104, s57
	v_add_nc_u32_e32 v101, -1, v101
	s_add_i32 s57, s57, 16
	s_clause 0x3
	buffer_load_dword v102, v104, s[0:3], 0 offen offset:8
	buffer_load_dword v103, v104, s[0:3], 0 offen offset:12
	buffer_load_dword v110, v104, s[0:3], 0 offen
	buffer_load_dword v111, v104, s[0:3], 0 offen offset:4
	v_mov_b32_e32 v104, s56
	v_cmp_eq_u32_e32 vcc_lo, 0, v101
	s_add_i32 s56, s56, 16
	ds_read_b128 v[106:109], v104
	s_or_b32 s5, vcc_lo, s5
	s_waitcnt vmcnt(2) lgkmcnt(0)
	v_mul_f64 v[112:113], v[108:109], v[102:103]
	v_mul_f64 v[102:103], v[106:107], v[102:103]
	s_waitcnt vmcnt(0)
	v_fma_f64 v[106:107], v[106:107], v[110:111], -v[112:113]
	v_fma_f64 v[102:103], v[108:109], v[110:111], v[102:103]
	v_add_f64 v[1:2], v[1:2], v[106:107]
	v_add_f64 v[3:4], v[3:4], v[102:103]
	s_andn2_b32 exec_lo, exec_lo, s5
	s_cbranch_execnz .LBB110_216
; %bb.217:
	s_or_b32 exec_lo, exec_lo, s5
.LBB110_218:
	s_or_b32 exec_lo, exec_lo, s55
	v_mov_b32_e32 v101, 0
	ds_read_b128 v[101:104], v101 offset:304
	s_waitcnt lgkmcnt(0)
	v_mul_f64 v[106:107], v[3:4], v[103:104]
	v_mul_f64 v[103:104], v[1:2], v[103:104]
	v_fma_f64 v[1:2], v[1:2], v[101:102], -v[106:107]
	v_fma_f64 v[3:4], v[3:4], v[101:102], v[103:104]
	buffer_store_dword v2, off, s[0:3], 0 offset:308
	buffer_store_dword v1, off, s[0:3], 0 offset:304
	;; [unrolled: 1-line block ×4, first 2 shown]
.LBB110_219:
	s_or_b32 exec_lo, exec_lo, s8
	v_mov_b32_e32 v4, s36
	v_cmp_lt_u32_e64 s5, 18, v0
	s_clause 0x3
	buffer_load_dword v1, v4, s[0:3], 0 offen
	buffer_load_dword v2, v4, s[0:3], 0 offen offset:4
	buffer_load_dword v3, v4, s[0:3], 0 offen offset:8
	;; [unrolled: 1-line block ×3, first 2 shown]
	s_waitcnt vmcnt(0)
	ds_write_b128 v100, v[1:4]
	s_waitcnt lgkmcnt(0)
	s_waitcnt_vscnt null, 0x0
	s_barrier
	buffer_gl0_inv
	s_and_saveexec_b32 s8, s5
	s_cbranch_execz .LBB110_227
; %bb.220:
	ds_read_b128 v[1:4], v100
	s_andn2_b32 vcc_lo, exec_lo, s54
	s_cbranch_vccnz .LBB110_222
; %bb.221:
	s_clause 0x3
	buffer_load_dword v101, v99, s[0:3], 0 offen offset:8
	buffer_load_dword v102, v99, s[0:3], 0 offen offset:12
	buffer_load_dword v103, v99, s[0:3], 0 offen
	buffer_load_dword v104, v99, s[0:3], 0 offen offset:4
	s_waitcnt vmcnt(2) lgkmcnt(0)
	v_mul_f64 v[106:107], v[3:4], v[101:102]
	v_mul_f64 v[101:102], v[1:2], v[101:102]
	s_waitcnt vmcnt(0)
	v_fma_f64 v[1:2], v[1:2], v[103:104], -v[106:107]
	v_fma_f64 v[3:4], v[3:4], v[103:104], v[101:102]
.LBB110_222:
	s_and_saveexec_b32 s55, s4
	s_cbranch_execz .LBB110_226
; %bb.223:
	v_subrev_nc_u32_e32 v101, 19, v0
	s_movk_i32 s56, 0x420
	s_mov_b32 s4, 0
	s_mov_b32 s57, s35
	.p2align	6
.LBB110_224:                            ; =>This Inner Loop Header: Depth=1
	v_mov_b32_e32 v104, s57
	v_add_nc_u32_e32 v101, -1, v101
	s_add_i32 s57, s57, 16
	s_clause 0x3
	buffer_load_dword v102, v104, s[0:3], 0 offen offset:8
	buffer_load_dword v103, v104, s[0:3], 0 offen offset:12
	buffer_load_dword v110, v104, s[0:3], 0 offen
	buffer_load_dword v111, v104, s[0:3], 0 offen offset:4
	v_mov_b32_e32 v104, s56
	v_cmp_eq_u32_e32 vcc_lo, 0, v101
	s_add_i32 s56, s56, 16
	ds_read_b128 v[106:109], v104
	s_or_b32 s4, vcc_lo, s4
	s_waitcnt vmcnt(2) lgkmcnt(0)
	v_mul_f64 v[112:113], v[108:109], v[102:103]
	v_mul_f64 v[102:103], v[106:107], v[102:103]
	s_waitcnt vmcnt(0)
	v_fma_f64 v[106:107], v[106:107], v[110:111], -v[112:113]
	v_fma_f64 v[102:103], v[108:109], v[110:111], v[102:103]
	v_add_f64 v[1:2], v[1:2], v[106:107]
	v_add_f64 v[3:4], v[3:4], v[102:103]
	s_andn2_b32 exec_lo, exec_lo, s4
	s_cbranch_execnz .LBB110_224
; %bb.225:
	s_or_b32 exec_lo, exec_lo, s4
.LBB110_226:
	s_or_b32 exec_lo, exec_lo, s55
	v_mov_b32_e32 v101, 0
	ds_read_b128 v[101:104], v101 offset:288
	s_waitcnt lgkmcnt(0)
	v_mul_f64 v[106:107], v[3:4], v[103:104]
	v_mul_f64 v[103:104], v[1:2], v[103:104]
	v_fma_f64 v[1:2], v[1:2], v[101:102], -v[106:107]
	v_fma_f64 v[3:4], v[3:4], v[101:102], v[103:104]
	buffer_store_dword v2, off, s[0:3], 0 offset:292
	buffer_store_dword v1, off, s[0:3], 0 offset:288
	;; [unrolled: 1-line block ×4, first 2 shown]
.LBB110_227:
	s_or_b32 exec_lo, exec_lo, s8
	v_mov_b32_e32 v4, s37
	v_cmp_lt_u32_e64 s4, 17, v0
	s_clause 0x3
	buffer_load_dword v1, v4, s[0:3], 0 offen
	buffer_load_dword v2, v4, s[0:3], 0 offen offset:4
	buffer_load_dword v3, v4, s[0:3], 0 offen offset:8
	;; [unrolled: 1-line block ×3, first 2 shown]
	s_waitcnt vmcnt(0)
	ds_write_b128 v100, v[1:4]
	s_waitcnt lgkmcnt(0)
	s_waitcnt_vscnt null, 0x0
	s_barrier
	buffer_gl0_inv
	s_and_saveexec_b32 s8, s4
	s_cbranch_execz .LBB110_235
; %bb.228:
	ds_read_b128 v[1:4], v100
	s_andn2_b32 vcc_lo, exec_lo, s54
	s_cbranch_vccnz .LBB110_230
; %bb.229:
	s_clause 0x3
	buffer_load_dword v101, v99, s[0:3], 0 offen offset:8
	buffer_load_dword v102, v99, s[0:3], 0 offen offset:12
	buffer_load_dword v103, v99, s[0:3], 0 offen
	buffer_load_dword v104, v99, s[0:3], 0 offen offset:4
	s_waitcnt vmcnt(2) lgkmcnt(0)
	v_mul_f64 v[106:107], v[3:4], v[101:102]
	v_mul_f64 v[101:102], v[1:2], v[101:102]
	s_waitcnt vmcnt(0)
	v_fma_f64 v[1:2], v[1:2], v[103:104], -v[106:107]
	v_fma_f64 v[3:4], v[3:4], v[103:104], v[101:102]
.LBB110_230:
	s_and_saveexec_b32 s55, s5
	s_cbranch_execz .LBB110_234
; %bb.231:
	v_subrev_nc_u32_e32 v101, 18, v0
	s_movk_i32 s56, 0x410
	s_mov_b32 s5, 0
	s_mov_b32 s57, s36
	.p2align	6
.LBB110_232:                            ; =>This Inner Loop Header: Depth=1
	v_mov_b32_e32 v104, s57
	v_add_nc_u32_e32 v101, -1, v101
	s_add_i32 s57, s57, 16
	s_clause 0x3
	buffer_load_dword v102, v104, s[0:3], 0 offen offset:8
	buffer_load_dword v103, v104, s[0:3], 0 offen offset:12
	buffer_load_dword v110, v104, s[0:3], 0 offen
	buffer_load_dword v111, v104, s[0:3], 0 offen offset:4
	v_mov_b32_e32 v104, s56
	v_cmp_eq_u32_e32 vcc_lo, 0, v101
	s_add_i32 s56, s56, 16
	ds_read_b128 v[106:109], v104
	s_or_b32 s5, vcc_lo, s5
	s_waitcnt vmcnt(2) lgkmcnt(0)
	v_mul_f64 v[112:113], v[108:109], v[102:103]
	v_mul_f64 v[102:103], v[106:107], v[102:103]
	s_waitcnt vmcnt(0)
	v_fma_f64 v[106:107], v[106:107], v[110:111], -v[112:113]
	v_fma_f64 v[102:103], v[108:109], v[110:111], v[102:103]
	v_add_f64 v[1:2], v[1:2], v[106:107]
	v_add_f64 v[3:4], v[3:4], v[102:103]
	s_andn2_b32 exec_lo, exec_lo, s5
	s_cbranch_execnz .LBB110_232
; %bb.233:
	s_or_b32 exec_lo, exec_lo, s5
.LBB110_234:
	s_or_b32 exec_lo, exec_lo, s55
	v_mov_b32_e32 v101, 0
	ds_read_b128 v[101:104], v101 offset:272
	s_waitcnt lgkmcnt(0)
	v_mul_f64 v[106:107], v[3:4], v[103:104]
	v_mul_f64 v[103:104], v[1:2], v[103:104]
	v_fma_f64 v[1:2], v[1:2], v[101:102], -v[106:107]
	v_fma_f64 v[3:4], v[3:4], v[101:102], v[103:104]
	buffer_store_dword v2, off, s[0:3], 0 offset:276
	buffer_store_dword v1, off, s[0:3], 0 offset:272
	;; [unrolled: 1-line block ×4, first 2 shown]
.LBB110_235:
	s_or_b32 exec_lo, exec_lo, s8
	v_mov_b32_e32 v4, s38
	v_cmp_lt_u32_e64 s5, 16, v0
	s_clause 0x3
	buffer_load_dword v1, v4, s[0:3], 0 offen
	buffer_load_dword v2, v4, s[0:3], 0 offen offset:4
	buffer_load_dword v3, v4, s[0:3], 0 offen offset:8
	;; [unrolled: 1-line block ×3, first 2 shown]
	s_waitcnt vmcnt(0)
	ds_write_b128 v100, v[1:4]
	s_waitcnt lgkmcnt(0)
	s_waitcnt_vscnt null, 0x0
	s_barrier
	buffer_gl0_inv
	s_and_saveexec_b32 s8, s5
	s_cbranch_execz .LBB110_243
; %bb.236:
	ds_read_b128 v[1:4], v100
	s_andn2_b32 vcc_lo, exec_lo, s54
	s_cbranch_vccnz .LBB110_238
; %bb.237:
	s_clause 0x3
	buffer_load_dword v101, v99, s[0:3], 0 offen offset:8
	buffer_load_dword v102, v99, s[0:3], 0 offen offset:12
	buffer_load_dword v103, v99, s[0:3], 0 offen
	buffer_load_dword v104, v99, s[0:3], 0 offen offset:4
	s_waitcnt vmcnt(2) lgkmcnt(0)
	v_mul_f64 v[106:107], v[3:4], v[101:102]
	v_mul_f64 v[101:102], v[1:2], v[101:102]
	s_waitcnt vmcnt(0)
	v_fma_f64 v[1:2], v[1:2], v[103:104], -v[106:107]
	v_fma_f64 v[3:4], v[3:4], v[103:104], v[101:102]
.LBB110_238:
	s_and_saveexec_b32 s55, s4
	s_cbranch_execz .LBB110_242
; %bb.239:
	v_subrev_nc_u32_e32 v101, 17, v0
	s_movk_i32 s56, 0x400
	s_mov_b32 s4, 0
	s_mov_b32 s57, s37
	.p2align	6
.LBB110_240:                            ; =>This Inner Loop Header: Depth=1
	v_mov_b32_e32 v104, s57
	v_add_nc_u32_e32 v101, -1, v101
	s_add_i32 s57, s57, 16
	s_clause 0x3
	buffer_load_dword v102, v104, s[0:3], 0 offen offset:8
	buffer_load_dword v103, v104, s[0:3], 0 offen offset:12
	buffer_load_dword v110, v104, s[0:3], 0 offen
	buffer_load_dword v111, v104, s[0:3], 0 offen offset:4
	v_mov_b32_e32 v104, s56
	v_cmp_eq_u32_e32 vcc_lo, 0, v101
	s_add_i32 s56, s56, 16
	ds_read_b128 v[106:109], v104
	s_or_b32 s4, vcc_lo, s4
	s_waitcnt vmcnt(2) lgkmcnt(0)
	v_mul_f64 v[112:113], v[108:109], v[102:103]
	v_mul_f64 v[102:103], v[106:107], v[102:103]
	s_waitcnt vmcnt(0)
	v_fma_f64 v[106:107], v[106:107], v[110:111], -v[112:113]
	v_fma_f64 v[102:103], v[108:109], v[110:111], v[102:103]
	v_add_f64 v[1:2], v[1:2], v[106:107]
	v_add_f64 v[3:4], v[3:4], v[102:103]
	s_andn2_b32 exec_lo, exec_lo, s4
	s_cbranch_execnz .LBB110_240
; %bb.241:
	s_or_b32 exec_lo, exec_lo, s4
.LBB110_242:
	s_or_b32 exec_lo, exec_lo, s55
	v_mov_b32_e32 v101, 0
	ds_read_b128 v[101:104], v101 offset:256
	s_waitcnt lgkmcnt(0)
	v_mul_f64 v[106:107], v[3:4], v[103:104]
	v_mul_f64 v[103:104], v[1:2], v[103:104]
	v_fma_f64 v[1:2], v[1:2], v[101:102], -v[106:107]
	v_fma_f64 v[3:4], v[3:4], v[101:102], v[103:104]
	buffer_store_dword v2, off, s[0:3], 0 offset:260
	buffer_store_dword v1, off, s[0:3], 0 offset:256
	;; [unrolled: 1-line block ×4, first 2 shown]
.LBB110_243:
	s_or_b32 exec_lo, exec_lo, s8
	v_mov_b32_e32 v4, s39
	v_cmp_lt_u32_e64 s4, 15, v0
	s_clause 0x3
	buffer_load_dword v1, v4, s[0:3], 0 offen
	buffer_load_dword v2, v4, s[0:3], 0 offen offset:4
	buffer_load_dword v3, v4, s[0:3], 0 offen offset:8
	buffer_load_dword v4, v4, s[0:3], 0 offen offset:12
	s_waitcnt vmcnt(0)
	ds_write_b128 v100, v[1:4]
	s_waitcnt lgkmcnt(0)
	s_waitcnt_vscnt null, 0x0
	s_barrier
	buffer_gl0_inv
	s_and_saveexec_b32 s8, s4
	s_cbranch_execz .LBB110_251
; %bb.244:
	ds_read_b128 v[1:4], v100
	s_andn2_b32 vcc_lo, exec_lo, s54
	s_cbranch_vccnz .LBB110_246
; %bb.245:
	s_clause 0x3
	buffer_load_dword v101, v99, s[0:3], 0 offen offset:8
	buffer_load_dword v102, v99, s[0:3], 0 offen offset:12
	buffer_load_dword v103, v99, s[0:3], 0 offen
	buffer_load_dword v104, v99, s[0:3], 0 offen offset:4
	s_waitcnt vmcnt(2) lgkmcnt(0)
	v_mul_f64 v[106:107], v[3:4], v[101:102]
	v_mul_f64 v[101:102], v[1:2], v[101:102]
	s_waitcnt vmcnt(0)
	v_fma_f64 v[1:2], v[1:2], v[103:104], -v[106:107]
	v_fma_f64 v[3:4], v[3:4], v[103:104], v[101:102]
.LBB110_246:
	s_and_saveexec_b32 s55, s5
	s_cbranch_execz .LBB110_250
; %bb.247:
	v_add_nc_u32_e32 v101, -16, v0
	s_movk_i32 s56, 0x3f0
	s_mov_b32 s5, 0
	s_mov_b32 s57, s38
	.p2align	6
.LBB110_248:                            ; =>This Inner Loop Header: Depth=1
	v_mov_b32_e32 v104, s57
	v_add_nc_u32_e32 v101, -1, v101
	s_add_i32 s57, s57, 16
	s_clause 0x3
	buffer_load_dword v102, v104, s[0:3], 0 offen offset:8
	buffer_load_dword v103, v104, s[0:3], 0 offen offset:12
	buffer_load_dword v110, v104, s[0:3], 0 offen
	buffer_load_dword v111, v104, s[0:3], 0 offen offset:4
	v_mov_b32_e32 v104, s56
	v_cmp_eq_u32_e32 vcc_lo, 0, v101
	s_add_i32 s56, s56, 16
	ds_read_b128 v[106:109], v104
	s_or_b32 s5, vcc_lo, s5
	s_waitcnt vmcnt(2) lgkmcnt(0)
	v_mul_f64 v[112:113], v[108:109], v[102:103]
	v_mul_f64 v[102:103], v[106:107], v[102:103]
	s_waitcnt vmcnt(0)
	v_fma_f64 v[106:107], v[106:107], v[110:111], -v[112:113]
	v_fma_f64 v[102:103], v[108:109], v[110:111], v[102:103]
	v_add_f64 v[1:2], v[1:2], v[106:107]
	v_add_f64 v[3:4], v[3:4], v[102:103]
	s_andn2_b32 exec_lo, exec_lo, s5
	s_cbranch_execnz .LBB110_248
; %bb.249:
	s_or_b32 exec_lo, exec_lo, s5
.LBB110_250:
	s_or_b32 exec_lo, exec_lo, s55
	v_mov_b32_e32 v101, 0
	ds_read_b128 v[101:104], v101 offset:240
	s_waitcnt lgkmcnt(0)
	v_mul_f64 v[106:107], v[3:4], v[103:104]
	v_mul_f64 v[103:104], v[1:2], v[103:104]
	v_fma_f64 v[1:2], v[1:2], v[101:102], -v[106:107]
	v_fma_f64 v[3:4], v[3:4], v[101:102], v[103:104]
	buffer_store_dword v2, off, s[0:3], 0 offset:244
	buffer_store_dword v1, off, s[0:3], 0 offset:240
	;; [unrolled: 1-line block ×4, first 2 shown]
.LBB110_251:
	s_or_b32 exec_lo, exec_lo, s8
	v_mov_b32_e32 v4, s40
	v_cmp_lt_u32_e64 s5, 14, v0
	s_clause 0x3
	buffer_load_dword v1, v4, s[0:3], 0 offen
	buffer_load_dword v2, v4, s[0:3], 0 offen offset:4
	buffer_load_dword v3, v4, s[0:3], 0 offen offset:8
	;; [unrolled: 1-line block ×3, first 2 shown]
	s_waitcnt vmcnt(0)
	ds_write_b128 v100, v[1:4]
	s_waitcnt lgkmcnt(0)
	s_waitcnt_vscnt null, 0x0
	s_barrier
	buffer_gl0_inv
	s_and_saveexec_b32 s8, s5
	s_cbranch_execz .LBB110_259
; %bb.252:
	ds_read_b128 v[1:4], v100
	s_andn2_b32 vcc_lo, exec_lo, s54
	s_cbranch_vccnz .LBB110_254
; %bb.253:
	s_clause 0x3
	buffer_load_dword v101, v99, s[0:3], 0 offen offset:8
	buffer_load_dword v102, v99, s[0:3], 0 offen offset:12
	buffer_load_dword v103, v99, s[0:3], 0 offen
	buffer_load_dword v104, v99, s[0:3], 0 offen offset:4
	s_waitcnt vmcnt(2) lgkmcnt(0)
	v_mul_f64 v[106:107], v[3:4], v[101:102]
	v_mul_f64 v[101:102], v[1:2], v[101:102]
	s_waitcnt vmcnt(0)
	v_fma_f64 v[1:2], v[1:2], v[103:104], -v[106:107]
	v_fma_f64 v[3:4], v[3:4], v[103:104], v[101:102]
.LBB110_254:
	s_and_saveexec_b32 s55, s4
	s_cbranch_execz .LBB110_258
; %bb.255:
	v_add_nc_u32_e32 v101, -15, v0
	s_movk_i32 s56, 0x3e0
	s_mov_b32 s4, 0
	s_mov_b32 s57, s39
	.p2align	6
.LBB110_256:                            ; =>This Inner Loop Header: Depth=1
	v_mov_b32_e32 v104, s57
	v_add_nc_u32_e32 v101, -1, v101
	s_add_i32 s57, s57, 16
	s_clause 0x3
	buffer_load_dword v102, v104, s[0:3], 0 offen offset:8
	buffer_load_dword v103, v104, s[0:3], 0 offen offset:12
	buffer_load_dword v110, v104, s[0:3], 0 offen
	buffer_load_dword v111, v104, s[0:3], 0 offen offset:4
	v_mov_b32_e32 v104, s56
	v_cmp_eq_u32_e32 vcc_lo, 0, v101
	s_add_i32 s56, s56, 16
	ds_read_b128 v[106:109], v104
	s_or_b32 s4, vcc_lo, s4
	s_waitcnt vmcnt(2) lgkmcnt(0)
	v_mul_f64 v[112:113], v[108:109], v[102:103]
	v_mul_f64 v[102:103], v[106:107], v[102:103]
	s_waitcnt vmcnt(0)
	v_fma_f64 v[106:107], v[106:107], v[110:111], -v[112:113]
	v_fma_f64 v[102:103], v[108:109], v[110:111], v[102:103]
	v_add_f64 v[1:2], v[1:2], v[106:107]
	v_add_f64 v[3:4], v[3:4], v[102:103]
	s_andn2_b32 exec_lo, exec_lo, s4
	s_cbranch_execnz .LBB110_256
; %bb.257:
	s_or_b32 exec_lo, exec_lo, s4
.LBB110_258:
	s_or_b32 exec_lo, exec_lo, s55
	v_mov_b32_e32 v101, 0
	ds_read_b128 v[101:104], v101 offset:224
	s_waitcnt lgkmcnt(0)
	v_mul_f64 v[106:107], v[3:4], v[103:104]
	v_mul_f64 v[103:104], v[1:2], v[103:104]
	v_fma_f64 v[1:2], v[1:2], v[101:102], -v[106:107]
	v_fma_f64 v[3:4], v[3:4], v[101:102], v[103:104]
	buffer_store_dword v2, off, s[0:3], 0 offset:228
	buffer_store_dword v1, off, s[0:3], 0 offset:224
	;; [unrolled: 1-line block ×4, first 2 shown]
.LBB110_259:
	s_or_b32 exec_lo, exec_lo, s8
	v_mov_b32_e32 v4, s41
	v_cmp_lt_u32_e64 s4, 13, v0
	s_clause 0x3
	buffer_load_dword v1, v4, s[0:3], 0 offen
	buffer_load_dword v2, v4, s[0:3], 0 offen offset:4
	buffer_load_dword v3, v4, s[0:3], 0 offen offset:8
	buffer_load_dword v4, v4, s[0:3], 0 offen offset:12
	s_waitcnt vmcnt(0)
	ds_write_b128 v100, v[1:4]
	s_waitcnt lgkmcnt(0)
	s_waitcnt_vscnt null, 0x0
	s_barrier
	buffer_gl0_inv
	s_and_saveexec_b32 s8, s4
	s_cbranch_execz .LBB110_267
; %bb.260:
	ds_read_b128 v[1:4], v100
	s_andn2_b32 vcc_lo, exec_lo, s54
	s_cbranch_vccnz .LBB110_262
; %bb.261:
	s_clause 0x3
	buffer_load_dword v101, v99, s[0:3], 0 offen offset:8
	buffer_load_dword v102, v99, s[0:3], 0 offen offset:12
	buffer_load_dword v103, v99, s[0:3], 0 offen
	buffer_load_dword v104, v99, s[0:3], 0 offen offset:4
	s_waitcnt vmcnt(2) lgkmcnt(0)
	v_mul_f64 v[106:107], v[3:4], v[101:102]
	v_mul_f64 v[101:102], v[1:2], v[101:102]
	s_waitcnt vmcnt(0)
	v_fma_f64 v[1:2], v[1:2], v[103:104], -v[106:107]
	v_fma_f64 v[3:4], v[3:4], v[103:104], v[101:102]
.LBB110_262:
	s_and_saveexec_b32 s55, s5
	s_cbranch_execz .LBB110_266
; %bb.263:
	v_add_nc_u32_e32 v101, -14, v0
	s_movk_i32 s56, 0x3d0
	s_mov_b32 s5, 0
	s_mov_b32 s57, s40
	.p2align	6
.LBB110_264:                            ; =>This Inner Loop Header: Depth=1
	v_mov_b32_e32 v104, s57
	v_add_nc_u32_e32 v101, -1, v101
	s_add_i32 s57, s57, 16
	s_clause 0x3
	buffer_load_dword v102, v104, s[0:3], 0 offen offset:8
	buffer_load_dword v103, v104, s[0:3], 0 offen offset:12
	buffer_load_dword v110, v104, s[0:3], 0 offen
	buffer_load_dword v111, v104, s[0:3], 0 offen offset:4
	v_mov_b32_e32 v104, s56
	v_cmp_eq_u32_e32 vcc_lo, 0, v101
	s_add_i32 s56, s56, 16
	ds_read_b128 v[106:109], v104
	s_or_b32 s5, vcc_lo, s5
	s_waitcnt vmcnt(2) lgkmcnt(0)
	v_mul_f64 v[112:113], v[108:109], v[102:103]
	v_mul_f64 v[102:103], v[106:107], v[102:103]
	s_waitcnt vmcnt(0)
	v_fma_f64 v[106:107], v[106:107], v[110:111], -v[112:113]
	v_fma_f64 v[102:103], v[108:109], v[110:111], v[102:103]
	v_add_f64 v[1:2], v[1:2], v[106:107]
	v_add_f64 v[3:4], v[3:4], v[102:103]
	s_andn2_b32 exec_lo, exec_lo, s5
	s_cbranch_execnz .LBB110_264
; %bb.265:
	s_or_b32 exec_lo, exec_lo, s5
.LBB110_266:
	s_or_b32 exec_lo, exec_lo, s55
	v_mov_b32_e32 v101, 0
	ds_read_b128 v[101:104], v101 offset:208
	s_waitcnt lgkmcnt(0)
	v_mul_f64 v[106:107], v[3:4], v[103:104]
	v_mul_f64 v[103:104], v[1:2], v[103:104]
	v_fma_f64 v[1:2], v[1:2], v[101:102], -v[106:107]
	v_fma_f64 v[3:4], v[3:4], v[101:102], v[103:104]
	buffer_store_dword v2, off, s[0:3], 0 offset:212
	buffer_store_dword v1, off, s[0:3], 0 offset:208
	;; [unrolled: 1-line block ×4, first 2 shown]
.LBB110_267:
	s_or_b32 exec_lo, exec_lo, s8
	v_mov_b32_e32 v4, s42
	v_cmp_lt_u32_e64 s5, 12, v0
	s_clause 0x3
	buffer_load_dword v1, v4, s[0:3], 0 offen
	buffer_load_dword v2, v4, s[0:3], 0 offen offset:4
	buffer_load_dword v3, v4, s[0:3], 0 offen offset:8
	;; [unrolled: 1-line block ×3, first 2 shown]
	s_waitcnt vmcnt(0)
	ds_write_b128 v100, v[1:4]
	s_waitcnt lgkmcnt(0)
	s_waitcnt_vscnt null, 0x0
	s_barrier
	buffer_gl0_inv
	s_and_saveexec_b32 s8, s5
	s_cbranch_execz .LBB110_275
; %bb.268:
	ds_read_b128 v[1:4], v100
	s_andn2_b32 vcc_lo, exec_lo, s54
	s_cbranch_vccnz .LBB110_270
; %bb.269:
	s_clause 0x3
	buffer_load_dword v101, v99, s[0:3], 0 offen offset:8
	buffer_load_dword v102, v99, s[0:3], 0 offen offset:12
	buffer_load_dword v103, v99, s[0:3], 0 offen
	buffer_load_dword v104, v99, s[0:3], 0 offen offset:4
	s_waitcnt vmcnt(2) lgkmcnt(0)
	v_mul_f64 v[106:107], v[3:4], v[101:102]
	v_mul_f64 v[101:102], v[1:2], v[101:102]
	s_waitcnt vmcnt(0)
	v_fma_f64 v[1:2], v[1:2], v[103:104], -v[106:107]
	v_fma_f64 v[3:4], v[3:4], v[103:104], v[101:102]
.LBB110_270:
	s_and_saveexec_b32 s55, s4
	s_cbranch_execz .LBB110_274
; %bb.271:
	v_add_nc_u32_e32 v101, -13, v0
	s_movk_i32 s56, 0x3c0
	s_mov_b32 s4, 0
	s_mov_b32 s57, s41
	.p2align	6
.LBB110_272:                            ; =>This Inner Loop Header: Depth=1
	v_mov_b32_e32 v104, s57
	v_add_nc_u32_e32 v101, -1, v101
	s_add_i32 s57, s57, 16
	s_clause 0x3
	buffer_load_dword v102, v104, s[0:3], 0 offen offset:8
	buffer_load_dword v103, v104, s[0:3], 0 offen offset:12
	buffer_load_dword v110, v104, s[0:3], 0 offen
	buffer_load_dword v111, v104, s[0:3], 0 offen offset:4
	v_mov_b32_e32 v104, s56
	v_cmp_eq_u32_e32 vcc_lo, 0, v101
	s_add_i32 s56, s56, 16
	ds_read_b128 v[106:109], v104
	s_or_b32 s4, vcc_lo, s4
	s_waitcnt vmcnt(2) lgkmcnt(0)
	v_mul_f64 v[112:113], v[108:109], v[102:103]
	v_mul_f64 v[102:103], v[106:107], v[102:103]
	s_waitcnt vmcnt(0)
	v_fma_f64 v[106:107], v[106:107], v[110:111], -v[112:113]
	v_fma_f64 v[102:103], v[108:109], v[110:111], v[102:103]
	v_add_f64 v[1:2], v[1:2], v[106:107]
	v_add_f64 v[3:4], v[3:4], v[102:103]
	s_andn2_b32 exec_lo, exec_lo, s4
	s_cbranch_execnz .LBB110_272
; %bb.273:
	s_or_b32 exec_lo, exec_lo, s4
.LBB110_274:
	s_or_b32 exec_lo, exec_lo, s55
	v_mov_b32_e32 v101, 0
	ds_read_b128 v[101:104], v101 offset:192
	s_waitcnt lgkmcnt(0)
	v_mul_f64 v[106:107], v[3:4], v[103:104]
	v_mul_f64 v[103:104], v[1:2], v[103:104]
	v_fma_f64 v[1:2], v[1:2], v[101:102], -v[106:107]
	v_fma_f64 v[3:4], v[3:4], v[101:102], v[103:104]
	buffer_store_dword v2, off, s[0:3], 0 offset:196
	buffer_store_dword v1, off, s[0:3], 0 offset:192
	;; [unrolled: 1-line block ×4, first 2 shown]
.LBB110_275:
	s_or_b32 exec_lo, exec_lo, s8
	v_mov_b32_e32 v4, s43
	v_cmp_lt_u32_e64 s4, 11, v0
	s_clause 0x3
	buffer_load_dword v1, v4, s[0:3], 0 offen
	buffer_load_dword v2, v4, s[0:3], 0 offen offset:4
	buffer_load_dword v3, v4, s[0:3], 0 offen offset:8
	;; [unrolled: 1-line block ×3, first 2 shown]
	s_waitcnt vmcnt(0)
	ds_write_b128 v100, v[1:4]
	s_waitcnt lgkmcnt(0)
	s_waitcnt_vscnt null, 0x0
	s_barrier
	buffer_gl0_inv
	s_and_saveexec_b32 s8, s4
	s_cbranch_execz .LBB110_283
; %bb.276:
	ds_read_b128 v[1:4], v100
	s_andn2_b32 vcc_lo, exec_lo, s54
	s_cbranch_vccnz .LBB110_278
; %bb.277:
	s_clause 0x3
	buffer_load_dword v101, v99, s[0:3], 0 offen offset:8
	buffer_load_dword v102, v99, s[0:3], 0 offen offset:12
	buffer_load_dword v103, v99, s[0:3], 0 offen
	buffer_load_dword v104, v99, s[0:3], 0 offen offset:4
	s_waitcnt vmcnt(2) lgkmcnt(0)
	v_mul_f64 v[106:107], v[3:4], v[101:102]
	v_mul_f64 v[101:102], v[1:2], v[101:102]
	s_waitcnt vmcnt(0)
	v_fma_f64 v[1:2], v[1:2], v[103:104], -v[106:107]
	v_fma_f64 v[3:4], v[3:4], v[103:104], v[101:102]
.LBB110_278:
	s_and_saveexec_b32 s55, s5
	s_cbranch_execz .LBB110_282
; %bb.279:
	v_add_nc_u32_e32 v101, -12, v0
	s_movk_i32 s56, 0x3b0
	s_mov_b32 s5, 0
	s_mov_b32 s57, s42
	.p2align	6
.LBB110_280:                            ; =>This Inner Loop Header: Depth=1
	v_mov_b32_e32 v104, s57
	v_add_nc_u32_e32 v101, -1, v101
	s_add_i32 s57, s57, 16
	s_clause 0x3
	buffer_load_dword v102, v104, s[0:3], 0 offen offset:8
	buffer_load_dword v103, v104, s[0:3], 0 offen offset:12
	buffer_load_dword v110, v104, s[0:3], 0 offen
	buffer_load_dword v111, v104, s[0:3], 0 offen offset:4
	v_mov_b32_e32 v104, s56
	v_cmp_eq_u32_e32 vcc_lo, 0, v101
	s_add_i32 s56, s56, 16
	ds_read_b128 v[106:109], v104
	s_or_b32 s5, vcc_lo, s5
	s_waitcnt vmcnt(2) lgkmcnt(0)
	v_mul_f64 v[112:113], v[108:109], v[102:103]
	v_mul_f64 v[102:103], v[106:107], v[102:103]
	s_waitcnt vmcnt(0)
	v_fma_f64 v[106:107], v[106:107], v[110:111], -v[112:113]
	v_fma_f64 v[102:103], v[108:109], v[110:111], v[102:103]
	v_add_f64 v[1:2], v[1:2], v[106:107]
	v_add_f64 v[3:4], v[3:4], v[102:103]
	s_andn2_b32 exec_lo, exec_lo, s5
	s_cbranch_execnz .LBB110_280
; %bb.281:
	s_or_b32 exec_lo, exec_lo, s5
.LBB110_282:
	s_or_b32 exec_lo, exec_lo, s55
	v_mov_b32_e32 v101, 0
	ds_read_b128 v[101:104], v101 offset:176
	s_waitcnt lgkmcnt(0)
	v_mul_f64 v[106:107], v[3:4], v[103:104]
	v_mul_f64 v[103:104], v[1:2], v[103:104]
	v_fma_f64 v[1:2], v[1:2], v[101:102], -v[106:107]
	v_fma_f64 v[3:4], v[3:4], v[101:102], v[103:104]
	buffer_store_dword v2, off, s[0:3], 0 offset:180
	buffer_store_dword v1, off, s[0:3], 0 offset:176
	;; [unrolled: 1-line block ×4, first 2 shown]
.LBB110_283:
	s_or_b32 exec_lo, exec_lo, s8
	v_mov_b32_e32 v4, s44
	v_cmp_lt_u32_e64 s5, 10, v0
	s_clause 0x3
	buffer_load_dword v1, v4, s[0:3], 0 offen
	buffer_load_dword v2, v4, s[0:3], 0 offen offset:4
	buffer_load_dword v3, v4, s[0:3], 0 offen offset:8
	;; [unrolled: 1-line block ×3, first 2 shown]
	s_waitcnt vmcnt(0)
	ds_write_b128 v100, v[1:4]
	s_waitcnt lgkmcnt(0)
	s_waitcnt_vscnt null, 0x0
	s_barrier
	buffer_gl0_inv
	s_and_saveexec_b32 s8, s5
	s_cbranch_execz .LBB110_291
; %bb.284:
	ds_read_b128 v[1:4], v100
	s_andn2_b32 vcc_lo, exec_lo, s54
	s_cbranch_vccnz .LBB110_286
; %bb.285:
	s_clause 0x3
	buffer_load_dword v101, v99, s[0:3], 0 offen offset:8
	buffer_load_dword v102, v99, s[0:3], 0 offen offset:12
	buffer_load_dword v103, v99, s[0:3], 0 offen
	buffer_load_dword v104, v99, s[0:3], 0 offen offset:4
	s_waitcnt vmcnt(2) lgkmcnt(0)
	v_mul_f64 v[106:107], v[3:4], v[101:102]
	v_mul_f64 v[101:102], v[1:2], v[101:102]
	s_waitcnt vmcnt(0)
	v_fma_f64 v[1:2], v[1:2], v[103:104], -v[106:107]
	v_fma_f64 v[3:4], v[3:4], v[103:104], v[101:102]
.LBB110_286:
	s_and_saveexec_b32 s55, s4
	s_cbranch_execz .LBB110_290
; %bb.287:
	v_add_nc_u32_e32 v101, -11, v0
	s_movk_i32 s56, 0x3a0
	s_mov_b32 s4, 0
	s_mov_b32 s57, s43
	.p2align	6
.LBB110_288:                            ; =>This Inner Loop Header: Depth=1
	v_mov_b32_e32 v104, s57
	v_add_nc_u32_e32 v101, -1, v101
	s_add_i32 s57, s57, 16
	s_clause 0x3
	buffer_load_dword v102, v104, s[0:3], 0 offen offset:8
	buffer_load_dword v103, v104, s[0:3], 0 offen offset:12
	buffer_load_dword v110, v104, s[0:3], 0 offen
	buffer_load_dword v111, v104, s[0:3], 0 offen offset:4
	v_mov_b32_e32 v104, s56
	v_cmp_eq_u32_e32 vcc_lo, 0, v101
	s_add_i32 s56, s56, 16
	ds_read_b128 v[106:109], v104
	s_or_b32 s4, vcc_lo, s4
	s_waitcnt vmcnt(2) lgkmcnt(0)
	v_mul_f64 v[112:113], v[108:109], v[102:103]
	v_mul_f64 v[102:103], v[106:107], v[102:103]
	s_waitcnt vmcnt(0)
	v_fma_f64 v[106:107], v[106:107], v[110:111], -v[112:113]
	v_fma_f64 v[102:103], v[108:109], v[110:111], v[102:103]
	v_add_f64 v[1:2], v[1:2], v[106:107]
	v_add_f64 v[3:4], v[3:4], v[102:103]
	s_andn2_b32 exec_lo, exec_lo, s4
	s_cbranch_execnz .LBB110_288
; %bb.289:
	s_or_b32 exec_lo, exec_lo, s4
.LBB110_290:
	s_or_b32 exec_lo, exec_lo, s55
	v_mov_b32_e32 v101, 0
	ds_read_b128 v[101:104], v101 offset:160
	s_waitcnt lgkmcnt(0)
	v_mul_f64 v[106:107], v[3:4], v[103:104]
	v_mul_f64 v[103:104], v[1:2], v[103:104]
	v_fma_f64 v[1:2], v[1:2], v[101:102], -v[106:107]
	v_fma_f64 v[3:4], v[3:4], v[101:102], v[103:104]
	buffer_store_dword v2, off, s[0:3], 0 offset:164
	buffer_store_dword v1, off, s[0:3], 0 offset:160
	;; [unrolled: 1-line block ×4, first 2 shown]
.LBB110_291:
	s_or_b32 exec_lo, exec_lo, s8
	v_mov_b32_e32 v4, s45
	v_cmp_lt_u32_e64 s4, 9, v0
	s_clause 0x3
	buffer_load_dword v1, v4, s[0:3], 0 offen
	buffer_load_dword v2, v4, s[0:3], 0 offen offset:4
	buffer_load_dword v3, v4, s[0:3], 0 offen offset:8
	;; [unrolled: 1-line block ×3, first 2 shown]
	s_waitcnt vmcnt(0)
	ds_write_b128 v100, v[1:4]
	s_waitcnt lgkmcnt(0)
	s_waitcnt_vscnt null, 0x0
	s_barrier
	buffer_gl0_inv
	s_and_saveexec_b32 s8, s4
	s_cbranch_execz .LBB110_299
; %bb.292:
	ds_read_b128 v[1:4], v100
	s_andn2_b32 vcc_lo, exec_lo, s54
	s_cbranch_vccnz .LBB110_294
; %bb.293:
	s_clause 0x3
	buffer_load_dword v101, v99, s[0:3], 0 offen offset:8
	buffer_load_dword v102, v99, s[0:3], 0 offen offset:12
	buffer_load_dword v103, v99, s[0:3], 0 offen
	buffer_load_dword v104, v99, s[0:3], 0 offen offset:4
	s_waitcnt vmcnt(2) lgkmcnt(0)
	v_mul_f64 v[106:107], v[3:4], v[101:102]
	v_mul_f64 v[101:102], v[1:2], v[101:102]
	s_waitcnt vmcnt(0)
	v_fma_f64 v[1:2], v[1:2], v[103:104], -v[106:107]
	v_fma_f64 v[3:4], v[3:4], v[103:104], v[101:102]
.LBB110_294:
	s_and_saveexec_b32 s55, s5
	s_cbranch_execz .LBB110_298
; %bb.295:
	v_add_nc_u32_e32 v101, -10, v0
	s_movk_i32 s56, 0x390
	s_mov_b32 s5, 0
	s_mov_b32 s57, s44
	.p2align	6
.LBB110_296:                            ; =>This Inner Loop Header: Depth=1
	v_mov_b32_e32 v104, s57
	v_add_nc_u32_e32 v101, -1, v101
	s_add_i32 s57, s57, 16
	s_clause 0x3
	buffer_load_dword v102, v104, s[0:3], 0 offen offset:8
	buffer_load_dword v103, v104, s[0:3], 0 offen offset:12
	buffer_load_dword v110, v104, s[0:3], 0 offen
	buffer_load_dword v111, v104, s[0:3], 0 offen offset:4
	v_mov_b32_e32 v104, s56
	v_cmp_eq_u32_e32 vcc_lo, 0, v101
	s_add_i32 s56, s56, 16
	ds_read_b128 v[106:109], v104
	s_or_b32 s5, vcc_lo, s5
	s_waitcnt vmcnt(2) lgkmcnt(0)
	v_mul_f64 v[112:113], v[108:109], v[102:103]
	v_mul_f64 v[102:103], v[106:107], v[102:103]
	s_waitcnt vmcnt(0)
	v_fma_f64 v[106:107], v[106:107], v[110:111], -v[112:113]
	v_fma_f64 v[102:103], v[108:109], v[110:111], v[102:103]
	v_add_f64 v[1:2], v[1:2], v[106:107]
	v_add_f64 v[3:4], v[3:4], v[102:103]
	s_andn2_b32 exec_lo, exec_lo, s5
	s_cbranch_execnz .LBB110_296
; %bb.297:
	s_or_b32 exec_lo, exec_lo, s5
.LBB110_298:
	s_or_b32 exec_lo, exec_lo, s55
	v_mov_b32_e32 v101, 0
	ds_read_b128 v[101:104], v101 offset:144
	s_waitcnt lgkmcnt(0)
	v_mul_f64 v[106:107], v[3:4], v[103:104]
	v_mul_f64 v[103:104], v[1:2], v[103:104]
	v_fma_f64 v[1:2], v[1:2], v[101:102], -v[106:107]
	v_fma_f64 v[3:4], v[3:4], v[101:102], v[103:104]
	buffer_store_dword v2, off, s[0:3], 0 offset:148
	buffer_store_dword v1, off, s[0:3], 0 offset:144
	;; [unrolled: 1-line block ×4, first 2 shown]
.LBB110_299:
	s_or_b32 exec_lo, exec_lo, s8
	v_mov_b32_e32 v4, s46
	v_cmp_lt_u32_e64 s5, 8, v0
	s_clause 0x3
	buffer_load_dword v1, v4, s[0:3], 0 offen
	buffer_load_dword v2, v4, s[0:3], 0 offen offset:4
	buffer_load_dword v3, v4, s[0:3], 0 offen offset:8
	;; [unrolled: 1-line block ×3, first 2 shown]
	s_waitcnt vmcnt(0)
	ds_write_b128 v100, v[1:4]
	s_waitcnt lgkmcnt(0)
	s_waitcnt_vscnt null, 0x0
	s_barrier
	buffer_gl0_inv
	s_and_saveexec_b32 s8, s5
	s_cbranch_execz .LBB110_307
; %bb.300:
	ds_read_b128 v[1:4], v100
	s_andn2_b32 vcc_lo, exec_lo, s54
	s_cbranch_vccnz .LBB110_302
; %bb.301:
	s_clause 0x3
	buffer_load_dword v101, v99, s[0:3], 0 offen offset:8
	buffer_load_dword v102, v99, s[0:3], 0 offen offset:12
	buffer_load_dword v103, v99, s[0:3], 0 offen
	buffer_load_dword v104, v99, s[0:3], 0 offen offset:4
	s_waitcnt vmcnt(2) lgkmcnt(0)
	v_mul_f64 v[106:107], v[3:4], v[101:102]
	v_mul_f64 v[101:102], v[1:2], v[101:102]
	s_waitcnt vmcnt(0)
	v_fma_f64 v[1:2], v[1:2], v[103:104], -v[106:107]
	v_fma_f64 v[3:4], v[3:4], v[103:104], v[101:102]
.LBB110_302:
	s_and_saveexec_b32 s55, s4
	s_cbranch_execz .LBB110_306
; %bb.303:
	v_add_nc_u32_e32 v101, -9, v0
	s_movk_i32 s56, 0x380
	s_mov_b32 s4, 0
	s_mov_b32 s57, s45
	.p2align	6
.LBB110_304:                            ; =>This Inner Loop Header: Depth=1
	v_mov_b32_e32 v104, s57
	v_add_nc_u32_e32 v101, -1, v101
	s_add_i32 s57, s57, 16
	s_clause 0x3
	buffer_load_dword v102, v104, s[0:3], 0 offen offset:8
	buffer_load_dword v103, v104, s[0:3], 0 offen offset:12
	buffer_load_dword v110, v104, s[0:3], 0 offen
	buffer_load_dword v111, v104, s[0:3], 0 offen offset:4
	v_mov_b32_e32 v104, s56
	v_cmp_eq_u32_e32 vcc_lo, 0, v101
	s_add_i32 s56, s56, 16
	ds_read_b128 v[106:109], v104
	s_or_b32 s4, vcc_lo, s4
	s_waitcnt vmcnt(2) lgkmcnt(0)
	v_mul_f64 v[112:113], v[108:109], v[102:103]
	v_mul_f64 v[102:103], v[106:107], v[102:103]
	s_waitcnt vmcnt(0)
	v_fma_f64 v[106:107], v[106:107], v[110:111], -v[112:113]
	v_fma_f64 v[102:103], v[108:109], v[110:111], v[102:103]
	v_add_f64 v[1:2], v[1:2], v[106:107]
	v_add_f64 v[3:4], v[3:4], v[102:103]
	s_andn2_b32 exec_lo, exec_lo, s4
	s_cbranch_execnz .LBB110_304
; %bb.305:
	s_or_b32 exec_lo, exec_lo, s4
.LBB110_306:
	s_or_b32 exec_lo, exec_lo, s55
	v_mov_b32_e32 v101, 0
	ds_read_b128 v[101:104], v101 offset:128
	s_waitcnt lgkmcnt(0)
	v_mul_f64 v[106:107], v[3:4], v[103:104]
	v_mul_f64 v[103:104], v[1:2], v[103:104]
	v_fma_f64 v[1:2], v[1:2], v[101:102], -v[106:107]
	v_fma_f64 v[3:4], v[3:4], v[101:102], v[103:104]
	buffer_store_dword v2, off, s[0:3], 0 offset:132
	buffer_store_dword v1, off, s[0:3], 0 offset:128
	;; [unrolled: 1-line block ×4, first 2 shown]
.LBB110_307:
	s_or_b32 exec_lo, exec_lo, s8
	v_mov_b32_e32 v4, s47
	v_cmp_lt_u32_e64 s4, 7, v0
	s_clause 0x3
	buffer_load_dword v1, v4, s[0:3], 0 offen
	buffer_load_dword v2, v4, s[0:3], 0 offen offset:4
	buffer_load_dword v3, v4, s[0:3], 0 offen offset:8
	;; [unrolled: 1-line block ×3, first 2 shown]
	s_waitcnt vmcnt(0)
	ds_write_b128 v100, v[1:4]
	s_waitcnt lgkmcnt(0)
	s_waitcnt_vscnt null, 0x0
	s_barrier
	buffer_gl0_inv
	s_and_saveexec_b32 s8, s4
	s_cbranch_execz .LBB110_315
; %bb.308:
	ds_read_b128 v[1:4], v100
	s_andn2_b32 vcc_lo, exec_lo, s54
	s_cbranch_vccnz .LBB110_310
; %bb.309:
	s_clause 0x3
	buffer_load_dword v101, v99, s[0:3], 0 offen offset:8
	buffer_load_dword v102, v99, s[0:3], 0 offen offset:12
	buffer_load_dword v103, v99, s[0:3], 0 offen
	buffer_load_dword v104, v99, s[0:3], 0 offen offset:4
	s_waitcnt vmcnt(2) lgkmcnt(0)
	v_mul_f64 v[106:107], v[3:4], v[101:102]
	v_mul_f64 v[101:102], v[1:2], v[101:102]
	s_waitcnt vmcnt(0)
	v_fma_f64 v[1:2], v[1:2], v[103:104], -v[106:107]
	v_fma_f64 v[3:4], v[3:4], v[103:104], v[101:102]
.LBB110_310:
	s_and_saveexec_b32 s55, s5
	s_cbranch_execz .LBB110_314
; %bb.311:
	v_add_nc_u32_e32 v101, -8, v0
	s_movk_i32 s56, 0x370
	s_mov_b32 s5, 0
	s_mov_b32 s57, s46
	.p2align	6
.LBB110_312:                            ; =>This Inner Loop Header: Depth=1
	v_mov_b32_e32 v104, s57
	v_add_nc_u32_e32 v101, -1, v101
	s_add_i32 s57, s57, 16
	s_clause 0x3
	buffer_load_dword v102, v104, s[0:3], 0 offen offset:8
	buffer_load_dword v103, v104, s[0:3], 0 offen offset:12
	buffer_load_dword v110, v104, s[0:3], 0 offen
	buffer_load_dword v111, v104, s[0:3], 0 offen offset:4
	v_mov_b32_e32 v104, s56
	v_cmp_eq_u32_e32 vcc_lo, 0, v101
	s_add_i32 s56, s56, 16
	ds_read_b128 v[106:109], v104
	s_or_b32 s5, vcc_lo, s5
	s_waitcnt vmcnt(2) lgkmcnt(0)
	v_mul_f64 v[112:113], v[108:109], v[102:103]
	v_mul_f64 v[102:103], v[106:107], v[102:103]
	s_waitcnt vmcnt(0)
	v_fma_f64 v[106:107], v[106:107], v[110:111], -v[112:113]
	v_fma_f64 v[102:103], v[108:109], v[110:111], v[102:103]
	v_add_f64 v[1:2], v[1:2], v[106:107]
	v_add_f64 v[3:4], v[3:4], v[102:103]
	s_andn2_b32 exec_lo, exec_lo, s5
	s_cbranch_execnz .LBB110_312
; %bb.313:
	s_or_b32 exec_lo, exec_lo, s5
.LBB110_314:
	s_or_b32 exec_lo, exec_lo, s55
	v_mov_b32_e32 v101, 0
	ds_read_b128 v[101:104], v101 offset:112
	s_waitcnt lgkmcnt(0)
	v_mul_f64 v[106:107], v[3:4], v[103:104]
	v_mul_f64 v[103:104], v[1:2], v[103:104]
	v_fma_f64 v[1:2], v[1:2], v[101:102], -v[106:107]
	v_fma_f64 v[3:4], v[3:4], v[101:102], v[103:104]
	buffer_store_dword v2, off, s[0:3], 0 offset:116
	buffer_store_dword v1, off, s[0:3], 0 offset:112
	;; [unrolled: 1-line block ×4, first 2 shown]
.LBB110_315:
	s_or_b32 exec_lo, exec_lo, s8
	v_mov_b32_e32 v4, s48
	v_cmp_lt_u32_e64 s5, 6, v0
	s_clause 0x3
	buffer_load_dword v1, v4, s[0:3], 0 offen
	buffer_load_dword v2, v4, s[0:3], 0 offen offset:4
	buffer_load_dword v3, v4, s[0:3], 0 offen offset:8
	;; [unrolled: 1-line block ×3, first 2 shown]
	s_waitcnt vmcnt(0)
	ds_write_b128 v100, v[1:4]
	s_waitcnt lgkmcnt(0)
	s_waitcnt_vscnt null, 0x0
	s_barrier
	buffer_gl0_inv
	s_and_saveexec_b32 s8, s5
	s_cbranch_execz .LBB110_323
; %bb.316:
	ds_read_b128 v[1:4], v100
	s_andn2_b32 vcc_lo, exec_lo, s54
	s_cbranch_vccnz .LBB110_318
; %bb.317:
	s_clause 0x3
	buffer_load_dword v101, v99, s[0:3], 0 offen offset:8
	buffer_load_dword v102, v99, s[0:3], 0 offen offset:12
	buffer_load_dword v103, v99, s[0:3], 0 offen
	buffer_load_dword v104, v99, s[0:3], 0 offen offset:4
	s_waitcnt vmcnt(2) lgkmcnt(0)
	v_mul_f64 v[106:107], v[3:4], v[101:102]
	v_mul_f64 v[101:102], v[1:2], v[101:102]
	s_waitcnt vmcnt(0)
	v_fma_f64 v[1:2], v[1:2], v[103:104], -v[106:107]
	v_fma_f64 v[3:4], v[3:4], v[103:104], v[101:102]
.LBB110_318:
	s_and_saveexec_b32 s55, s4
	s_cbranch_execz .LBB110_322
; %bb.319:
	v_add_nc_u32_e32 v101, -7, v0
	s_movk_i32 s56, 0x360
	s_mov_b32 s4, 0
	s_mov_b32 s57, s47
	.p2align	6
.LBB110_320:                            ; =>This Inner Loop Header: Depth=1
	v_mov_b32_e32 v104, s57
	v_add_nc_u32_e32 v101, -1, v101
	s_add_i32 s57, s57, 16
	s_clause 0x3
	buffer_load_dword v102, v104, s[0:3], 0 offen offset:8
	buffer_load_dword v103, v104, s[0:3], 0 offen offset:12
	buffer_load_dword v110, v104, s[0:3], 0 offen
	buffer_load_dword v111, v104, s[0:3], 0 offen offset:4
	v_mov_b32_e32 v104, s56
	v_cmp_eq_u32_e32 vcc_lo, 0, v101
	s_add_i32 s56, s56, 16
	ds_read_b128 v[106:109], v104
	s_or_b32 s4, vcc_lo, s4
	s_waitcnt vmcnt(2) lgkmcnt(0)
	v_mul_f64 v[112:113], v[108:109], v[102:103]
	v_mul_f64 v[102:103], v[106:107], v[102:103]
	s_waitcnt vmcnt(0)
	v_fma_f64 v[106:107], v[106:107], v[110:111], -v[112:113]
	v_fma_f64 v[102:103], v[108:109], v[110:111], v[102:103]
	v_add_f64 v[1:2], v[1:2], v[106:107]
	v_add_f64 v[3:4], v[3:4], v[102:103]
	s_andn2_b32 exec_lo, exec_lo, s4
	s_cbranch_execnz .LBB110_320
; %bb.321:
	s_or_b32 exec_lo, exec_lo, s4
.LBB110_322:
	s_or_b32 exec_lo, exec_lo, s55
	v_mov_b32_e32 v101, 0
	ds_read_b128 v[101:104], v101 offset:96
	s_waitcnt lgkmcnt(0)
	v_mul_f64 v[106:107], v[3:4], v[103:104]
	v_mul_f64 v[103:104], v[1:2], v[103:104]
	v_fma_f64 v[1:2], v[1:2], v[101:102], -v[106:107]
	v_fma_f64 v[3:4], v[3:4], v[101:102], v[103:104]
	buffer_store_dword v2, off, s[0:3], 0 offset:100
	buffer_store_dword v1, off, s[0:3], 0 offset:96
	buffer_store_dword v4, off, s[0:3], 0 offset:108
	buffer_store_dword v3, off, s[0:3], 0 offset:104
.LBB110_323:
	s_or_b32 exec_lo, exec_lo, s8
	v_mov_b32_e32 v4, s49
	v_cmp_lt_u32_e64 s4, 5, v0
	s_clause 0x3
	buffer_load_dword v1, v4, s[0:3], 0 offen
	buffer_load_dword v2, v4, s[0:3], 0 offen offset:4
	buffer_load_dword v3, v4, s[0:3], 0 offen offset:8
	;; [unrolled: 1-line block ×3, first 2 shown]
	s_waitcnt vmcnt(0)
	ds_write_b128 v100, v[1:4]
	s_waitcnt lgkmcnt(0)
	s_waitcnt_vscnt null, 0x0
	s_barrier
	buffer_gl0_inv
	s_and_saveexec_b32 s8, s4
	s_cbranch_execz .LBB110_331
; %bb.324:
	ds_read_b128 v[1:4], v100
	s_andn2_b32 vcc_lo, exec_lo, s54
	s_cbranch_vccnz .LBB110_326
; %bb.325:
	s_clause 0x3
	buffer_load_dword v101, v99, s[0:3], 0 offen offset:8
	buffer_load_dword v102, v99, s[0:3], 0 offen offset:12
	buffer_load_dword v103, v99, s[0:3], 0 offen
	buffer_load_dword v104, v99, s[0:3], 0 offen offset:4
	s_waitcnt vmcnt(2) lgkmcnt(0)
	v_mul_f64 v[106:107], v[3:4], v[101:102]
	v_mul_f64 v[101:102], v[1:2], v[101:102]
	s_waitcnt vmcnt(0)
	v_fma_f64 v[1:2], v[1:2], v[103:104], -v[106:107]
	v_fma_f64 v[3:4], v[3:4], v[103:104], v[101:102]
.LBB110_326:
	s_and_saveexec_b32 s55, s5
	s_cbranch_execz .LBB110_330
; %bb.327:
	v_add_nc_u32_e32 v101, -6, v0
	s_movk_i32 s56, 0x350
	s_mov_b32 s5, 0
	s_mov_b32 s57, s48
	.p2align	6
.LBB110_328:                            ; =>This Inner Loop Header: Depth=1
	v_mov_b32_e32 v104, s57
	v_add_nc_u32_e32 v101, -1, v101
	s_add_i32 s57, s57, 16
	s_clause 0x3
	buffer_load_dword v102, v104, s[0:3], 0 offen offset:8
	buffer_load_dword v103, v104, s[0:3], 0 offen offset:12
	buffer_load_dword v110, v104, s[0:3], 0 offen
	buffer_load_dword v111, v104, s[0:3], 0 offen offset:4
	v_mov_b32_e32 v104, s56
	v_cmp_eq_u32_e32 vcc_lo, 0, v101
	s_add_i32 s56, s56, 16
	ds_read_b128 v[106:109], v104
	s_or_b32 s5, vcc_lo, s5
	s_waitcnt vmcnt(2) lgkmcnt(0)
	v_mul_f64 v[112:113], v[108:109], v[102:103]
	v_mul_f64 v[102:103], v[106:107], v[102:103]
	s_waitcnt vmcnt(0)
	v_fma_f64 v[106:107], v[106:107], v[110:111], -v[112:113]
	v_fma_f64 v[102:103], v[108:109], v[110:111], v[102:103]
	v_add_f64 v[1:2], v[1:2], v[106:107]
	v_add_f64 v[3:4], v[3:4], v[102:103]
	s_andn2_b32 exec_lo, exec_lo, s5
	s_cbranch_execnz .LBB110_328
; %bb.329:
	s_or_b32 exec_lo, exec_lo, s5
.LBB110_330:
	s_or_b32 exec_lo, exec_lo, s55
	v_mov_b32_e32 v101, 0
	ds_read_b128 v[101:104], v101 offset:80
	s_waitcnt lgkmcnt(0)
	v_mul_f64 v[106:107], v[3:4], v[103:104]
	v_mul_f64 v[103:104], v[1:2], v[103:104]
	v_fma_f64 v[1:2], v[1:2], v[101:102], -v[106:107]
	v_fma_f64 v[3:4], v[3:4], v[101:102], v[103:104]
	buffer_store_dword v2, off, s[0:3], 0 offset:84
	buffer_store_dword v1, off, s[0:3], 0 offset:80
	;; [unrolled: 1-line block ×4, first 2 shown]
.LBB110_331:
	s_or_b32 exec_lo, exec_lo, s8
	v_mov_b32_e32 v4, s50
	v_cmp_lt_u32_e64 s5, 4, v0
	s_clause 0x3
	buffer_load_dword v1, v4, s[0:3], 0 offen
	buffer_load_dword v2, v4, s[0:3], 0 offen offset:4
	buffer_load_dword v3, v4, s[0:3], 0 offen offset:8
	;; [unrolled: 1-line block ×3, first 2 shown]
	s_waitcnt vmcnt(0)
	ds_write_b128 v100, v[1:4]
	s_waitcnt lgkmcnt(0)
	s_waitcnt_vscnt null, 0x0
	s_barrier
	buffer_gl0_inv
	s_and_saveexec_b32 s8, s5
	s_cbranch_execz .LBB110_339
; %bb.332:
	ds_read_b128 v[1:4], v100
	s_andn2_b32 vcc_lo, exec_lo, s54
	s_cbranch_vccnz .LBB110_334
; %bb.333:
	s_clause 0x3
	buffer_load_dword v101, v99, s[0:3], 0 offen offset:8
	buffer_load_dword v102, v99, s[0:3], 0 offen offset:12
	buffer_load_dword v103, v99, s[0:3], 0 offen
	buffer_load_dword v104, v99, s[0:3], 0 offen offset:4
	s_waitcnt vmcnt(2) lgkmcnt(0)
	v_mul_f64 v[106:107], v[3:4], v[101:102]
	v_mul_f64 v[101:102], v[1:2], v[101:102]
	s_waitcnt vmcnt(0)
	v_fma_f64 v[1:2], v[1:2], v[103:104], -v[106:107]
	v_fma_f64 v[3:4], v[3:4], v[103:104], v[101:102]
.LBB110_334:
	s_and_saveexec_b32 s55, s4
	s_cbranch_execz .LBB110_338
; %bb.335:
	v_add_nc_u32_e32 v101, -5, v0
	s_movk_i32 s56, 0x340
	s_mov_b32 s4, 0
	s_mov_b32 s57, s49
	.p2align	6
.LBB110_336:                            ; =>This Inner Loop Header: Depth=1
	v_mov_b32_e32 v104, s57
	v_add_nc_u32_e32 v101, -1, v101
	s_add_i32 s57, s57, 16
	s_clause 0x3
	buffer_load_dword v102, v104, s[0:3], 0 offen offset:8
	buffer_load_dword v103, v104, s[0:3], 0 offen offset:12
	buffer_load_dword v110, v104, s[0:3], 0 offen
	buffer_load_dword v111, v104, s[0:3], 0 offen offset:4
	v_mov_b32_e32 v104, s56
	v_cmp_eq_u32_e32 vcc_lo, 0, v101
	s_add_i32 s56, s56, 16
	ds_read_b128 v[106:109], v104
	s_or_b32 s4, vcc_lo, s4
	s_waitcnt vmcnt(2) lgkmcnt(0)
	v_mul_f64 v[112:113], v[108:109], v[102:103]
	v_mul_f64 v[102:103], v[106:107], v[102:103]
	s_waitcnt vmcnt(0)
	v_fma_f64 v[106:107], v[106:107], v[110:111], -v[112:113]
	v_fma_f64 v[102:103], v[108:109], v[110:111], v[102:103]
	v_add_f64 v[1:2], v[1:2], v[106:107]
	v_add_f64 v[3:4], v[3:4], v[102:103]
	s_andn2_b32 exec_lo, exec_lo, s4
	s_cbranch_execnz .LBB110_336
; %bb.337:
	s_or_b32 exec_lo, exec_lo, s4
.LBB110_338:
	s_or_b32 exec_lo, exec_lo, s55
	v_mov_b32_e32 v101, 0
	ds_read_b128 v[101:104], v101 offset:64
	s_waitcnt lgkmcnt(0)
	v_mul_f64 v[106:107], v[3:4], v[103:104]
	v_mul_f64 v[103:104], v[1:2], v[103:104]
	v_fma_f64 v[1:2], v[1:2], v[101:102], -v[106:107]
	v_fma_f64 v[3:4], v[3:4], v[101:102], v[103:104]
	buffer_store_dword v2, off, s[0:3], 0 offset:68
	buffer_store_dword v1, off, s[0:3], 0 offset:64
	;; [unrolled: 1-line block ×4, first 2 shown]
.LBB110_339:
	s_or_b32 exec_lo, exec_lo, s8
	v_mov_b32_e32 v4, s51
	v_cmp_lt_u32_e64 s4, 3, v0
	s_clause 0x3
	buffer_load_dword v1, v4, s[0:3], 0 offen
	buffer_load_dword v2, v4, s[0:3], 0 offen offset:4
	buffer_load_dword v3, v4, s[0:3], 0 offen offset:8
	;; [unrolled: 1-line block ×3, first 2 shown]
	s_waitcnt vmcnt(0)
	ds_write_b128 v100, v[1:4]
	s_waitcnt lgkmcnt(0)
	s_waitcnt_vscnt null, 0x0
	s_barrier
	buffer_gl0_inv
	s_and_saveexec_b32 s8, s4
	s_cbranch_execz .LBB110_347
; %bb.340:
	ds_read_b128 v[1:4], v100
	s_andn2_b32 vcc_lo, exec_lo, s54
	s_cbranch_vccnz .LBB110_342
; %bb.341:
	s_clause 0x3
	buffer_load_dword v101, v99, s[0:3], 0 offen offset:8
	buffer_load_dword v102, v99, s[0:3], 0 offen offset:12
	buffer_load_dword v103, v99, s[0:3], 0 offen
	buffer_load_dword v104, v99, s[0:3], 0 offen offset:4
	s_waitcnt vmcnt(2) lgkmcnt(0)
	v_mul_f64 v[106:107], v[3:4], v[101:102]
	v_mul_f64 v[101:102], v[1:2], v[101:102]
	s_waitcnt vmcnt(0)
	v_fma_f64 v[1:2], v[1:2], v[103:104], -v[106:107]
	v_fma_f64 v[3:4], v[3:4], v[103:104], v[101:102]
.LBB110_342:
	s_and_saveexec_b32 s55, s5
	s_cbranch_execz .LBB110_346
; %bb.343:
	v_add_nc_u32_e32 v101, -4, v0
	s_movk_i32 s56, 0x330
	s_mov_b32 s5, 0
	s_mov_b32 s57, s50
	.p2align	6
.LBB110_344:                            ; =>This Inner Loop Header: Depth=1
	v_mov_b32_e32 v104, s57
	v_add_nc_u32_e32 v101, -1, v101
	s_add_i32 s57, s57, 16
	s_clause 0x3
	buffer_load_dword v102, v104, s[0:3], 0 offen offset:8
	buffer_load_dword v103, v104, s[0:3], 0 offen offset:12
	buffer_load_dword v110, v104, s[0:3], 0 offen
	buffer_load_dword v111, v104, s[0:3], 0 offen offset:4
	v_mov_b32_e32 v104, s56
	v_cmp_eq_u32_e32 vcc_lo, 0, v101
	s_add_i32 s56, s56, 16
	ds_read_b128 v[106:109], v104
	s_or_b32 s5, vcc_lo, s5
	s_waitcnt vmcnt(2) lgkmcnt(0)
	v_mul_f64 v[112:113], v[108:109], v[102:103]
	v_mul_f64 v[102:103], v[106:107], v[102:103]
	s_waitcnt vmcnt(0)
	v_fma_f64 v[106:107], v[106:107], v[110:111], -v[112:113]
	v_fma_f64 v[102:103], v[108:109], v[110:111], v[102:103]
	v_add_f64 v[1:2], v[1:2], v[106:107]
	v_add_f64 v[3:4], v[3:4], v[102:103]
	s_andn2_b32 exec_lo, exec_lo, s5
	s_cbranch_execnz .LBB110_344
; %bb.345:
	s_or_b32 exec_lo, exec_lo, s5
.LBB110_346:
	s_or_b32 exec_lo, exec_lo, s55
	v_mov_b32_e32 v101, 0
	ds_read_b128 v[101:104], v101 offset:48
	s_waitcnt lgkmcnt(0)
	v_mul_f64 v[106:107], v[3:4], v[103:104]
	v_mul_f64 v[103:104], v[1:2], v[103:104]
	v_fma_f64 v[1:2], v[1:2], v[101:102], -v[106:107]
	v_fma_f64 v[3:4], v[3:4], v[101:102], v[103:104]
	buffer_store_dword v2, off, s[0:3], 0 offset:52
	buffer_store_dword v1, off, s[0:3], 0 offset:48
	;; [unrolled: 1-line block ×4, first 2 shown]
.LBB110_347:
	s_or_b32 exec_lo, exec_lo, s8
	v_mov_b32_e32 v4, s52
	v_cmp_lt_u32_e64 s5, 2, v0
	s_clause 0x3
	buffer_load_dword v1, v4, s[0:3], 0 offen
	buffer_load_dword v2, v4, s[0:3], 0 offen offset:4
	buffer_load_dword v3, v4, s[0:3], 0 offen offset:8
	;; [unrolled: 1-line block ×3, first 2 shown]
	s_waitcnt vmcnt(0)
	ds_write_b128 v100, v[1:4]
	s_waitcnt lgkmcnt(0)
	s_waitcnt_vscnt null, 0x0
	s_barrier
	buffer_gl0_inv
	s_and_saveexec_b32 s8, s5
	s_cbranch_execz .LBB110_355
; %bb.348:
	ds_read_b128 v[1:4], v100
	s_andn2_b32 vcc_lo, exec_lo, s54
	s_cbranch_vccnz .LBB110_350
; %bb.349:
	s_clause 0x3
	buffer_load_dword v101, v99, s[0:3], 0 offen offset:8
	buffer_load_dword v102, v99, s[0:3], 0 offen offset:12
	buffer_load_dword v103, v99, s[0:3], 0 offen
	buffer_load_dword v104, v99, s[0:3], 0 offen offset:4
	s_waitcnt vmcnt(2) lgkmcnt(0)
	v_mul_f64 v[106:107], v[3:4], v[101:102]
	v_mul_f64 v[101:102], v[1:2], v[101:102]
	s_waitcnt vmcnt(0)
	v_fma_f64 v[1:2], v[1:2], v[103:104], -v[106:107]
	v_fma_f64 v[3:4], v[3:4], v[103:104], v[101:102]
.LBB110_350:
	s_and_saveexec_b32 s55, s4
	s_cbranch_execz .LBB110_354
; %bb.351:
	v_add_nc_u32_e32 v101, -3, v0
	s_movk_i32 s56, 0x320
	s_mov_b32 s4, 0
	s_mov_b32 s57, s51
	.p2align	6
.LBB110_352:                            ; =>This Inner Loop Header: Depth=1
	v_mov_b32_e32 v104, s57
	v_add_nc_u32_e32 v101, -1, v101
	s_add_i32 s57, s57, 16
	s_clause 0x3
	buffer_load_dword v102, v104, s[0:3], 0 offen offset:8
	buffer_load_dword v103, v104, s[0:3], 0 offen offset:12
	buffer_load_dword v110, v104, s[0:3], 0 offen
	buffer_load_dword v111, v104, s[0:3], 0 offen offset:4
	v_mov_b32_e32 v104, s56
	v_cmp_eq_u32_e32 vcc_lo, 0, v101
	s_add_i32 s56, s56, 16
	ds_read_b128 v[106:109], v104
	s_or_b32 s4, vcc_lo, s4
	s_waitcnt vmcnt(2) lgkmcnt(0)
	v_mul_f64 v[112:113], v[108:109], v[102:103]
	v_mul_f64 v[102:103], v[106:107], v[102:103]
	s_waitcnt vmcnt(0)
	v_fma_f64 v[106:107], v[106:107], v[110:111], -v[112:113]
	v_fma_f64 v[102:103], v[108:109], v[110:111], v[102:103]
	v_add_f64 v[1:2], v[1:2], v[106:107]
	v_add_f64 v[3:4], v[3:4], v[102:103]
	s_andn2_b32 exec_lo, exec_lo, s4
	s_cbranch_execnz .LBB110_352
; %bb.353:
	s_or_b32 exec_lo, exec_lo, s4
.LBB110_354:
	s_or_b32 exec_lo, exec_lo, s55
	v_mov_b32_e32 v101, 0
	ds_read_b128 v[101:104], v101 offset:32
	s_waitcnt lgkmcnt(0)
	v_mul_f64 v[106:107], v[3:4], v[103:104]
	v_mul_f64 v[103:104], v[1:2], v[103:104]
	v_fma_f64 v[1:2], v[1:2], v[101:102], -v[106:107]
	v_fma_f64 v[3:4], v[3:4], v[101:102], v[103:104]
	buffer_store_dword v2, off, s[0:3], 0 offset:36
	buffer_store_dword v1, off, s[0:3], 0 offset:32
	buffer_store_dword v4, off, s[0:3], 0 offset:44
	buffer_store_dword v3, off, s[0:3], 0 offset:40
.LBB110_355:
	s_or_b32 exec_lo, exec_lo, s8
	v_mov_b32_e32 v4, s53
	v_cmp_lt_u32_e64 s4, 1, v0
	s_clause 0x3
	buffer_load_dword v1, v4, s[0:3], 0 offen
	buffer_load_dword v2, v4, s[0:3], 0 offen offset:4
	buffer_load_dword v3, v4, s[0:3], 0 offen offset:8
	;; [unrolled: 1-line block ×3, first 2 shown]
	s_waitcnt vmcnt(0)
	ds_write_b128 v100, v[1:4]
	s_waitcnt lgkmcnt(0)
	s_waitcnt_vscnt null, 0x0
	s_barrier
	buffer_gl0_inv
	s_and_saveexec_b32 s8, s4
	s_cbranch_execz .LBB110_363
; %bb.356:
	ds_read_b128 v[1:4], v100
	s_andn2_b32 vcc_lo, exec_lo, s54
	s_cbranch_vccnz .LBB110_358
; %bb.357:
	s_clause 0x3
	buffer_load_dword v101, v99, s[0:3], 0 offen offset:8
	buffer_load_dword v102, v99, s[0:3], 0 offen offset:12
	buffer_load_dword v103, v99, s[0:3], 0 offen
	buffer_load_dword v104, v99, s[0:3], 0 offen offset:4
	s_waitcnt vmcnt(2) lgkmcnt(0)
	v_mul_f64 v[106:107], v[3:4], v[101:102]
	v_mul_f64 v[101:102], v[1:2], v[101:102]
	s_waitcnt vmcnt(0)
	v_fma_f64 v[1:2], v[1:2], v[103:104], -v[106:107]
	v_fma_f64 v[3:4], v[3:4], v[103:104], v[101:102]
.LBB110_358:
	s_and_saveexec_b32 s55, s5
	s_cbranch_execz .LBB110_362
; %bb.359:
	v_add_nc_u32_e32 v101, -2, v0
	s_movk_i32 s56, 0x310
	s_mov_b32 s5, 0
	s_mov_b32 s57, s52
	.p2align	6
.LBB110_360:                            ; =>This Inner Loop Header: Depth=1
	v_mov_b32_e32 v104, s57
	v_add_nc_u32_e32 v101, -1, v101
	s_add_i32 s57, s57, 16
	s_clause 0x3
	buffer_load_dword v102, v104, s[0:3], 0 offen offset:8
	buffer_load_dword v103, v104, s[0:3], 0 offen offset:12
	buffer_load_dword v110, v104, s[0:3], 0 offen
	buffer_load_dword v111, v104, s[0:3], 0 offen offset:4
	v_mov_b32_e32 v104, s56
	v_cmp_eq_u32_e32 vcc_lo, 0, v101
	s_add_i32 s56, s56, 16
	ds_read_b128 v[106:109], v104
	s_or_b32 s5, vcc_lo, s5
	s_waitcnt vmcnt(2) lgkmcnt(0)
	v_mul_f64 v[112:113], v[108:109], v[102:103]
	v_mul_f64 v[102:103], v[106:107], v[102:103]
	s_waitcnt vmcnt(0)
	v_fma_f64 v[106:107], v[106:107], v[110:111], -v[112:113]
	v_fma_f64 v[102:103], v[108:109], v[110:111], v[102:103]
	v_add_f64 v[1:2], v[1:2], v[106:107]
	v_add_f64 v[3:4], v[3:4], v[102:103]
	s_andn2_b32 exec_lo, exec_lo, s5
	s_cbranch_execnz .LBB110_360
; %bb.361:
	s_or_b32 exec_lo, exec_lo, s5
.LBB110_362:
	s_or_b32 exec_lo, exec_lo, s55
	v_mov_b32_e32 v101, 0
	ds_read_b128 v[101:104], v101 offset:16
	s_waitcnt lgkmcnt(0)
	v_mul_f64 v[106:107], v[3:4], v[103:104]
	v_mul_f64 v[103:104], v[1:2], v[103:104]
	v_fma_f64 v[1:2], v[1:2], v[101:102], -v[106:107]
	v_fma_f64 v[3:4], v[3:4], v[101:102], v[103:104]
	buffer_store_dword v2, off, s[0:3], 0 offset:20
	buffer_store_dword v1, off, s[0:3], 0 offset:16
	;; [unrolled: 1-line block ×4, first 2 shown]
.LBB110_363:
	s_or_b32 exec_lo, exec_lo, s8
	s_clause 0x3
	buffer_load_dword v1, off, s[0:3], 0
	buffer_load_dword v2, off, s[0:3], 0 offset:4
	buffer_load_dword v3, off, s[0:3], 0 offset:8
	;; [unrolled: 1-line block ×3, first 2 shown]
	s_mov_b32 s8, 0
	s_mov_b32 s5, 0
	s_mov_b32 s55, exec_lo
                                        ; implicit-def: $sgpr56
	s_waitcnt vmcnt(0)
	ds_write_b128 v100, v[1:4]
	s_waitcnt lgkmcnt(0)
	s_waitcnt_vscnt null, 0x0
	s_barrier
	buffer_gl0_inv
                                        ; implicit-def: $vgpr1_vgpr2
	v_cmpx_ne_u32_e32 0, v0
	s_cbranch_execz .LBB110_371
; %bb.364:
	ds_read_b128 v[1:4], v100
	s_andn2_b32 vcc_lo, exec_lo, s54
	s_cbranch_vccnz .LBB110_366
; %bb.365:
	s_clause 0x3
	buffer_load_dword v101, v99, s[0:3], 0 offen offset:8
	buffer_load_dword v102, v99, s[0:3], 0 offen offset:12
	buffer_load_dword v103, v99, s[0:3], 0 offen
	buffer_load_dword v104, v99, s[0:3], 0 offen offset:4
	s_waitcnt vmcnt(2) lgkmcnt(0)
	v_mul_f64 v[106:107], v[3:4], v[101:102]
	v_mul_f64 v[101:102], v[1:2], v[101:102]
	s_waitcnt vmcnt(0)
	v_fma_f64 v[1:2], v[1:2], v[103:104], -v[106:107]
	v_fma_f64 v[3:4], v[3:4], v[103:104], v[101:102]
.LBB110_366:
	s_and_saveexec_b32 s5, s4
	s_cbranch_execz .LBB110_370
; %bb.367:
	v_add_nc_u32_e32 v101, -1, v0
	s_movk_i32 s56, 0x300
	s_mov_b32 s4, 0
	s_mov_b32 s57, s53
	.p2align	6
.LBB110_368:                            ; =>This Inner Loop Header: Depth=1
	v_mov_b32_e32 v104, s57
	v_add_nc_u32_e32 v101, -1, v101
	s_add_i32 s57, s57, 16
	s_clause 0x3
	buffer_load_dword v102, v104, s[0:3], 0 offen offset:8
	buffer_load_dword v103, v104, s[0:3], 0 offen offset:12
	buffer_load_dword v110, v104, s[0:3], 0 offen
	buffer_load_dword v111, v104, s[0:3], 0 offen offset:4
	v_mov_b32_e32 v104, s56
	v_cmp_eq_u32_e32 vcc_lo, 0, v101
	s_add_i32 s56, s56, 16
	ds_read_b128 v[106:109], v104
	s_or_b32 s4, vcc_lo, s4
	s_waitcnt vmcnt(2) lgkmcnt(0)
	v_mul_f64 v[112:113], v[108:109], v[102:103]
	v_mul_f64 v[102:103], v[106:107], v[102:103]
	s_waitcnt vmcnt(0)
	v_fma_f64 v[106:107], v[106:107], v[110:111], -v[112:113]
	v_fma_f64 v[102:103], v[108:109], v[110:111], v[102:103]
	v_add_f64 v[1:2], v[1:2], v[106:107]
	v_add_f64 v[3:4], v[3:4], v[102:103]
	s_andn2_b32 exec_lo, exec_lo, s4
	s_cbranch_execnz .LBB110_368
; %bb.369:
	s_or_b32 exec_lo, exec_lo, s4
.LBB110_370:
	s_or_b32 exec_lo, exec_lo, s5
	v_mov_b32_e32 v101, 0
	s_mov_b32 s5, exec_lo
	s_or_b32 s56, 0, 8
	ds_read_b128 v[101:104], v101
	s_waitcnt lgkmcnt(0)
	v_mul_f64 v[106:107], v[3:4], v[103:104]
	v_mul_f64 v[103:104], v[1:2], v[103:104]
	v_fma_f64 v[106:107], v[1:2], v[101:102], -v[106:107]
	v_fma_f64 v[1:2], v[3:4], v[101:102], v[103:104]
	buffer_store_dword v107, off, s[0:3], 0 offset:4
	buffer_store_dword v106, off, s[0:3], 0
.LBB110_371:
	s_or_b32 exec_lo, exec_lo, s55
	s_and_b32 vcc_lo, exec_lo, s8
	s_cbranch_vccnz .LBB110_373
	s_branch .LBB110_736
.LBB110_372:
	s_mov_b32 s5, 0
                                        ; implicit-def: $vgpr1_vgpr2
                                        ; implicit-def: $sgpr56
	s_cbranch_execz .LBB110_736
.LBB110_373:
	v_mov_b32_e32 v4, s53
	v_cmp_eq_u32_e64 s4, 0, v0
	v_cndmask_b32_e64 v101, 0, 1, s54
	s_clause 0x3
	buffer_load_dword v1, v4, s[0:3], 0 offen
	buffer_load_dword v2, v4, s[0:3], 0 offen offset:4
	buffer_load_dword v3, v4, s[0:3], 0 offen offset:8
	;; [unrolled: 1-line block ×3, first 2 shown]
	s_waitcnt vmcnt(0)
	ds_write_b128 v100, v[1:4]
	s_waitcnt lgkmcnt(0)
	s_waitcnt_vscnt null, 0x0
	s_barrier
	buffer_gl0_inv
	s_and_saveexec_b32 s8, s4
	s_cbranch_execz .LBB110_377
; %bb.374:
	ds_read_b128 v[1:4], v100
	s_andn2_b32 vcc_lo, exec_lo, s54
	s_cbranch_vccnz .LBB110_376
; %bb.375:
	s_clause 0x3
	buffer_load_dword v102, v99, s[0:3], 0 offen offset:8
	buffer_load_dword v103, v99, s[0:3], 0 offen offset:12
	buffer_load_dword v106, v99, s[0:3], 0 offen
	buffer_load_dword v107, v99, s[0:3], 0 offen offset:4
	s_waitcnt vmcnt(2) lgkmcnt(0)
	v_mul_f64 v[108:109], v[3:4], v[102:103]
	v_mul_f64 v[102:103], v[1:2], v[102:103]
	s_waitcnt vmcnt(0)
	v_fma_f64 v[1:2], v[1:2], v[106:107], -v[108:109]
	v_fma_f64 v[3:4], v[3:4], v[106:107], v[102:103]
.LBB110_376:
	v_mov_b32_e32 v102, 0
	ds_read_b128 v[106:109], v102 offset:16
	s_waitcnt lgkmcnt(0)
	v_mul_f64 v[102:103], v[3:4], v[108:109]
	v_mul_f64 v[108:109], v[1:2], v[108:109]
	v_fma_f64 v[1:2], v[1:2], v[106:107], -v[102:103]
	v_fma_f64 v[3:4], v[3:4], v[106:107], v[108:109]
	buffer_store_dword v2, off, s[0:3], 0 offset:20
	buffer_store_dword v1, off, s[0:3], 0 offset:16
	;; [unrolled: 1-line block ×4, first 2 shown]
.LBB110_377:
	s_or_b32 exec_lo, exec_lo, s8
	v_mov_b32_e32 v4, s52
	s_mov_b32 s8, exec_lo
	s_clause 0x3
	buffer_load_dword v1, v4, s[0:3], 0 offen
	buffer_load_dword v2, v4, s[0:3], 0 offen offset:4
	buffer_load_dword v3, v4, s[0:3], 0 offen offset:8
	;; [unrolled: 1-line block ×3, first 2 shown]
	s_waitcnt vmcnt(0)
	ds_write_b128 v100, v[1:4]
	s_waitcnt lgkmcnt(0)
	s_waitcnt_vscnt null, 0x0
	s_barrier
	buffer_gl0_inv
	v_cmpx_gt_u32_e32 2, v0
	s_cbranch_execz .LBB110_383
; %bb.378:
	ds_read_b128 v[1:4], v100
	v_cmp_ne_u32_e32 vcc_lo, 1, v101
	s_cbranch_vccnz .LBB110_380
; %bb.379:
	s_clause 0x3
	buffer_load_dword v102, v99, s[0:3], 0 offen offset:8
	buffer_load_dword v103, v99, s[0:3], 0 offen offset:12
	buffer_load_dword v106, v99, s[0:3], 0 offen
	buffer_load_dword v107, v99, s[0:3], 0 offen offset:4
	s_waitcnt vmcnt(2) lgkmcnt(0)
	v_mul_f64 v[108:109], v[3:4], v[102:103]
	v_mul_f64 v[102:103], v[1:2], v[102:103]
	s_waitcnt vmcnt(0)
	v_fma_f64 v[1:2], v[1:2], v[106:107], -v[108:109]
	v_fma_f64 v[3:4], v[3:4], v[106:107], v[102:103]
.LBB110_380:
	s_and_saveexec_b32 s54, s4
	s_cbranch_execz .LBB110_382
; %bb.381:
	s_clause 0x3
	buffer_load_dword v102, off, s[0:3], 0 offset:24
	buffer_load_dword v103, off, s[0:3], 0 offset:28
	;; [unrolled: 1-line block ×4, first 2 shown]
	v_mov_b32_e32 v104, 0
	ds_read_b128 v[106:109], v104 offset:768
	s_waitcnt vmcnt(2) lgkmcnt(0)
	v_mul_f64 v[112:113], v[108:109], v[102:103]
	v_mul_f64 v[102:103], v[106:107], v[102:103]
	s_waitcnt vmcnt(0)
	v_fma_f64 v[106:107], v[106:107], v[110:111], -v[112:113]
	v_fma_f64 v[102:103], v[108:109], v[110:111], v[102:103]
	v_add_f64 v[1:2], v[1:2], v[106:107]
	v_add_f64 v[3:4], v[3:4], v[102:103]
.LBB110_382:
	s_or_b32 exec_lo, exec_lo, s54
	v_mov_b32_e32 v102, 0
	ds_read_b128 v[106:109], v102 offset:32
	s_waitcnt lgkmcnt(0)
	v_mul_f64 v[102:103], v[3:4], v[108:109]
	v_mul_f64 v[108:109], v[1:2], v[108:109]
	v_fma_f64 v[1:2], v[1:2], v[106:107], -v[102:103]
	v_fma_f64 v[3:4], v[3:4], v[106:107], v[108:109]
	buffer_store_dword v2, off, s[0:3], 0 offset:36
	buffer_store_dword v1, off, s[0:3], 0 offset:32
	;; [unrolled: 1-line block ×4, first 2 shown]
.LBB110_383:
	s_or_b32 exec_lo, exec_lo, s8
	v_mov_b32_e32 v4, s51
	s_mov_b32 s8, exec_lo
	s_clause 0x3
	buffer_load_dword v1, v4, s[0:3], 0 offen
	buffer_load_dword v2, v4, s[0:3], 0 offen offset:4
	buffer_load_dword v3, v4, s[0:3], 0 offen offset:8
	;; [unrolled: 1-line block ×3, first 2 shown]
	s_waitcnt vmcnt(0)
	ds_write_b128 v100, v[1:4]
	s_waitcnt lgkmcnt(0)
	s_waitcnt_vscnt null, 0x0
	s_barrier
	buffer_gl0_inv
	v_cmpx_gt_u32_e32 3, v0
	s_cbranch_execz .LBB110_391
; %bb.384:
	ds_read_b128 v[1:4], v100
	v_cmp_ne_u32_e32 vcc_lo, 1, v101
	s_cbranch_vccnz .LBB110_386
; %bb.385:
	s_clause 0x3
	buffer_load_dword v102, v99, s[0:3], 0 offen offset:8
	buffer_load_dword v103, v99, s[0:3], 0 offen offset:12
	buffer_load_dword v106, v99, s[0:3], 0 offen
	buffer_load_dword v107, v99, s[0:3], 0 offen offset:4
	s_waitcnt vmcnt(2) lgkmcnt(0)
	v_mul_f64 v[108:109], v[3:4], v[102:103]
	v_mul_f64 v[102:103], v[1:2], v[102:103]
	s_waitcnt vmcnt(0)
	v_fma_f64 v[1:2], v[1:2], v[106:107], -v[108:109]
	v_fma_f64 v[3:4], v[3:4], v[106:107], v[102:103]
.LBB110_386:
	s_mov_b32 s54, exec_lo
	v_cmpx_ne_u32_e32 2, v0
	s_cbranch_execz .LBB110_390
; %bb.387:
	s_clause 0x3
	buffer_load_dword v102, v99, s[0:3], 0 offen offset:24
	buffer_load_dword v103, v99, s[0:3], 0 offen offset:28
	;; [unrolled: 1-line block ×4, first 2 shown]
	ds_read_b128 v[106:109], v100 offset:16
	s_waitcnt vmcnt(2) lgkmcnt(0)
	v_mul_f64 v[112:113], v[108:109], v[102:103]
	v_mul_f64 v[102:103], v[106:107], v[102:103]
	s_waitcnt vmcnt(0)
	v_fma_f64 v[106:107], v[106:107], v[110:111], -v[112:113]
	v_fma_f64 v[102:103], v[108:109], v[110:111], v[102:103]
	v_add_f64 v[1:2], v[1:2], v[106:107]
	v_add_f64 v[3:4], v[3:4], v[102:103]
	s_and_saveexec_b32 s55, s4
	s_cbranch_execz .LBB110_389
; %bb.388:
	s_clause 0x3
	buffer_load_dword v102, off, s[0:3], 0 offset:40
	buffer_load_dword v103, off, s[0:3], 0 offset:44
	;; [unrolled: 1-line block ×4, first 2 shown]
	v_mov_b32_e32 v104, 0
	ds_read_b128 v[106:109], v104 offset:784
	s_waitcnt vmcnt(2) lgkmcnt(0)
	v_mul_f64 v[112:113], v[106:107], v[102:103]
	v_mul_f64 v[102:103], v[108:109], v[102:103]
	s_waitcnt vmcnt(0)
	v_fma_f64 v[108:109], v[108:109], v[110:111], v[112:113]
	v_fma_f64 v[102:103], v[106:107], v[110:111], -v[102:103]
	v_add_f64 v[3:4], v[3:4], v[108:109]
	v_add_f64 v[1:2], v[1:2], v[102:103]
.LBB110_389:
	s_or_b32 exec_lo, exec_lo, s55
.LBB110_390:
	s_or_b32 exec_lo, exec_lo, s54
	v_mov_b32_e32 v102, 0
	ds_read_b128 v[106:109], v102 offset:48
	s_waitcnt lgkmcnt(0)
	v_mul_f64 v[102:103], v[3:4], v[108:109]
	v_mul_f64 v[108:109], v[1:2], v[108:109]
	v_fma_f64 v[1:2], v[1:2], v[106:107], -v[102:103]
	v_fma_f64 v[3:4], v[3:4], v[106:107], v[108:109]
	buffer_store_dword v2, off, s[0:3], 0 offset:52
	buffer_store_dword v1, off, s[0:3], 0 offset:48
	buffer_store_dword v4, off, s[0:3], 0 offset:60
	buffer_store_dword v3, off, s[0:3], 0 offset:56
.LBB110_391:
	s_or_b32 exec_lo, exec_lo, s8
	v_mov_b32_e32 v4, s50
	s_mov_b32 s4, exec_lo
	s_clause 0x3
	buffer_load_dword v1, v4, s[0:3], 0 offen
	buffer_load_dword v2, v4, s[0:3], 0 offen offset:4
	buffer_load_dword v3, v4, s[0:3], 0 offen offset:8
	;; [unrolled: 1-line block ×3, first 2 shown]
	s_waitcnt vmcnt(0)
	ds_write_b128 v100, v[1:4]
	s_waitcnt lgkmcnt(0)
	s_waitcnt_vscnt null, 0x0
	s_barrier
	buffer_gl0_inv
	v_cmpx_gt_u32_e32 4, v0
	s_cbranch_execz .LBB110_399
; %bb.392:
	ds_read_b128 v[1:4], v100
	v_cmp_ne_u32_e32 vcc_lo, 1, v101
	s_cbranch_vccnz .LBB110_394
; %bb.393:
	s_clause 0x3
	buffer_load_dword v102, v99, s[0:3], 0 offen offset:8
	buffer_load_dword v103, v99, s[0:3], 0 offen offset:12
	buffer_load_dword v106, v99, s[0:3], 0 offen
	buffer_load_dword v107, v99, s[0:3], 0 offen offset:4
	s_waitcnt vmcnt(2) lgkmcnt(0)
	v_mul_f64 v[108:109], v[3:4], v[102:103]
	v_mul_f64 v[102:103], v[1:2], v[102:103]
	s_waitcnt vmcnt(0)
	v_fma_f64 v[1:2], v[1:2], v[106:107], -v[108:109]
	v_fma_f64 v[3:4], v[3:4], v[106:107], v[102:103]
.LBB110_394:
	s_mov_b32 s8, exec_lo
	v_cmpx_ne_u32_e32 3, v0
	s_cbranch_execz .LBB110_398
; %bb.395:
	v_add_nc_u32_e32 v102, 0x300, v105
	v_add3_u32 v103, 0, v105, 16
	v_mov_b32_e32 v104, v0
	s_mov_b32 s54, 0
	.p2align	6
.LBB110_396:                            ; =>This Inner Loop Header: Depth=1
	s_clause 0x3
	buffer_load_dword v110, v103, s[0:3], 0 offen offset:8
	buffer_load_dword v111, v103, s[0:3], 0 offen offset:12
	buffer_load_dword v112, v103, s[0:3], 0 offen
	buffer_load_dword v113, v103, s[0:3], 0 offen offset:4
	ds_read_b128 v[106:109], v102
	v_add_nc_u32_e32 v104, 1, v104
	v_add_nc_u32_e32 v102, 16, v102
	;; [unrolled: 1-line block ×3, first 2 shown]
	v_cmp_lt_u32_e32 vcc_lo, 2, v104
	s_or_b32 s54, vcc_lo, s54
	s_waitcnt vmcnt(2) lgkmcnt(0)
	v_mul_f64 v[114:115], v[108:109], v[110:111]
	v_mul_f64 v[110:111], v[106:107], v[110:111]
	s_waitcnt vmcnt(0)
	v_fma_f64 v[106:107], v[106:107], v[112:113], -v[114:115]
	v_fma_f64 v[108:109], v[108:109], v[112:113], v[110:111]
	v_add_f64 v[1:2], v[1:2], v[106:107]
	v_add_f64 v[3:4], v[3:4], v[108:109]
	s_andn2_b32 exec_lo, exec_lo, s54
	s_cbranch_execnz .LBB110_396
; %bb.397:
	s_or_b32 exec_lo, exec_lo, s54
.LBB110_398:
	s_or_b32 exec_lo, exec_lo, s8
	v_mov_b32_e32 v102, 0
	ds_read_b128 v[106:109], v102 offset:64
	s_waitcnt lgkmcnt(0)
	v_mul_f64 v[102:103], v[3:4], v[108:109]
	v_mul_f64 v[108:109], v[1:2], v[108:109]
	v_fma_f64 v[1:2], v[1:2], v[106:107], -v[102:103]
	v_fma_f64 v[3:4], v[3:4], v[106:107], v[108:109]
	buffer_store_dword v2, off, s[0:3], 0 offset:68
	buffer_store_dword v1, off, s[0:3], 0 offset:64
	;; [unrolled: 1-line block ×4, first 2 shown]
.LBB110_399:
	s_or_b32 exec_lo, exec_lo, s4
	v_mov_b32_e32 v4, s49
	s_mov_b32 s4, exec_lo
	s_clause 0x3
	buffer_load_dword v1, v4, s[0:3], 0 offen
	buffer_load_dword v2, v4, s[0:3], 0 offen offset:4
	buffer_load_dword v3, v4, s[0:3], 0 offen offset:8
	;; [unrolled: 1-line block ×3, first 2 shown]
	s_waitcnt vmcnt(0)
	ds_write_b128 v100, v[1:4]
	s_waitcnt lgkmcnt(0)
	s_waitcnt_vscnt null, 0x0
	s_barrier
	buffer_gl0_inv
	v_cmpx_gt_u32_e32 5, v0
	s_cbranch_execz .LBB110_407
; %bb.400:
	ds_read_b128 v[1:4], v100
	v_cmp_ne_u32_e32 vcc_lo, 1, v101
	s_cbranch_vccnz .LBB110_402
; %bb.401:
	s_clause 0x3
	buffer_load_dword v102, v99, s[0:3], 0 offen offset:8
	buffer_load_dword v103, v99, s[0:3], 0 offen offset:12
	buffer_load_dword v106, v99, s[0:3], 0 offen
	buffer_load_dword v107, v99, s[0:3], 0 offen offset:4
	s_waitcnt vmcnt(2) lgkmcnt(0)
	v_mul_f64 v[108:109], v[3:4], v[102:103]
	v_mul_f64 v[102:103], v[1:2], v[102:103]
	s_waitcnt vmcnt(0)
	v_fma_f64 v[1:2], v[1:2], v[106:107], -v[108:109]
	v_fma_f64 v[3:4], v[3:4], v[106:107], v[102:103]
.LBB110_402:
	s_mov_b32 s8, exec_lo
	v_cmpx_ne_u32_e32 4, v0
	s_cbranch_execz .LBB110_406
; %bb.403:
	v_add_nc_u32_e32 v102, 0x300, v105
	v_add3_u32 v103, 0, v105, 16
	v_mov_b32_e32 v104, v0
	s_mov_b32 s54, 0
	.p2align	6
.LBB110_404:                            ; =>This Inner Loop Header: Depth=1
	s_clause 0x3
	buffer_load_dword v110, v103, s[0:3], 0 offen offset:8
	buffer_load_dword v111, v103, s[0:3], 0 offen offset:12
	buffer_load_dword v112, v103, s[0:3], 0 offen
	buffer_load_dword v113, v103, s[0:3], 0 offen offset:4
	ds_read_b128 v[106:109], v102
	v_add_nc_u32_e32 v104, 1, v104
	v_add_nc_u32_e32 v102, 16, v102
	;; [unrolled: 1-line block ×3, first 2 shown]
	v_cmp_lt_u32_e32 vcc_lo, 3, v104
	s_or_b32 s54, vcc_lo, s54
	s_waitcnt vmcnt(2) lgkmcnt(0)
	v_mul_f64 v[114:115], v[108:109], v[110:111]
	v_mul_f64 v[110:111], v[106:107], v[110:111]
	s_waitcnt vmcnt(0)
	v_fma_f64 v[106:107], v[106:107], v[112:113], -v[114:115]
	v_fma_f64 v[108:109], v[108:109], v[112:113], v[110:111]
	v_add_f64 v[1:2], v[1:2], v[106:107]
	v_add_f64 v[3:4], v[3:4], v[108:109]
	s_andn2_b32 exec_lo, exec_lo, s54
	s_cbranch_execnz .LBB110_404
; %bb.405:
	s_or_b32 exec_lo, exec_lo, s54
.LBB110_406:
	s_or_b32 exec_lo, exec_lo, s8
	v_mov_b32_e32 v102, 0
	ds_read_b128 v[106:109], v102 offset:80
	s_waitcnt lgkmcnt(0)
	v_mul_f64 v[102:103], v[3:4], v[108:109]
	v_mul_f64 v[108:109], v[1:2], v[108:109]
	v_fma_f64 v[1:2], v[1:2], v[106:107], -v[102:103]
	v_fma_f64 v[3:4], v[3:4], v[106:107], v[108:109]
	buffer_store_dword v2, off, s[0:3], 0 offset:84
	buffer_store_dword v1, off, s[0:3], 0 offset:80
	;; [unrolled: 1-line block ×4, first 2 shown]
.LBB110_407:
	s_or_b32 exec_lo, exec_lo, s4
	v_mov_b32_e32 v4, s48
	s_mov_b32 s4, exec_lo
	s_clause 0x3
	buffer_load_dword v1, v4, s[0:3], 0 offen
	buffer_load_dword v2, v4, s[0:3], 0 offen offset:4
	buffer_load_dword v3, v4, s[0:3], 0 offen offset:8
	;; [unrolled: 1-line block ×3, first 2 shown]
	s_waitcnt vmcnt(0)
	ds_write_b128 v100, v[1:4]
	s_waitcnt lgkmcnt(0)
	s_waitcnt_vscnt null, 0x0
	s_barrier
	buffer_gl0_inv
	v_cmpx_gt_u32_e32 6, v0
	s_cbranch_execz .LBB110_415
; %bb.408:
	ds_read_b128 v[1:4], v100
	v_cmp_ne_u32_e32 vcc_lo, 1, v101
	s_cbranch_vccnz .LBB110_410
; %bb.409:
	s_clause 0x3
	buffer_load_dword v102, v99, s[0:3], 0 offen offset:8
	buffer_load_dword v103, v99, s[0:3], 0 offen offset:12
	buffer_load_dword v106, v99, s[0:3], 0 offen
	buffer_load_dword v107, v99, s[0:3], 0 offen offset:4
	s_waitcnt vmcnt(2) lgkmcnt(0)
	v_mul_f64 v[108:109], v[3:4], v[102:103]
	v_mul_f64 v[102:103], v[1:2], v[102:103]
	s_waitcnt vmcnt(0)
	v_fma_f64 v[1:2], v[1:2], v[106:107], -v[108:109]
	v_fma_f64 v[3:4], v[3:4], v[106:107], v[102:103]
.LBB110_410:
	s_mov_b32 s8, exec_lo
	v_cmpx_ne_u32_e32 5, v0
	s_cbranch_execz .LBB110_414
; %bb.411:
	v_add_nc_u32_e32 v102, 0x300, v105
	v_add3_u32 v103, 0, v105, 16
	v_mov_b32_e32 v104, v0
	s_mov_b32 s54, 0
	.p2align	6
.LBB110_412:                            ; =>This Inner Loop Header: Depth=1
	s_clause 0x3
	buffer_load_dword v110, v103, s[0:3], 0 offen offset:8
	buffer_load_dword v111, v103, s[0:3], 0 offen offset:12
	buffer_load_dword v112, v103, s[0:3], 0 offen
	buffer_load_dword v113, v103, s[0:3], 0 offen offset:4
	ds_read_b128 v[106:109], v102
	v_add_nc_u32_e32 v104, 1, v104
	v_add_nc_u32_e32 v102, 16, v102
	;; [unrolled: 1-line block ×3, first 2 shown]
	v_cmp_lt_u32_e32 vcc_lo, 4, v104
	s_or_b32 s54, vcc_lo, s54
	s_waitcnt vmcnt(2) lgkmcnt(0)
	v_mul_f64 v[114:115], v[108:109], v[110:111]
	v_mul_f64 v[110:111], v[106:107], v[110:111]
	s_waitcnt vmcnt(0)
	v_fma_f64 v[106:107], v[106:107], v[112:113], -v[114:115]
	v_fma_f64 v[108:109], v[108:109], v[112:113], v[110:111]
	v_add_f64 v[1:2], v[1:2], v[106:107]
	v_add_f64 v[3:4], v[3:4], v[108:109]
	s_andn2_b32 exec_lo, exec_lo, s54
	s_cbranch_execnz .LBB110_412
; %bb.413:
	s_or_b32 exec_lo, exec_lo, s54
.LBB110_414:
	s_or_b32 exec_lo, exec_lo, s8
	v_mov_b32_e32 v102, 0
	ds_read_b128 v[106:109], v102 offset:96
	s_waitcnt lgkmcnt(0)
	v_mul_f64 v[102:103], v[3:4], v[108:109]
	v_mul_f64 v[108:109], v[1:2], v[108:109]
	v_fma_f64 v[1:2], v[1:2], v[106:107], -v[102:103]
	v_fma_f64 v[3:4], v[3:4], v[106:107], v[108:109]
	buffer_store_dword v2, off, s[0:3], 0 offset:100
	buffer_store_dword v1, off, s[0:3], 0 offset:96
	;; [unrolled: 1-line block ×4, first 2 shown]
.LBB110_415:
	s_or_b32 exec_lo, exec_lo, s4
	v_mov_b32_e32 v4, s47
	s_mov_b32 s4, exec_lo
	s_clause 0x3
	buffer_load_dword v1, v4, s[0:3], 0 offen
	buffer_load_dword v2, v4, s[0:3], 0 offen offset:4
	buffer_load_dword v3, v4, s[0:3], 0 offen offset:8
	;; [unrolled: 1-line block ×3, first 2 shown]
	s_waitcnt vmcnt(0)
	ds_write_b128 v100, v[1:4]
	s_waitcnt lgkmcnt(0)
	s_waitcnt_vscnt null, 0x0
	s_barrier
	buffer_gl0_inv
	v_cmpx_gt_u32_e32 7, v0
	s_cbranch_execz .LBB110_423
; %bb.416:
	ds_read_b128 v[1:4], v100
	v_cmp_ne_u32_e32 vcc_lo, 1, v101
	s_cbranch_vccnz .LBB110_418
; %bb.417:
	s_clause 0x3
	buffer_load_dword v102, v99, s[0:3], 0 offen offset:8
	buffer_load_dword v103, v99, s[0:3], 0 offen offset:12
	buffer_load_dword v106, v99, s[0:3], 0 offen
	buffer_load_dword v107, v99, s[0:3], 0 offen offset:4
	s_waitcnt vmcnt(2) lgkmcnt(0)
	v_mul_f64 v[108:109], v[3:4], v[102:103]
	v_mul_f64 v[102:103], v[1:2], v[102:103]
	s_waitcnt vmcnt(0)
	v_fma_f64 v[1:2], v[1:2], v[106:107], -v[108:109]
	v_fma_f64 v[3:4], v[3:4], v[106:107], v[102:103]
.LBB110_418:
	s_mov_b32 s8, exec_lo
	v_cmpx_ne_u32_e32 6, v0
	s_cbranch_execz .LBB110_422
; %bb.419:
	v_add_nc_u32_e32 v102, 0x300, v105
	v_add3_u32 v103, 0, v105, 16
	v_mov_b32_e32 v104, v0
	s_mov_b32 s54, 0
	.p2align	6
.LBB110_420:                            ; =>This Inner Loop Header: Depth=1
	s_clause 0x3
	buffer_load_dword v110, v103, s[0:3], 0 offen offset:8
	buffer_load_dword v111, v103, s[0:3], 0 offen offset:12
	buffer_load_dword v112, v103, s[0:3], 0 offen
	buffer_load_dword v113, v103, s[0:3], 0 offen offset:4
	ds_read_b128 v[106:109], v102
	v_add_nc_u32_e32 v104, 1, v104
	v_add_nc_u32_e32 v102, 16, v102
	;; [unrolled: 1-line block ×3, first 2 shown]
	v_cmp_lt_u32_e32 vcc_lo, 5, v104
	s_or_b32 s54, vcc_lo, s54
	s_waitcnt vmcnt(2) lgkmcnt(0)
	v_mul_f64 v[114:115], v[108:109], v[110:111]
	v_mul_f64 v[110:111], v[106:107], v[110:111]
	s_waitcnt vmcnt(0)
	v_fma_f64 v[106:107], v[106:107], v[112:113], -v[114:115]
	v_fma_f64 v[108:109], v[108:109], v[112:113], v[110:111]
	v_add_f64 v[1:2], v[1:2], v[106:107]
	v_add_f64 v[3:4], v[3:4], v[108:109]
	s_andn2_b32 exec_lo, exec_lo, s54
	s_cbranch_execnz .LBB110_420
; %bb.421:
	s_or_b32 exec_lo, exec_lo, s54
.LBB110_422:
	s_or_b32 exec_lo, exec_lo, s8
	v_mov_b32_e32 v102, 0
	ds_read_b128 v[106:109], v102 offset:112
	s_waitcnt lgkmcnt(0)
	v_mul_f64 v[102:103], v[3:4], v[108:109]
	v_mul_f64 v[108:109], v[1:2], v[108:109]
	v_fma_f64 v[1:2], v[1:2], v[106:107], -v[102:103]
	v_fma_f64 v[3:4], v[3:4], v[106:107], v[108:109]
	buffer_store_dword v2, off, s[0:3], 0 offset:116
	buffer_store_dword v1, off, s[0:3], 0 offset:112
	;; [unrolled: 1-line block ×4, first 2 shown]
.LBB110_423:
	s_or_b32 exec_lo, exec_lo, s4
	v_mov_b32_e32 v4, s46
	s_mov_b32 s4, exec_lo
	s_clause 0x3
	buffer_load_dword v1, v4, s[0:3], 0 offen
	buffer_load_dword v2, v4, s[0:3], 0 offen offset:4
	buffer_load_dword v3, v4, s[0:3], 0 offen offset:8
	;; [unrolled: 1-line block ×3, first 2 shown]
	s_waitcnt vmcnt(0)
	ds_write_b128 v100, v[1:4]
	s_waitcnt lgkmcnt(0)
	s_waitcnt_vscnt null, 0x0
	s_barrier
	buffer_gl0_inv
	v_cmpx_gt_u32_e32 8, v0
	s_cbranch_execz .LBB110_431
; %bb.424:
	ds_read_b128 v[1:4], v100
	v_cmp_ne_u32_e32 vcc_lo, 1, v101
	s_cbranch_vccnz .LBB110_426
; %bb.425:
	s_clause 0x3
	buffer_load_dword v102, v99, s[0:3], 0 offen offset:8
	buffer_load_dword v103, v99, s[0:3], 0 offen offset:12
	buffer_load_dword v106, v99, s[0:3], 0 offen
	buffer_load_dword v107, v99, s[0:3], 0 offen offset:4
	s_waitcnt vmcnt(2) lgkmcnt(0)
	v_mul_f64 v[108:109], v[3:4], v[102:103]
	v_mul_f64 v[102:103], v[1:2], v[102:103]
	s_waitcnt vmcnt(0)
	v_fma_f64 v[1:2], v[1:2], v[106:107], -v[108:109]
	v_fma_f64 v[3:4], v[3:4], v[106:107], v[102:103]
.LBB110_426:
	s_mov_b32 s8, exec_lo
	v_cmpx_ne_u32_e32 7, v0
	s_cbranch_execz .LBB110_430
; %bb.427:
	v_add_nc_u32_e32 v102, 0x300, v105
	v_add3_u32 v103, 0, v105, 16
	v_mov_b32_e32 v104, v0
	s_mov_b32 s54, 0
	.p2align	6
.LBB110_428:                            ; =>This Inner Loop Header: Depth=1
	s_clause 0x3
	buffer_load_dword v110, v103, s[0:3], 0 offen offset:8
	buffer_load_dword v111, v103, s[0:3], 0 offen offset:12
	buffer_load_dword v112, v103, s[0:3], 0 offen
	buffer_load_dword v113, v103, s[0:3], 0 offen offset:4
	ds_read_b128 v[106:109], v102
	v_add_nc_u32_e32 v104, 1, v104
	v_add_nc_u32_e32 v102, 16, v102
	;; [unrolled: 1-line block ×3, first 2 shown]
	v_cmp_lt_u32_e32 vcc_lo, 6, v104
	s_or_b32 s54, vcc_lo, s54
	s_waitcnt vmcnt(2) lgkmcnt(0)
	v_mul_f64 v[114:115], v[108:109], v[110:111]
	v_mul_f64 v[110:111], v[106:107], v[110:111]
	s_waitcnt vmcnt(0)
	v_fma_f64 v[106:107], v[106:107], v[112:113], -v[114:115]
	v_fma_f64 v[108:109], v[108:109], v[112:113], v[110:111]
	v_add_f64 v[1:2], v[1:2], v[106:107]
	v_add_f64 v[3:4], v[3:4], v[108:109]
	s_andn2_b32 exec_lo, exec_lo, s54
	s_cbranch_execnz .LBB110_428
; %bb.429:
	s_or_b32 exec_lo, exec_lo, s54
.LBB110_430:
	s_or_b32 exec_lo, exec_lo, s8
	v_mov_b32_e32 v102, 0
	ds_read_b128 v[106:109], v102 offset:128
	s_waitcnt lgkmcnt(0)
	v_mul_f64 v[102:103], v[3:4], v[108:109]
	v_mul_f64 v[108:109], v[1:2], v[108:109]
	v_fma_f64 v[1:2], v[1:2], v[106:107], -v[102:103]
	v_fma_f64 v[3:4], v[3:4], v[106:107], v[108:109]
	buffer_store_dword v2, off, s[0:3], 0 offset:132
	buffer_store_dword v1, off, s[0:3], 0 offset:128
	;; [unrolled: 1-line block ×4, first 2 shown]
.LBB110_431:
	s_or_b32 exec_lo, exec_lo, s4
	v_mov_b32_e32 v4, s45
	s_mov_b32 s4, exec_lo
	s_clause 0x3
	buffer_load_dword v1, v4, s[0:3], 0 offen
	buffer_load_dword v2, v4, s[0:3], 0 offen offset:4
	buffer_load_dword v3, v4, s[0:3], 0 offen offset:8
	;; [unrolled: 1-line block ×3, first 2 shown]
	s_waitcnt vmcnt(0)
	ds_write_b128 v100, v[1:4]
	s_waitcnt lgkmcnt(0)
	s_waitcnt_vscnt null, 0x0
	s_barrier
	buffer_gl0_inv
	v_cmpx_gt_u32_e32 9, v0
	s_cbranch_execz .LBB110_439
; %bb.432:
	ds_read_b128 v[1:4], v100
	v_cmp_ne_u32_e32 vcc_lo, 1, v101
	s_cbranch_vccnz .LBB110_434
; %bb.433:
	s_clause 0x3
	buffer_load_dword v102, v99, s[0:3], 0 offen offset:8
	buffer_load_dword v103, v99, s[0:3], 0 offen offset:12
	buffer_load_dword v106, v99, s[0:3], 0 offen
	buffer_load_dword v107, v99, s[0:3], 0 offen offset:4
	s_waitcnt vmcnt(2) lgkmcnt(0)
	v_mul_f64 v[108:109], v[3:4], v[102:103]
	v_mul_f64 v[102:103], v[1:2], v[102:103]
	s_waitcnt vmcnt(0)
	v_fma_f64 v[1:2], v[1:2], v[106:107], -v[108:109]
	v_fma_f64 v[3:4], v[3:4], v[106:107], v[102:103]
.LBB110_434:
	s_mov_b32 s8, exec_lo
	v_cmpx_ne_u32_e32 8, v0
	s_cbranch_execz .LBB110_438
; %bb.435:
	v_add_nc_u32_e32 v102, 0x300, v105
	v_add3_u32 v103, 0, v105, 16
	v_mov_b32_e32 v104, v0
	s_mov_b32 s54, 0
	.p2align	6
.LBB110_436:                            ; =>This Inner Loop Header: Depth=1
	s_clause 0x3
	buffer_load_dword v110, v103, s[0:3], 0 offen offset:8
	buffer_load_dword v111, v103, s[0:3], 0 offen offset:12
	buffer_load_dword v112, v103, s[0:3], 0 offen
	buffer_load_dword v113, v103, s[0:3], 0 offen offset:4
	ds_read_b128 v[106:109], v102
	v_add_nc_u32_e32 v104, 1, v104
	v_add_nc_u32_e32 v102, 16, v102
	;; [unrolled: 1-line block ×3, first 2 shown]
	v_cmp_lt_u32_e32 vcc_lo, 7, v104
	s_or_b32 s54, vcc_lo, s54
	s_waitcnt vmcnt(2) lgkmcnt(0)
	v_mul_f64 v[114:115], v[108:109], v[110:111]
	v_mul_f64 v[110:111], v[106:107], v[110:111]
	s_waitcnt vmcnt(0)
	v_fma_f64 v[106:107], v[106:107], v[112:113], -v[114:115]
	v_fma_f64 v[108:109], v[108:109], v[112:113], v[110:111]
	v_add_f64 v[1:2], v[1:2], v[106:107]
	v_add_f64 v[3:4], v[3:4], v[108:109]
	s_andn2_b32 exec_lo, exec_lo, s54
	s_cbranch_execnz .LBB110_436
; %bb.437:
	s_or_b32 exec_lo, exec_lo, s54
.LBB110_438:
	s_or_b32 exec_lo, exec_lo, s8
	v_mov_b32_e32 v102, 0
	ds_read_b128 v[106:109], v102 offset:144
	s_waitcnt lgkmcnt(0)
	v_mul_f64 v[102:103], v[3:4], v[108:109]
	v_mul_f64 v[108:109], v[1:2], v[108:109]
	v_fma_f64 v[1:2], v[1:2], v[106:107], -v[102:103]
	v_fma_f64 v[3:4], v[3:4], v[106:107], v[108:109]
	buffer_store_dword v2, off, s[0:3], 0 offset:148
	buffer_store_dword v1, off, s[0:3], 0 offset:144
	;; [unrolled: 1-line block ×4, first 2 shown]
.LBB110_439:
	s_or_b32 exec_lo, exec_lo, s4
	v_mov_b32_e32 v4, s44
	s_mov_b32 s4, exec_lo
	s_clause 0x3
	buffer_load_dword v1, v4, s[0:3], 0 offen
	buffer_load_dword v2, v4, s[0:3], 0 offen offset:4
	buffer_load_dword v3, v4, s[0:3], 0 offen offset:8
	;; [unrolled: 1-line block ×3, first 2 shown]
	s_waitcnt vmcnt(0)
	ds_write_b128 v100, v[1:4]
	s_waitcnt lgkmcnt(0)
	s_waitcnt_vscnt null, 0x0
	s_barrier
	buffer_gl0_inv
	v_cmpx_gt_u32_e32 10, v0
	s_cbranch_execz .LBB110_447
; %bb.440:
	ds_read_b128 v[1:4], v100
	v_cmp_ne_u32_e32 vcc_lo, 1, v101
	s_cbranch_vccnz .LBB110_442
; %bb.441:
	s_clause 0x3
	buffer_load_dword v102, v99, s[0:3], 0 offen offset:8
	buffer_load_dword v103, v99, s[0:3], 0 offen offset:12
	buffer_load_dword v106, v99, s[0:3], 0 offen
	buffer_load_dword v107, v99, s[0:3], 0 offen offset:4
	s_waitcnt vmcnt(2) lgkmcnt(0)
	v_mul_f64 v[108:109], v[3:4], v[102:103]
	v_mul_f64 v[102:103], v[1:2], v[102:103]
	s_waitcnt vmcnt(0)
	v_fma_f64 v[1:2], v[1:2], v[106:107], -v[108:109]
	v_fma_f64 v[3:4], v[3:4], v[106:107], v[102:103]
.LBB110_442:
	s_mov_b32 s8, exec_lo
	v_cmpx_ne_u32_e32 9, v0
	s_cbranch_execz .LBB110_446
; %bb.443:
	v_add_nc_u32_e32 v102, 0x300, v105
	v_add3_u32 v103, 0, v105, 16
	v_mov_b32_e32 v104, v0
	s_mov_b32 s54, 0
	.p2align	6
.LBB110_444:                            ; =>This Inner Loop Header: Depth=1
	s_clause 0x3
	buffer_load_dword v110, v103, s[0:3], 0 offen offset:8
	buffer_load_dword v111, v103, s[0:3], 0 offen offset:12
	buffer_load_dword v112, v103, s[0:3], 0 offen
	buffer_load_dword v113, v103, s[0:3], 0 offen offset:4
	ds_read_b128 v[106:109], v102
	v_add_nc_u32_e32 v104, 1, v104
	v_add_nc_u32_e32 v102, 16, v102
	;; [unrolled: 1-line block ×3, first 2 shown]
	v_cmp_lt_u32_e32 vcc_lo, 8, v104
	s_or_b32 s54, vcc_lo, s54
	s_waitcnt vmcnt(2) lgkmcnt(0)
	v_mul_f64 v[114:115], v[108:109], v[110:111]
	v_mul_f64 v[110:111], v[106:107], v[110:111]
	s_waitcnt vmcnt(0)
	v_fma_f64 v[106:107], v[106:107], v[112:113], -v[114:115]
	v_fma_f64 v[108:109], v[108:109], v[112:113], v[110:111]
	v_add_f64 v[1:2], v[1:2], v[106:107]
	v_add_f64 v[3:4], v[3:4], v[108:109]
	s_andn2_b32 exec_lo, exec_lo, s54
	s_cbranch_execnz .LBB110_444
; %bb.445:
	s_or_b32 exec_lo, exec_lo, s54
.LBB110_446:
	s_or_b32 exec_lo, exec_lo, s8
	v_mov_b32_e32 v102, 0
	ds_read_b128 v[106:109], v102 offset:160
	s_waitcnt lgkmcnt(0)
	v_mul_f64 v[102:103], v[3:4], v[108:109]
	v_mul_f64 v[108:109], v[1:2], v[108:109]
	v_fma_f64 v[1:2], v[1:2], v[106:107], -v[102:103]
	v_fma_f64 v[3:4], v[3:4], v[106:107], v[108:109]
	buffer_store_dword v2, off, s[0:3], 0 offset:164
	buffer_store_dword v1, off, s[0:3], 0 offset:160
	;; [unrolled: 1-line block ×4, first 2 shown]
.LBB110_447:
	s_or_b32 exec_lo, exec_lo, s4
	v_mov_b32_e32 v4, s43
	s_mov_b32 s4, exec_lo
	s_clause 0x3
	buffer_load_dword v1, v4, s[0:3], 0 offen
	buffer_load_dword v2, v4, s[0:3], 0 offen offset:4
	buffer_load_dword v3, v4, s[0:3], 0 offen offset:8
	;; [unrolled: 1-line block ×3, first 2 shown]
	s_waitcnt vmcnt(0)
	ds_write_b128 v100, v[1:4]
	s_waitcnt lgkmcnt(0)
	s_waitcnt_vscnt null, 0x0
	s_barrier
	buffer_gl0_inv
	v_cmpx_gt_u32_e32 11, v0
	s_cbranch_execz .LBB110_455
; %bb.448:
	ds_read_b128 v[1:4], v100
	v_cmp_ne_u32_e32 vcc_lo, 1, v101
	s_cbranch_vccnz .LBB110_450
; %bb.449:
	s_clause 0x3
	buffer_load_dword v102, v99, s[0:3], 0 offen offset:8
	buffer_load_dword v103, v99, s[0:3], 0 offen offset:12
	buffer_load_dword v106, v99, s[0:3], 0 offen
	buffer_load_dword v107, v99, s[0:3], 0 offen offset:4
	s_waitcnt vmcnt(2) lgkmcnt(0)
	v_mul_f64 v[108:109], v[3:4], v[102:103]
	v_mul_f64 v[102:103], v[1:2], v[102:103]
	s_waitcnt vmcnt(0)
	v_fma_f64 v[1:2], v[1:2], v[106:107], -v[108:109]
	v_fma_f64 v[3:4], v[3:4], v[106:107], v[102:103]
.LBB110_450:
	s_mov_b32 s8, exec_lo
	v_cmpx_ne_u32_e32 10, v0
	s_cbranch_execz .LBB110_454
; %bb.451:
	v_add_nc_u32_e32 v102, 0x300, v105
	v_add3_u32 v103, 0, v105, 16
	v_mov_b32_e32 v104, v0
	s_mov_b32 s54, 0
	.p2align	6
.LBB110_452:                            ; =>This Inner Loop Header: Depth=1
	s_clause 0x3
	buffer_load_dword v110, v103, s[0:3], 0 offen offset:8
	buffer_load_dword v111, v103, s[0:3], 0 offen offset:12
	buffer_load_dword v112, v103, s[0:3], 0 offen
	buffer_load_dword v113, v103, s[0:3], 0 offen offset:4
	ds_read_b128 v[106:109], v102
	v_add_nc_u32_e32 v104, 1, v104
	v_add_nc_u32_e32 v102, 16, v102
	;; [unrolled: 1-line block ×3, first 2 shown]
	v_cmp_lt_u32_e32 vcc_lo, 9, v104
	s_or_b32 s54, vcc_lo, s54
	s_waitcnt vmcnt(2) lgkmcnt(0)
	v_mul_f64 v[114:115], v[108:109], v[110:111]
	v_mul_f64 v[110:111], v[106:107], v[110:111]
	s_waitcnt vmcnt(0)
	v_fma_f64 v[106:107], v[106:107], v[112:113], -v[114:115]
	v_fma_f64 v[108:109], v[108:109], v[112:113], v[110:111]
	v_add_f64 v[1:2], v[1:2], v[106:107]
	v_add_f64 v[3:4], v[3:4], v[108:109]
	s_andn2_b32 exec_lo, exec_lo, s54
	s_cbranch_execnz .LBB110_452
; %bb.453:
	s_or_b32 exec_lo, exec_lo, s54
.LBB110_454:
	s_or_b32 exec_lo, exec_lo, s8
	v_mov_b32_e32 v102, 0
	ds_read_b128 v[106:109], v102 offset:176
	s_waitcnt lgkmcnt(0)
	v_mul_f64 v[102:103], v[3:4], v[108:109]
	v_mul_f64 v[108:109], v[1:2], v[108:109]
	v_fma_f64 v[1:2], v[1:2], v[106:107], -v[102:103]
	v_fma_f64 v[3:4], v[3:4], v[106:107], v[108:109]
	buffer_store_dword v2, off, s[0:3], 0 offset:180
	buffer_store_dword v1, off, s[0:3], 0 offset:176
	;; [unrolled: 1-line block ×4, first 2 shown]
.LBB110_455:
	s_or_b32 exec_lo, exec_lo, s4
	v_mov_b32_e32 v4, s42
	s_mov_b32 s4, exec_lo
	s_clause 0x3
	buffer_load_dword v1, v4, s[0:3], 0 offen
	buffer_load_dword v2, v4, s[0:3], 0 offen offset:4
	buffer_load_dword v3, v4, s[0:3], 0 offen offset:8
	;; [unrolled: 1-line block ×3, first 2 shown]
	s_waitcnt vmcnt(0)
	ds_write_b128 v100, v[1:4]
	s_waitcnt lgkmcnt(0)
	s_waitcnt_vscnt null, 0x0
	s_barrier
	buffer_gl0_inv
	v_cmpx_gt_u32_e32 12, v0
	s_cbranch_execz .LBB110_463
; %bb.456:
	ds_read_b128 v[1:4], v100
	v_cmp_ne_u32_e32 vcc_lo, 1, v101
	s_cbranch_vccnz .LBB110_458
; %bb.457:
	s_clause 0x3
	buffer_load_dword v102, v99, s[0:3], 0 offen offset:8
	buffer_load_dword v103, v99, s[0:3], 0 offen offset:12
	buffer_load_dword v106, v99, s[0:3], 0 offen
	buffer_load_dword v107, v99, s[0:3], 0 offen offset:4
	s_waitcnt vmcnt(2) lgkmcnt(0)
	v_mul_f64 v[108:109], v[3:4], v[102:103]
	v_mul_f64 v[102:103], v[1:2], v[102:103]
	s_waitcnt vmcnt(0)
	v_fma_f64 v[1:2], v[1:2], v[106:107], -v[108:109]
	v_fma_f64 v[3:4], v[3:4], v[106:107], v[102:103]
.LBB110_458:
	s_mov_b32 s8, exec_lo
	v_cmpx_ne_u32_e32 11, v0
	s_cbranch_execz .LBB110_462
; %bb.459:
	v_add_nc_u32_e32 v102, 0x300, v105
	v_add3_u32 v103, 0, v105, 16
	v_mov_b32_e32 v104, v0
	s_mov_b32 s54, 0
	.p2align	6
.LBB110_460:                            ; =>This Inner Loop Header: Depth=1
	s_clause 0x3
	buffer_load_dword v110, v103, s[0:3], 0 offen offset:8
	buffer_load_dword v111, v103, s[0:3], 0 offen offset:12
	buffer_load_dword v112, v103, s[0:3], 0 offen
	buffer_load_dword v113, v103, s[0:3], 0 offen offset:4
	ds_read_b128 v[106:109], v102
	v_add_nc_u32_e32 v104, 1, v104
	v_add_nc_u32_e32 v102, 16, v102
	;; [unrolled: 1-line block ×3, first 2 shown]
	v_cmp_lt_u32_e32 vcc_lo, 10, v104
	s_or_b32 s54, vcc_lo, s54
	s_waitcnt vmcnt(2) lgkmcnt(0)
	v_mul_f64 v[114:115], v[108:109], v[110:111]
	v_mul_f64 v[110:111], v[106:107], v[110:111]
	s_waitcnt vmcnt(0)
	v_fma_f64 v[106:107], v[106:107], v[112:113], -v[114:115]
	v_fma_f64 v[108:109], v[108:109], v[112:113], v[110:111]
	v_add_f64 v[1:2], v[1:2], v[106:107]
	v_add_f64 v[3:4], v[3:4], v[108:109]
	s_andn2_b32 exec_lo, exec_lo, s54
	s_cbranch_execnz .LBB110_460
; %bb.461:
	s_or_b32 exec_lo, exec_lo, s54
.LBB110_462:
	s_or_b32 exec_lo, exec_lo, s8
	v_mov_b32_e32 v102, 0
	ds_read_b128 v[106:109], v102 offset:192
	s_waitcnt lgkmcnt(0)
	v_mul_f64 v[102:103], v[3:4], v[108:109]
	v_mul_f64 v[108:109], v[1:2], v[108:109]
	v_fma_f64 v[1:2], v[1:2], v[106:107], -v[102:103]
	v_fma_f64 v[3:4], v[3:4], v[106:107], v[108:109]
	buffer_store_dword v2, off, s[0:3], 0 offset:196
	buffer_store_dword v1, off, s[0:3], 0 offset:192
	buffer_store_dword v4, off, s[0:3], 0 offset:204
	buffer_store_dword v3, off, s[0:3], 0 offset:200
.LBB110_463:
	s_or_b32 exec_lo, exec_lo, s4
	v_mov_b32_e32 v4, s41
	s_mov_b32 s4, exec_lo
	s_clause 0x3
	buffer_load_dword v1, v4, s[0:3], 0 offen
	buffer_load_dword v2, v4, s[0:3], 0 offen offset:4
	buffer_load_dword v3, v4, s[0:3], 0 offen offset:8
	;; [unrolled: 1-line block ×3, first 2 shown]
	s_waitcnt vmcnt(0)
	ds_write_b128 v100, v[1:4]
	s_waitcnt lgkmcnt(0)
	s_waitcnt_vscnt null, 0x0
	s_barrier
	buffer_gl0_inv
	v_cmpx_gt_u32_e32 13, v0
	s_cbranch_execz .LBB110_471
; %bb.464:
	ds_read_b128 v[1:4], v100
	v_cmp_ne_u32_e32 vcc_lo, 1, v101
	s_cbranch_vccnz .LBB110_466
; %bb.465:
	s_clause 0x3
	buffer_load_dword v102, v99, s[0:3], 0 offen offset:8
	buffer_load_dword v103, v99, s[0:3], 0 offen offset:12
	buffer_load_dword v106, v99, s[0:3], 0 offen
	buffer_load_dword v107, v99, s[0:3], 0 offen offset:4
	s_waitcnt vmcnt(2) lgkmcnt(0)
	v_mul_f64 v[108:109], v[3:4], v[102:103]
	v_mul_f64 v[102:103], v[1:2], v[102:103]
	s_waitcnt vmcnt(0)
	v_fma_f64 v[1:2], v[1:2], v[106:107], -v[108:109]
	v_fma_f64 v[3:4], v[3:4], v[106:107], v[102:103]
.LBB110_466:
	s_mov_b32 s8, exec_lo
	v_cmpx_ne_u32_e32 12, v0
	s_cbranch_execz .LBB110_470
; %bb.467:
	v_add_nc_u32_e32 v102, 0x300, v105
	v_add3_u32 v103, 0, v105, 16
	v_mov_b32_e32 v104, v0
	s_mov_b32 s54, 0
	.p2align	6
.LBB110_468:                            ; =>This Inner Loop Header: Depth=1
	s_clause 0x3
	buffer_load_dword v110, v103, s[0:3], 0 offen offset:8
	buffer_load_dword v111, v103, s[0:3], 0 offen offset:12
	buffer_load_dword v112, v103, s[0:3], 0 offen
	buffer_load_dword v113, v103, s[0:3], 0 offen offset:4
	ds_read_b128 v[106:109], v102
	v_add_nc_u32_e32 v104, 1, v104
	v_add_nc_u32_e32 v102, 16, v102
	;; [unrolled: 1-line block ×3, first 2 shown]
	v_cmp_lt_u32_e32 vcc_lo, 11, v104
	s_or_b32 s54, vcc_lo, s54
	s_waitcnt vmcnt(2) lgkmcnt(0)
	v_mul_f64 v[114:115], v[108:109], v[110:111]
	v_mul_f64 v[110:111], v[106:107], v[110:111]
	s_waitcnt vmcnt(0)
	v_fma_f64 v[106:107], v[106:107], v[112:113], -v[114:115]
	v_fma_f64 v[108:109], v[108:109], v[112:113], v[110:111]
	v_add_f64 v[1:2], v[1:2], v[106:107]
	v_add_f64 v[3:4], v[3:4], v[108:109]
	s_andn2_b32 exec_lo, exec_lo, s54
	s_cbranch_execnz .LBB110_468
; %bb.469:
	s_or_b32 exec_lo, exec_lo, s54
.LBB110_470:
	s_or_b32 exec_lo, exec_lo, s8
	v_mov_b32_e32 v102, 0
	ds_read_b128 v[106:109], v102 offset:208
	s_waitcnt lgkmcnt(0)
	v_mul_f64 v[102:103], v[3:4], v[108:109]
	v_mul_f64 v[108:109], v[1:2], v[108:109]
	v_fma_f64 v[1:2], v[1:2], v[106:107], -v[102:103]
	v_fma_f64 v[3:4], v[3:4], v[106:107], v[108:109]
	buffer_store_dword v2, off, s[0:3], 0 offset:212
	buffer_store_dword v1, off, s[0:3], 0 offset:208
	;; [unrolled: 1-line block ×4, first 2 shown]
.LBB110_471:
	s_or_b32 exec_lo, exec_lo, s4
	v_mov_b32_e32 v4, s40
	s_mov_b32 s4, exec_lo
	s_clause 0x3
	buffer_load_dword v1, v4, s[0:3], 0 offen
	buffer_load_dword v2, v4, s[0:3], 0 offen offset:4
	buffer_load_dword v3, v4, s[0:3], 0 offen offset:8
	;; [unrolled: 1-line block ×3, first 2 shown]
	s_waitcnt vmcnt(0)
	ds_write_b128 v100, v[1:4]
	s_waitcnt lgkmcnt(0)
	s_waitcnt_vscnt null, 0x0
	s_barrier
	buffer_gl0_inv
	v_cmpx_gt_u32_e32 14, v0
	s_cbranch_execz .LBB110_479
; %bb.472:
	ds_read_b128 v[1:4], v100
	v_cmp_ne_u32_e32 vcc_lo, 1, v101
	s_cbranch_vccnz .LBB110_474
; %bb.473:
	s_clause 0x3
	buffer_load_dword v102, v99, s[0:3], 0 offen offset:8
	buffer_load_dword v103, v99, s[0:3], 0 offen offset:12
	buffer_load_dword v106, v99, s[0:3], 0 offen
	buffer_load_dword v107, v99, s[0:3], 0 offen offset:4
	s_waitcnt vmcnt(2) lgkmcnt(0)
	v_mul_f64 v[108:109], v[3:4], v[102:103]
	v_mul_f64 v[102:103], v[1:2], v[102:103]
	s_waitcnt vmcnt(0)
	v_fma_f64 v[1:2], v[1:2], v[106:107], -v[108:109]
	v_fma_f64 v[3:4], v[3:4], v[106:107], v[102:103]
.LBB110_474:
	s_mov_b32 s8, exec_lo
	v_cmpx_ne_u32_e32 13, v0
	s_cbranch_execz .LBB110_478
; %bb.475:
	v_add_nc_u32_e32 v102, 0x300, v105
	v_add3_u32 v103, 0, v105, 16
	v_mov_b32_e32 v104, v0
	s_mov_b32 s54, 0
	.p2align	6
.LBB110_476:                            ; =>This Inner Loop Header: Depth=1
	s_clause 0x3
	buffer_load_dword v110, v103, s[0:3], 0 offen offset:8
	buffer_load_dword v111, v103, s[0:3], 0 offen offset:12
	buffer_load_dword v112, v103, s[0:3], 0 offen
	buffer_load_dword v113, v103, s[0:3], 0 offen offset:4
	ds_read_b128 v[106:109], v102
	v_add_nc_u32_e32 v104, 1, v104
	v_add_nc_u32_e32 v102, 16, v102
	;; [unrolled: 1-line block ×3, first 2 shown]
	v_cmp_lt_u32_e32 vcc_lo, 12, v104
	s_or_b32 s54, vcc_lo, s54
	s_waitcnt vmcnt(2) lgkmcnt(0)
	v_mul_f64 v[114:115], v[108:109], v[110:111]
	v_mul_f64 v[110:111], v[106:107], v[110:111]
	s_waitcnt vmcnt(0)
	v_fma_f64 v[106:107], v[106:107], v[112:113], -v[114:115]
	v_fma_f64 v[108:109], v[108:109], v[112:113], v[110:111]
	v_add_f64 v[1:2], v[1:2], v[106:107]
	v_add_f64 v[3:4], v[3:4], v[108:109]
	s_andn2_b32 exec_lo, exec_lo, s54
	s_cbranch_execnz .LBB110_476
; %bb.477:
	s_or_b32 exec_lo, exec_lo, s54
.LBB110_478:
	s_or_b32 exec_lo, exec_lo, s8
	v_mov_b32_e32 v102, 0
	ds_read_b128 v[106:109], v102 offset:224
	s_waitcnt lgkmcnt(0)
	v_mul_f64 v[102:103], v[3:4], v[108:109]
	v_mul_f64 v[108:109], v[1:2], v[108:109]
	v_fma_f64 v[1:2], v[1:2], v[106:107], -v[102:103]
	v_fma_f64 v[3:4], v[3:4], v[106:107], v[108:109]
	buffer_store_dword v2, off, s[0:3], 0 offset:228
	buffer_store_dword v1, off, s[0:3], 0 offset:224
	;; [unrolled: 1-line block ×4, first 2 shown]
.LBB110_479:
	s_or_b32 exec_lo, exec_lo, s4
	v_mov_b32_e32 v4, s39
	s_mov_b32 s4, exec_lo
	s_clause 0x3
	buffer_load_dword v1, v4, s[0:3], 0 offen
	buffer_load_dword v2, v4, s[0:3], 0 offen offset:4
	buffer_load_dword v3, v4, s[0:3], 0 offen offset:8
	;; [unrolled: 1-line block ×3, first 2 shown]
	s_waitcnt vmcnt(0)
	ds_write_b128 v100, v[1:4]
	s_waitcnt lgkmcnt(0)
	s_waitcnt_vscnt null, 0x0
	s_barrier
	buffer_gl0_inv
	v_cmpx_gt_u32_e32 15, v0
	s_cbranch_execz .LBB110_487
; %bb.480:
	ds_read_b128 v[1:4], v100
	v_cmp_ne_u32_e32 vcc_lo, 1, v101
	s_cbranch_vccnz .LBB110_482
; %bb.481:
	s_clause 0x3
	buffer_load_dword v102, v99, s[0:3], 0 offen offset:8
	buffer_load_dword v103, v99, s[0:3], 0 offen offset:12
	buffer_load_dword v106, v99, s[0:3], 0 offen
	buffer_load_dword v107, v99, s[0:3], 0 offen offset:4
	s_waitcnt vmcnt(2) lgkmcnt(0)
	v_mul_f64 v[108:109], v[3:4], v[102:103]
	v_mul_f64 v[102:103], v[1:2], v[102:103]
	s_waitcnt vmcnt(0)
	v_fma_f64 v[1:2], v[1:2], v[106:107], -v[108:109]
	v_fma_f64 v[3:4], v[3:4], v[106:107], v[102:103]
.LBB110_482:
	s_mov_b32 s8, exec_lo
	v_cmpx_ne_u32_e32 14, v0
	s_cbranch_execz .LBB110_486
; %bb.483:
	v_add_nc_u32_e32 v102, 0x300, v105
	v_add3_u32 v103, 0, v105, 16
	v_mov_b32_e32 v104, v0
	s_mov_b32 s54, 0
	.p2align	6
.LBB110_484:                            ; =>This Inner Loop Header: Depth=1
	s_clause 0x3
	buffer_load_dword v110, v103, s[0:3], 0 offen offset:8
	buffer_load_dword v111, v103, s[0:3], 0 offen offset:12
	buffer_load_dword v112, v103, s[0:3], 0 offen
	buffer_load_dword v113, v103, s[0:3], 0 offen offset:4
	ds_read_b128 v[106:109], v102
	v_add_nc_u32_e32 v104, 1, v104
	v_add_nc_u32_e32 v102, 16, v102
	;; [unrolled: 1-line block ×3, first 2 shown]
	v_cmp_lt_u32_e32 vcc_lo, 13, v104
	s_or_b32 s54, vcc_lo, s54
	s_waitcnt vmcnt(2) lgkmcnt(0)
	v_mul_f64 v[114:115], v[108:109], v[110:111]
	v_mul_f64 v[110:111], v[106:107], v[110:111]
	s_waitcnt vmcnt(0)
	v_fma_f64 v[106:107], v[106:107], v[112:113], -v[114:115]
	v_fma_f64 v[108:109], v[108:109], v[112:113], v[110:111]
	v_add_f64 v[1:2], v[1:2], v[106:107]
	v_add_f64 v[3:4], v[3:4], v[108:109]
	s_andn2_b32 exec_lo, exec_lo, s54
	s_cbranch_execnz .LBB110_484
; %bb.485:
	s_or_b32 exec_lo, exec_lo, s54
.LBB110_486:
	s_or_b32 exec_lo, exec_lo, s8
	v_mov_b32_e32 v102, 0
	ds_read_b128 v[106:109], v102 offset:240
	s_waitcnt lgkmcnt(0)
	v_mul_f64 v[102:103], v[3:4], v[108:109]
	v_mul_f64 v[108:109], v[1:2], v[108:109]
	v_fma_f64 v[1:2], v[1:2], v[106:107], -v[102:103]
	v_fma_f64 v[3:4], v[3:4], v[106:107], v[108:109]
	buffer_store_dword v2, off, s[0:3], 0 offset:244
	buffer_store_dword v1, off, s[0:3], 0 offset:240
	;; [unrolled: 1-line block ×4, first 2 shown]
.LBB110_487:
	s_or_b32 exec_lo, exec_lo, s4
	v_mov_b32_e32 v4, s38
	s_mov_b32 s4, exec_lo
	s_clause 0x3
	buffer_load_dword v1, v4, s[0:3], 0 offen
	buffer_load_dword v2, v4, s[0:3], 0 offen offset:4
	buffer_load_dword v3, v4, s[0:3], 0 offen offset:8
	;; [unrolled: 1-line block ×3, first 2 shown]
	s_waitcnt vmcnt(0)
	ds_write_b128 v100, v[1:4]
	s_waitcnt lgkmcnt(0)
	s_waitcnt_vscnt null, 0x0
	s_barrier
	buffer_gl0_inv
	v_cmpx_gt_u32_e32 16, v0
	s_cbranch_execz .LBB110_495
; %bb.488:
	ds_read_b128 v[1:4], v100
	v_cmp_ne_u32_e32 vcc_lo, 1, v101
	s_cbranch_vccnz .LBB110_490
; %bb.489:
	s_clause 0x3
	buffer_load_dword v102, v99, s[0:3], 0 offen offset:8
	buffer_load_dword v103, v99, s[0:3], 0 offen offset:12
	buffer_load_dword v106, v99, s[0:3], 0 offen
	buffer_load_dword v107, v99, s[0:3], 0 offen offset:4
	s_waitcnt vmcnt(2) lgkmcnt(0)
	v_mul_f64 v[108:109], v[3:4], v[102:103]
	v_mul_f64 v[102:103], v[1:2], v[102:103]
	s_waitcnt vmcnt(0)
	v_fma_f64 v[1:2], v[1:2], v[106:107], -v[108:109]
	v_fma_f64 v[3:4], v[3:4], v[106:107], v[102:103]
.LBB110_490:
	s_mov_b32 s8, exec_lo
	v_cmpx_ne_u32_e32 15, v0
	s_cbranch_execz .LBB110_494
; %bb.491:
	v_add_nc_u32_e32 v102, 0x300, v105
	v_add3_u32 v103, 0, v105, 16
	v_mov_b32_e32 v104, v0
	s_mov_b32 s54, 0
	.p2align	6
.LBB110_492:                            ; =>This Inner Loop Header: Depth=1
	s_clause 0x3
	buffer_load_dword v110, v103, s[0:3], 0 offen offset:8
	buffer_load_dword v111, v103, s[0:3], 0 offen offset:12
	buffer_load_dword v112, v103, s[0:3], 0 offen
	buffer_load_dword v113, v103, s[0:3], 0 offen offset:4
	ds_read_b128 v[106:109], v102
	v_add_nc_u32_e32 v104, 1, v104
	v_add_nc_u32_e32 v102, 16, v102
	;; [unrolled: 1-line block ×3, first 2 shown]
	v_cmp_lt_u32_e32 vcc_lo, 14, v104
	s_or_b32 s54, vcc_lo, s54
	s_waitcnt vmcnt(2) lgkmcnt(0)
	v_mul_f64 v[114:115], v[108:109], v[110:111]
	v_mul_f64 v[110:111], v[106:107], v[110:111]
	s_waitcnt vmcnt(0)
	v_fma_f64 v[106:107], v[106:107], v[112:113], -v[114:115]
	v_fma_f64 v[108:109], v[108:109], v[112:113], v[110:111]
	v_add_f64 v[1:2], v[1:2], v[106:107]
	v_add_f64 v[3:4], v[3:4], v[108:109]
	s_andn2_b32 exec_lo, exec_lo, s54
	s_cbranch_execnz .LBB110_492
; %bb.493:
	s_or_b32 exec_lo, exec_lo, s54
.LBB110_494:
	s_or_b32 exec_lo, exec_lo, s8
	v_mov_b32_e32 v102, 0
	ds_read_b128 v[106:109], v102 offset:256
	s_waitcnt lgkmcnt(0)
	v_mul_f64 v[102:103], v[3:4], v[108:109]
	v_mul_f64 v[108:109], v[1:2], v[108:109]
	v_fma_f64 v[1:2], v[1:2], v[106:107], -v[102:103]
	v_fma_f64 v[3:4], v[3:4], v[106:107], v[108:109]
	buffer_store_dword v2, off, s[0:3], 0 offset:260
	buffer_store_dword v1, off, s[0:3], 0 offset:256
	;; [unrolled: 1-line block ×4, first 2 shown]
.LBB110_495:
	s_or_b32 exec_lo, exec_lo, s4
	v_mov_b32_e32 v4, s37
	s_mov_b32 s4, exec_lo
	s_clause 0x3
	buffer_load_dword v1, v4, s[0:3], 0 offen
	buffer_load_dword v2, v4, s[0:3], 0 offen offset:4
	buffer_load_dword v3, v4, s[0:3], 0 offen offset:8
	;; [unrolled: 1-line block ×3, first 2 shown]
	s_waitcnt vmcnt(0)
	ds_write_b128 v100, v[1:4]
	s_waitcnt lgkmcnt(0)
	s_waitcnt_vscnt null, 0x0
	s_barrier
	buffer_gl0_inv
	v_cmpx_gt_u32_e32 17, v0
	s_cbranch_execz .LBB110_503
; %bb.496:
	ds_read_b128 v[1:4], v100
	v_cmp_ne_u32_e32 vcc_lo, 1, v101
	s_cbranch_vccnz .LBB110_498
; %bb.497:
	s_clause 0x3
	buffer_load_dword v102, v99, s[0:3], 0 offen offset:8
	buffer_load_dword v103, v99, s[0:3], 0 offen offset:12
	buffer_load_dword v106, v99, s[0:3], 0 offen
	buffer_load_dword v107, v99, s[0:3], 0 offen offset:4
	s_waitcnt vmcnt(2) lgkmcnt(0)
	v_mul_f64 v[108:109], v[3:4], v[102:103]
	v_mul_f64 v[102:103], v[1:2], v[102:103]
	s_waitcnt vmcnt(0)
	v_fma_f64 v[1:2], v[1:2], v[106:107], -v[108:109]
	v_fma_f64 v[3:4], v[3:4], v[106:107], v[102:103]
.LBB110_498:
	s_mov_b32 s8, exec_lo
	v_cmpx_ne_u32_e32 16, v0
	s_cbranch_execz .LBB110_502
; %bb.499:
	v_add_nc_u32_e32 v102, 0x300, v105
	v_add3_u32 v103, 0, v105, 16
	v_mov_b32_e32 v104, v0
	s_mov_b32 s54, 0
	.p2align	6
.LBB110_500:                            ; =>This Inner Loop Header: Depth=1
	s_clause 0x3
	buffer_load_dword v110, v103, s[0:3], 0 offen offset:8
	buffer_load_dword v111, v103, s[0:3], 0 offen offset:12
	buffer_load_dword v112, v103, s[0:3], 0 offen
	buffer_load_dword v113, v103, s[0:3], 0 offen offset:4
	ds_read_b128 v[106:109], v102
	v_add_nc_u32_e32 v104, 1, v104
	v_add_nc_u32_e32 v102, 16, v102
	;; [unrolled: 1-line block ×3, first 2 shown]
	v_cmp_lt_u32_e32 vcc_lo, 15, v104
	s_or_b32 s54, vcc_lo, s54
	s_waitcnt vmcnt(2) lgkmcnt(0)
	v_mul_f64 v[114:115], v[108:109], v[110:111]
	v_mul_f64 v[110:111], v[106:107], v[110:111]
	s_waitcnt vmcnt(0)
	v_fma_f64 v[106:107], v[106:107], v[112:113], -v[114:115]
	v_fma_f64 v[108:109], v[108:109], v[112:113], v[110:111]
	v_add_f64 v[1:2], v[1:2], v[106:107]
	v_add_f64 v[3:4], v[3:4], v[108:109]
	s_andn2_b32 exec_lo, exec_lo, s54
	s_cbranch_execnz .LBB110_500
; %bb.501:
	s_or_b32 exec_lo, exec_lo, s54
.LBB110_502:
	s_or_b32 exec_lo, exec_lo, s8
	v_mov_b32_e32 v102, 0
	ds_read_b128 v[106:109], v102 offset:272
	s_waitcnt lgkmcnt(0)
	v_mul_f64 v[102:103], v[3:4], v[108:109]
	v_mul_f64 v[108:109], v[1:2], v[108:109]
	v_fma_f64 v[1:2], v[1:2], v[106:107], -v[102:103]
	v_fma_f64 v[3:4], v[3:4], v[106:107], v[108:109]
	buffer_store_dword v2, off, s[0:3], 0 offset:276
	buffer_store_dword v1, off, s[0:3], 0 offset:272
	;; [unrolled: 1-line block ×4, first 2 shown]
.LBB110_503:
	s_or_b32 exec_lo, exec_lo, s4
	v_mov_b32_e32 v4, s36
	s_mov_b32 s4, exec_lo
	s_clause 0x3
	buffer_load_dword v1, v4, s[0:3], 0 offen
	buffer_load_dword v2, v4, s[0:3], 0 offen offset:4
	buffer_load_dword v3, v4, s[0:3], 0 offen offset:8
	;; [unrolled: 1-line block ×3, first 2 shown]
	s_waitcnt vmcnt(0)
	ds_write_b128 v100, v[1:4]
	s_waitcnt lgkmcnt(0)
	s_waitcnt_vscnt null, 0x0
	s_barrier
	buffer_gl0_inv
	v_cmpx_gt_u32_e32 18, v0
	s_cbranch_execz .LBB110_511
; %bb.504:
	ds_read_b128 v[1:4], v100
	v_cmp_ne_u32_e32 vcc_lo, 1, v101
	s_cbranch_vccnz .LBB110_506
; %bb.505:
	s_clause 0x3
	buffer_load_dword v102, v99, s[0:3], 0 offen offset:8
	buffer_load_dword v103, v99, s[0:3], 0 offen offset:12
	buffer_load_dword v106, v99, s[0:3], 0 offen
	buffer_load_dword v107, v99, s[0:3], 0 offen offset:4
	s_waitcnt vmcnt(2) lgkmcnt(0)
	v_mul_f64 v[108:109], v[3:4], v[102:103]
	v_mul_f64 v[102:103], v[1:2], v[102:103]
	s_waitcnt vmcnt(0)
	v_fma_f64 v[1:2], v[1:2], v[106:107], -v[108:109]
	v_fma_f64 v[3:4], v[3:4], v[106:107], v[102:103]
.LBB110_506:
	s_mov_b32 s8, exec_lo
	v_cmpx_ne_u32_e32 17, v0
	s_cbranch_execz .LBB110_510
; %bb.507:
	v_add_nc_u32_e32 v102, 0x300, v105
	v_add3_u32 v103, 0, v105, 16
	v_mov_b32_e32 v104, v0
	s_mov_b32 s54, 0
	.p2align	6
.LBB110_508:                            ; =>This Inner Loop Header: Depth=1
	s_clause 0x3
	buffer_load_dword v110, v103, s[0:3], 0 offen offset:8
	buffer_load_dword v111, v103, s[0:3], 0 offen offset:12
	buffer_load_dword v112, v103, s[0:3], 0 offen
	buffer_load_dword v113, v103, s[0:3], 0 offen offset:4
	ds_read_b128 v[106:109], v102
	v_add_nc_u32_e32 v104, 1, v104
	v_add_nc_u32_e32 v102, 16, v102
	;; [unrolled: 1-line block ×3, first 2 shown]
	v_cmp_lt_u32_e32 vcc_lo, 16, v104
	s_or_b32 s54, vcc_lo, s54
	s_waitcnt vmcnt(2) lgkmcnt(0)
	v_mul_f64 v[114:115], v[108:109], v[110:111]
	v_mul_f64 v[110:111], v[106:107], v[110:111]
	s_waitcnt vmcnt(0)
	v_fma_f64 v[106:107], v[106:107], v[112:113], -v[114:115]
	v_fma_f64 v[108:109], v[108:109], v[112:113], v[110:111]
	v_add_f64 v[1:2], v[1:2], v[106:107]
	v_add_f64 v[3:4], v[3:4], v[108:109]
	s_andn2_b32 exec_lo, exec_lo, s54
	s_cbranch_execnz .LBB110_508
; %bb.509:
	s_or_b32 exec_lo, exec_lo, s54
.LBB110_510:
	s_or_b32 exec_lo, exec_lo, s8
	v_mov_b32_e32 v102, 0
	ds_read_b128 v[106:109], v102 offset:288
	s_waitcnt lgkmcnt(0)
	v_mul_f64 v[102:103], v[3:4], v[108:109]
	v_mul_f64 v[108:109], v[1:2], v[108:109]
	v_fma_f64 v[1:2], v[1:2], v[106:107], -v[102:103]
	v_fma_f64 v[3:4], v[3:4], v[106:107], v[108:109]
	buffer_store_dword v2, off, s[0:3], 0 offset:292
	buffer_store_dword v1, off, s[0:3], 0 offset:288
	;; [unrolled: 1-line block ×4, first 2 shown]
.LBB110_511:
	s_or_b32 exec_lo, exec_lo, s4
	v_mov_b32_e32 v4, s35
	s_mov_b32 s4, exec_lo
	s_clause 0x3
	buffer_load_dword v1, v4, s[0:3], 0 offen
	buffer_load_dword v2, v4, s[0:3], 0 offen offset:4
	buffer_load_dword v3, v4, s[0:3], 0 offen offset:8
	;; [unrolled: 1-line block ×3, first 2 shown]
	s_waitcnt vmcnt(0)
	ds_write_b128 v100, v[1:4]
	s_waitcnt lgkmcnt(0)
	s_waitcnt_vscnt null, 0x0
	s_barrier
	buffer_gl0_inv
	v_cmpx_gt_u32_e32 19, v0
	s_cbranch_execz .LBB110_519
; %bb.512:
	ds_read_b128 v[1:4], v100
	v_cmp_ne_u32_e32 vcc_lo, 1, v101
	s_cbranch_vccnz .LBB110_514
; %bb.513:
	s_clause 0x3
	buffer_load_dword v102, v99, s[0:3], 0 offen offset:8
	buffer_load_dword v103, v99, s[0:3], 0 offen offset:12
	buffer_load_dword v106, v99, s[0:3], 0 offen
	buffer_load_dword v107, v99, s[0:3], 0 offen offset:4
	s_waitcnt vmcnt(2) lgkmcnt(0)
	v_mul_f64 v[108:109], v[3:4], v[102:103]
	v_mul_f64 v[102:103], v[1:2], v[102:103]
	s_waitcnt vmcnt(0)
	v_fma_f64 v[1:2], v[1:2], v[106:107], -v[108:109]
	v_fma_f64 v[3:4], v[3:4], v[106:107], v[102:103]
.LBB110_514:
	s_mov_b32 s8, exec_lo
	v_cmpx_ne_u32_e32 18, v0
	s_cbranch_execz .LBB110_518
; %bb.515:
	v_add_nc_u32_e32 v102, 0x300, v105
	v_add3_u32 v103, 0, v105, 16
	v_mov_b32_e32 v104, v0
	s_mov_b32 s54, 0
	.p2align	6
.LBB110_516:                            ; =>This Inner Loop Header: Depth=1
	s_clause 0x3
	buffer_load_dword v110, v103, s[0:3], 0 offen offset:8
	buffer_load_dword v111, v103, s[0:3], 0 offen offset:12
	buffer_load_dword v112, v103, s[0:3], 0 offen
	buffer_load_dword v113, v103, s[0:3], 0 offen offset:4
	ds_read_b128 v[106:109], v102
	v_add_nc_u32_e32 v104, 1, v104
	v_add_nc_u32_e32 v102, 16, v102
	;; [unrolled: 1-line block ×3, first 2 shown]
	v_cmp_lt_u32_e32 vcc_lo, 17, v104
	s_or_b32 s54, vcc_lo, s54
	s_waitcnt vmcnt(2) lgkmcnt(0)
	v_mul_f64 v[114:115], v[108:109], v[110:111]
	v_mul_f64 v[110:111], v[106:107], v[110:111]
	s_waitcnt vmcnt(0)
	v_fma_f64 v[106:107], v[106:107], v[112:113], -v[114:115]
	v_fma_f64 v[108:109], v[108:109], v[112:113], v[110:111]
	v_add_f64 v[1:2], v[1:2], v[106:107]
	v_add_f64 v[3:4], v[3:4], v[108:109]
	s_andn2_b32 exec_lo, exec_lo, s54
	s_cbranch_execnz .LBB110_516
; %bb.517:
	s_or_b32 exec_lo, exec_lo, s54
.LBB110_518:
	s_or_b32 exec_lo, exec_lo, s8
	v_mov_b32_e32 v102, 0
	ds_read_b128 v[106:109], v102 offset:304
	s_waitcnt lgkmcnt(0)
	v_mul_f64 v[102:103], v[3:4], v[108:109]
	v_mul_f64 v[108:109], v[1:2], v[108:109]
	v_fma_f64 v[1:2], v[1:2], v[106:107], -v[102:103]
	v_fma_f64 v[3:4], v[3:4], v[106:107], v[108:109]
	buffer_store_dword v2, off, s[0:3], 0 offset:308
	buffer_store_dword v1, off, s[0:3], 0 offset:304
	;; [unrolled: 1-line block ×4, first 2 shown]
.LBB110_519:
	s_or_b32 exec_lo, exec_lo, s4
	v_mov_b32_e32 v4, s34
	s_mov_b32 s4, exec_lo
	s_clause 0x3
	buffer_load_dword v1, v4, s[0:3], 0 offen
	buffer_load_dword v2, v4, s[0:3], 0 offen offset:4
	buffer_load_dword v3, v4, s[0:3], 0 offen offset:8
	buffer_load_dword v4, v4, s[0:3], 0 offen offset:12
	s_waitcnt vmcnt(0)
	ds_write_b128 v100, v[1:4]
	s_waitcnt lgkmcnt(0)
	s_waitcnt_vscnt null, 0x0
	s_barrier
	buffer_gl0_inv
	v_cmpx_gt_u32_e32 20, v0
	s_cbranch_execz .LBB110_527
; %bb.520:
	ds_read_b128 v[1:4], v100
	v_cmp_ne_u32_e32 vcc_lo, 1, v101
	s_cbranch_vccnz .LBB110_522
; %bb.521:
	s_clause 0x3
	buffer_load_dword v102, v99, s[0:3], 0 offen offset:8
	buffer_load_dword v103, v99, s[0:3], 0 offen offset:12
	buffer_load_dword v106, v99, s[0:3], 0 offen
	buffer_load_dword v107, v99, s[0:3], 0 offen offset:4
	s_waitcnt vmcnt(2) lgkmcnt(0)
	v_mul_f64 v[108:109], v[3:4], v[102:103]
	v_mul_f64 v[102:103], v[1:2], v[102:103]
	s_waitcnt vmcnt(0)
	v_fma_f64 v[1:2], v[1:2], v[106:107], -v[108:109]
	v_fma_f64 v[3:4], v[3:4], v[106:107], v[102:103]
.LBB110_522:
	s_mov_b32 s8, exec_lo
	v_cmpx_ne_u32_e32 19, v0
	s_cbranch_execz .LBB110_526
; %bb.523:
	v_add_nc_u32_e32 v102, 0x300, v105
	v_add3_u32 v103, 0, v105, 16
	v_mov_b32_e32 v104, v0
	s_mov_b32 s54, 0
	.p2align	6
.LBB110_524:                            ; =>This Inner Loop Header: Depth=1
	s_clause 0x3
	buffer_load_dword v110, v103, s[0:3], 0 offen offset:8
	buffer_load_dword v111, v103, s[0:3], 0 offen offset:12
	buffer_load_dword v112, v103, s[0:3], 0 offen
	buffer_load_dword v113, v103, s[0:3], 0 offen offset:4
	ds_read_b128 v[106:109], v102
	v_add_nc_u32_e32 v104, 1, v104
	v_add_nc_u32_e32 v102, 16, v102
	;; [unrolled: 1-line block ×3, first 2 shown]
	v_cmp_lt_u32_e32 vcc_lo, 18, v104
	s_or_b32 s54, vcc_lo, s54
	s_waitcnt vmcnt(2) lgkmcnt(0)
	v_mul_f64 v[114:115], v[108:109], v[110:111]
	v_mul_f64 v[110:111], v[106:107], v[110:111]
	s_waitcnt vmcnt(0)
	v_fma_f64 v[106:107], v[106:107], v[112:113], -v[114:115]
	v_fma_f64 v[108:109], v[108:109], v[112:113], v[110:111]
	v_add_f64 v[1:2], v[1:2], v[106:107]
	v_add_f64 v[3:4], v[3:4], v[108:109]
	s_andn2_b32 exec_lo, exec_lo, s54
	s_cbranch_execnz .LBB110_524
; %bb.525:
	s_or_b32 exec_lo, exec_lo, s54
.LBB110_526:
	s_or_b32 exec_lo, exec_lo, s8
	v_mov_b32_e32 v102, 0
	ds_read_b128 v[106:109], v102 offset:320
	s_waitcnt lgkmcnt(0)
	v_mul_f64 v[102:103], v[3:4], v[108:109]
	v_mul_f64 v[108:109], v[1:2], v[108:109]
	v_fma_f64 v[1:2], v[1:2], v[106:107], -v[102:103]
	v_fma_f64 v[3:4], v[3:4], v[106:107], v[108:109]
	buffer_store_dword v2, off, s[0:3], 0 offset:324
	buffer_store_dword v1, off, s[0:3], 0 offset:320
	;; [unrolled: 1-line block ×4, first 2 shown]
.LBB110_527:
	s_or_b32 exec_lo, exec_lo, s4
	v_mov_b32_e32 v4, s33
	s_mov_b32 s4, exec_lo
	s_clause 0x3
	buffer_load_dword v1, v4, s[0:3], 0 offen
	buffer_load_dword v2, v4, s[0:3], 0 offen offset:4
	buffer_load_dword v3, v4, s[0:3], 0 offen offset:8
	;; [unrolled: 1-line block ×3, first 2 shown]
	s_waitcnt vmcnt(0)
	ds_write_b128 v100, v[1:4]
	s_waitcnt lgkmcnt(0)
	s_waitcnt_vscnt null, 0x0
	s_barrier
	buffer_gl0_inv
	v_cmpx_gt_u32_e32 21, v0
	s_cbranch_execz .LBB110_535
; %bb.528:
	ds_read_b128 v[1:4], v100
	v_cmp_ne_u32_e32 vcc_lo, 1, v101
	s_cbranch_vccnz .LBB110_530
; %bb.529:
	s_clause 0x3
	buffer_load_dword v102, v99, s[0:3], 0 offen offset:8
	buffer_load_dword v103, v99, s[0:3], 0 offen offset:12
	buffer_load_dword v106, v99, s[0:3], 0 offen
	buffer_load_dword v107, v99, s[0:3], 0 offen offset:4
	s_waitcnt vmcnt(2) lgkmcnt(0)
	v_mul_f64 v[108:109], v[3:4], v[102:103]
	v_mul_f64 v[102:103], v[1:2], v[102:103]
	s_waitcnt vmcnt(0)
	v_fma_f64 v[1:2], v[1:2], v[106:107], -v[108:109]
	v_fma_f64 v[3:4], v[3:4], v[106:107], v[102:103]
.LBB110_530:
	s_mov_b32 s8, exec_lo
	v_cmpx_ne_u32_e32 20, v0
	s_cbranch_execz .LBB110_534
; %bb.531:
	v_add_nc_u32_e32 v102, 0x300, v105
	v_add3_u32 v103, 0, v105, 16
	v_mov_b32_e32 v104, v0
	s_mov_b32 s54, 0
	.p2align	6
.LBB110_532:                            ; =>This Inner Loop Header: Depth=1
	s_clause 0x3
	buffer_load_dword v110, v103, s[0:3], 0 offen offset:8
	buffer_load_dword v111, v103, s[0:3], 0 offen offset:12
	buffer_load_dword v112, v103, s[0:3], 0 offen
	buffer_load_dword v113, v103, s[0:3], 0 offen offset:4
	ds_read_b128 v[106:109], v102
	v_add_nc_u32_e32 v104, 1, v104
	v_add_nc_u32_e32 v102, 16, v102
	;; [unrolled: 1-line block ×3, first 2 shown]
	v_cmp_lt_u32_e32 vcc_lo, 19, v104
	s_or_b32 s54, vcc_lo, s54
	s_waitcnt vmcnt(2) lgkmcnt(0)
	v_mul_f64 v[114:115], v[108:109], v[110:111]
	v_mul_f64 v[110:111], v[106:107], v[110:111]
	s_waitcnt vmcnt(0)
	v_fma_f64 v[106:107], v[106:107], v[112:113], -v[114:115]
	v_fma_f64 v[108:109], v[108:109], v[112:113], v[110:111]
	v_add_f64 v[1:2], v[1:2], v[106:107]
	v_add_f64 v[3:4], v[3:4], v[108:109]
	s_andn2_b32 exec_lo, exec_lo, s54
	s_cbranch_execnz .LBB110_532
; %bb.533:
	s_or_b32 exec_lo, exec_lo, s54
.LBB110_534:
	s_or_b32 exec_lo, exec_lo, s8
	v_mov_b32_e32 v102, 0
	ds_read_b128 v[106:109], v102 offset:336
	s_waitcnt lgkmcnt(0)
	v_mul_f64 v[102:103], v[3:4], v[108:109]
	v_mul_f64 v[108:109], v[1:2], v[108:109]
	v_fma_f64 v[1:2], v[1:2], v[106:107], -v[102:103]
	v_fma_f64 v[3:4], v[3:4], v[106:107], v[108:109]
	buffer_store_dword v2, off, s[0:3], 0 offset:340
	buffer_store_dword v1, off, s[0:3], 0 offset:336
	;; [unrolled: 1-line block ×4, first 2 shown]
.LBB110_535:
	s_or_b32 exec_lo, exec_lo, s4
	v_mov_b32_e32 v4, s31
	s_mov_b32 s4, exec_lo
	s_clause 0x3
	buffer_load_dword v1, v4, s[0:3], 0 offen
	buffer_load_dword v2, v4, s[0:3], 0 offen offset:4
	buffer_load_dword v3, v4, s[0:3], 0 offen offset:8
	;; [unrolled: 1-line block ×3, first 2 shown]
	s_waitcnt vmcnt(0)
	ds_write_b128 v100, v[1:4]
	s_waitcnt lgkmcnt(0)
	s_waitcnt_vscnt null, 0x0
	s_barrier
	buffer_gl0_inv
	v_cmpx_gt_u32_e32 22, v0
	s_cbranch_execz .LBB110_543
; %bb.536:
	ds_read_b128 v[1:4], v100
	v_cmp_ne_u32_e32 vcc_lo, 1, v101
	s_cbranch_vccnz .LBB110_538
; %bb.537:
	s_clause 0x3
	buffer_load_dword v102, v99, s[0:3], 0 offen offset:8
	buffer_load_dword v103, v99, s[0:3], 0 offen offset:12
	buffer_load_dword v106, v99, s[0:3], 0 offen
	buffer_load_dword v107, v99, s[0:3], 0 offen offset:4
	s_waitcnt vmcnt(2) lgkmcnt(0)
	v_mul_f64 v[108:109], v[3:4], v[102:103]
	v_mul_f64 v[102:103], v[1:2], v[102:103]
	s_waitcnt vmcnt(0)
	v_fma_f64 v[1:2], v[1:2], v[106:107], -v[108:109]
	v_fma_f64 v[3:4], v[3:4], v[106:107], v[102:103]
.LBB110_538:
	s_mov_b32 s8, exec_lo
	v_cmpx_ne_u32_e32 21, v0
	s_cbranch_execz .LBB110_542
; %bb.539:
	v_add_nc_u32_e32 v102, 0x300, v105
	v_add3_u32 v103, 0, v105, 16
	v_mov_b32_e32 v104, v0
	s_mov_b32 s54, 0
	.p2align	6
.LBB110_540:                            ; =>This Inner Loop Header: Depth=1
	s_clause 0x3
	buffer_load_dword v110, v103, s[0:3], 0 offen offset:8
	buffer_load_dword v111, v103, s[0:3], 0 offen offset:12
	buffer_load_dword v112, v103, s[0:3], 0 offen
	buffer_load_dword v113, v103, s[0:3], 0 offen offset:4
	ds_read_b128 v[106:109], v102
	v_add_nc_u32_e32 v104, 1, v104
	v_add_nc_u32_e32 v102, 16, v102
	;; [unrolled: 1-line block ×3, first 2 shown]
	v_cmp_lt_u32_e32 vcc_lo, 20, v104
	s_or_b32 s54, vcc_lo, s54
	s_waitcnt vmcnt(2) lgkmcnt(0)
	v_mul_f64 v[114:115], v[108:109], v[110:111]
	v_mul_f64 v[110:111], v[106:107], v[110:111]
	s_waitcnt vmcnt(0)
	v_fma_f64 v[106:107], v[106:107], v[112:113], -v[114:115]
	v_fma_f64 v[108:109], v[108:109], v[112:113], v[110:111]
	v_add_f64 v[1:2], v[1:2], v[106:107]
	v_add_f64 v[3:4], v[3:4], v[108:109]
	s_andn2_b32 exec_lo, exec_lo, s54
	s_cbranch_execnz .LBB110_540
; %bb.541:
	s_or_b32 exec_lo, exec_lo, s54
.LBB110_542:
	s_or_b32 exec_lo, exec_lo, s8
	v_mov_b32_e32 v102, 0
	ds_read_b128 v[106:109], v102 offset:352
	s_waitcnt lgkmcnt(0)
	v_mul_f64 v[102:103], v[3:4], v[108:109]
	v_mul_f64 v[108:109], v[1:2], v[108:109]
	v_fma_f64 v[1:2], v[1:2], v[106:107], -v[102:103]
	v_fma_f64 v[3:4], v[3:4], v[106:107], v[108:109]
	buffer_store_dword v2, off, s[0:3], 0 offset:356
	buffer_store_dword v1, off, s[0:3], 0 offset:352
	;; [unrolled: 1-line block ×4, first 2 shown]
.LBB110_543:
	s_or_b32 exec_lo, exec_lo, s4
	v_mov_b32_e32 v4, s30
	s_mov_b32 s4, exec_lo
	s_clause 0x3
	buffer_load_dword v1, v4, s[0:3], 0 offen
	buffer_load_dword v2, v4, s[0:3], 0 offen offset:4
	buffer_load_dword v3, v4, s[0:3], 0 offen offset:8
	buffer_load_dword v4, v4, s[0:3], 0 offen offset:12
	s_waitcnt vmcnt(0)
	ds_write_b128 v100, v[1:4]
	s_waitcnt lgkmcnt(0)
	s_waitcnt_vscnt null, 0x0
	s_barrier
	buffer_gl0_inv
	v_cmpx_gt_u32_e32 23, v0
	s_cbranch_execz .LBB110_551
; %bb.544:
	ds_read_b128 v[1:4], v100
	v_cmp_ne_u32_e32 vcc_lo, 1, v101
	s_cbranch_vccnz .LBB110_546
; %bb.545:
	s_clause 0x3
	buffer_load_dword v102, v99, s[0:3], 0 offen offset:8
	buffer_load_dword v103, v99, s[0:3], 0 offen offset:12
	buffer_load_dword v106, v99, s[0:3], 0 offen
	buffer_load_dword v107, v99, s[0:3], 0 offen offset:4
	s_waitcnt vmcnt(2) lgkmcnt(0)
	v_mul_f64 v[108:109], v[3:4], v[102:103]
	v_mul_f64 v[102:103], v[1:2], v[102:103]
	s_waitcnt vmcnt(0)
	v_fma_f64 v[1:2], v[1:2], v[106:107], -v[108:109]
	v_fma_f64 v[3:4], v[3:4], v[106:107], v[102:103]
.LBB110_546:
	s_mov_b32 s8, exec_lo
	v_cmpx_ne_u32_e32 22, v0
	s_cbranch_execz .LBB110_550
; %bb.547:
	v_add_nc_u32_e32 v102, 0x300, v105
	v_add3_u32 v103, 0, v105, 16
	v_mov_b32_e32 v104, v0
	s_mov_b32 s54, 0
	.p2align	6
.LBB110_548:                            ; =>This Inner Loop Header: Depth=1
	s_clause 0x3
	buffer_load_dword v110, v103, s[0:3], 0 offen offset:8
	buffer_load_dword v111, v103, s[0:3], 0 offen offset:12
	buffer_load_dword v112, v103, s[0:3], 0 offen
	buffer_load_dword v113, v103, s[0:3], 0 offen offset:4
	ds_read_b128 v[106:109], v102
	v_add_nc_u32_e32 v104, 1, v104
	v_add_nc_u32_e32 v102, 16, v102
	;; [unrolled: 1-line block ×3, first 2 shown]
	v_cmp_lt_u32_e32 vcc_lo, 21, v104
	s_or_b32 s54, vcc_lo, s54
	s_waitcnt vmcnt(2) lgkmcnt(0)
	v_mul_f64 v[114:115], v[108:109], v[110:111]
	v_mul_f64 v[110:111], v[106:107], v[110:111]
	s_waitcnt vmcnt(0)
	v_fma_f64 v[106:107], v[106:107], v[112:113], -v[114:115]
	v_fma_f64 v[108:109], v[108:109], v[112:113], v[110:111]
	v_add_f64 v[1:2], v[1:2], v[106:107]
	v_add_f64 v[3:4], v[3:4], v[108:109]
	s_andn2_b32 exec_lo, exec_lo, s54
	s_cbranch_execnz .LBB110_548
; %bb.549:
	s_or_b32 exec_lo, exec_lo, s54
.LBB110_550:
	s_or_b32 exec_lo, exec_lo, s8
	v_mov_b32_e32 v102, 0
	ds_read_b128 v[106:109], v102 offset:368
	s_waitcnt lgkmcnt(0)
	v_mul_f64 v[102:103], v[3:4], v[108:109]
	v_mul_f64 v[108:109], v[1:2], v[108:109]
	v_fma_f64 v[1:2], v[1:2], v[106:107], -v[102:103]
	v_fma_f64 v[3:4], v[3:4], v[106:107], v[108:109]
	buffer_store_dword v2, off, s[0:3], 0 offset:372
	buffer_store_dword v1, off, s[0:3], 0 offset:368
	;; [unrolled: 1-line block ×4, first 2 shown]
.LBB110_551:
	s_or_b32 exec_lo, exec_lo, s4
	v_mov_b32_e32 v4, s29
	s_mov_b32 s4, exec_lo
	s_clause 0x3
	buffer_load_dword v1, v4, s[0:3], 0 offen
	buffer_load_dword v2, v4, s[0:3], 0 offen offset:4
	buffer_load_dword v3, v4, s[0:3], 0 offen offset:8
	;; [unrolled: 1-line block ×3, first 2 shown]
	s_waitcnt vmcnt(0)
	ds_write_b128 v100, v[1:4]
	s_waitcnt lgkmcnt(0)
	s_waitcnt_vscnt null, 0x0
	s_barrier
	buffer_gl0_inv
	v_cmpx_gt_u32_e32 24, v0
	s_cbranch_execz .LBB110_559
; %bb.552:
	ds_read_b128 v[1:4], v100
	v_cmp_ne_u32_e32 vcc_lo, 1, v101
	s_cbranch_vccnz .LBB110_554
; %bb.553:
	s_clause 0x3
	buffer_load_dword v102, v99, s[0:3], 0 offen offset:8
	buffer_load_dword v103, v99, s[0:3], 0 offen offset:12
	buffer_load_dword v106, v99, s[0:3], 0 offen
	buffer_load_dword v107, v99, s[0:3], 0 offen offset:4
	s_waitcnt vmcnt(2) lgkmcnt(0)
	v_mul_f64 v[108:109], v[3:4], v[102:103]
	v_mul_f64 v[102:103], v[1:2], v[102:103]
	s_waitcnt vmcnt(0)
	v_fma_f64 v[1:2], v[1:2], v[106:107], -v[108:109]
	v_fma_f64 v[3:4], v[3:4], v[106:107], v[102:103]
.LBB110_554:
	s_mov_b32 s8, exec_lo
	v_cmpx_ne_u32_e32 23, v0
	s_cbranch_execz .LBB110_558
; %bb.555:
	v_add_nc_u32_e32 v102, 0x300, v105
	v_add3_u32 v103, 0, v105, 16
	v_mov_b32_e32 v104, v0
	s_mov_b32 s54, 0
	.p2align	6
.LBB110_556:                            ; =>This Inner Loop Header: Depth=1
	s_clause 0x3
	buffer_load_dword v110, v103, s[0:3], 0 offen offset:8
	buffer_load_dword v111, v103, s[0:3], 0 offen offset:12
	buffer_load_dword v112, v103, s[0:3], 0 offen
	buffer_load_dword v113, v103, s[0:3], 0 offen offset:4
	ds_read_b128 v[106:109], v102
	v_add_nc_u32_e32 v104, 1, v104
	v_add_nc_u32_e32 v102, 16, v102
	;; [unrolled: 1-line block ×3, first 2 shown]
	v_cmp_lt_u32_e32 vcc_lo, 22, v104
	s_or_b32 s54, vcc_lo, s54
	s_waitcnt vmcnt(2) lgkmcnt(0)
	v_mul_f64 v[114:115], v[108:109], v[110:111]
	v_mul_f64 v[110:111], v[106:107], v[110:111]
	s_waitcnt vmcnt(0)
	v_fma_f64 v[106:107], v[106:107], v[112:113], -v[114:115]
	v_fma_f64 v[108:109], v[108:109], v[112:113], v[110:111]
	v_add_f64 v[1:2], v[1:2], v[106:107]
	v_add_f64 v[3:4], v[3:4], v[108:109]
	s_andn2_b32 exec_lo, exec_lo, s54
	s_cbranch_execnz .LBB110_556
; %bb.557:
	s_or_b32 exec_lo, exec_lo, s54
.LBB110_558:
	s_or_b32 exec_lo, exec_lo, s8
	v_mov_b32_e32 v102, 0
	ds_read_b128 v[106:109], v102 offset:384
	s_waitcnt lgkmcnt(0)
	v_mul_f64 v[102:103], v[3:4], v[108:109]
	v_mul_f64 v[108:109], v[1:2], v[108:109]
	v_fma_f64 v[1:2], v[1:2], v[106:107], -v[102:103]
	v_fma_f64 v[3:4], v[3:4], v[106:107], v[108:109]
	buffer_store_dword v2, off, s[0:3], 0 offset:388
	buffer_store_dword v1, off, s[0:3], 0 offset:384
	;; [unrolled: 1-line block ×4, first 2 shown]
.LBB110_559:
	s_or_b32 exec_lo, exec_lo, s4
	v_mov_b32_e32 v4, s28
	s_mov_b32 s4, exec_lo
	s_clause 0x3
	buffer_load_dword v1, v4, s[0:3], 0 offen
	buffer_load_dword v2, v4, s[0:3], 0 offen offset:4
	buffer_load_dword v3, v4, s[0:3], 0 offen offset:8
	;; [unrolled: 1-line block ×3, first 2 shown]
	s_waitcnt vmcnt(0)
	ds_write_b128 v100, v[1:4]
	s_waitcnt lgkmcnt(0)
	s_waitcnt_vscnt null, 0x0
	s_barrier
	buffer_gl0_inv
	v_cmpx_gt_u32_e32 25, v0
	s_cbranch_execz .LBB110_567
; %bb.560:
	ds_read_b128 v[1:4], v100
	v_cmp_ne_u32_e32 vcc_lo, 1, v101
	s_cbranch_vccnz .LBB110_562
; %bb.561:
	s_clause 0x3
	buffer_load_dword v102, v99, s[0:3], 0 offen offset:8
	buffer_load_dword v103, v99, s[0:3], 0 offen offset:12
	buffer_load_dword v106, v99, s[0:3], 0 offen
	buffer_load_dword v107, v99, s[0:3], 0 offen offset:4
	s_waitcnt vmcnt(2) lgkmcnt(0)
	v_mul_f64 v[108:109], v[3:4], v[102:103]
	v_mul_f64 v[102:103], v[1:2], v[102:103]
	s_waitcnt vmcnt(0)
	v_fma_f64 v[1:2], v[1:2], v[106:107], -v[108:109]
	v_fma_f64 v[3:4], v[3:4], v[106:107], v[102:103]
.LBB110_562:
	s_mov_b32 s8, exec_lo
	v_cmpx_ne_u32_e32 24, v0
	s_cbranch_execz .LBB110_566
; %bb.563:
	v_add_nc_u32_e32 v102, 0x300, v105
	v_add3_u32 v103, 0, v105, 16
	v_mov_b32_e32 v104, v0
	s_mov_b32 s54, 0
	.p2align	6
.LBB110_564:                            ; =>This Inner Loop Header: Depth=1
	s_clause 0x3
	buffer_load_dword v110, v103, s[0:3], 0 offen offset:8
	buffer_load_dword v111, v103, s[0:3], 0 offen offset:12
	buffer_load_dword v112, v103, s[0:3], 0 offen
	buffer_load_dword v113, v103, s[0:3], 0 offen offset:4
	ds_read_b128 v[106:109], v102
	v_add_nc_u32_e32 v104, 1, v104
	v_add_nc_u32_e32 v102, 16, v102
	;; [unrolled: 1-line block ×3, first 2 shown]
	v_cmp_lt_u32_e32 vcc_lo, 23, v104
	s_or_b32 s54, vcc_lo, s54
	s_waitcnt vmcnt(2) lgkmcnt(0)
	v_mul_f64 v[114:115], v[108:109], v[110:111]
	v_mul_f64 v[110:111], v[106:107], v[110:111]
	s_waitcnt vmcnt(0)
	v_fma_f64 v[106:107], v[106:107], v[112:113], -v[114:115]
	v_fma_f64 v[108:109], v[108:109], v[112:113], v[110:111]
	v_add_f64 v[1:2], v[1:2], v[106:107]
	v_add_f64 v[3:4], v[3:4], v[108:109]
	s_andn2_b32 exec_lo, exec_lo, s54
	s_cbranch_execnz .LBB110_564
; %bb.565:
	s_or_b32 exec_lo, exec_lo, s54
.LBB110_566:
	s_or_b32 exec_lo, exec_lo, s8
	v_mov_b32_e32 v102, 0
	ds_read_b128 v[106:109], v102 offset:400
	s_waitcnt lgkmcnt(0)
	v_mul_f64 v[102:103], v[3:4], v[108:109]
	v_mul_f64 v[108:109], v[1:2], v[108:109]
	v_fma_f64 v[1:2], v[1:2], v[106:107], -v[102:103]
	v_fma_f64 v[3:4], v[3:4], v[106:107], v[108:109]
	buffer_store_dword v2, off, s[0:3], 0 offset:404
	buffer_store_dword v1, off, s[0:3], 0 offset:400
	;; [unrolled: 1-line block ×4, first 2 shown]
.LBB110_567:
	s_or_b32 exec_lo, exec_lo, s4
	v_mov_b32_e32 v4, s27
	s_mov_b32 s4, exec_lo
	s_clause 0x3
	buffer_load_dword v1, v4, s[0:3], 0 offen
	buffer_load_dword v2, v4, s[0:3], 0 offen offset:4
	buffer_load_dword v3, v4, s[0:3], 0 offen offset:8
	;; [unrolled: 1-line block ×3, first 2 shown]
	s_waitcnt vmcnt(0)
	ds_write_b128 v100, v[1:4]
	s_waitcnt lgkmcnt(0)
	s_waitcnt_vscnt null, 0x0
	s_barrier
	buffer_gl0_inv
	v_cmpx_gt_u32_e32 26, v0
	s_cbranch_execz .LBB110_575
; %bb.568:
	ds_read_b128 v[1:4], v100
	v_cmp_ne_u32_e32 vcc_lo, 1, v101
	s_cbranch_vccnz .LBB110_570
; %bb.569:
	s_clause 0x3
	buffer_load_dword v102, v99, s[0:3], 0 offen offset:8
	buffer_load_dword v103, v99, s[0:3], 0 offen offset:12
	buffer_load_dword v106, v99, s[0:3], 0 offen
	buffer_load_dword v107, v99, s[0:3], 0 offen offset:4
	s_waitcnt vmcnt(2) lgkmcnt(0)
	v_mul_f64 v[108:109], v[3:4], v[102:103]
	v_mul_f64 v[102:103], v[1:2], v[102:103]
	s_waitcnt vmcnt(0)
	v_fma_f64 v[1:2], v[1:2], v[106:107], -v[108:109]
	v_fma_f64 v[3:4], v[3:4], v[106:107], v[102:103]
.LBB110_570:
	s_mov_b32 s8, exec_lo
	v_cmpx_ne_u32_e32 25, v0
	s_cbranch_execz .LBB110_574
; %bb.571:
	v_add_nc_u32_e32 v102, 0x300, v105
	v_add3_u32 v103, 0, v105, 16
	v_mov_b32_e32 v104, v0
	s_mov_b32 s54, 0
	.p2align	6
.LBB110_572:                            ; =>This Inner Loop Header: Depth=1
	s_clause 0x3
	buffer_load_dword v110, v103, s[0:3], 0 offen offset:8
	buffer_load_dword v111, v103, s[0:3], 0 offen offset:12
	buffer_load_dword v112, v103, s[0:3], 0 offen
	buffer_load_dword v113, v103, s[0:3], 0 offen offset:4
	ds_read_b128 v[106:109], v102
	v_add_nc_u32_e32 v104, 1, v104
	v_add_nc_u32_e32 v102, 16, v102
	;; [unrolled: 1-line block ×3, first 2 shown]
	v_cmp_lt_u32_e32 vcc_lo, 24, v104
	s_or_b32 s54, vcc_lo, s54
	s_waitcnt vmcnt(2) lgkmcnt(0)
	v_mul_f64 v[114:115], v[108:109], v[110:111]
	v_mul_f64 v[110:111], v[106:107], v[110:111]
	s_waitcnt vmcnt(0)
	v_fma_f64 v[106:107], v[106:107], v[112:113], -v[114:115]
	v_fma_f64 v[108:109], v[108:109], v[112:113], v[110:111]
	v_add_f64 v[1:2], v[1:2], v[106:107]
	v_add_f64 v[3:4], v[3:4], v[108:109]
	s_andn2_b32 exec_lo, exec_lo, s54
	s_cbranch_execnz .LBB110_572
; %bb.573:
	s_or_b32 exec_lo, exec_lo, s54
.LBB110_574:
	s_or_b32 exec_lo, exec_lo, s8
	v_mov_b32_e32 v102, 0
	ds_read_b128 v[106:109], v102 offset:416
	s_waitcnt lgkmcnt(0)
	v_mul_f64 v[102:103], v[3:4], v[108:109]
	v_mul_f64 v[108:109], v[1:2], v[108:109]
	v_fma_f64 v[1:2], v[1:2], v[106:107], -v[102:103]
	v_fma_f64 v[3:4], v[3:4], v[106:107], v[108:109]
	buffer_store_dword v2, off, s[0:3], 0 offset:420
	buffer_store_dword v1, off, s[0:3], 0 offset:416
	;; [unrolled: 1-line block ×4, first 2 shown]
.LBB110_575:
	s_or_b32 exec_lo, exec_lo, s4
	v_mov_b32_e32 v4, s26
	s_mov_b32 s4, exec_lo
	s_clause 0x3
	buffer_load_dword v1, v4, s[0:3], 0 offen
	buffer_load_dword v2, v4, s[0:3], 0 offen offset:4
	buffer_load_dword v3, v4, s[0:3], 0 offen offset:8
	;; [unrolled: 1-line block ×3, first 2 shown]
	s_waitcnt vmcnt(0)
	ds_write_b128 v100, v[1:4]
	s_waitcnt lgkmcnt(0)
	s_waitcnt_vscnt null, 0x0
	s_barrier
	buffer_gl0_inv
	v_cmpx_gt_u32_e32 27, v0
	s_cbranch_execz .LBB110_583
; %bb.576:
	ds_read_b128 v[1:4], v100
	v_cmp_ne_u32_e32 vcc_lo, 1, v101
	s_cbranch_vccnz .LBB110_578
; %bb.577:
	s_clause 0x3
	buffer_load_dword v102, v99, s[0:3], 0 offen offset:8
	buffer_load_dword v103, v99, s[0:3], 0 offen offset:12
	buffer_load_dword v106, v99, s[0:3], 0 offen
	buffer_load_dword v107, v99, s[0:3], 0 offen offset:4
	s_waitcnt vmcnt(2) lgkmcnt(0)
	v_mul_f64 v[108:109], v[3:4], v[102:103]
	v_mul_f64 v[102:103], v[1:2], v[102:103]
	s_waitcnt vmcnt(0)
	v_fma_f64 v[1:2], v[1:2], v[106:107], -v[108:109]
	v_fma_f64 v[3:4], v[3:4], v[106:107], v[102:103]
.LBB110_578:
	s_mov_b32 s8, exec_lo
	v_cmpx_ne_u32_e32 26, v0
	s_cbranch_execz .LBB110_582
; %bb.579:
	v_add_nc_u32_e32 v102, 0x300, v105
	v_add3_u32 v103, 0, v105, 16
	v_mov_b32_e32 v104, v0
	s_mov_b32 s54, 0
	.p2align	6
.LBB110_580:                            ; =>This Inner Loop Header: Depth=1
	s_clause 0x3
	buffer_load_dword v110, v103, s[0:3], 0 offen offset:8
	buffer_load_dword v111, v103, s[0:3], 0 offen offset:12
	buffer_load_dword v112, v103, s[0:3], 0 offen
	buffer_load_dword v113, v103, s[0:3], 0 offen offset:4
	ds_read_b128 v[106:109], v102
	v_add_nc_u32_e32 v104, 1, v104
	v_add_nc_u32_e32 v102, 16, v102
	;; [unrolled: 1-line block ×3, first 2 shown]
	v_cmp_lt_u32_e32 vcc_lo, 25, v104
	s_or_b32 s54, vcc_lo, s54
	s_waitcnt vmcnt(2) lgkmcnt(0)
	v_mul_f64 v[114:115], v[108:109], v[110:111]
	v_mul_f64 v[110:111], v[106:107], v[110:111]
	s_waitcnt vmcnt(0)
	v_fma_f64 v[106:107], v[106:107], v[112:113], -v[114:115]
	v_fma_f64 v[108:109], v[108:109], v[112:113], v[110:111]
	v_add_f64 v[1:2], v[1:2], v[106:107]
	v_add_f64 v[3:4], v[3:4], v[108:109]
	s_andn2_b32 exec_lo, exec_lo, s54
	s_cbranch_execnz .LBB110_580
; %bb.581:
	s_or_b32 exec_lo, exec_lo, s54
.LBB110_582:
	s_or_b32 exec_lo, exec_lo, s8
	v_mov_b32_e32 v102, 0
	ds_read_b128 v[106:109], v102 offset:432
	s_waitcnt lgkmcnt(0)
	v_mul_f64 v[102:103], v[3:4], v[108:109]
	v_mul_f64 v[108:109], v[1:2], v[108:109]
	v_fma_f64 v[1:2], v[1:2], v[106:107], -v[102:103]
	v_fma_f64 v[3:4], v[3:4], v[106:107], v[108:109]
	buffer_store_dword v2, off, s[0:3], 0 offset:436
	buffer_store_dword v1, off, s[0:3], 0 offset:432
	;; [unrolled: 1-line block ×4, first 2 shown]
.LBB110_583:
	s_or_b32 exec_lo, exec_lo, s4
	v_mov_b32_e32 v4, s25
	s_mov_b32 s4, exec_lo
	s_clause 0x3
	buffer_load_dword v1, v4, s[0:3], 0 offen
	buffer_load_dword v2, v4, s[0:3], 0 offen offset:4
	buffer_load_dword v3, v4, s[0:3], 0 offen offset:8
	;; [unrolled: 1-line block ×3, first 2 shown]
	s_waitcnt vmcnt(0)
	ds_write_b128 v100, v[1:4]
	s_waitcnt lgkmcnt(0)
	s_waitcnt_vscnt null, 0x0
	s_barrier
	buffer_gl0_inv
	v_cmpx_gt_u32_e32 28, v0
	s_cbranch_execz .LBB110_591
; %bb.584:
	ds_read_b128 v[1:4], v100
	v_cmp_ne_u32_e32 vcc_lo, 1, v101
	s_cbranch_vccnz .LBB110_586
; %bb.585:
	s_clause 0x3
	buffer_load_dword v102, v99, s[0:3], 0 offen offset:8
	buffer_load_dword v103, v99, s[0:3], 0 offen offset:12
	buffer_load_dword v106, v99, s[0:3], 0 offen
	buffer_load_dword v107, v99, s[0:3], 0 offen offset:4
	s_waitcnt vmcnt(2) lgkmcnt(0)
	v_mul_f64 v[108:109], v[3:4], v[102:103]
	v_mul_f64 v[102:103], v[1:2], v[102:103]
	s_waitcnt vmcnt(0)
	v_fma_f64 v[1:2], v[1:2], v[106:107], -v[108:109]
	v_fma_f64 v[3:4], v[3:4], v[106:107], v[102:103]
.LBB110_586:
	s_mov_b32 s8, exec_lo
	v_cmpx_ne_u32_e32 27, v0
	s_cbranch_execz .LBB110_590
; %bb.587:
	v_add_nc_u32_e32 v102, 0x300, v105
	v_add3_u32 v103, 0, v105, 16
	v_mov_b32_e32 v104, v0
	s_mov_b32 s54, 0
	.p2align	6
.LBB110_588:                            ; =>This Inner Loop Header: Depth=1
	s_clause 0x3
	buffer_load_dword v110, v103, s[0:3], 0 offen offset:8
	buffer_load_dword v111, v103, s[0:3], 0 offen offset:12
	buffer_load_dword v112, v103, s[0:3], 0 offen
	buffer_load_dword v113, v103, s[0:3], 0 offen offset:4
	ds_read_b128 v[106:109], v102
	v_add_nc_u32_e32 v104, 1, v104
	v_add_nc_u32_e32 v102, 16, v102
	;; [unrolled: 1-line block ×3, first 2 shown]
	v_cmp_lt_u32_e32 vcc_lo, 26, v104
	s_or_b32 s54, vcc_lo, s54
	s_waitcnt vmcnt(2) lgkmcnt(0)
	v_mul_f64 v[114:115], v[108:109], v[110:111]
	v_mul_f64 v[110:111], v[106:107], v[110:111]
	s_waitcnt vmcnt(0)
	v_fma_f64 v[106:107], v[106:107], v[112:113], -v[114:115]
	v_fma_f64 v[108:109], v[108:109], v[112:113], v[110:111]
	v_add_f64 v[1:2], v[1:2], v[106:107]
	v_add_f64 v[3:4], v[3:4], v[108:109]
	s_andn2_b32 exec_lo, exec_lo, s54
	s_cbranch_execnz .LBB110_588
; %bb.589:
	s_or_b32 exec_lo, exec_lo, s54
.LBB110_590:
	s_or_b32 exec_lo, exec_lo, s8
	v_mov_b32_e32 v102, 0
	ds_read_b128 v[106:109], v102 offset:448
	s_waitcnt lgkmcnt(0)
	v_mul_f64 v[102:103], v[3:4], v[108:109]
	v_mul_f64 v[108:109], v[1:2], v[108:109]
	v_fma_f64 v[1:2], v[1:2], v[106:107], -v[102:103]
	v_fma_f64 v[3:4], v[3:4], v[106:107], v[108:109]
	buffer_store_dword v2, off, s[0:3], 0 offset:452
	buffer_store_dword v1, off, s[0:3], 0 offset:448
	;; [unrolled: 1-line block ×4, first 2 shown]
.LBB110_591:
	s_or_b32 exec_lo, exec_lo, s4
	v_mov_b32_e32 v4, s24
	s_mov_b32 s4, exec_lo
	s_clause 0x3
	buffer_load_dword v1, v4, s[0:3], 0 offen
	buffer_load_dword v2, v4, s[0:3], 0 offen offset:4
	buffer_load_dword v3, v4, s[0:3], 0 offen offset:8
	;; [unrolled: 1-line block ×3, first 2 shown]
	s_waitcnt vmcnt(0)
	ds_write_b128 v100, v[1:4]
	s_waitcnt lgkmcnt(0)
	s_waitcnt_vscnt null, 0x0
	s_barrier
	buffer_gl0_inv
	v_cmpx_gt_u32_e32 29, v0
	s_cbranch_execz .LBB110_599
; %bb.592:
	ds_read_b128 v[1:4], v100
	v_cmp_ne_u32_e32 vcc_lo, 1, v101
	s_cbranch_vccnz .LBB110_594
; %bb.593:
	s_clause 0x3
	buffer_load_dword v102, v99, s[0:3], 0 offen offset:8
	buffer_load_dword v103, v99, s[0:3], 0 offen offset:12
	buffer_load_dword v106, v99, s[0:3], 0 offen
	buffer_load_dword v107, v99, s[0:3], 0 offen offset:4
	s_waitcnt vmcnt(2) lgkmcnt(0)
	v_mul_f64 v[108:109], v[3:4], v[102:103]
	v_mul_f64 v[102:103], v[1:2], v[102:103]
	s_waitcnt vmcnt(0)
	v_fma_f64 v[1:2], v[1:2], v[106:107], -v[108:109]
	v_fma_f64 v[3:4], v[3:4], v[106:107], v[102:103]
.LBB110_594:
	s_mov_b32 s8, exec_lo
	v_cmpx_ne_u32_e32 28, v0
	s_cbranch_execz .LBB110_598
; %bb.595:
	v_add_nc_u32_e32 v102, 0x300, v105
	v_add3_u32 v103, 0, v105, 16
	v_mov_b32_e32 v104, v0
	s_mov_b32 s54, 0
	.p2align	6
.LBB110_596:                            ; =>This Inner Loop Header: Depth=1
	s_clause 0x3
	buffer_load_dword v110, v103, s[0:3], 0 offen offset:8
	buffer_load_dword v111, v103, s[0:3], 0 offen offset:12
	buffer_load_dword v112, v103, s[0:3], 0 offen
	buffer_load_dword v113, v103, s[0:3], 0 offen offset:4
	ds_read_b128 v[106:109], v102
	v_add_nc_u32_e32 v104, 1, v104
	v_add_nc_u32_e32 v102, 16, v102
	;; [unrolled: 1-line block ×3, first 2 shown]
	v_cmp_lt_u32_e32 vcc_lo, 27, v104
	s_or_b32 s54, vcc_lo, s54
	s_waitcnt vmcnt(2) lgkmcnt(0)
	v_mul_f64 v[114:115], v[108:109], v[110:111]
	v_mul_f64 v[110:111], v[106:107], v[110:111]
	s_waitcnt vmcnt(0)
	v_fma_f64 v[106:107], v[106:107], v[112:113], -v[114:115]
	v_fma_f64 v[108:109], v[108:109], v[112:113], v[110:111]
	v_add_f64 v[1:2], v[1:2], v[106:107]
	v_add_f64 v[3:4], v[3:4], v[108:109]
	s_andn2_b32 exec_lo, exec_lo, s54
	s_cbranch_execnz .LBB110_596
; %bb.597:
	s_or_b32 exec_lo, exec_lo, s54
.LBB110_598:
	s_or_b32 exec_lo, exec_lo, s8
	v_mov_b32_e32 v102, 0
	ds_read_b128 v[106:109], v102 offset:464
	s_waitcnt lgkmcnt(0)
	v_mul_f64 v[102:103], v[3:4], v[108:109]
	v_mul_f64 v[108:109], v[1:2], v[108:109]
	v_fma_f64 v[1:2], v[1:2], v[106:107], -v[102:103]
	v_fma_f64 v[3:4], v[3:4], v[106:107], v[108:109]
	buffer_store_dword v2, off, s[0:3], 0 offset:468
	buffer_store_dword v1, off, s[0:3], 0 offset:464
	;; [unrolled: 1-line block ×4, first 2 shown]
.LBB110_599:
	s_or_b32 exec_lo, exec_lo, s4
	v_mov_b32_e32 v4, s23
	s_mov_b32 s4, exec_lo
	s_clause 0x3
	buffer_load_dword v1, v4, s[0:3], 0 offen
	buffer_load_dword v2, v4, s[0:3], 0 offen offset:4
	buffer_load_dword v3, v4, s[0:3], 0 offen offset:8
	;; [unrolled: 1-line block ×3, first 2 shown]
	s_waitcnt vmcnt(0)
	ds_write_b128 v100, v[1:4]
	s_waitcnt lgkmcnt(0)
	s_waitcnt_vscnt null, 0x0
	s_barrier
	buffer_gl0_inv
	v_cmpx_gt_u32_e32 30, v0
	s_cbranch_execz .LBB110_607
; %bb.600:
	ds_read_b128 v[1:4], v100
	v_cmp_ne_u32_e32 vcc_lo, 1, v101
	s_cbranch_vccnz .LBB110_602
; %bb.601:
	s_clause 0x3
	buffer_load_dword v102, v99, s[0:3], 0 offen offset:8
	buffer_load_dword v103, v99, s[0:3], 0 offen offset:12
	buffer_load_dword v106, v99, s[0:3], 0 offen
	buffer_load_dword v107, v99, s[0:3], 0 offen offset:4
	s_waitcnt vmcnt(2) lgkmcnt(0)
	v_mul_f64 v[108:109], v[3:4], v[102:103]
	v_mul_f64 v[102:103], v[1:2], v[102:103]
	s_waitcnt vmcnt(0)
	v_fma_f64 v[1:2], v[1:2], v[106:107], -v[108:109]
	v_fma_f64 v[3:4], v[3:4], v[106:107], v[102:103]
.LBB110_602:
	s_mov_b32 s8, exec_lo
	v_cmpx_ne_u32_e32 29, v0
	s_cbranch_execz .LBB110_606
; %bb.603:
	v_add_nc_u32_e32 v102, 0x300, v105
	v_add3_u32 v103, 0, v105, 16
	v_mov_b32_e32 v104, v0
	s_mov_b32 s54, 0
	.p2align	6
.LBB110_604:                            ; =>This Inner Loop Header: Depth=1
	s_clause 0x3
	buffer_load_dword v110, v103, s[0:3], 0 offen offset:8
	buffer_load_dword v111, v103, s[0:3], 0 offen offset:12
	buffer_load_dword v112, v103, s[0:3], 0 offen
	buffer_load_dword v113, v103, s[0:3], 0 offen offset:4
	ds_read_b128 v[106:109], v102
	v_add_nc_u32_e32 v104, 1, v104
	v_add_nc_u32_e32 v102, 16, v102
	;; [unrolled: 1-line block ×3, first 2 shown]
	v_cmp_lt_u32_e32 vcc_lo, 28, v104
	s_or_b32 s54, vcc_lo, s54
	s_waitcnt vmcnt(2) lgkmcnt(0)
	v_mul_f64 v[114:115], v[108:109], v[110:111]
	v_mul_f64 v[110:111], v[106:107], v[110:111]
	s_waitcnt vmcnt(0)
	v_fma_f64 v[106:107], v[106:107], v[112:113], -v[114:115]
	v_fma_f64 v[108:109], v[108:109], v[112:113], v[110:111]
	v_add_f64 v[1:2], v[1:2], v[106:107]
	v_add_f64 v[3:4], v[3:4], v[108:109]
	s_andn2_b32 exec_lo, exec_lo, s54
	s_cbranch_execnz .LBB110_604
; %bb.605:
	s_or_b32 exec_lo, exec_lo, s54
.LBB110_606:
	s_or_b32 exec_lo, exec_lo, s8
	v_mov_b32_e32 v102, 0
	ds_read_b128 v[106:109], v102 offset:480
	s_waitcnt lgkmcnt(0)
	v_mul_f64 v[102:103], v[3:4], v[108:109]
	v_mul_f64 v[108:109], v[1:2], v[108:109]
	v_fma_f64 v[1:2], v[1:2], v[106:107], -v[102:103]
	v_fma_f64 v[3:4], v[3:4], v[106:107], v[108:109]
	buffer_store_dword v2, off, s[0:3], 0 offset:484
	buffer_store_dword v1, off, s[0:3], 0 offset:480
	;; [unrolled: 1-line block ×4, first 2 shown]
.LBB110_607:
	s_or_b32 exec_lo, exec_lo, s4
	v_mov_b32_e32 v4, s22
	s_mov_b32 s4, exec_lo
	s_clause 0x3
	buffer_load_dword v1, v4, s[0:3], 0 offen
	buffer_load_dword v2, v4, s[0:3], 0 offen offset:4
	buffer_load_dword v3, v4, s[0:3], 0 offen offset:8
	;; [unrolled: 1-line block ×3, first 2 shown]
	s_waitcnt vmcnt(0)
	ds_write_b128 v100, v[1:4]
	s_waitcnt lgkmcnt(0)
	s_waitcnt_vscnt null, 0x0
	s_barrier
	buffer_gl0_inv
	v_cmpx_gt_u32_e32 31, v0
	s_cbranch_execz .LBB110_615
; %bb.608:
	ds_read_b128 v[1:4], v100
	v_cmp_ne_u32_e32 vcc_lo, 1, v101
	s_cbranch_vccnz .LBB110_610
; %bb.609:
	s_clause 0x3
	buffer_load_dword v102, v99, s[0:3], 0 offen offset:8
	buffer_load_dword v103, v99, s[0:3], 0 offen offset:12
	buffer_load_dword v106, v99, s[0:3], 0 offen
	buffer_load_dword v107, v99, s[0:3], 0 offen offset:4
	s_waitcnt vmcnt(2) lgkmcnt(0)
	v_mul_f64 v[108:109], v[3:4], v[102:103]
	v_mul_f64 v[102:103], v[1:2], v[102:103]
	s_waitcnt vmcnt(0)
	v_fma_f64 v[1:2], v[1:2], v[106:107], -v[108:109]
	v_fma_f64 v[3:4], v[3:4], v[106:107], v[102:103]
.LBB110_610:
	s_mov_b32 s8, exec_lo
	v_cmpx_ne_u32_e32 30, v0
	s_cbranch_execz .LBB110_614
; %bb.611:
	v_add_nc_u32_e32 v102, 0x300, v105
	v_add3_u32 v103, 0, v105, 16
	v_mov_b32_e32 v104, v0
	s_mov_b32 s54, 0
	.p2align	6
.LBB110_612:                            ; =>This Inner Loop Header: Depth=1
	s_clause 0x3
	buffer_load_dword v110, v103, s[0:3], 0 offen offset:8
	buffer_load_dword v111, v103, s[0:3], 0 offen offset:12
	buffer_load_dword v112, v103, s[0:3], 0 offen
	buffer_load_dword v113, v103, s[0:3], 0 offen offset:4
	ds_read_b128 v[106:109], v102
	v_add_nc_u32_e32 v104, 1, v104
	v_add_nc_u32_e32 v102, 16, v102
	v_add_nc_u32_e32 v103, 16, v103
	v_cmp_lt_u32_e32 vcc_lo, 29, v104
	s_or_b32 s54, vcc_lo, s54
	s_waitcnt vmcnt(2) lgkmcnt(0)
	v_mul_f64 v[114:115], v[108:109], v[110:111]
	v_mul_f64 v[110:111], v[106:107], v[110:111]
	s_waitcnt vmcnt(0)
	v_fma_f64 v[106:107], v[106:107], v[112:113], -v[114:115]
	v_fma_f64 v[108:109], v[108:109], v[112:113], v[110:111]
	v_add_f64 v[1:2], v[1:2], v[106:107]
	v_add_f64 v[3:4], v[3:4], v[108:109]
	s_andn2_b32 exec_lo, exec_lo, s54
	s_cbranch_execnz .LBB110_612
; %bb.613:
	s_or_b32 exec_lo, exec_lo, s54
.LBB110_614:
	s_or_b32 exec_lo, exec_lo, s8
	v_mov_b32_e32 v102, 0
	ds_read_b128 v[106:109], v102 offset:496
	s_waitcnt lgkmcnt(0)
	v_mul_f64 v[102:103], v[3:4], v[108:109]
	v_mul_f64 v[108:109], v[1:2], v[108:109]
	v_fma_f64 v[1:2], v[1:2], v[106:107], -v[102:103]
	v_fma_f64 v[3:4], v[3:4], v[106:107], v[108:109]
	buffer_store_dword v2, off, s[0:3], 0 offset:500
	buffer_store_dword v1, off, s[0:3], 0 offset:496
	;; [unrolled: 1-line block ×4, first 2 shown]
.LBB110_615:
	s_or_b32 exec_lo, exec_lo, s4
	v_mov_b32_e32 v4, s21
	s_mov_b32 s4, exec_lo
	s_clause 0x3
	buffer_load_dword v1, v4, s[0:3], 0 offen
	buffer_load_dword v2, v4, s[0:3], 0 offen offset:4
	buffer_load_dword v3, v4, s[0:3], 0 offen offset:8
	;; [unrolled: 1-line block ×3, first 2 shown]
	s_waitcnt vmcnt(0)
	ds_write_b128 v100, v[1:4]
	s_waitcnt lgkmcnt(0)
	s_waitcnt_vscnt null, 0x0
	s_barrier
	buffer_gl0_inv
	v_cmpx_gt_u32_e32 32, v0
	s_cbranch_execz .LBB110_623
; %bb.616:
	ds_read_b128 v[1:4], v100
	v_cmp_ne_u32_e32 vcc_lo, 1, v101
	s_cbranch_vccnz .LBB110_618
; %bb.617:
	s_clause 0x3
	buffer_load_dword v102, v99, s[0:3], 0 offen offset:8
	buffer_load_dword v103, v99, s[0:3], 0 offen offset:12
	buffer_load_dword v106, v99, s[0:3], 0 offen
	buffer_load_dword v107, v99, s[0:3], 0 offen offset:4
	s_waitcnt vmcnt(2) lgkmcnt(0)
	v_mul_f64 v[108:109], v[3:4], v[102:103]
	v_mul_f64 v[102:103], v[1:2], v[102:103]
	s_waitcnt vmcnt(0)
	v_fma_f64 v[1:2], v[1:2], v[106:107], -v[108:109]
	v_fma_f64 v[3:4], v[3:4], v[106:107], v[102:103]
.LBB110_618:
	s_mov_b32 s8, exec_lo
	v_cmpx_ne_u32_e32 31, v0
	s_cbranch_execz .LBB110_622
; %bb.619:
	v_add_nc_u32_e32 v102, 0x300, v105
	v_add3_u32 v103, 0, v105, 16
	v_mov_b32_e32 v104, v0
	s_mov_b32 s54, 0
	.p2align	6
.LBB110_620:                            ; =>This Inner Loop Header: Depth=1
	s_clause 0x3
	buffer_load_dword v110, v103, s[0:3], 0 offen offset:8
	buffer_load_dword v111, v103, s[0:3], 0 offen offset:12
	buffer_load_dword v112, v103, s[0:3], 0 offen
	buffer_load_dword v113, v103, s[0:3], 0 offen offset:4
	ds_read_b128 v[106:109], v102
	v_add_nc_u32_e32 v104, 1, v104
	v_add_nc_u32_e32 v102, 16, v102
	;; [unrolled: 1-line block ×3, first 2 shown]
	v_cmp_lt_u32_e32 vcc_lo, 30, v104
	s_or_b32 s54, vcc_lo, s54
	s_waitcnt vmcnt(2) lgkmcnt(0)
	v_mul_f64 v[114:115], v[108:109], v[110:111]
	v_mul_f64 v[110:111], v[106:107], v[110:111]
	s_waitcnt vmcnt(0)
	v_fma_f64 v[106:107], v[106:107], v[112:113], -v[114:115]
	v_fma_f64 v[108:109], v[108:109], v[112:113], v[110:111]
	v_add_f64 v[1:2], v[1:2], v[106:107]
	v_add_f64 v[3:4], v[3:4], v[108:109]
	s_andn2_b32 exec_lo, exec_lo, s54
	s_cbranch_execnz .LBB110_620
; %bb.621:
	s_or_b32 exec_lo, exec_lo, s54
.LBB110_622:
	s_or_b32 exec_lo, exec_lo, s8
	v_mov_b32_e32 v102, 0
	ds_read_b128 v[106:109], v102 offset:512
	s_waitcnt lgkmcnt(0)
	v_mul_f64 v[102:103], v[3:4], v[108:109]
	v_mul_f64 v[108:109], v[1:2], v[108:109]
	v_fma_f64 v[1:2], v[1:2], v[106:107], -v[102:103]
	v_fma_f64 v[3:4], v[3:4], v[106:107], v[108:109]
	buffer_store_dword v2, off, s[0:3], 0 offset:516
	buffer_store_dword v1, off, s[0:3], 0 offset:512
	;; [unrolled: 1-line block ×4, first 2 shown]
.LBB110_623:
	s_or_b32 exec_lo, exec_lo, s4
	v_mov_b32_e32 v4, s20
	s_mov_b32 s4, exec_lo
	s_clause 0x3
	buffer_load_dword v1, v4, s[0:3], 0 offen
	buffer_load_dword v2, v4, s[0:3], 0 offen offset:4
	buffer_load_dword v3, v4, s[0:3], 0 offen offset:8
	;; [unrolled: 1-line block ×3, first 2 shown]
	s_waitcnt vmcnt(0)
	ds_write_b128 v100, v[1:4]
	s_waitcnt lgkmcnt(0)
	s_waitcnt_vscnt null, 0x0
	s_barrier
	buffer_gl0_inv
	v_cmpx_gt_u32_e32 33, v0
	s_cbranch_execz .LBB110_631
; %bb.624:
	ds_read_b128 v[1:4], v100
	v_cmp_ne_u32_e32 vcc_lo, 1, v101
	s_cbranch_vccnz .LBB110_626
; %bb.625:
	s_clause 0x3
	buffer_load_dword v102, v99, s[0:3], 0 offen offset:8
	buffer_load_dword v103, v99, s[0:3], 0 offen offset:12
	buffer_load_dword v106, v99, s[0:3], 0 offen
	buffer_load_dword v107, v99, s[0:3], 0 offen offset:4
	s_waitcnt vmcnt(2) lgkmcnt(0)
	v_mul_f64 v[108:109], v[3:4], v[102:103]
	v_mul_f64 v[102:103], v[1:2], v[102:103]
	s_waitcnt vmcnt(0)
	v_fma_f64 v[1:2], v[1:2], v[106:107], -v[108:109]
	v_fma_f64 v[3:4], v[3:4], v[106:107], v[102:103]
.LBB110_626:
	s_mov_b32 s8, exec_lo
	v_cmpx_ne_u32_e32 32, v0
	s_cbranch_execz .LBB110_630
; %bb.627:
	v_add_nc_u32_e32 v102, 0x300, v105
	v_add3_u32 v103, 0, v105, 16
	v_mov_b32_e32 v104, v0
	s_mov_b32 s54, 0
	.p2align	6
.LBB110_628:                            ; =>This Inner Loop Header: Depth=1
	s_clause 0x3
	buffer_load_dword v110, v103, s[0:3], 0 offen offset:8
	buffer_load_dword v111, v103, s[0:3], 0 offen offset:12
	buffer_load_dword v112, v103, s[0:3], 0 offen
	buffer_load_dword v113, v103, s[0:3], 0 offen offset:4
	ds_read_b128 v[106:109], v102
	v_add_nc_u32_e32 v104, 1, v104
	v_add_nc_u32_e32 v102, 16, v102
	;; [unrolled: 1-line block ×3, first 2 shown]
	v_cmp_lt_u32_e32 vcc_lo, 31, v104
	s_or_b32 s54, vcc_lo, s54
	s_waitcnt vmcnt(2) lgkmcnt(0)
	v_mul_f64 v[114:115], v[108:109], v[110:111]
	v_mul_f64 v[110:111], v[106:107], v[110:111]
	s_waitcnt vmcnt(0)
	v_fma_f64 v[106:107], v[106:107], v[112:113], -v[114:115]
	v_fma_f64 v[108:109], v[108:109], v[112:113], v[110:111]
	v_add_f64 v[1:2], v[1:2], v[106:107]
	v_add_f64 v[3:4], v[3:4], v[108:109]
	s_andn2_b32 exec_lo, exec_lo, s54
	s_cbranch_execnz .LBB110_628
; %bb.629:
	s_or_b32 exec_lo, exec_lo, s54
.LBB110_630:
	s_or_b32 exec_lo, exec_lo, s8
	v_mov_b32_e32 v102, 0
	ds_read_b128 v[106:109], v102 offset:528
	s_waitcnt lgkmcnt(0)
	v_mul_f64 v[102:103], v[3:4], v[108:109]
	v_mul_f64 v[108:109], v[1:2], v[108:109]
	v_fma_f64 v[1:2], v[1:2], v[106:107], -v[102:103]
	v_fma_f64 v[3:4], v[3:4], v[106:107], v[108:109]
	buffer_store_dword v2, off, s[0:3], 0 offset:532
	buffer_store_dword v1, off, s[0:3], 0 offset:528
	;; [unrolled: 1-line block ×4, first 2 shown]
.LBB110_631:
	s_or_b32 exec_lo, exec_lo, s4
	v_mov_b32_e32 v4, s19
	s_mov_b32 s4, exec_lo
	s_clause 0x3
	buffer_load_dword v1, v4, s[0:3], 0 offen
	buffer_load_dword v2, v4, s[0:3], 0 offen offset:4
	buffer_load_dword v3, v4, s[0:3], 0 offen offset:8
	;; [unrolled: 1-line block ×3, first 2 shown]
	s_waitcnt vmcnt(0)
	ds_write_b128 v100, v[1:4]
	s_waitcnt lgkmcnt(0)
	s_waitcnt_vscnt null, 0x0
	s_barrier
	buffer_gl0_inv
	v_cmpx_gt_u32_e32 34, v0
	s_cbranch_execz .LBB110_639
; %bb.632:
	ds_read_b128 v[1:4], v100
	v_cmp_ne_u32_e32 vcc_lo, 1, v101
	s_cbranch_vccnz .LBB110_634
; %bb.633:
	s_clause 0x3
	buffer_load_dword v102, v99, s[0:3], 0 offen offset:8
	buffer_load_dword v103, v99, s[0:3], 0 offen offset:12
	buffer_load_dword v106, v99, s[0:3], 0 offen
	buffer_load_dword v107, v99, s[0:3], 0 offen offset:4
	s_waitcnt vmcnt(2) lgkmcnt(0)
	v_mul_f64 v[108:109], v[3:4], v[102:103]
	v_mul_f64 v[102:103], v[1:2], v[102:103]
	s_waitcnt vmcnt(0)
	v_fma_f64 v[1:2], v[1:2], v[106:107], -v[108:109]
	v_fma_f64 v[3:4], v[3:4], v[106:107], v[102:103]
.LBB110_634:
	s_mov_b32 s8, exec_lo
	v_cmpx_ne_u32_e32 33, v0
	s_cbranch_execz .LBB110_638
; %bb.635:
	v_add_nc_u32_e32 v102, 0x300, v105
	v_add3_u32 v103, 0, v105, 16
	v_mov_b32_e32 v104, v0
	s_mov_b32 s54, 0
	.p2align	6
.LBB110_636:                            ; =>This Inner Loop Header: Depth=1
	s_clause 0x3
	buffer_load_dword v110, v103, s[0:3], 0 offen offset:8
	buffer_load_dword v111, v103, s[0:3], 0 offen offset:12
	buffer_load_dword v112, v103, s[0:3], 0 offen
	buffer_load_dword v113, v103, s[0:3], 0 offen offset:4
	ds_read_b128 v[106:109], v102
	v_add_nc_u32_e32 v104, 1, v104
	v_add_nc_u32_e32 v102, 16, v102
	;; [unrolled: 1-line block ×3, first 2 shown]
	v_cmp_lt_u32_e32 vcc_lo, 32, v104
	s_or_b32 s54, vcc_lo, s54
	s_waitcnt vmcnt(2) lgkmcnt(0)
	v_mul_f64 v[114:115], v[108:109], v[110:111]
	v_mul_f64 v[110:111], v[106:107], v[110:111]
	s_waitcnt vmcnt(0)
	v_fma_f64 v[106:107], v[106:107], v[112:113], -v[114:115]
	v_fma_f64 v[108:109], v[108:109], v[112:113], v[110:111]
	v_add_f64 v[1:2], v[1:2], v[106:107]
	v_add_f64 v[3:4], v[3:4], v[108:109]
	s_andn2_b32 exec_lo, exec_lo, s54
	s_cbranch_execnz .LBB110_636
; %bb.637:
	s_or_b32 exec_lo, exec_lo, s54
.LBB110_638:
	s_or_b32 exec_lo, exec_lo, s8
	v_mov_b32_e32 v102, 0
	ds_read_b128 v[106:109], v102 offset:544
	s_waitcnt lgkmcnt(0)
	v_mul_f64 v[102:103], v[3:4], v[108:109]
	v_mul_f64 v[108:109], v[1:2], v[108:109]
	v_fma_f64 v[1:2], v[1:2], v[106:107], -v[102:103]
	v_fma_f64 v[3:4], v[3:4], v[106:107], v[108:109]
	buffer_store_dword v2, off, s[0:3], 0 offset:548
	buffer_store_dword v1, off, s[0:3], 0 offset:544
	;; [unrolled: 1-line block ×4, first 2 shown]
.LBB110_639:
	s_or_b32 exec_lo, exec_lo, s4
	v_mov_b32_e32 v4, s18
	s_mov_b32 s4, exec_lo
	s_clause 0x3
	buffer_load_dword v1, v4, s[0:3], 0 offen
	buffer_load_dword v2, v4, s[0:3], 0 offen offset:4
	buffer_load_dword v3, v4, s[0:3], 0 offen offset:8
	buffer_load_dword v4, v4, s[0:3], 0 offen offset:12
	s_waitcnt vmcnt(0)
	ds_write_b128 v100, v[1:4]
	s_waitcnt lgkmcnt(0)
	s_waitcnt_vscnt null, 0x0
	s_barrier
	buffer_gl0_inv
	v_cmpx_gt_u32_e32 35, v0
	s_cbranch_execz .LBB110_647
; %bb.640:
	ds_read_b128 v[1:4], v100
	v_cmp_ne_u32_e32 vcc_lo, 1, v101
	s_cbranch_vccnz .LBB110_642
; %bb.641:
	s_clause 0x3
	buffer_load_dword v102, v99, s[0:3], 0 offen offset:8
	buffer_load_dword v103, v99, s[0:3], 0 offen offset:12
	buffer_load_dword v106, v99, s[0:3], 0 offen
	buffer_load_dword v107, v99, s[0:3], 0 offen offset:4
	s_waitcnt vmcnt(2) lgkmcnt(0)
	v_mul_f64 v[108:109], v[3:4], v[102:103]
	v_mul_f64 v[102:103], v[1:2], v[102:103]
	s_waitcnt vmcnt(0)
	v_fma_f64 v[1:2], v[1:2], v[106:107], -v[108:109]
	v_fma_f64 v[3:4], v[3:4], v[106:107], v[102:103]
.LBB110_642:
	s_mov_b32 s8, exec_lo
	v_cmpx_ne_u32_e32 34, v0
	s_cbranch_execz .LBB110_646
; %bb.643:
	v_add_nc_u32_e32 v102, 0x300, v105
	v_add3_u32 v103, 0, v105, 16
	v_mov_b32_e32 v104, v0
	s_mov_b32 s54, 0
	.p2align	6
.LBB110_644:                            ; =>This Inner Loop Header: Depth=1
	s_clause 0x3
	buffer_load_dword v110, v103, s[0:3], 0 offen offset:8
	buffer_load_dword v111, v103, s[0:3], 0 offen offset:12
	buffer_load_dword v112, v103, s[0:3], 0 offen
	buffer_load_dword v113, v103, s[0:3], 0 offen offset:4
	ds_read_b128 v[106:109], v102
	v_add_nc_u32_e32 v104, 1, v104
	v_add_nc_u32_e32 v102, 16, v102
	;; [unrolled: 1-line block ×3, first 2 shown]
	v_cmp_lt_u32_e32 vcc_lo, 33, v104
	s_or_b32 s54, vcc_lo, s54
	s_waitcnt vmcnt(2) lgkmcnt(0)
	v_mul_f64 v[114:115], v[108:109], v[110:111]
	v_mul_f64 v[110:111], v[106:107], v[110:111]
	s_waitcnt vmcnt(0)
	v_fma_f64 v[106:107], v[106:107], v[112:113], -v[114:115]
	v_fma_f64 v[108:109], v[108:109], v[112:113], v[110:111]
	v_add_f64 v[1:2], v[1:2], v[106:107]
	v_add_f64 v[3:4], v[3:4], v[108:109]
	s_andn2_b32 exec_lo, exec_lo, s54
	s_cbranch_execnz .LBB110_644
; %bb.645:
	s_or_b32 exec_lo, exec_lo, s54
.LBB110_646:
	s_or_b32 exec_lo, exec_lo, s8
	v_mov_b32_e32 v102, 0
	ds_read_b128 v[106:109], v102 offset:560
	s_waitcnt lgkmcnt(0)
	v_mul_f64 v[102:103], v[3:4], v[108:109]
	v_mul_f64 v[108:109], v[1:2], v[108:109]
	v_fma_f64 v[1:2], v[1:2], v[106:107], -v[102:103]
	v_fma_f64 v[3:4], v[3:4], v[106:107], v[108:109]
	buffer_store_dword v2, off, s[0:3], 0 offset:564
	buffer_store_dword v1, off, s[0:3], 0 offset:560
	;; [unrolled: 1-line block ×4, first 2 shown]
.LBB110_647:
	s_or_b32 exec_lo, exec_lo, s4
	v_mov_b32_e32 v4, s17
	s_mov_b32 s4, exec_lo
	s_clause 0x3
	buffer_load_dword v1, v4, s[0:3], 0 offen
	buffer_load_dword v2, v4, s[0:3], 0 offen offset:4
	buffer_load_dword v3, v4, s[0:3], 0 offen offset:8
	;; [unrolled: 1-line block ×3, first 2 shown]
	s_waitcnt vmcnt(0)
	ds_write_b128 v100, v[1:4]
	s_waitcnt lgkmcnt(0)
	s_waitcnt_vscnt null, 0x0
	s_barrier
	buffer_gl0_inv
	v_cmpx_gt_u32_e32 36, v0
	s_cbranch_execz .LBB110_655
; %bb.648:
	ds_read_b128 v[1:4], v100
	v_cmp_ne_u32_e32 vcc_lo, 1, v101
	s_cbranch_vccnz .LBB110_650
; %bb.649:
	s_clause 0x3
	buffer_load_dword v102, v99, s[0:3], 0 offen offset:8
	buffer_load_dword v103, v99, s[0:3], 0 offen offset:12
	buffer_load_dword v106, v99, s[0:3], 0 offen
	buffer_load_dword v107, v99, s[0:3], 0 offen offset:4
	s_waitcnt vmcnt(2) lgkmcnt(0)
	v_mul_f64 v[108:109], v[3:4], v[102:103]
	v_mul_f64 v[102:103], v[1:2], v[102:103]
	s_waitcnt vmcnt(0)
	v_fma_f64 v[1:2], v[1:2], v[106:107], -v[108:109]
	v_fma_f64 v[3:4], v[3:4], v[106:107], v[102:103]
.LBB110_650:
	s_mov_b32 s8, exec_lo
	v_cmpx_ne_u32_e32 35, v0
	s_cbranch_execz .LBB110_654
; %bb.651:
	v_add_nc_u32_e32 v102, 0x300, v105
	v_add3_u32 v103, 0, v105, 16
	v_mov_b32_e32 v104, v0
	s_mov_b32 s54, 0
	.p2align	6
.LBB110_652:                            ; =>This Inner Loop Header: Depth=1
	s_clause 0x3
	buffer_load_dword v110, v103, s[0:3], 0 offen offset:8
	buffer_load_dword v111, v103, s[0:3], 0 offen offset:12
	buffer_load_dword v112, v103, s[0:3], 0 offen
	buffer_load_dword v113, v103, s[0:3], 0 offen offset:4
	ds_read_b128 v[106:109], v102
	v_add_nc_u32_e32 v104, 1, v104
	v_add_nc_u32_e32 v102, 16, v102
	;; [unrolled: 1-line block ×3, first 2 shown]
	v_cmp_lt_u32_e32 vcc_lo, 34, v104
	s_or_b32 s54, vcc_lo, s54
	s_waitcnt vmcnt(2) lgkmcnt(0)
	v_mul_f64 v[114:115], v[108:109], v[110:111]
	v_mul_f64 v[110:111], v[106:107], v[110:111]
	s_waitcnt vmcnt(0)
	v_fma_f64 v[106:107], v[106:107], v[112:113], -v[114:115]
	v_fma_f64 v[108:109], v[108:109], v[112:113], v[110:111]
	v_add_f64 v[1:2], v[1:2], v[106:107]
	v_add_f64 v[3:4], v[3:4], v[108:109]
	s_andn2_b32 exec_lo, exec_lo, s54
	s_cbranch_execnz .LBB110_652
; %bb.653:
	s_or_b32 exec_lo, exec_lo, s54
.LBB110_654:
	s_or_b32 exec_lo, exec_lo, s8
	v_mov_b32_e32 v102, 0
	ds_read_b128 v[106:109], v102 offset:576
	s_waitcnt lgkmcnt(0)
	v_mul_f64 v[102:103], v[3:4], v[108:109]
	v_mul_f64 v[108:109], v[1:2], v[108:109]
	v_fma_f64 v[1:2], v[1:2], v[106:107], -v[102:103]
	v_fma_f64 v[3:4], v[3:4], v[106:107], v[108:109]
	buffer_store_dword v2, off, s[0:3], 0 offset:580
	buffer_store_dword v1, off, s[0:3], 0 offset:576
	;; [unrolled: 1-line block ×4, first 2 shown]
.LBB110_655:
	s_or_b32 exec_lo, exec_lo, s4
	v_mov_b32_e32 v4, s16
	s_mov_b32 s4, exec_lo
	s_clause 0x3
	buffer_load_dword v1, v4, s[0:3], 0 offen
	buffer_load_dword v2, v4, s[0:3], 0 offen offset:4
	buffer_load_dword v3, v4, s[0:3], 0 offen offset:8
	;; [unrolled: 1-line block ×3, first 2 shown]
	s_waitcnt vmcnt(0)
	ds_write_b128 v100, v[1:4]
	s_waitcnt lgkmcnt(0)
	s_waitcnt_vscnt null, 0x0
	s_barrier
	buffer_gl0_inv
	v_cmpx_gt_u32_e32 37, v0
	s_cbranch_execz .LBB110_663
; %bb.656:
	ds_read_b128 v[1:4], v100
	v_cmp_ne_u32_e32 vcc_lo, 1, v101
	s_cbranch_vccnz .LBB110_658
; %bb.657:
	s_clause 0x3
	buffer_load_dword v102, v99, s[0:3], 0 offen offset:8
	buffer_load_dword v103, v99, s[0:3], 0 offen offset:12
	buffer_load_dword v106, v99, s[0:3], 0 offen
	buffer_load_dword v107, v99, s[0:3], 0 offen offset:4
	s_waitcnt vmcnt(2) lgkmcnt(0)
	v_mul_f64 v[108:109], v[3:4], v[102:103]
	v_mul_f64 v[102:103], v[1:2], v[102:103]
	s_waitcnt vmcnt(0)
	v_fma_f64 v[1:2], v[1:2], v[106:107], -v[108:109]
	v_fma_f64 v[3:4], v[3:4], v[106:107], v[102:103]
.LBB110_658:
	s_mov_b32 s8, exec_lo
	v_cmpx_ne_u32_e32 36, v0
	s_cbranch_execz .LBB110_662
; %bb.659:
	v_add_nc_u32_e32 v102, 0x300, v105
	v_add3_u32 v103, 0, v105, 16
	v_mov_b32_e32 v104, v0
	s_mov_b32 s54, 0
	.p2align	6
.LBB110_660:                            ; =>This Inner Loop Header: Depth=1
	s_clause 0x3
	buffer_load_dword v110, v103, s[0:3], 0 offen offset:8
	buffer_load_dword v111, v103, s[0:3], 0 offen offset:12
	buffer_load_dword v112, v103, s[0:3], 0 offen
	buffer_load_dword v113, v103, s[0:3], 0 offen offset:4
	ds_read_b128 v[106:109], v102
	v_add_nc_u32_e32 v104, 1, v104
	v_add_nc_u32_e32 v102, 16, v102
	v_add_nc_u32_e32 v103, 16, v103
	v_cmp_lt_u32_e32 vcc_lo, 35, v104
	s_or_b32 s54, vcc_lo, s54
	s_waitcnt vmcnt(2) lgkmcnt(0)
	v_mul_f64 v[114:115], v[108:109], v[110:111]
	v_mul_f64 v[110:111], v[106:107], v[110:111]
	s_waitcnt vmcnt(0)
	v_fma_f64 v[106:107], v[106:107], v[112:113], -v[114:115]
	v_fma_f64 v[108:109], v[108:109], v[112:113], v[110:111]
	v_add_f64 v[1:2], v[1:2], v[106:107]
	v_add_f64 v[3:4], v[3:4], v[108:109]
	s_andn2_b32 exec_lo, exec_lo, s54
	s_cbranch_execnz .LBB110_660
; %bb.661:
	s_or_b32 exec_lo, exec_lo, s54
.LBB110_662:
	s_or_b32 exec_lo, exec_lo, s8
	v_mov_b32_e32 v102, 0
	ds_read_b128 v[106:109], v102 offset:592
	s_waitcnt lgkmcnt(0)
	v_mul_f64 v[102:103], v[3:4], v[108:109]
	v_mul_f64 v[108:109], v[1:2], v[108:109]
	v_fma_f64 v[1:2], v[1:2], v[106:107], -v[102:103]
	v_fma_f64 v[3:4], v[3:4], v[106:107], v[108:109]
	buffer_store_dword v2, off, s[0:3], 0 offset:596
	buffer_store_dword v1, off, s[0:3], 0 offset:592
	;; [unrolled: 1-line block ×4, first 2 shown]
.LBB110_663:
	s_or_b32 exec_lo, exec_lo, s4
	v_mov_b32_e32 v4, s15
	s_mov_b32 s4, exec_lo
	s_clause 0x3
	buffer_load_dword v1, v4, s[0:3], 0 offen
	buffer_load_dword v2, v4, s[0:3], 0 offen offset:4
	buffer_load_dword v3, v4, s[0:3], 0 offen offset:8
	;; [unrolled: 1-line block ×3, first 2 shown]
	s_waitcnt vmcnt(0)
	ds_write_b128 v100, v[1:4]
	s_waitcnt lgkmcnt(0)
	s_waitcnt_vscnt null, 0x0
	s_barrier
	buffer_gl0_inv
	v_cmpx_gt_u32_e32 38, v0
	s_cbranch_execz .LBB110_671
; %bb.664:
	ds_read_b128 v[1:4], v100
	v_cmp_ne_u32_e32 vcc_lo, 1, v101
	s_cbranch_vccnz .LBB110_666
; %bb.665:
	s_clause 0x3
	buffer_load_dword v102, v99, s[0:3], 0 offen offset:8
	buffer_load_dword v103, v99, s[0:3], 0 offen offset:12
	buffer_load_dword v106, v99, s[0:3], 0 offen
	buffer_load_dword v107, v99, s[0:3], 0 offen offset:4
	s_waitcnt vmcnt(2) lgkmcnt(0)
	v_mul_f64 v[108:109], v[3:4], v[102:103]
	v_mul_f64 v[102:103], v[1:2], v[102:103]
	s_waitcnt vmcnt(0)
	v_fma_f64 v[1:2], v[1:2], v[106:107], -v[108:109]
	v_fma_f64 v[3:4], v[3:4], v[106:107], v[102:103]
.LBB110_666:
	s_mov_b32 s8, exec_lo
	v_cmpx_ne_u32_e32 37, v0
	s_cbranch_execz .LBB110_670
; %bb.667:
	v_add_nc_u32_e32 v102, 0x300, v105
	v_add3_u32 v103, 0, v105, 16
	v_mov_b32_e32 v104, v0
	s_mov_b32 s54, 0
	.p2align	6
.LBB110_668:                            ; =>This Inner Loop Header: Depth=1
	s_clause 0x3
	buffer_load_dword v110, v103, s[0:3], 0 offen offset:8
	buffer_load_dword v111, v103, s[0:3], 0 offen offset:12
	buffer_load_dword v112, v103, s[0:3], 0 offen
	buffer_load_dword v113, v103, s[0:3], 0 offen offset:4
	ds_read_b128 v[106:109], v102
	v_add_nc_u32_e32 v104, 1, v104
	v_add_nc_u32_e32 v102, 16, v102
	;; [unrolled: 1-line block ×3, first 2 shown]
	v_cmp_lt_u32_e32 vcc_lo, 36, v104
	s_or_b32 s54, vcc_lo, s54
	s_waitcnt vmcnt(2) lgkmcnt(0)
	v_mul_f64 v[114:115], v[108:109], v[110:111]
	v_mul_f64 v[110:111], v[106:107], v[110:111]
	s_waitcnt vmcnt(0)
	v_fma_f64 v[106:107], v[106:107], v[112:113], -v[114:115]
	v_fma_f64 v[108:109], v[108:109], v[112:113], v[110:111]
	v_add_f64 v[1:2], v[1:2], v[106:107]
	v_add_f64 v[3:4], v[3:4], v[108:109]
	s_andn2_b32 exec_lo, exec_lo, s54
	s_cbranch_execnz .LBB110_668
; %bb.669:
	s_or_b32 exec_lo, exec_lo, s54
.LBB110_670:
	s_or_b32 exec_lo, exec_lo, s8
	v_mov_b32_e32 v102, 0
	ds_read_b128 v[106:109], v102 offset:608
	s_waitcnt lgkmcnt(0)
	v_mul_f64 v[102:103], v[3:4], v[108:109]
	v_mul_f64 v[108:109], v[1:2], v[108:109]
	v_fma_f64 v[1:2], v[1:2], v[106:107], -v[102:103]
	v_fma_f64 v[3:4], v[3:4], v[106:107], v[108:109]
	buffer_store_dword v2, off, s[0:3], 0 offset:612
	buffer_store_dword v1, off, s[0:3], 0 offset:608
	;; [unrolled: 1-line block ×4, first 2 shown]
.LBB110_671:
	s_or_b32 exec_lo, exec_lo, s4
	v_mov_b32_e32 v4, s14
	s_mov_b32 s4, exec_lo
	s_clause 0x3
	buffer_load_dword v1, v4, s[0:3], 0 offen
	buffer_load_dword v2, v4, s[0:3], 0 offen offset:4
	buffer_load_dword v3, v4, s[0:3], 0 offen offset:8
	;; [unrolled: 1-line block ×3, first 2 shown]
	s_waitcnt vmcnt(0)
	ds_write_b128 v100, v[1:4]
	s_waitcnt lgkmcnt(0)
	s_waitcnt_vscnt null, 0x0
	s_barrier
	buffer_gl0_inv
	v_cmpx_gt_u32_e32 39, v0
	s_cbranch_execz .LBB110_679
; %bb.672:
	ds_read_b128 v[1:4], v100
	v_cmp_ne_u32_e32 vcc_lo, 1, v101
	s_cbranch_vccnz .LBB110_674
; %bb.673:
	s_clause 0x3
	buffer_load_dword v102, v99, s[0:3], 0 offen offset:8
	buffer_load_dword v103, v99, s[0:3], 0 offen offset:12
	buffer_load_dword v106, v99, s[0:3], 0 offen
	buffer_load_dword v107, v99, s[0:3], 0 offen offset:4
	s_waitcnt vmcnt(2) lgkmcnt(0)
	v_mul_f64 v[108:109], v[3:4], v[102:103]
	v_mul_f64 v[102:103], v[1:2], v[102:103]
	s_waitcnt vmcnt(0)
	v_fma_f64 v[1:2], v[1:2], v[106:107], -v[108:109]
	v_fma_f64 v[3:4], v[3:4], v[106:107], v[102:103]
.LBB110_674:
	s_mov_b32 s8, exec_lo
	v_cmpx_ne_u32_e32 38, v0
	s_cbranch_execz .LBB110_678
; %bb.675:
	v_add_nc_u32_e32 v102, 0x300, v105
	v_add3_u32 v103, 0, v105, 16
	v_mov_b32_e32 v104, v0
	s_mov_b32 s54, 0
	.p2align	6
.LBB110_676:                            ; =>This Inner Loop Header: Depth=1
	s_clause 0x3
	buffer_load_dword v110, v103, s[0:3], 0 offen offset:8
	buffer_load_dword v111, v103, s[0:3], 0 offen offset:12
	buffer_load_dword v112, v103, s[0:3], 0 offen
	buffer_load_dword v113, v103, s[0:3], 0 offen offset:4
	ds_read_b128 v[106:109], v102
	v_add_nc_u32_e32 v104, 1, v104
	v_add_nc_u32_e32 v102, 16, v102
	;; [unrolled: 1-line block ×3, first 2 shown]
	v_cmp_lt_u32_e32 vcc_lo, 37, v104
	s_or_b32 s54, vcc_lo, s54
	s_waitcnt vmcnt(2) lgkmcnt(0)
	v_mul_f64 v[114:115], v[108:109], v[110:111]
	v_mul_f64 v[110:111], v[106:107], v[110:111]
	s_waitcnt vmcnt(0)
	v_fma_f64 v[106:107], v[106:107], v[112:113], -v[114:115]
	v_fma_f64 v[108:109], v[108:109], v[112:113], v[110:111]
	v_add_f64 v[1:2], v[1:2], v[106:107]
	v_add_f64 v[3:4], v[3:4], v[108:109]
	s_andn2_b32 exec_lo, exec_lo, s54
	s_cbranch_execnz .LBB110_676
; %bb.677:
	s_or_b32 exec_lo, exec_lo, s54
.LBB110_678:
	s_or_b32 exec_lo, exec_lo, s8
	v_mov_b32_e32 v102, 0
	ds_read_b128 v[106:109], v102 offset:624
	s_waitcnt lgkmcnt(0)
	v_mul_f64 v[102:103], v[3:4], v[108:109]
	v_mul_f64 v[108:109], v[1:2], v[108:109]
	v_fma_f64 v[1:2], v[1:2], v[106:107], -v[102:103]
	v_fma_f64 v[3:4], v[3:4], v[106:107], v[108:109]
	buffer_store_dword v2, off, s[0:3], 0 offset:628
	buffer_store_dword v1, off, s[0:3], 0 offset:624
	;; [unrolled: 1-line block ×4, first 2 shown]
.LBB110_679:
	s_or_b32 exec_lo, exec_lo, s4
	v_mov_b32_e32 v4, s13
	s_mov_b32 s4, exec_lo
	s_clause 0x3
	buffer_load_dword v1, v4, s[0:3], 0 offen
	buffer_load_dword v2, v4, s[0:3], 0 offen offset:4
	buffer_load_dword v3, v4, s[0:3], 0 offen offset:8
	;; [unrolled: 1-line block ×3, first 2 shown]
	s_waitcnt vmcnt(0)
	ds_write_b128 v100, v[1:4]
	s_waitcnt lgkmcnt(0)
	s_waitcnt_vscnt null, 0x0
	s_barrier
	buffer_gl0_inv
	v_cmpx_gt_u32_e32 40, v0
	s_cbranch_execz .LBB110_687
; %bb.680:
	ds_read_b128 v[1:4], v100
	v_cmp_ne_u32_e32 vcc_lo, 1, v101
	s_cbranch_vccnz .LBB110_682
; %bb.681:
	s_clause 0x3
	buffer_load_dword v102, v99, s[0:3], 0 offen offset:8
	buffer_load_dword v103, v99, s[0:3], 0 offen offset:12
	buffer_load_dword v106, v99, s[0:3], 0 offen
	buffer_load_dword v107, v99, s[0:3], 0 offen offset:4
	s_waitcnt vmcnt(2) lgkmcnt(0)
	v_mul_f64 v[108:109], v[3:4], v[102:103]
	v_mul_f64 v[102:103], v[1:2], v[102:103]
	s_waitcnt vmcnt(0)
	v_fma_f64 v[1:2], v[1:2], v[106:107], -v[108:109]
	v_fma_f64 v[3:4], v[3:4], v[106:107], v[102:103]
.LBB110_682:
	s_mov_b32 s8, exec_lo
	v_cmpx_ne_u32_e32 39, v0
	s_cbranch_execz .LBB110_686
; %bb.683:
	v_add_nc_u32_e32 v102, 0x300, v105
	v_add3_u32 v103, 0, v105, 16
	v_mov_b32_e32 v104, v0
	s_mov_b32 s54, 0
	.p2align	6
.LBB110_684:                            ; =>This Inner Loop Header: Depth=1
	s_clause 0x3
	buffer_load_dword v110, v103, s[0:3], 0 offen offset:8
	buffer_load_dword v111, v103, s[0:3], 0 offen offset:12
	buffer_load_dword v112, v103, s[0:3], 0 offen
	buffer_load_dword v113, v103, s[0:3], 0 offen offset:4
	ds_read_b128 v[106:109], v102
	v_add_nc_u32_e32 v104, 1, v104
	v_add_nc_u32_e32 v102, 16, v102
	;; [unrolled: 1-line block ×3, first 2 shown]
	v_cmp_lt_u32_e32 vcc_lo, 38, v104
	s_or_b32 s54, vcc_lo, s54
	s_waitcnt vmcnt(2) lgkmcnt(0)
	v_mul_f64 v[114:115], v[108:109], v[110:111]
	v_mul_f64 v[110:111], v[106:107], v[110:111]
	s_waitcnt vmcnt(0)
	v_fma_f64 v[106:107], v[106:107], v[112:113], -v[114:115]
	v_fma_f64 v[108:109], v[108:109], v[112:113], v[110:111]
	v_add_f64 v[1:2], v[1:2], v[106:107]
	v_add_f64 v[3:4], v[3:4], v[108:109]
	s_andn2_b32 exec_lo, exec_lo, s54
	s_cbranch_execnz .LBB110_684
; %bb.685:
	s_or_b32 exec_lo, exec_lo, s54
.LBB110_686:
	s_or_b32 exec_lo, exec_lo, s8
	v_mov_b32_e32 v102, 0
	ds_read_b128 v[106:109], v102 offset:640
	s_waitcnt lgkmcnt(0)
	v_mul_f64 v[102:103], v[3:4], v[108:109]
	v_mul_f64 v[108:109], v[1:2], v[108:109]
	v_fma_f64 v[1:2], v[1:2], v[106:107], -v[102:103]
	v_fma_f64 v[3:4], v[3:4], v[106:107], v[108:109]
	buffer_store_dword v2, off, s[0:3], 0 offset:644
	buffer_store_dword v1, off, s[0:3], 0 offset:640
	;; [unrolled: 1-line block ×4, first 2 shown]
.LBB110_687:
	s_or_b32 exec_lo, exec_lo, s4
	v_mov_b32_e32 v4, s12
	s_mov_b32 s4, exec_lo
	s_clause 0x3
	buffer_load_dword v1, v4, s[0:3], 0 offen
	buffer_load_dword v2, v4, s[0:3], 0 offen offset:4
	buffer_load_dword v3, v4, s[0:3], 0 offen offset:8
	;; [unrolled: 1-line block ×3, first 2 shown]
	s_waitcnt vmcnt(0)
	ds_write_b128 v100, v[1:4]
	s_waitcnt lgkmcnt(0)
	s_waitcnt_vscnt null, 0x0
	s_barrier
	buffer_gl0_inv
	v_cmpx_gt_u32_e32 41, v0
	s_cbranch_execz .LBB110_695
; %bb.688:
	ds_read_b128 v[1:4], v100
	v_cmp_ne_u32_e32 vcc_lo, 1, v101
	s_cbranch_vccnz .LBB110_690
; %bb.689:
	s_clause 0x3
	buffer_load_dword v102, v99, s[0:3], 0 offen offset:8
	buffer_load_dword v103, v99, s[0:3], 0 offen offset:12
	buffer_load_dword v106, v99, s[0:3], 0 offen
	buffer_load_dword v107, v99, s[0:3], 0 offen offset:4
	s_waitcnt vmcnt(2) lgkmcnt(0)
	v_mul_f64 v[108:109], v[3:4], v[102:103]
	v_mul_f64 v[102:103], v[1:2], v[102:103]
	s_waitcnt vmcnt(0)
	v_fma_f64 v[1:2], v[1:2], v[106:107], -v[108:109]
	v_fma_f64 v[3:4], v[3:4], v[106:107], v[102:103]
.LBB110_690:
	s_mov_b32 s8, exec_lo
	v_cmpx_ne_u32_e32 40, v0
	s_cbranch_execz .LBB110_694
; %bb.691:
	v_add_nc_u32_e32 v102, 0x300, v105
	v_add3_u32 v103, 0, v105, 16
	v_mov_b32_e32 v104, v0
	s_mov_b32 s54, 0
	.p2align	6
.LBB110_692:                            ; =>This Inner Loop Header: Depth=1
	s_clause 0x3
	buffer_load_dword v110, v103, s[0:3], 0 offen offset:8
	buffer_load_dword v111, v103, s[0:3], 0 offen offset:12
	buffer_load_dword v112, v103, s[0:3], 0 offen
	buffer_load_dword v113, v103, s[0:3], 0 offen offset:4
	ds_read_b128 v[106:109], v102
	v_add_nc_u32_e32 v104, 1, v104
	v_add_nc_u32_e32 v102, 16, v102
	;; [unrolled: 1-line block ×3, first 2 shown]
	v_cmp_lt_u32_e32 vcc_lo, 39, v104
	s_or_b32 s54, vcc_lo, s54
	s_waitcnt vmcnt(2) lgkmcnt(0)
	v_mul_f64 v[114:115], v[108:109], v[110:111]
	v_mul_f64 v[110:111], v[106:107], v[110:111]
	s_waitcnt vmcnt(0)
	v_fma_f64 v[106:107], v[106:107], v[112:113], -v[114:115]
	v_fma_f64 v[108:109], v[108:109], v[112:113], v[110:111]
	v_add_f64 v[1:2], v[1:2], v[106:107]
	v_add_f64 v[3:4], v[3:4], v[108:109]
	s_andn2_b32 exec_lo, exec_lo, s54
	s_cbranch_execnz .LBB110_692
; %bb.693:
	s_or_b32 exec_lo, exec_lo, s54
.LBB110_694:
	s_or_b32 exec_lo, exec_lo, s8
	v_mov_b32_e32 v102, 0
	ds_read_b128 v[106:109], v102 offset:656
	s_waitcnt lgkmcnt(0)
	v_mul_f64 v[102:103], v[3:4], v[108:109]
	v_mul_f64 v[108:109], v[1:2], v[108:109]
	v_fma_f64 v[1:2], v[1:2], v[106:107], -v[102:103]
	v_fma_f64 v[3:4], v[3:4], v[106:107], v[108:109]
	buffer_store_dword v2, off, s[0:3], 0 offset:660
	buffer_store_dword v1, off, s[0:3], 0 offset:656
	;; [unrolled: 1-line block ×4, first 2 shown]
.LBB110_695:
	s_or_b32 exec_lo, exec_lo, s4
	v_mov_b32_e32 v4, s11
	s_mov_b32 s4, exec_lo
	s_clause 0x3
	buffer_load_dword v1, v4, s[0:3], 0 offen
	buffer_load_dword v2, v4, s[0:3], 0 offen offset:4
	buffer_load_dword v3, v4, s[0:3], 0 offen offset:8
	;; [unrolled: 1-line block ×3, first 2 shown]
	s_waitcnt vmcnt(0)
	ds_write_b128 v100, v[1:4]
	s_waitcnt lgkmcnt(0)
	s_waitcnt_vscnt null, 0x0
	s_barrier
	buffer_gl0_inv
	v_cmpx_gt_u32_e32 42, v0
	s_cbranch_execz .LBB110_703
; %bb.696:
	ds_read_b128 v[1:4], v100
	v_cmp_ne_u32_e32 vcc_lo, 1, v101
	s_cbranch_vccnz .LBB110_698
; %bb.697:
	s_clause 0x3
	buffer_load_dword v102, v99, s[0:3], 0 offen offset:8
	buffer_load_dword v103, v99, s[0:3], 0 offen offset:12
	buffer_load_dword v106, v99, s[0:3], 0 offen
	buffer_load_dword v107, v99, s[0:3], 0 offen offset:4
	s_waitcnt vmcnt(2) lgkmcnt(0)
	v_mul_f64 v[108:109], v[3:4], v[102:103]
	v_mul_f64 v[102:103], v[1:2], v[102:103]
	s_waitcnt vmcnt(0)
	v_fma_f64 v[1:2], v[1:2], v[106:107], -v[108:109]
	v_fma_f64 v[3:4], v[3:4], v[106:107], v[102:103]
.LBB110_698:
	s_mov_b32 s8, exec_lo
	v_cmpx_ne_u32_e32 41, v0
	s_cbranch_execz .LBB110_702
; %bb.699:
	v_add_nc_u32_e32 v102, 0x300, v105
	v_add3_u32 v103, 0, v105, 16
	v_mov_b32_e32 v104, v0
	s_mov_b32 s54, 0
	.p2align	6
.LBB110_700:                            ; =>This Inner Loop Header: Depth=1
	s_clause 0x3
	buffer_load_dword v110, v103, s[0:3], 0 offen offset:8
	buffer_load_dword v111, v103, s[0:3], 0 offen offset:12
	buffer_load_dword v112, v103, s[0:3], 0 offen
	buffer_load_dword v113, v103, s[0:3], 0 offen offset:4
	ds_read_b128 v[106:109], v102
	v_add_nc_u32_e32 v104, 1, v104
	v_add_nc_u32_e32 v102, 16, v102
	;; [unrolled: 1-line block ×3, first 2 shown]
	v_cmp_lt_u32_e32 vcc_lo, 40, v104
	s_or_b32 s54, vcc_lo, s54
	s_waitcnt vmcnt(2) lgkmcnt(0)
	v_mul_f64 v[114:115], v[108:109], v[110:111]
	v_mul_f64 v[110:111], v[106:107], v[110:111]
	s_waitcnt vmcnt(0)
	v_fma_f64 v[106:107], v[106:107], v[112:113], -v[114:115]
	v_fma_f64 v[108:109], v[108:109], v[112:113], v[110:111]
	v_add_f64 v[1:2], v[1:2], v[106:107]
	v_add_f64 v[3:4], v[3:4], v[108:109]
	s_andn2_b32 exec_lo, exec_lo, s54
	s_cbranch_execnz .LBB110_700
; %bb.701:
	s_or_b32 exec_lo, exec_lo, s54
.LBB110_702:
	s_or_b32 exec_lo, exec_lo, s8
	v_mov_b32_e32 v102, 0
	ds_read_b128 v[106:109], v102 offset:672
	s_waitcnt lgkmcnt(0)
	v_mul_f64 v[102:103], v[3:4], v[108:109]
	v_mul_f64 v[108:109], v[1:2], v[108:109]
	v_fma_f64 v[1:2], v[1:2], v[106:107], -v[102:103]
	v_fma_f64 v[3:4], v[3:4], v[106:107], v[108:109]
	buffer_store_dword v2, off, s[0:3], 0 offset:676
	buffer_store_dword v1, off, s[0:3], 0 offset:672
	buffer_store_dword v4, off, s[0:3], 0 offset:684
	buffer_store_dword v3, off, s[0:3], 0 offset:680
.LBB110_703:
	s_or_b32 exec_lo, exec_lo, s4
	v_mov_b32_e32 v4, s10
	s_mov_b32 s4, exec_lo
	s_clause 0x3
	buffer_load_dword v1, v4, s[0:3], 0 offen
	buffer_load_dword v2, v4, s[0:3], 0 offen offset:4
	buffer_load_dword v3, v4, s[0:3], 0 offen offset:8
	;; [unrolled: 1-line block ×3, first 2 shown]
	s_waitcnt vmcnt(0)
	ds_write_b128 v100, v[1:4]
	s_waitcnt lgkmcnt(0)
	s_waitcnt_vscnt null, 0x0
	s_barrier
	buffer_gl0_inv
	v_cmpx_gt_u32_e32 43, v0
	s_cbranch_execz .LBB110_711
; %bb.704:
	ds_read_b128 v[1:4], v100
	v_cmp_ne_u32_e32 vcc_lo, 1, v101
	s_cbranch_vccnz .LBB110_706
; %bb.705:
	s_clause 0x3
	buffer_load_dword v102, v99, s[0:3], 0 offen offset:8
	buffer_load_dword v103, v99, s[0:3], 0 offen offset:12
	buffer_load_dword v106, v99, s[0:3], 0 offen
	buffer_load_dword v107, v99, s[0:3], 0 offen offset:4
	s_waitcnt vmcnt(2) lgkmcnt(0)
	v_mul_f64 v[108:109], v[3:4], v[102:103]
	v_mul_f64 v[102:103], v[1:2], v[102:103]
	s_waitcnt vmcnt(0)
	v_fma_f64 v[1:2], v[1:2], v[106:107], -v[108:109]
	v_fma_f64 v[3:4], v[3:4], v[106:107], v[102:103]
.LBB110_706:
	s_mov_b32 s8, exec_lo
	v_cmpx_ne_u32_e32 42, v0
	s_cbranch_execz .LBB110_710
; %bb.707:
	v_add_nc_u32_e32 v102, 0x300, v105
	v_add3_u32 v103, 0, v105, 16
	v_mov_b32_e32 v104, v0
	s_mov_b32 s54, 0
	.p2align	6
.LBB110_708:                            ; =>This Inner Loop Header: Depth=1
	s_clause 0x3
	buffer_load_dword v110, v103, s[0:3], 0 offen offset:8
	buffer_load_dword v111, v103, s[0:3], 0 offen offset:12
	buffer_load_dword v112, v103, s[0:3], 0 offen
	buffer_load_dword v113, v103, s[0:3], 0 offen offset:4
	ds_read_b128 v[106:109], v102
	v_add_nc_u32_e32 v104, 1, v104
	v_add_nc_u32_e32 v102, 16, v102
	;; [unrolled: 1-line block ×3, first 2 shown]
	v_cmp_lt_u32_e32 vcc_lo, 41, v104
	s_or_b32 s54, vcc_lo, s54
	s_waitcnt vmcnt(2) lgkmcnt(0)
	v_mul_f64 v[114:115], v[108:109], v[110:111]
	v_mul_f64 v[110:111], v[106:107], v[110:111]
	s_waitcnt vmcnt(0)
	v_fma_f64 v[106:107], v[106:107], v[112:113], -v[114:115]
	v_fma_f64 v[108:109], v[108:109], v[112:113], v[110:111]
	v_add_f64 v[1:2], v[1:2], v[106:107]
	v_add_f64 v[3:4], v[3:4], v[108:109]
	s_andn2_b32 exec_lo, exec_lo, s54
	s_cbranch_execnz .LBB110_708
; %bb.709:
	s_or_b32 exec_lo, exec_lo, s54
.LBB110_710:
	s_or_b32 exec_lo, exec_lo, s8
	v_mov_b32_e32 v102, 0
	ds_read_b128 v[106:109], v102 offset:688
	s_waitcnt lgkmcnt(0)
	v_mul_f64 v[102:103], v[3:4], v[108:109]
	v_mul_f64 v[108:109], v[1:2], v[108:109]
	v_fma_f64 v[1:2], v[1:2], v[106:107], -v[102:103]
	v_fma_f64 v[3:4], v[3:4], v[106:107], v[108:109]
	buffer_store_dword v2, off, s[0:3], 0 offset:692
	buffer_store_dword v1, off, s[0:3], 0 offset:688
	;; [unrolled: 1-line block ×4, first 2 shown]
.LBB110_711:
	s_or_b32 exec_lo, exec_lo, s4
	v_mov_b32_e32 v4, s9
	s_mov_b32 s4, exec_lo
	s_clause 0x3
	buffer_load_dword v1, v4, s[0:3], 0 offen
	buffer_load_dword v2, v4, s[0:3], 0 offen offset:4
	buffer_load_dword v3, v4, s[0:3], 0 offen offset:8
	buffer_load_dword v4, v4, s[0:3], 0 offen offset:12
	s_waitcnt vmcnt(0)
	ds_write_b128 v100, v[1:4]
	s_waitcnt lgkmcnt(0)
	s_waitcnt_vscnt null, 0x0
	s_barrier
	buffer_gl0_inv
	v_cmpx_gt_u32_e32 44, v0
	s_cbranch_execz .LBB110_719
; %bb.712:
	ds_read_b128 v[1:4], v100
	v_cmp_ne_u32_e32 vcc_lo, 1, v101
	s_cbranch_vccnz .LBB110_714
; %bb.713:
	s_clause 0x3
	buffer_load_dword v102, v99, s[0:3], 0 offen offset:8
	buffer_load_dword v103, v99, s[0:3], 0 offen offset:12
	buffer_load_dword v106, v99, s[0:3], 0 offen
	buffer_load_dword v107, v99, s[0:3], 0 offen offset:4
	s_waitcnt vmcnt(2) lgkmcnt(0)
	v_mul_f64 v[108:109], v[3:4], v[102:103]
	v_mul_f64 v[102:103], v[1:2], v[102:103]
	s_waitcnt vmcnt(0)
	v_fma_f64 v[1:2], v[1:2], v[106:107], -v[108:109]
	v_fma_f64 v[3:4], v[3:4], v[106:107], v[102:103]
.LBB110_714:
	s_mov_b32 s8, exec_lo
	v_cmpx_ne_u32_e32 43, v0
	s_cbranch_execz .LBB110_718
; %bb.715:
	v_add_nc_u32_e32 v102, 0x300, v105
	v_add3_u32 v103, 0, v105, 16
	v_mov_b32_e32 v104, v0
	s_mov_b32 s54, 0
	.p2align	6
.LBB110_716:                            ; =>This Inner Loop Header: Depth=1
	s_clause 0x3
	buffer_load_dword v110, v103, s[0:3], 0 offen offset:8
	buffer_load_dword v111, v103, s[0:3], 0 offen offset:12
	buffer_load_dword v112, v103, s[0:3], 0 offen
	buffer_load_dword v113, v103, s[0:3], 0 offen offset:4
	ds_read_b128 v[106:109], v102
	v_add_nc_u32_e32 v104, 1, v104
	v_add_nc_u32_e32 v102, 16, v102
	;; [unrolled: 1-line block ×3, first 2 shown]
	v_cmp_lt_u32_e32 vcc_lo, 42, v104
	s_or_b32 s54, vcc_lo, s54
	s_waitcnt vmcnt(2) lgkmcnt(0)
	v_mul_f64 v[114:115], v[108:109], v[110:111]
	v_mul_f64 v[110:111], v[106:107], v[110:111]
	s_waitcnt vmcnt(0)
	v_fma_f64 v[106:107], v[106:107], v[112:113], -v[114:115]
	v_fma_f64 v[108:109], v[108:109], v[112:113], v[110:111]
	v_add_f64 v[1:2], v[1:2], v[106:107]
	v_add_f64 v[3:4], v[3:4], v[108:109]
	s_andn2_b32 exec_lo, exec_lo, s54
	s_cbranch_execnz .LBB110_716
; %bb.717:
	s_or_b32 exec_lo, exec_lo, s54
.LBB110_718:
	s_or_b32 exec_lo, exec_lo, s8
	v_mov_b32_e32 v102, 0
	ds_read_b128 v[106:109], v102 offset:704
	s_waitcnt lgkmcnt(0)
	v_mul_f64 v[102:103], v[3:4], v[108:109]
	v_mul_f64 v[108:109], v[1:2], v[108:109]
	v_fma_f64 v[1:2], v[1:2], v[106:107], -v[102:103]
	v_fma_f64 v[3:4], v[3:4], v[106:107], v[108:109]
	buffer_store_dword v2, off, s[0:3], 0 offset:708
	buffer_store_dword v1, off, s[0:3], 0 offset:704
	;; [unrolled: 1-line block ×4, first 2 shown]
.LBB110_719:
	s_or_b32 exec_lo, exec_lo, s4
	v_mov_b32_e32 v4, s7
	v_cmp_gt_u32_e64 s4, 45, v0
	s_clause 0x3
	buffer_load_dword v1, v4, s[0:3], 0 offen
	buffer_load_dword v2, v4, s[0:3], 0 offen offset:4
	buffer_load_dword v3, v4, s[0:3], 0 offen offset:8
	;; [unrolled: 1-line block ×3, first 2 shown]
	s_waitcnt vmcnt(0)
	ds_write_b128 v100, v[1:4]
	s_waitcnt lgkmcnt(0)
	s_waitcnt_vscnt null, 0x0
	s_barrier
	buffer_gl0_inv
	s_and_saveexec_b32 s8, s4
	s_cbranch_execz .LBB110_727
; %bb.720:
	ds_read_b128 v[1:4], v100
	v_cmp_ne_u32_e32 vcc_lo, 1, v101
	s_cbranch_vccnz .LBB110_722
; %bb.721:
	s_clause 0x3
	buffer_load_dword v102, v99, s[0:3], 0 offen offset:8
	buffer_load_dword v103, v99, s[0:3], 0 offen offset:12
	buffer_load_dword v106, v99, s[0:3], 0 offen
	buffer_load_dword v107, v99, s[0:3], 0 offen offset:4
	s_waitcnt vmcnt(2) lgkmcnt(0)
	v_mul_f64 v[108:109], v[3:4], v[102:103]
	v_mul_f64 v[102:103], v[1:2], v[102:103]
	s_waitcnt vmcnt(0)
	v_fma_f64 v[1:2], v[1:2], v[106:107], -v[108:109]
	v_fma_f64 v[3:4], v[3:4], v[106:107], v[102:103]
.LBB110_722:
	s_mov_b32 s54, exec_lo
	v_cmpx_ne_u32_e32 44, v0
	s_cbranch_execz .LBB110_726
; %bb.723:
	v_add_nc_u32_e32 v102, 0x300, v105
	v_add3_u32 v103, 0, v105, 16
	v_mov_b32_e32 v104, v0
	s_mov_b32 s55, 0
	.p2align	6
.LBB110_724:                            ; =>This Inner Loop Header: Depth=1
	s_clause 0x3
	buffer_load_dword v110, v103, s[0:3], 0 offen offset:8
	buffer_load_dword v111, v103, s[0:3], 0 offen offset:12
	buffer_load_dword v112, v103, s[0:3], 0 offen
	buffer_load_dword v113, v103, s[0:3], 0 offen offset:4
	ds_read_b128 v[106:109], v102
	v_add_nc_u32_e32 v104, 1, v104
	v_add_nc_u32_e32 v102, 16, v102
	;; [unrolled: 1-line block ×3, first 2 shown]
	v_cmp_lt_u32_e32 vcc_lo, 43, v104
	s_or_b32 s55, vcc_lo, s55
	s_waitcnt vmcnt(2) lgkmcnt(0)
	v_mul_f64 v[114:115], v[108:109], v[110:111]
	v_mul_f64 v[110:111], v[106:107], v[110:111]
	s_waitcnt vmcnt(0)
	v_fma_f64 v[106:107], v[106:107], v[112:113], -v[114:115]
	v_fma_f64 v[108:109], v[108:109], v[112:113], v[110:111]
	v_add_f64 v[1:2], v[1:2], v[106:107]
	v_add_f64 v[3:4], v[3:4], v[108:109]
	s_andn2_b32 exec_lo, exec_lo, s55
	s_cbranch_execnz .LBB110_724
; %bb.725:
	s_or_b32 exec_lo, exec_lo, s55
.LBB110_726:
	s_or_b32 exec_lo, exec_lo, s54
	v_mov_b32_e32 v102, 0
	ds_read_b128 v[106:109], v102 offset:720
	s_waitcnt lgkmcnt(0)
	v_mul_f64 v[102:103], v[3:4], v[108:109]
	v_mul_f64 v[108:109], v[1:2], v[108:109]
	v_fma_f64 v[1:2], v[1:2], v[106:107], -v[102:103]
	v_fma_f64 v[3:4], v[3:4], v[106:107], v[108:109]
	buffer_store_dword v2, off, s[0:3], 0 offset:724
	buffer_store_dword v1, off, s[0:3], 0 offset:720
	;; [unrolled: 1-line block ×4, first 2 shown]
.LBB110_727:
	s_or_b32 exec_lo, exec_lo, s8
	v_mov_b32_e32 v4, s6
	s_mov_b32 s8, exec_lo
                                        ; implicit-def: $sgpr56
	s_clause 0x3
	buffer_load_dword v1, v4, s[0:3], 0 offen
	buffer_load_dword v2, v4, s[0:3], 0 offen offset:4
	buffer_load_dword v3, v4, s[0:3], 0 offen offset:8
	;; [unrolled: 1-line block ×3, first 2 shown]
	s_waitcnt vmcnt(0)
	ds_write_b128 v100, v[1:4]
	s_waitcnt lgkmcnt(0)
	s_waitcnt_vscnt null, 0x0
	s_barrier
	buffer_gl0_inv
                                        ; implicit-def: $vgpr1_vgpr2
	v_cmpx_ne_u32_e32 46, v0
	s_cbranch_execz .LBB110_735
; %bb.728:
	ds_read_b128 v[1:4], v100
	v_cmp_ne_u32_e32 vcc_lo, 1, v101
	s_cbranch_vccnz .LBB110_730
; %bb.729:
	s_clause 0x3
	buffer_load_dword v100, v99, s[0:3], 0 offen offset:8
	buffer_load_dword v101, v99, s[0:3], 0 offen offset:12
	buffer_load_dword v102, v99, s[0:3], 0 offen
	buffer_load_dword v103, v99, s[0:3], 0 offen offset:4
	s_waitcnt vmcnt(2) lgkmcnt(0)
	v_mul_f64 v[106:107], v[3:4], v[100:101]
	v_mul_f64 v[99:100], v[1:2], v[100:101]
	s_waitcnt vmcnt(0)
	v_fma_f64 v[1:2], v[1:2], v[102:103], -v[106:107]
	v_fma_f64 v[3:4], v[3:4], v[102:103], v[99:100]
.LBB110_730:
	s_and_saveexec_b32 s54, s4
	s_cbranch_execz .LBB110_734
; %bb.731:
	v_add_nc_u32_e32 v99, 0x300, v105
	v_add3_u32 v100, 0, v105, 16
	s_mov_b32 s4, 0
	.p2align	6
.LBB110_732:                            ; =>This Inner Loop Header: Depth=1
	s_clause 0x3
	buffer_load_dword v105, v100, s[0:3], 0 offen offset:8
	buffer_load_dword v106, v100, s[0:3], 0 offen offset:12
	buffer_load_dword v107, v100, s[0:3], 0 offen
	buffer_load_dword v108, v100, s[0:3], 0 offen offset:4
	ds_read_b128 v[101:104], v99
	v_add_nc_u32_e32 v0, 1, v0
	v_add_nc_u32_e32 v99, 16, v99
	v_add_nc_u32_e32 v100, 16, v100
	v_cmp_lt_u32_e32 vcc_lo, 44, v0
	s_or_b32 s4, vcc_lo, s4
	s_waitcnt vmcnt(2) lgkmcnt(0)
	v_mul_f64 v[109:110], v[103:104], v[105:106]
	v_mul_f64 v[105:106], v[101:102], v[105:106]
	s_waitcnt vmcnt(0)
	v_fma_f64 v[101:102], v[101:102], v[107:108], -v[109:110]
	v_fma_f64 v[103:104], v[103:104], v[107:108], v[105:106]
	v_add_f64 v[1:2], v[1:2], v[101:102]
	v_add_f64 v[3:4], v[3:4], v[103:104]
	s_andn2_b32 exec_lo, exec_lo, s4
	s_cbranch_execnz .LBB110_732
; %bb.733:
	s_or_b32 exec_lo, exec_lo, s4
.LBB110_734:
	s_or_b32 exec_lo, exec_lo, s54
	v_mov_b32_e32 v0, 0
	s_movk_i32 s56, 0x2e8
	s_or_b32 s5, s5, exec_lo
	ds_read_b128 v[99:102], v0 offset:736
	s_waitcnt lgkmcnt(0)
	v_mul_f64 v[103:104], v[3:4], v[101:102]
	v_mul_f64 v[101:102], v[1:2], v[101:102]
	v_fma_f64 v[103:104], v[1:2], v[99:100], -v[103:104]
	v_fma_f64 v[1:2], v[3:4], v[99:100], v[101:102]
	buffer_store_dword v104, off, s[0:3], 0 offset:740
	buffer_store_dword v103, off, s[0:3], 0 offset:736
.LBB110_735:
	s_or_b32 exec_lo, exec_lo, s8
.LBB110_736:
	s_and_saveexec_b32 s4, s5
	s_cbranch_execz .LBB110_738
; %bb.737:
	v_mov_b32_e32 v0, s56
	buffer_store_dword v2, v0, s[0:3], 0 offen offset:4
	buffer_store_dword v1, v0, s[0:3], 0 offen
.LBB110_738:
	s_or_b32 exec_lo, exec_lo, s4
	s_clause 0x3
	buffer_load_dword v0, off, s[0:3], 0
	buffer_load_dword v1, off, s[0:3], 0 offset:4
	buffer_load_dword v2, off, s[0:3], 0 offset:8
	;; [unrolled: 1-line block ×3, first 2 shown]
	v_mov_b32_e32 v4, s53
	s_waitcnt vmcnt(0)
	flat_store_dwordx4 v[5:6], v[0:3]
	s_clause 0x3
	buffer_load_dword v0, v4, s[0:3], 0 offen
	buffer_load_dword v1, v4, s[0:3], 0 offen offset:4
	buffer_load_dword v2, v4, s[0:3], 0 offen offset:8
	buffer_load_dword v3, v4, s[0:3], 0 offen offset:12
	v_mov_b32_e32 v4, s52
	s_waitcnt vmcnt(0)
	flat_store_dwordx4 v[59:60], v[0:3]
	s_clause 0x3
	buffer_load_dword v0, v4, s[0:3], 0 offen
	buffer_load_dword v1, v4, s[0:3], 0 offen offset:4
	buffer_load_dword v2, v4, s[0:3], 0 offen offset:8
	buffer_load_dword v3, v4, s[0:3], 0 offen offset:12
	;; [unrolled: 8-line block ×46, first 2 shown]
	s_waitcnt vmcnt(0)
	flat_store_dwordx4 v[97:98], v[0:3]
.LBB110_739:
	s_endpgm
	.section	.rodata,"a",@progbits
	.p2align	6, 0x0
	.amdhsa_kernel _ZN9rocsolver6v33100L18trti2_kernel_smallILi47E19rocblas_complex_numIdEPKPS3_EEv13rocblas_fill_17rocblas_diagonal_T1_iil
		.amdhsa_group_segment_fixed_size 1504
		.amdhsa_private_segment_fixed_size 768
		.amdhsa_kernarg_size 32
		.amdhsa_user_sgpr_count 6
		.amdhsa_user_sgpr_private_segment_buffer 1
		.amdhsa_user_sgpr_dispatch_ptr 0
		.amdhsa_user_sgpr_queue_ptr 0
		.amdhsa_user_sgpr_kernarg_segment_ptr 1
		.amdhsa_user_sgpr_dispatch_id 0
		.amdhsa_user_sgpr_flat_scratch_init 0
		.amdhsa_user_sgpr_private_segment_size 0
		.amdhsa_wavefront_size32 1
		.amdhsa_uses_dynamic_stack 0
		.amdhsa_system_sgpr_private_segment_wavefront_offset 1
		.amdhsa_system_sgpr_workgroup_id_x 1
		.amdhsa_system_sgpr_workgroup_id_y 0
		.amdhsa_system_sgpr_workgroup_id_z 0
		.amdhsa_system_sgpr_workgroup_info 0
		.amdhsa_system_vgpr_workitem_id 0
		.amdhsa_next_free_vgpr 116
		.amdhsa_next_free_sgpr 75
		.amdhsa_reserve_vcc 1
		.amdhsa_reserve_flat_scratch 0
		.amdhsa_float_round_mode_32 0
		.amdhsa_float_round_mode_16_64 0
		.amdhsa_float_denorm_mode_32 3
		.amdhsa_float_denorm_mode_16_64 3
		.amdhsa_dx10_clamp 1
		.amdhsa_ieee_mode 1
		.amdhsa_fp16_overflow 0
		.amdhsa_workgroup_processor_mode 1
		.amdhsa_memory_ordered 1
		.amdhsa_forward_progress 1
		.amdhsa_shared_vgpr_count 0
		.amdhsa_exception_fp_ieee_invalid_op 0
		.amdhsa_exception_fp_denorm_src 0
		.amdhsa_exception_fp_ieee_div_zero 0
		.amdhsa_exception_fp_ieee_overflow 0
		.amdhsa_exception_fp_ieee_underflow 0
		.amdhsa_exception_fp_ieee_inexact 0
		.amdhsa_exception_int_div_zero 0
	.end_amdhsa_kernel
	.section	.text._ZN9rocsolver6v33100L18trti2_kernel_smallILi47E19rocblas_complex_numIdEPKPS3_EEv13rocblas_fill_17rocblas_diagonal_T1_iil,"axG",@progbits,_ZN9rocsolver6v33100L18trti2_kernel_smallILi47E19rocblas_complex_numIdEPKPS3_EEv13rocblas_fill_17rocblas_diagonal_T1_iil,comdat
.Lfunc_end110:
	.size	_ZN9rocsolver6v33100L18trti2_kernel_smallILi47E19rocblas_complex_numIdEPKPS3_EEv13rocblas_fill_17rocblas_diagonal_T1_iil, .Lfunc_end110-_ZN9rocsolver6v33100L18trti2_kernel_smallILi47E19rocblas_complex_numIdEPKPS3_EEv13rocblas_fill_17rocblas_diagonal_T1_iil
                                        ; -- End function
	.set _ZN9rocsolver6v33100L18trti2_kernel_smallILi47E19rocblas_complex_numIdEPKPS3_EEv13rocblas_fill_17rocblas_diagonal_T1_iil.num_vgpr, 116
	.set _ZN9rocsolver6v33100L18trti2_kernel_smallILi47E19rocblas_complex_numIdEPKPS3_EEv13rocblas_fill_17rocblas_diagonal_T1_iil.num_agpr, 0
	.set _ZN9rocsolver6v33100L18trti2_kernel_smallILi47E19rocblas_complex_numIdEPKPS3_EEv13rocblas_fill_17rocblas_diagonal_T1_iil.numbered_sgpr, 75
	.set _ZN9rocsolver6v33100L18trti2_kernel_smallILi47E19rocblas_complex_numIdEPKPS3_EEv13rocblas_fill_17rocblas_diagonal_T1_iil.num_named_barrier, 0
	.set _ZN9rocsolver6v33100L18trti2_kernel_smallILi47E19rocblas_complex_numIdEPKPS3_EEv13rocblas_fill_17rocblas_diagonal_T1_iil.private_seg_size, 768
	.set _ZN9rocsolver6v33100L18trti2_kernel_smallILi47E19rocblas_complex_numIdEPKPS3_EEv13rocblas_fill_17rocblas_diagonal_T1_iil.uses_vcc, 1
	.set _ZN9rocsolver6v33100L18trti2_kernel_smallILi47E19rocblas_complex_numIdEPKPS3_EEv13rocblas_fill_17rocblas_diagonal_T1_iil.uses_flat_scratch, 0
	.set _ZN9rocsolver6v33100L18trti2_kernel_smallILi47E19rocblas_complex_numIdEPKPS3_EEv13rocblas_fill_17rocblas_diagonal_T1_iil.has_dyn_sized_stack, 0
	.set _ZN9rocsolver6v33100L18trti2_kernel_smallILi47E19rocblas_complex_numIdEPKPS3_EEv13rocblas_fill_17rocblas_diagonal_T1_iil.has_recursion, 0
	.set _ZN9rocsolver6v33100L18trti2_kernel_smallILi47E19rocblas_complex_numIdEPKPS3_EEv13rocblas_fill_17rocblas_diagonal_T1_iil.has_indirect_call, 0
	.section	.AMDGPU.csdata,"",@progbits
; Kernel info:
; codeLenInByte = 47808
; TotalNumSgprs: 77
; NumVgprs: 116
; ScratchSize: 768
; MemoryBound: 0
; FloatMode: 240
; IeeeMode: 1
; LDSByteSize: 1504 bytes/workgroup (compile time only)
; SGPRBlocks: 0
; VGPRBlocks: 14
; NumSGPRsForWavesPerEU: 77
; NumVGPRsForWavesPerEU: 116
; Occupancy: 8
; WaveLimiterHint : 1
; COMPUTE_PGM_RSRC2:SCRATCH_EN: 1
; COMPUTE_PGM_RSRC2:USER_SGPR: 6
; COMPUTE_PGM_RSRC2:TRAP_HANDLER: 0
; COMPUTE_PGM_RSRC2:TGID_X_EN: 1
; COMPUTE_PGM_RSRC2:TGID_Y_EN: 0
; COMPUTE_PGM_RSRC2:TGID_Z_EN: 0
; COMPUTE_PGM_RSRC2:TIDIG_COMP_CNT: 0
	.section	.text._ZN9rocsolver6v33100L18trti2_kernel_smallILi48E19rocblas_complex_numIdEPKPS3_EEv13rocblas_fill_17rocblas_diagonal_T1_iil,"axG",@progbits,_ZN9rocsolver6v33100L18trti2_kernel_smallILi48E19rocblas_complex_numIdEPKPS3_EEv13rocblas_fill_17rocblas_diagonal_T1_iil,comdat
	.globl	_ZN9rocsolver6v33100L18trti2_kernel_smallILi48E19rocblas_complex_numIdEPKPS3_EEv13rocblas_fill_17rocblas_diagonal_T1_iil ; -- Begin function _ZN9rocsolver6v33100L18trti2_kernel_smallILi48E19rocblas_complex_numIdEPKPS3_EEv13rocblas_fill_17rocblas_diagonal_T1_iil
	.p2align	8
	.type	_ZN9rocsolver6v33100L18trti2_kernel_smallILi48E19rocblas_complex_numIdEPKPS3_EEv13rocblas_fill_17rocblas_diagonal_T1_iil,@function
_ZN9rocsolver6v33100L18trti2_kernel_smallILi48E19rocblas_complex_numIdEPKPS3_EEv13rocblas_fill_17rocblas_diagonal_T1_iil: ; @_ZN9rocsolver6v33100L18trti2_kernel_smallILi48E19rocblas_complex_numIdEPKPS3_EEv13rocblas_fill_17rocblas_diagonal_T1_iil
; %bb.0:
	s_add_u32 s0, s0, s7
	s_addc_u32 s1, s1, 0
	s_mov_b32 s7, exec_lo
	v_cmpx_gt_u32_e32 48, v0
	s_cbranch_execz .LBB111_755
; %bb.1:
	s_clause 0x1
	s_load_dwordx2 s[12:13], s[4:5], 0x10
	s_load_dwordx4 s[8:11], s[4:5], 0x0
	s_ashr_i32 s7, s6, 31
	v_lshlrev_b32_e32 v107, 4, v0
	s_lshl_b64 s[4:5], s[6:7], 3
	s_movk_i32 s14, 0xd0
	s_movk_i32 s15, 0xe0
	;; [unrolled: 1-line block ×15, first 2 shown]
	s_waitcnt lgkmcnt(0)
	s_ashr_i32 s7, s12, 31
	s_add_u32 s4, s10, s4
	s_addc_u32 s5, s11, s5
	s_mov_b32 s6, s12
	s_load_dwordx2 s[4:5], s[4:5], 0x0
	s_lshl_b64 s[6:7], s[6:7], 4
	v_add3_u32 v7, s13, s13, v0
	s_movk_i32 s10, 0x90
	s_movk_i32 s11, 0xa0
	;; [unrolled: 1-line block ×4, first 2 shown]
	v_ashrrev_i32_e32 v8, 31, v7
	s_movk_i32 s58, 0x1d0
	s_movk_i32 s59, 0x1e0
	;; [unrolled: 1-line block ×4, first 2 shown]
	v_lshlrev_b64 v[8:9], 4, v[7:8]
	v_add_nc_u32_e32 v7, s13, v7
	s_movk_i32 s62, 0x210
	s_movk_i32 s63, 0x220
	;; [unrolled: 1-line block ×6, first 2 shown]
	s_waitcnt lgkmcnt(0)
	s_add_u32 s6, s4, s6
	s_addc_u32 s7, s5, s7
	v_add_co_u32 v5, s4, s6, v107
	v_add_co_ci_u32_e64 v6, null, s7, 0, s4
	s_mov_b32 s4, s13
	s_ashr_i32 s5, s13, 31
	s_movk_i32 s68, 0x270
	flat_load_dwordx4 v[1:4], v[5:6]
	s_lshl_b64 s[4:5], s[4:5], 4
	s_cmpk_lg_i32 s9, 0x84
	v_add_co_u32 v59, vcc_lo, v5, s4
	v_add_co_ci_u32_e64 v60, null, s5, v6, vcc_lo
	v_add_co_u32 v57, vcc_lo, s6, v8
	v_add_co_ci_u32_e64 v58, null, s7, v9, vcc_lo
	v_ashrrev_i32_e32 v8, 31, v7
	s_movk_i32 s4, 0x50
	s_movk_i32 s5, 0x60
	;; [unrolled: 1-line block ×4, first 2 shown]
	v_lshlrev_b64 v[8:9], 4, v[7:8]
	v_add_nc_u32_e32 v7, s13, v7
	s_movk_i32 s71, 0x2a0
	s_movk_i32 s72, 0x2b0
	;; [unrolled: 1-line block ×4, first 2 shown]
	v_add_co_u32 v55, vcc_lo, s6, v8
	v_add_co_ci_u32_e64 v56, null, s7, v9, vcc_lo
	v_ashrrev_i32_e32 v8, 31, v7
	s_movk_i32 s75, 0x2e0
	s_movk_i32 s76, 0x2f0
	s_cselect_b32 s56, -1, 0
	s_cmpk_eq_i32 s9, 0x84
	v_lshlrev_b64 v[8:9], 4, v[7:8]
	v_add_nc_u32_e32 v7, s13, v7
	s_waitcnt vmcnt(0) lgkmcnt(0)
	buffer_store_dword v4, off, s[0:3], 0 offset:12
	buffer_store_dword v3, off, s[0:3], 0 offset:8
	;; [unrolled: 1-line block ×3, first 2 shown]
	buffer_store_dword v1, off, s[0:3], 0
	flat_load_dwordx4 v[1:4], v[59:60]
	v_add_co_u32 v53, vcc_lo, s6, v8
	v_add_co_ci_u32_e64 v54, null, s7, v9, vcc_lo
	v_ashrrev_i32_e32 v8, 31, v7
	s_waitcnt vmcnt(0) lgkmcnt(0)
	buffer_store_dword v4, off, s[0:3], 0 offset:28
	buffer_store_dword v3, off, s[0:3], 0 offset:24
	buffer_store_dword v2, off, s[0:3], 0 offset:20
	buffer_store_dword v1, off, s[0:3], 0 offset:16
	flat_load_dwordx4 v[1:4], v[57:58]
	v_lshlrev_b64 v[8:9], 4, v[7:8]
	v_add_nc_u32_e32 v7, s13, v7
	s_waitcnt vmcnt(0) lgkmcnt(0)
	buffer_store_dword v4, off, s[0:3], 0 offset:44
	buffer_store_dword v3, off, s[0:3], 0 offset:40
	buffer_store_dword v2, off, s[0:3], 0 offset:36
	buffer_store_dword v1, off, s[0:3], 0 offset:32
	flat_load_dwordx4 v[1:4], v[55:56]
	v_add_co_u32 v49, vcc_lo, s6, v8
	v_add_co_ci_u32_e64 v50, null, s7, v9, vcc_lo
	v_ashrrev_i32_e32 v8, 31, v7
	s_waitcnt vmcnt(0) lgkmcnt(0)
	buffer_store_dword v4, off, s[0:3], 0 offset:60
	buffer_store_dword v3, off, s[0:3], 0 offset:56
	buffer_store_dword v2, off, s[0:3], 0 offset:52
	buffer_store_dword v1, off, s[0:3], 0 offset:48
	flat_load_dwordx4 v[1:4], v[53:54]
	v_lshlrev_b64 v[8:9], 4, v[7:8]
	v_add_nc_u32_e32 v7, s13, v7
	s_waitcnt vmcnt(0) lgkmcnt(0)
	buffer_store_dword v4, off, s[0:3], 0 offset:76
	buffer_store_dword v3, off, s[0:3], 0 offset:72
	buffer_store_dword v2, off, s[0:3], 0 offset:68
	buffer_store_dword v1, off, s[0:3], 0 offset:64
	;; [unrolled: 17-line block ×3, first 2 shown]
	v_add_co_u32 v45, vcc_lo, s6, v8
	v_add_co_ci_u32_e64 v46, null, s7, v9, vcc_lo
	v_ashrrev_i32_e32 v8, 31, v7
	flat_load_dwordx4 v[1:4], v[45:46]
	s_waitcnt vmcnt(0) lgkmcnt(0)
	buffer_store_dword v4, off, s[0:3], 0 offset:124
	buffer_store_dword v3, off, s[0:3], 0 offset:120
	buffer_store_dword v2, off, s[0:3], 0 offset:116
	buffer_store_dword v1, off, s[0:3], 0 offset:112
	v_lshlrev_b64 v[8:9], 4, v[7:8]
	v_add_nc_u32_e32 v7, s13, v7
	v_add_co_u32 v43, vcc_lo, s6, v8
	v_add_co_ci_u32_e64 v44, null, s7, v9, vcc_lo
	v_ashrrev_i32_e32 v8, 31, v7
	flat_load_dwordx4 v[1:4], v[43:44]
	s_waitcnt vmcnt(0) lgkmcnt(0)
	buffer_store_dword v4, off, s[0:3], 0 offset:140
	buffer_store_dword v3, off, s[0:3], 0 offset:136
	buffer_store_dword v2, off, s[0:3], 0 offset:132
	buffer_store_dword v1, off, s[0:3], 0 offset:128
	v_lshlrev_b64 v[8:9], 4, v[7:8]
	v_add_nc_u32_e32 v7, s13, v7
	;; [unrolled: 11-line block ×16, first 2 shown]
	v_add_co_u32 v11, vcc_lo, s6, v8
	v_add_co_ci_u32_e64 v12, null, s7, v9, vcc_lo
	v_ashrrev_i32_e32 v8, 31, v7
	v_add_nc_u32_e32 v33, s13, v7
	flat_load_dwordx4 v[1:4], v[11:12]
	s_waitcnt vmcnt(0) lgkmcnt(0)
	buffer_store_dword v4, off, s[0:3], 0 offset:380
	buffer_store_dword v3, off, s[0:3], 0 offset:376
	;; [unrolled: 1-line block ×4, first 2 shown]
	v_lshlrev_b64 v[9:10], 4, v[7:8]
	v_ashrrev_i32_e32 v34, 31, v33
	v_add_nc_u32_e32 v51, s13, v33
	v_add_co_u32 v9, vcc_lo, s6, v9
	v_add_co_ci_u32_e64 v10, null, s7, v10, vcc_lo
	v_lshlrev_b64 v[7:8], 4, v[33:34]
	v_ashrrev_i32_e32 v52, 31, v51
	v_add_nc_u32_e32 v61, s13, v51
	flat_load_dwordx4 v[1:4], v[9:10]
	s_waitcnt vmcnt(0) lgkmcnt(0)
	buffer_store_dword v4, off, s[0:3], 0 offset:396
	buffer_store_dword v3, off, s[0:3], 0 offset:392
	buffer_store_dword v2, off, s[0:3], 0 offset:388
	buffer_store_dword v1, off, s[0:3], 0 offset:384
	v_add_co_u32 v7, vcc_lo, s6, v7
	v_add_co_ci_u32_e64 v8, null, s7, v8, vcc_lo
	v_lshlrev_b64 v[33:34], 4, v[51:52]
	v_ashrrev_i32_e32 v62, 31, v61
	v_add_nc_u32_e32 v63, s13, v61
	flat_load_dwordx4 v[1:4], v[7:8]
	s_waitcnt vmcnt(0) lgkmcnt(0)
	buffer_store_dword v4, off, s[0:3], 0 offset:412
	buffer_store_dword v3, off, s[0:3], 0 offset:408
	buffer_store_dword v2, off, s[0:3], 0 offset:404
	buffer_store_dword v1, off, s[0:3], 0 offset:400
	v_add_co_u32 v33, vcc_lo, s6, v33
	v_add_co_ci_u32_e64 v34, null, s7, v34, vcc_lo
	v_lshlrev_b64 v[51:52], 4, v[61:62]
	v_ashrrev_i32_e32 v64, 31, v63
	v_add_nc_u32_e32 v65, s13, v63
	flat_load_dwordx4 v[1:4], v[33:34]
	s_waitcnt vmcnt(0) lgkmcnt(0)
	buffer_store_dword v4, off, s[0:3], 0 offset:428
	buffer_store_dword v3, off, s[0:3], 0 offset:424
	buffer_store_dword v2, off, s[0:3], 0 offset:420
	buffer_store_dword v1, off, s[0:3], 0 offset:416
	v_add_co_u32 v51, vcc_lo, s6, v51
	v_add_co_ci_u32_e64 v52, null, s7, v52, vcc_lo
	v_lshlrev_b64 v[61:62], 4, v[63:64]
	v_ashrrev_i32_e32 v66, 31, v65
	v_add_nc_u32_e32 v67, s13, v65
	flat_load_dwordx4 v[1:4], v[51:52]
	s_waitcnt vmcnt(0) lgkmcnt(0)
	buffer_store_dword v4, off, s[0:3], 0 offset:444
	buffer_store_dword v3, off, s[0:3], 0 offset:440
	buffer_store_dword v2, off, s[0:3], 0 offset:436
	buffer_store_dword v1, off, s[0:3], 0 offset:432
	v_add_co_u32 v61, vcc_lo, s6, v61
	v_add_co_ci_u32_e64 v62, null, s7, v62, vcc_lo
	v_lshlrev_b64 v[63:64], 4, v[65:66]
	v_ashrrev_i32_e32 v68, 31, v67
	v_add_nc_u32_e32 v69, s13, v67
	flat_load_dwordx4 v[1:4], v[61:62]
	s_waitcnt vmcnt(0) lgkmcnt(0)
	buffer_store_dword v4, off, s[0:3], 0 offset:460
	buffer_store_dword v3, off, s[0:3], 0 offset:456
	buffer_store_dword v2, off, s[0:3], 0 offset:452
	buffer_store_dword v1, off, s[0:3], 0 offset:448
	v_add_co_u32 v63, vcc_lo, s6, v63
	v_add_co_ci_u32_e64 v64, null, s7, v64, vcc_lo
	v_lshlrev_b64 v[65:66], 4, v[67:68]
	v_ashrrev_i32_e32 v70, 31, v69
	v_add_nc_u32_e32 v71, s13, v69
	flat_load_dwordx4 v[1:4], v[63:64]
	s_waitcnt vmcnt(0) lgkmcnt(0)
	buffer_store_dword v4, off, s[0:3], 0 offset:476
	buffer_store_dword v3, off, s[0:3], 0 offset:472
	buffer_store_dword v2, off, s[0:3], 0 offset:468
	buffer_store_dword v1, off, s[0:3], 0 offset:464
	v_add_co_u32 v65, vcc_lo, s6, v65
	v_add_co_ci_u32_e64 v66, null, s7, v66, vcc_lo
	v_lshlrev_b64 v[67:68], 4, v[69:70]
	v_ashrrev_i32_e32 v72, 31, v71
	v_add_nc_u32_e32 v73, s13, v71
	flat_load_dwordx4 v[1:4], v[65:66]
	s_waitcnt vmcnt(0) lgkmcnt(0)
	buffer_store_dword v4, off, s[0:3], 0 offset:492
	buffer_store_dword v3, off, s[0:3], 0 offset:488
	buffer_store_dword v2, off, s[0:3], 0 offset:484
	buffer_store_dword v1, off, s[0:3], 0 offset:480
	v_add_co_u32 v67, vcc_lo, s6, v67
	v_add_co_ci_u32_e64 v68, null, s7, v68, vcc_lo
	v_lshlrev_b64 v[69:70], 4, v[71:72]
	v_ashrrev_i32_e32 v74, 31, v73
	v_add_nc_u32_e32 v75, s13, v73
	flat_load_dwordx4 v[1:4], v[67:68]
	s_waitcnt vmcnt(0) lgkmcnt(0)
	buffer_store_dword v4, off, s[0:3], 0 offset:508
	buffer_store_dword v3, off, s[0:3], 0 offset:504
	buffer_store_dword v2, off, s[0:3], 0 offset:500
	buffer_store_dword v1, off, s[0:3], 0 offset:496
	v_add_co_u32 v69, vcc_lo, s6, v69
	v_add_co_ci_u32_e64 v70, null, s7, v70, vcc_lo
	v_lshlrev_b64 v[71:72], 4, v[73:74]
	v_ashrrev_i32_e32 v76, 31, v75
	v_add_nc_u32_e32 v77, s13, v75
	flat_load_dwordx4 v[1:4], v[69:70]
	s_waitcnt vmcnt(0) lgkmcnt(0)
	buffer_store_dword v4, off, s[0:3], 0 offset:524
	buffer_store_dword v3, off, s[0:3], 0 offset:520
	buffer_store_dword v2, off, s[0:3], 0 offset:516
	buffer_store_dword v1, off, s[0:3], 0 offset:512
	v_add_co_u32 v71, vcc_lo, s6, v71
	v_add_co_ci_u32_e64 v72, null, s7, v72, vcc_lo
	v_lshlrev_b64 v[73:74], 4, v[75:76]
	v_ashrrev_i32_e32 v78, 31, v77
	v_add_nc_u32_e32 v79, s13, v77
	flat_load_dwordx4 v[1:4], v[71:72]
	s_waitcnt vmcnt(0) lgkmcnt(0)
	buffer_store_dword v4, off, s[0:3], 0 offset:540
	buffer_store_dword v3, off, s[0:3], 0 offset:536
	buffer_store_dword v2, off, s[0:3], 0 offset:532
	buffer_store_dword v1, off, s[0:3], 0 offset:528
	v_add_co_u32 v73, vcc_lo, s6, v73
	v_add_co_ci_u32_e64 v74, null, s7, v74, vcc_lo
	v_lshlrev_b64 v[75:76], 4, v[77:78]
	v_ashrrev_i32_e32 v80, 31, v79
	v_add_nc_u32_e32 v81, s13, v79
	flat_load_dwordx4 v[1:4], v[73:74]
	s_waitcnt vmcnt(0) lgkmcnt(0)
	buffer_store_dword v4, off, s[0:3], 0 offset:556
	buffer_store_dword v3, off, s[0:3], 0 offset:552
	buffer_store_dword v2, off, s[0:3], 0 offset:548
	buffer_store_dword v1, off, s[0:3], 0 offset:544
	v_add_co_u32 v75, vcc_lo, s6, v75
	v_add_co_ci_u32_e64 v76, null, s7, v76, vcc_lo
	v_lshlrev_b64 v[77:78], 4, v[79:80]
	v_ashrrev_i32_e32 v82, 31, v81
	v_add_nc_u32_e32 v83, s13, v81
	flat_load_dwordx4 v[1:4], v[75:76]
	s_waitcnt vmcnt(0) lgkmcnt(0)
	buffer_store_dword v4, off, s[0:3], 0 offset:572
	buffer_store_dword v3, off, s[0:3], 0 offset:568
	buffer_store_dword v2, off, s[0:3], 0 offset:564
	buffer_store_dword v1, off, s[0:3], 0 offset:560
	v_add_co_u32 v77, vcc_lo, s6, v77
	v_add_co_ci_u32_e64 v78, null, s7, v78, vcc_lo
	v_lshlrev_b64 v[79:80], 4, v[81:82]
	v_ashrrev_i32_e32 v84, 31, v83
	v_add_nc_u32_e32 v85, s13, v83
	flat_load_dwordx4 v[1:4], v[77:78]
	s_waitcnt vmcnt(0) lgkmcnt(0)
	buffer_store_dword v4, off, s[0:3], 0 offset:588
	buffer_store_dword v3, off, s[0:3], 0 offset:584
	buffer_store_dword v2, off, s[0:3], 0 offset:580
	buffer_store_dword v1, off, s[0:3], 0 offset:576
	v_add_co_u32 v79, vcc_lo, s6, v79
	v_add_co_ci_u32_e64 v80, null, s7, v80, vcc_lo
	v_lshlrev_b64 v[81:82], 4, v[83:84]
	v_ashrrev_i32_e32 v86, 31, v85
	v_add_nc_u32_e32 v87, s13, v85
	flat_load_dwordx4 v[1:4], v[79:80]
	s_waitcnt vmcnt(0) lgkmcnt(0)
	buffer_store_dword v4, off, s[0:3], 0 offset:604
	buffer_store_dword v3, off, s[0:3], 0 offset:600
	buffer_store_dword v2, off, s[0:3], 0 offset:596
	buffer_store_dword v1, off, s[0:3], 0 offset:592
	v_add_co_u32 v81, vcc_lo, s6, v81
	v_add_co_ci_u32_e64 v82, null, s7, v82, vcc_lo
	v_lshlrev_b64 v[83:84], 4, v[85:86]
	v_ashrrev_i32_e32 v88, 31, v87
	v_add_nc_u32_e32 v89, s13, v87
	flat_load_dwordx4 v[1:4], v[81:82]
	s_waitcnt vmcnt(0) lgkmcnt(0)
	buffer_store_dword v4, off, s[0:3], 0 offset:620
	buffer_store_dword v3, off, s[0:3], 0 offset:616
	buffer_store_dword v2, off, s[0:3], 0 offset:612
	buffer_store_dword v1, off, s[0:3], 0 offset:608
	v_add_co_u32 v83, vcc_lo, s6, v83
	v_add_co_ci_u32_e64 v84, null, s7, v84, vcc_lo
	v_lshlrev_b64 v[85:86], 4, v[87:88]
	v_ashrrev_i32_e32 v90, 31, v89
	v_add_nc_u32_e32 v91, s13, v89
	flat_load_dwordx4 v[1:4], v[83:84]
	s_waitcnt vmcnt(0) lgkmcnt(0)
	buffer_store_dword v4, off, s[0:3], 0 offset:636
	buffer_store_dword v3, off, s[0:3], 0 offset:632
	buffer_store_dword v2, off, s[0:3], 0 offset:628
	buffer_store_dword v1, off, s[0:3], 0 offset:624
	v_add_co_u32 v85, vcc_lo, s6, v85
	v_add_co_ci_u32_e64 v86, null, s7, v86, vcc_lo
	v_lshlrev_b64 v[87:88], 4, v[89:90]
	v_ashrrev_i32_e32 v92, 31, v91
	v_add_nc_u32_e32 v93, s13, v91
	flat_load_dwordx4 v[1:4], v[85:86]
	s_waitcnt vmcnt(0) lgkmcnt(0)
	buffer_store_dword v4, off, s[0:3], 0 offset:652
	buffer_store_dword v3, off, s[0:3], 0 offset:648
	buffer_store_dword v2, off, s[0:3], 0 offset:644
	buffer_store_dword v1, off, s[0:3], 0 offset:640
	v_add_co_u32 v87, vcc_lo, s6, v87
	v_add_co_ci_u32_e64 v88, null, s7, v88, vcc_lo
	v_lshlrev_b64 v[89:90], 4, v[91:92]
	v_ashrrev_i32_e32 v94, 31, v93
	v_add_nc_u32_e32 v95, s13, v93
	flat_load_dwordx4 v[1:4], v[87:88]
	s_waitcnt vmcnt(0) lgkmcnt(0)
	buffer_store_dword v4, off, s[0:3], 0 offset:668
	buffer_store_dword v3, off, s[0:3], 0 offset:664
	buffer_store_dword v2, off, s[0:3], 0 offset:660
	buffer_store_dword v1, off, s[0:3], 0 offset:656
	v_add_co_u32 v89, vcc_lo, s6, v89
	v_add_co_ci_u32_e64 v90, null, s7, v90, vcc_lo
	v_lshlrev_b64 v[91:92], 4, v[93:94]
	v_ashrrev_i32_e32 v96, 31, v95
	v_add_nc_u32_e32 v97, s13, v95
	flat_load_dwordx4 v[1:4], v[89:90]
	s_waitcnt vmcnt(0) lgkmcnt(0)
	buffer_store_dword v4, off, s[0:3], 0 offset:684
	buffer_store_dword v3, off, s[0:3], 0 offset:680
	buffer_store_dword v2, off, s[0:3], 0 offset:676
	buffer_store_dword v1, off, s[0:3], 0 offset:672
	v_add_co_u32 v91, vcc_lo, s6, v91
	v_add_co_ci_u32_e64 v92, null, s7, v92, vcc_lo
	v_lshlrev_b64 v[93:94], 4, v[95:96]
	v_ashrrev_i32_e32 v98, 31, v97
	v_add_nc_u32_e32 v99, s13, v97
	flat_load_dwordx4 v[1:4], v[91:92]
	s_waitcnt vmcnt(0) lgkmcnt(0)
	buffer_store_dword v4, off, s[0:3], 0 offset:700
	buffer_store_dword v3, off, s[0:3], 0 offset:696
	buffer_store_dword v2, off, s[0:3], 0 offset:692
	buffer_store_dword v1, off, s[0:3], 0 offset:688
	v_add_co_u32 v93, vcc_lo, s6, v93
	v_add_co_ci_u32_e64 v94, null, s7, v94, vcc_lo
	v_lshlrev_b64 v[95:96], 4, v[97:98]
	v_ashrrev_i32_e32 v100, 31, v99
	flat_load_dwordx4 v[1:4], v[93:94]
	s_waitcnt vmcnt(0) lgkmcnt(0)
	buffer_store_dword v4, off, s[0:3], 0 offset:716
	buffer_store_dword v3, off, s[0:3], 0 offset:712
	;; [unrolled: 1-line block ×4, first 2 shown]
	v_add_co_u32 v95, vcc_lo, s6, v95
	v_add_co_ci_u32_e64 v96, null, s7, v96, vcc_lo
	v_lshlrev_b64 v[97:98], 4, v[99:100]
	v_add_nc_u32_e32 v99, s13, v99
	s_movk_i32 s13, 0xc0
	flat_load_dwordx4 v[1:4], v[95:96]
	s_waitcnt vmcnt(0) lgkmcnt(0)
	buffer_store_dword v4, off, s[0:3], 0 offset:732
	buffer_store_dword v3, off, s[0:3], 0 offset:728
	;; [unrolled: 1-line block ×4, first 2 shown]
	v_add_co_u32 v97, vcc_lo, s6, v97
	v_add_co_ci_u32_e64 v98, null, s7, v98, vcc_lo
	v_ashrrev_i32_e32 v100, 31, v99
	flat_load_dwordx4 v[1:4], v[97:98]
	s_waitcnt vmcnt(0) lgkmcnt(0)
	buffer_store_dword v4, off, s[0:3], 0 offset:748
	buffer_store_dword v3, off, s[0:3], 0 offset:744
	;; [unrolled: 1-line block ×4, first 2 shown]
	v_lshlrev_b64 v[99:100], 4, v[99:100]
	v_add_co_u32 v99, vcc_lo, s6, v99
	v_add_co_ci_u32_e64 v100, null, s7, v100, vcc_lo
	s_movk_i32 s6, 0x70
	s_movk_i32 s7, 0x80
	flat_load_dwordx4 v[1:4], v[99:100]
	s_waitcnt vmcnt(0) lgkmcnt(0)
	buffer_store_dword v4, off, s[0:3], 0 offset:764
	buffer_store_dword v3, off, s[0:3], 0 offset:760
	;; [unrolled: 1-line block ×4, first 2 shown]
	s_cbranch_scc1 .LBB111_7
; %bb.2:
	v_lshl_add_u32 v108, v0, 4, 0
                                        ; implicit-def: $vgpr103_vgpr104
                                        ; implicit-def: $vgpr3_vgpr4
	s_clause 0x3
	buffer_load_dword v101, v108, s[0:3], 0 offen
	buffer_load_dword v102, v108, s[0:3], 0 offen offset:4
	buffer_load_dword v105, v108, s[0:3], 0 offen offset:8
	;; [unrolled: 1-line block ×3, first 2 shown]
	s_waitcnt vmcnt(0)
	v_cmp_ngt_f64_e64 s9, |v[101:102]|, |v[105:106]|
	s_and_saveexec_b32 s29, s9
	s_xor_b32 s9, exec_lo, s29
	s_cbranch_execz .LBB111_4
; %bb.3:
	v_div_scale_f64 v[1:2], null, v[105:106], v[105:106], v[101:102]
	v_div_scale_f64 v[109:110], vcc_lo, v[101:102], v[105:106], v[101:102]
	v_rcp_f64_e32 v[3:4], v[1:2]
	v_fma_f64 v[103:104], -v[1:2], v[3:4], 1.0
	v_fma_f64 v[3:4], v[3:4], v[103:104], v[3:4]
	v_fma_f64 v[103:104], -v[1:2], v[3:4], 1.0
	v_fma_f64 v[3:4], v[3:4], v[103:104], v[3:4]
	v_mul_f64 v[103:104], v[109:110], v[3:4]
	v_fma_f64 v[1:2], -v[1:2], v[103:104], v[109:110]
	v_div_fmas_f64 v[1:2], v[1:2], v[3:4], v[103:104]
	v_div_fixup_f64 v[1:2], v[1:2], v[105:106], v[101:102]
	v_fma_f64 v[3:4], v[101:102], v[1:2], v[105:106]
	v_div_scale_f64 v[101:102], null, v[3:4], v[3:4], 1.0
	v_div_scale_f64 v[109:110], vcc_lo, 1.0, v[3:4], 1.0
	v_rcp_f64_e32 v[103:104], v[101:102]
	v_fma_f64 v[105:106], -v[101:102], v[103:104], 1.0
	v_fma_f64 v[103:104], v[103:104], v[105:106], v[103:104]
	v_fma_f64 v[105:106], -v[101:102], v[103:104], 1.0
	v_fma_f64 v[103:104], v[103:104], v[105:106], v[103:104]
	v_mul_f64 v[105:106], v[109:110], v[103:104]
	v_fma_f64 v[101:102], -v[101:102], v[105:106], v[109:110]
	v_div_fmas_f64 v[101:102], v[101:102], v[103:104], v[105:106]
                                        ; implicit-def: $vgpr105_vgpr106
	v_div_fixup_f64 v[3:4], v[101:102], v[3:4], 1.0
                                        ; implicit-def: $vgpr101_vgpr102
	v_mul_f64 v[103:104], v[1:2], v[3:4]
	v_xor_b32_e32 v4, 0x80000000, v4
	v_xor_b32_e32 v2, 0x80000000, v104
	v_mov_b32_e32 v1, v103
.LBB111_4:
	s_andn2_saveexec_b32 s9, s9
	s_cbranch_execz .LBB111_6
; %bb.5:
	v_div_scale_f64 v[1:2], null, v[101:102], v[101:102], v[105:106]
	v_div_scale_f64 v[109:110], vcc_lo, v[105:106], v[101:102], v[105:106]
	v_rcp_f64_e32 v[3:4], v[1:2]
	v_fma_f64 v[103:104], -v[1:2], v[3:4], 1.0
	v_fma_f64 v[3:4], v[3:4], v[103:104], v[3:4]
	v_fma_f64 v[103:104], -v[1:2], v[3:4], 1.0
	v_fma_f64 v[3:4], v[3:4], v[103:104], v[3:4]
	v_mul_f64 v[103:104], v[109:110], v[3:4]
	v_fma_f64 v[1:2], -v[1:2], v[103:104], v[109:110]
	v_div_fmas_f64 v[1:2], v[1:2], v[3:4], v[103:104]
	v_div_fixup_f64 v[1:2], v[1:2], v[101:102], v[105:106]
	v_fma_f64 v[3:4], v[105:106], v[1:2], v[101:102]
	v_div_scale_f64 v[101:102], null, v[3:4], v[3:4], 1.0
	v_rcp_f64_e32 v[103:104], v[101:102]
	v_fma_f64 v[105:106], -v[101:102], v[103:104], 1.0
	v_fma_f64 v[103:104], v[103:104], v[105:106], v[103:104]
	v_fma_f64 v[105:106], -v[101:102], v[103:104], 1.0
	v_fma_f64 v[103:104], v[103:104], v[105:106], v[103:104]
	v_div_scale_f64 v[105:106], vcc_lo, 1.0, v[3:4], 1.0
	v_mul_f64 v[109:110], v[105:106], v[103:104]
	v_fma_f64 v[101:102], -v[101:102], v[109:110], v[105:106]
	v_div_fmas_f64 v[101:102], v[101:102], v[103:104], v[109:110]
	v_div_fixup_f64 v[103:104], v[101:102], v[3:4], 1.0
	v_mul_f64 v[3:4], v[1:2], -v[103:104]
	v_xor_b32_e32 v2, 0x80000000, v104
	v_mov_b32_e32 v1, v103
.LBB111_6:
	s_or_b32 exec_lo, exec_lo, s9
	buffer_store_dword v4, v108, s[0:3], 0 offen offset:12
	v_xor_b32_e32 v4, 0x80000000, v4
	buffer_store_dword v104, v108, s[0:3], 0 offen offset:4
	buffer_store_dword v103, v108, s[0:3], 0 offen
	buffer_store_dword v3, v108, s[0:3], 0 offen offset:8
	s_branch .LBB111_8
.LBB111_7:
	v_mov_b32_e32 v1, 0
	v_mov_b32_e32 v3, 0
	;; [unrolled: 1-line block ×4, first 2 shown]
.LBB111_8:
	v_add_nc_u32_e32 v102, 0x300, v107
	v_mov_b32_e32 v101, v107
	s_mov_b32 s55, 16
	s_mov_b32 s54, 32
	;; [unrolled: 1-line block ×46, first 2 shown]
	s_cmpk_eq_i32 s8, 0x79
	ds_write_b128 v107, v[1:4]
	s_cbranch_scc1 .LBB111_380
; %bb.9:
	v_mov_b32_e32 v4, s9
	v_cmp_eq_u32_e64 s4, 47, v0
	s_clause 0x3
	buffer_load_dword v1, v4, s[0:3], 0 offen
	buffer_load_dword v2, v4, s[0:3], 0 offen offset:4
	buffer_load_dword v3, v4, s[0:3], 0 offen offset:8
	;; [unrolled: 1-line block ×3, first 2 shown]
	s_waitcnt vmcnt(0)
	ds_write_b128 v102, v[1:4]
	s_waitcnt lgkmcnt(0)
	s_waitcnt_vscnt null, 0x0
	s_barrier
	buffer_gl0_inv
	s_and_saveexec_b32 s5, s4
	s_cbranch_execz .LBB111_13
; %bb.10:
	ds_read_b128 v[1:4], v102
	s_andn2_b32 vcc_lo, exec_lo, s56
	s_cbranch_vccnz .LBB111_12
; %bb.11:
	s_clause 0x3
	buffer_load_dword v103, v101, s[0:3], 0 offen offset:8
	buffer_load_dword v104, v101, s[0:3], 0 offen offset:12
	buffer_load_dword v105, v101, s[0:3], 0 offen
	buffer_load_dword v106, v101, s[0:3], 0 offen offset:4
	s_waitcnt vmcnt(2) lgkmcnt(0)
	v_mul_f64 v[108:109], v[3:4], v[103:104]
	v_mul_f64 v[103:104], v[1:2], v[103:104]
	s_waitcnt vmcnt(0)
	v_fma_f64 v[1:2], v[1:2], v[105:106], -v[108:109]
	v_fma_f64 v[3:4], v[3:4], v[105:106], v[103:104]
.LBB111_12:
	v_mov_b32_e32 v103, 0
	ds_read_b128 v[103:106], v103 offset:736
	s_waitcnt lgkmcnt(0)
	v_mul_f64 v[108:109], v[3:4], v[105:106]
	v_mul_f64 v[105:106], v[1:2], v[105:106]
	v_fma_f64 v[1:2], v[1:2], v[103:104], -v[108:109]
	v_fma_f64 v[3:4], v[3:4], v[103:104], v[105:106]
	buffer_store_dword v2, off, s[0:3], 0 offset:740
	buffer_store_dword v1, off, s[0:3], 0 offset:736
	;; [unrolled: 1-line block ×4, first 2 shown]
.LBB111_13:
	s_or_b32 exec_lo, exec_lo, s5
	v_mov_b32_e32 v4, s10
	v_cmp_lt_u32_e64 s5, 45, v0
	s_clause 0x3
	buffer_load_dword v1, v4, s[0:3], 0 offen
	buffer_load_dword v2, v4, s[0:3], 0 offen offset:4
	buffer_load_dword v3, v4, s[0:3], 0 offen offset:8
	;; [unrolled: 1-line block ×3, first 2 shown]
	s_waitcnt vmcnt(0)
	ds_write_b128 v102, v[1:4]
	s_waitcnt lgkmcnt(0)
	s_waitcnt_vscnt null, 0x0
	s_barrier
	buffer_gl0_inv
	s_and_saveexec_b32 s6, s5
	s_cbranch_execz .LBB111_19
; %bb.14:
	ds_read_b128 v[1:4], v102
	s_andn2_b32 vcc_lo, exec_lo, s56
	s_cbranch_vccnz .LBB111_16
; %bb.15:
	s_clause 0x3
	buffer_load_dword v103, v101, s[0:3], 0 offen offset:8
	buffer_load_dword v104, v101, s[0:3], 0 offen offset:12
	buffer_load_dword v105, v101, s[0:3], 0 offen
	buffer_load_dword v106, v101, s[0:3], 0 offen offset:4
	s_waitcnt vmcnt(2) lgkmcnt(0)
	v_mul_f64 v[108:109], v[3:4], v[103:104]
	v_mul_f64 v[103:104], v[1:2], v[103:104]
	s_waitcnt vmcnt(0)
	v_fma_f64 v[1:2], v[1:2], v[105:106], -v[108:109]
	v_fma_f64 v[3:4], v[3:4], v[105:106], v[103:104]
.LBB111_16:
	s_and_saveexec_b32 s8, s4
	s_cbranch_execz .LBB111_18
; %bb.17:
	s_clause 0x3
	buffer_load_dword v108, off, s[0:3], 0 offset:744
	buffer_load_dword v109, off, s[0:3], 0 offset:748
	buffer_load_dword v110, off, s[0:3], 0 offset:736
	buffer_load_dword v111, off, s[0:3], 0 offset:740
	v_mov_b32_e32 v103, 0
	ds_read_b128 v[103:106], v103 offset:1504
	s_waitcnt vmcnt(2) lgkmcnt(0)
	v_mul_f64 v[112:113], v[103:104], v[108:109]
	v_mul_f64 v[108:109], v[105:106], v[108:109]
	s_waitcnt vmcnt(0)
	v_fma_f64 v[105:106], v[105:106], v[110:111], v[112:113]
	v_fma_f64 v[103:104], v[103:104], v[110:111], -v[108:109]
	v_add_f64 v[3:4], v[3:4], v[105:106]
	v_add_f64 v[1:2], v[1:2], v[103:104]
.LBB111_18:
	s_or_b32 exec_lo, exec_lo, s8
	v_mov_b32_e32 v103, 0
	ds_read_b128 v[103:106], v103 offset:720
	s_waitcnt lgkmcnt(0)
	v_mul_f64 v[108:109], v[3:4], v[105:106]
	v_mul_f64 v[105:106], v[1:2], v[105:106]
	v_fma_f64 v[1:2], v[1:2], v[103:104], -v[108:109]
	v_fma_f64 v[3:4], v[3:4], v[103:104], v[105:106]
	buffer_store_dword v2, off, s[0:3], 0 offset:724
	buffer_store_dword v1, off, s[0:3], 0 offset:720
	;; [unrolled: 1-line block ×4, first 2 shown]
.LBB111_19:
	s_or_b32 exec_lo, exec_lo, s6
	v_mov_b32_e32 v4, s11
	v_cmp_lt_u32_e64 s4, 44, v0
	s_clause 0x3
	buffer_load_dword v1, v4, s[0:3], 0 offen
	buffer_load_dword v2, v4, s[0:3], 0 offen offset:4
	buffer_load_dword v3, v4, s[0:3], 0 offen offset:8
	;; [unrolled: 1-line block ×3, first 2 shown]
	s_waitcnt vmcnt(0)
	ds_write_b128 v102, v[1:4]
	s_waitcnt lgkmcnt(0)
	s_waitcnt_vscnt null, 0x0
	s_barrier
	buffer_gl0_inv
	s_and_saveexec_b32 s6, s4
	s_cbranch_execz .LBB111_27
; %bb.20:
	ds_read_b128 v[1:4], v102
	s_andn2_b32 vcc_lo, exec_lo, s56
	s_cbranch_vccnz .LBB111_22
; %bb.21:
	s_clause 0x3
	buffer_load_dword v103, v101, s[0:3], 0 offen offset:8
	buffer_load_dword v104, v101, s[0:3], 0 offen offset:12
	buffer_load_dword v105, v101, s[0:3], 0 offen
	buffer_load_dword v106, v101, s[0:3], 0 offen offset:4
	s_waitcnt vmcnt(2) lgkmcnt(0)
	v_mul_f64 v[108:109], v[3:4], v[103:104]
	v_mul_f64 v[103:104], v[1:2], v[103:104]
	s_waitcnt vmcnt(0)
	v_fma_f64 v[1:2], v[1:2], v[105:106], -v[108:109]
	v_fma_f64 v[3:4], v[3:4], v[105:106], v[103:104]
.LBB111_22:
	s_and_saveexec_b32 s8, s5
	s_cbranch_execz .LBB111_26
; %bb.23:
	v_subrev_nc_u32_e32 v103, 45, v0
	s_movk_i32 s57, 0x5d0
	s_mov_b32 s5, 0
	s_mov_b32 s58, s10
	.p2align	6
.LBB111_24:                             ; =>This Inner Loop Header: Depth=1
	v_mov_b32_e32 v106, s58
	v_add_nc_u32_e32 v103, -1, v103
	s_add_i32 s58, s58, 16
	s_clause 0x3
	buffer_load_dword v104, v106, s[0:3], 0 offen offset:8
	buffer_load_dword v105, v106, s[0:3], 0 offen offset:12
	buffer_load_dword v112, v106, s[0:3], 0 offen
	buffer_load_dword v113, v106, s[0:3], 0 offen offset:4
	v_mov_b32_e32 v106, s57
	v_cmp_eq_u32_e32 vcc_lo, 0, v103
	s_add_i32 s57, s57, 16
	ds_read_b128 v[108:111], v106
	s_or_b32 s5, vcc_lo, s5
	s_waitcnt vmcnt(2) lgkmcnt(0)
	v_mul_f64 v[114:115], v[110:111], v[104:105]
	v_mul_f64 v[104:105], v[108:109], v[104:105]
	s_waitcnt vmcnt(0)
	v_fma_f64 v[108:109], v[108:109], v[112:113], -v[114:115]
	v_fma_f64 v[104:105], v[110:111], v[112:113], v[104:105]
	v_add_f64 v[1:2], v[1:2], v[108:109]
	v_add_f64 v[3:4], v[3:4], v[104:105]
	s_andn2_b32 exec_lo, exec_lo, s5
	s_cbranch_execnz .LBB111_24
; %bb.25:
	s_or_b32 exec_lo, exec_lo, s5
.LBB111_26:
	s_or_b32 exec_lo, exec_lo, s8
	v_mov_b32_e32 v103, 0
	ds_read_b128 v[103:106], v103 offset:704
	s_waitcnt lgkmcnt(0)
	v_mul_f64 v[108:109], v[3:4], v[105:106]
	v_mul_f64 v[105:106], v[1:2], v[105:106]
	v_fma_f64 v[1:2], v[1:2], v[103:104], -v[108:109]
	v_fma_f64 v[3:4], v[3:4], v[103:104], v[105:106]
	buffer_store_dword v2, off, s[0:3], 0 offset:708
	buffer_store_dword v1, off, s[0:3], 0 offset:704
	;; [unrolled: 1-line block ×4, first 2 shown]
.LBB111_27:
	s_or_b32 exec_lo, exec_lo, s6
	v_mov_b32_e32 v4, s12
	v_cmp_lt_u32_e64 s5, 43, v0
	s_clause 0x3
	buffer_load_dword v1, v4, s[0:3], 0 offen
	buffer_load_dword v2, v4, s[0:3], 0 offen offset:4
	buffer_load_dword v3, v4, s[0:3], 0 offen offset:8
	;; [unrolled: 1-line block ×3, first 2 shown]
	s_waitcnt vmcnt(0)
	ds_write_b128 v102, v[1:4]
	s_waitcnt lgkmcnt(0)
	s_waitcnt_vscnt null, 0x0
	s_barrier
	buffer_gl0_inv
	s_and_saveexec_b32 s6, s5
	s_cbranch_execz .LBB111_35
; %bb.28:
	ds_read_b128 v[1:4], v102
	s_andn2_b32 vcc_lo, exec_lo, s56
	s_cbranch_vccnz .LBB111_30
; %bb.29:
	s_clause 0x3
	buffer_load_dword v103, v101, s[0:3], 0 offen offset:8
	buffer_load_dword v104, v101, s[0:3], 0 offen offset:12
	buffer_load_dword v105, v101, s[0:3], 0 offen
	buffer_load_dword v106, v101, s[0:3], 0 offen offset:4
	s_waitcnt vmcnt(2) lgkmcnt(0)
	v_mul_f64 v[108:109], v[3:4], v[103:104]
	v_mul_f64 v[103:104], v[1:2], v[103:104]
	s_waitcnt vmcnt(0)
	v_fma_f64 v[1:2], v[1:2], v[105:106], -v[108:109]
	v_fma_f64 v[3:4], v[3:4], v[105:106], v[103:104]
.LBB111_30:
	s_and_saveexec_b32 s8, s4
	s_cbranch_execz .LBB111_34
; %bb.31:
	v_subrev_nc_u32_e32 v103, 44, v0
	s_movk_i32 s57, 0x5c0
	s_mov_b32 s4, 0
	s_mov_b32 s58, s11
	.p2align	6
.LBB111_32:                             ; =>This Inner Loop Header: Depth=1
	v_mov_b32_e32 v106, s58
	v_add_nc_u32_e32 v103, -1, v103
	s_add_i32 s58, s58, 16
	s_clause 0x3
	buffer_load_dword v104, v106, s[0:3], 0 offen offset:8
	buffer_load_dword v105, v106, s[0:3], 0 offen offset:12
	buffer_load_dword v112, v106, s[0:3], 0 offen
	buffer_load_dword v113, v106, s[0:3], 0 offen offset:4
	v_mov_b32_e32 v106, s57
	v_cmp_eq_u32_e32 vcc_lo, 0, v103
	s_add_i32 s57, s57, 16
	ds_read_b128 v[108:111], v106
	s_or_b32 s4, vcc_lo, s4
	s_waitcnt vmcnt(2) lgkmcnt(0)
	v_mul_f64 v[114:115], v[110:111], v[104:105]
	v_mul_f64 v[104:105], v[108:109], v[104:105]
	s_waitcnt vmcnt(0)
	v_fma_f64 v[108:109], v[108:109], v[112:113], -v[114:115]
	v_fma_f64 v[104:105], v[110:111], v[112:113], v[104:105]
	v_add_f64 v[1:2], v[1:2], v[108:109]
	v_add_f64 v[3:4], v[3:4], v[104:105]
	s_andn2_b32 exec_lo, exec_lo, s4
	s_cbranch_execnz .LBB111_32
; %bb.33:
	s_or_b32 exec_lo, exec_lo, s4
.LBB111_34:
	s_or_b32 exec_lo, exec_lo, s8
	v_mov_b32_e32 v103, 0
	ds_read_b128 v[103:106], v103 offset:688
	s_waitcnt lgkmcnt(0)
	v_mul_f64 v[108:109], v[3:4], v[105:106]
	v_mul_f64 v[105:106], v[1:2], v[105:106]
	v_fma_f64 v[1:2], v[1:2], v[103:104], -v[108:109]
	v_fma_f64 v[3:4], v[3:4], v[103:104], v[105:106]
	buffer_store_dword v2, off, s[0:3], 0 offset:692
	buffer_store_dword v1, off, s[0:3], 0 offset:688
	;; [unrolled: 1-line block ×4, first 2 shown]
.LBB111_35:
	s_or_b32 exec_lo, exec_lo, s6
	v_mov_b32_e32 v4, s13
	v_cmp_lt_u32_e64 s4, 42, v0
	s_clause 0x3
	buffer_load_dword v1, v4, s[0:3], 0 offen
	buffer_load_dword v2, v4, s[0:3], 0 offen offset:4
	buffer_load_dword v3, v4, s[0:3], 0 offen offset:8
	;; [unrolled: 1-line block ×3, first 2 shown]
	s_waitcnt vmcnt(0)
	ds_write_b128 v102, v[1:4]
	s_waitcnt lgkmcnt(0)
	s_waitcnt_vscnt null, 0x0
	s_barrier
	buffer_gl0_inv
	s_and_saveexec_b32 s6, s4
	s_cbranch_execz .LBB111_43
; %bb.36:
	ds_read_b128 v[1:4], v102
	s_andn2_b32 vcc_lo, exec_lo, s56
	s_cbranch_vccnz .LBB111_38
; %bb.37:
	s_clause 0x3
	buffer_load_dword v103, v101, s[0:3], 0 offen offset:8
	buffer_load_dword v104, v101, s[0:3], 0 offen offset:12
	buffer_load_dword v105, v101, s[0:3], 0 offen
	buffer_load_dword v106, v101, s[0:3], 0 offen offset:4
	s_waitcnt vmcnt(2) lgkmcnt(0)
	v_mul_f64 v[108:109], v[3:4], v[103:104]
	v_mul_f64 v[103:104], v[1:2], v[103:104]
	s_waitcnt vmcnt(0)
	v_fma_f64 v[1:2], v[1:2], v[105:106], -v[108:109]
	v_fma_f64 v[3:4], v[3:4], v[105:106], v[103:104]
.LBB111_38:
	s_and_saveexec_b32 s8, s5
	s_cbranch_execz .LBB111_42
; %bb.39:
	v_subrev_nc_u32_e32 v103, 43, v0
	s_movk_i32 s57, 0x5b0
	s_mov_b32 s5, 0
	s_mov_b32 s58, s12
	.p2align	6
.LBB111_40:                             ; =>This Inner Loop Header: Depth=1
	v_mov_b32_e32 v106, s58
	v_add_nc_u32_e32 v103, -1, v103
	s_add_i32 s58, s58, 16
	s_clause 0x3
	buffer_load_dword v104, v106, s[0:3], 0 offen offset:8
	buffer_load_dword v105, v106, s[0:3], 0 offen offset:12
	buffer_load_dword v112, v106, s[0:3], 0 offen
	buffer_load_dword v113, v106, s[0:3], 0 offen offset:4
	v_mov_b32_e32 v106, s57
	v_cmp_eq_u32_e32 vcc_lo, 0, v103
	s_add_i32 s57, s57, 16
	ds_read_b128 v[108:111], v106
	s_or_b32 s5, vcc_lo, s5
	s_waitcnt vmcnt(2) lgkmcnt(0)
	v_mul_f64 v[114:115], v[110:111], v[104:105]
	v_mul_f64 v[104:105], v[108:109], v[104:105]
	s_waitcnt vmcnt(0)
	v_fma_f64 v[108:109], v[108:109], v[112:113], -v[114:115]
	v_fma_f64 v[104:105], v[110:111], v[112:113], v[104:105]
	v_add_f64 v[1:2], v[1:2], v[108:109]
	v_add_f64 v[3:4], v[3:4], v[104:105]
	s_andn2_b32 exec_lo, exec_lo, s5
	s_cbranch_execnz .LBB111_40
; %bb.41:
	s_or_b32 exec_lo, exec_lo, s5
.LBB111_42:
	s_or_b32 exec_lo, exec_lo, s8
	v_mov_b32_e32 v103, 0
	ds_read_b128 v[103:106], v103 offset:672
	s_waitcnt lgkmcnt(0)
	v_mul_f64 v[108:109], v[3:4], v[105:106]
	v_mul_f64 v[105:106], v[1:2], v[105:106]
	v_fma_f64 v[1:2], v[1:2], v[103:104], -v[108:109]
	v_fma_f64 v[3:4], v[3:4], v[103:104], v[105:106]
	buffer_store_dword v2, off, s[0:3], 0 offset:676
	buffer_store_dword v1, off, s[0:3], 0 offset:672
	;; [unrolled: 1-line block ×4, first 2 shown]
.LBB111_43:
	s_or_b32 exec_lo, exec_lo, s6
	v_mov_b32_e32 v4, s14
	v_cmp_lt_u32_e64 s5, 41, v0
	s_clause 0x3
	buffer_load_dword v1, v4, s[0:3], 0 offen
	buffer_load_dword v2, v4, s[0:3], 0 offen offset:4
	buffer_load_dword v3, v4, s[0:3], 0 offen offset:8
	;; [unrolled: 1-line block ×3, first 2 shown]
	s_waitcnt vmcnt(0)
	ds_write_b128 v102, v[1:4]
	s_waitcnt lgkmcnt(0)
	s_waitcnt_vscnt null, 0x0
	s_barrier
	buffer_gl0_inv
	s_and_saveexec_b32 s6, s5
	s_cbranch_execz .LBB111_51
; %bb.44:
	ds_read_b128 v[1:4], v102
	s_andn2_b32 vcc_lo, exec_lo, s56
	s_cbranch_vccnz .LBB111_46
; %bb.45:
	s_clause 0x3
	buffer_load_dword v103, v101, s[0:3], 0 offen offset:8
	buffer_load_dword v104, v101, s[0:3], 0 offen offset:12
	buffer_load_dword v105, v101, s[0:3], 0 offen
	buffer_load_dword v106, v101, s[0:3], 0 offen offset:4
	s_waitcnt vmcnt(2) lgkmcnt(0)
	v_mul_f64 v[108:109], v[3:4], v[103:104]
	v_mul_f64 v[103:104], v[1:2], v[103:104]
	s_waitcnt vmcnt(0)
	v_fma_f64 v[1:2], v[1:2], v[105:106], -v[108:109]
	v_fma_f64 v[3:4], v[3:4], v[105:106], v[103:104]
.LBB111_46:
	s_and_saveexec_b32 s8, s4
	s_cbranch_execz .LBB111_50
; %bb.47:
	v_subrev_nc_u32_e32 v103, 42, v0
	s_movk_i32 s57, 0x5a0
	s_mov_b32 s4, 0
	s_mov_b32 s58, s13
	.p2align	6
.LBB111_48:                             ; =>This Inner Loop Header: Depth=1
	v_mov_b32_e32 v106, s58
	v_add_nc_u32_e32 v103, -1, v103
	s_add_i32 s58, s58, 16
	s_clause 0x3
	buffer_load_dword v104, v106, s[0:3], 0 offen offset:8
	buffer_load_dword v105, v106, s[0:3], 0 offen offset:12
	buffer_load_dword v112, v106, s[0:3], 0 offen
	buffer_load_dword v113, v106, s[0:3], 0 offen offset:4
	v_mov_b32_e32 v106, s57
	v_cmp_eq_u32_e32 vcc_lo, 0, v103
	s_add_i32 s57, s57, 16
	ds_read_b128 v[108:111], v106
	s_or_b32 s4, vcc_lo, s4
	s_waitcnt vmcnt(2) lgkmcnt(0)
	v_mul_f64 v[114:115], v[110:111], v[104:105]
	v_mul_f64 v[104:105], v[108:109], v[104:105]
	s_waitcnt vmcnt(0)
	v_fma_f64 v[108:109], v[108:109], v[112:113], -v[114:115]
	v_fma_f64 v[104:105], v[110:111], v[112:113], v[104:105]
	v_add_f64 v[1:2], v[1:2], v[108:109]
	v_add_f64 v[3:4], v[3:4], v[104:105]
	s_andn2_b32 exec_lo, exec_lo, s4
	s_cbranch_execnz .LBB111_48
; %bb.49:
	s_or_b32 exec_lo, exec_lo, s4
.LBB111_50:
	s_or_b32 exec_lo, exec_lo, s8
	v_mov_b32_e32 v103, 0
	ds_read_b128 v[103:106], v103 offset:656
	s_waitcnt lgkmcnt(0)
	v_mul_f64 v[108:109], v[3:4], v[105:106]
	v_mul_f64 v[105:106], v[1:2], v[105:106]
	v_fma_f64 v[1:2], v[1:2], v[103:104], -v[108:109]
	v_fma_f64 v[3:4], v[3:4], v[103:104], v[105:106]
	buffer_store_dword v2, off, s[0:3], 0 offset:660
	buffer_store_dword v1, off, s[0:3], 0 offset:656
	;; [unrolled: 1-line block ×4, first 2 shown]
.LBB111_51:
	s_or_b32 exec_lo, exec_lo, s6
	v_mov_b32_e32 v4, s15
	v_cmp_lt_u32_e64 s4, 40, v0
	s_clause 0x3
	buffer_load_dword v1, v4, s[0:3], 0 offen
	buffer_load_dword v2, v4, s[0:3], 0 offen offset:4
	buffer_load_dword v3, v4, s[0:3], 0 offen offset:8
	;; [unrolled: 1-line block ×3, first 2 shown]
	s_waitcnt vmcnt(0)
	ds_write_b128 v102, v[1:4]
	s_waitcnt lgkmcnt(0)
	s_waitcnt_vscnt null, 0x0
	s_barrier
	buffer_gl0_inv
	s_and_saveexec_b32 s6, s4
	s_cbranch_execz .LBB111_59
; %bb.52:
	ds_read_b128 v[1:4], v102
	s_andn2_b32 vcc_lo, exec_lo, s56
	s_cbranch_vccnz .LBB111_54
; %bb.53:
	s_clause 0x3
	buffer_load_dword v103, v101, s[0:3], 0 offen offset:8
	buffer_load_dword v104, v101, s[0:3], 0 offen offset:12
	buffer_load_dword v105, v101, s[0:3], 0 offen
	buffer_load_dword v106, v101, s[0:3], 0 offen offset:4
	s_waitcnt vmcnt(2) lgkmcnt(0)
	v_mul_f64 v[108:109], v[3:4], v[103:104]
	v_mul_f64 v[103:104], v[1:2], v[103:104]
	s_waitcnt vmcnt(0)
	v_fma_f64 v[1:2], v[1:2], v[105:106], -v[108:109]
	v_fma_f64 v[3:4], v[3:4], v[105:106], v[103:104]
.LBB111_54:
	s_and_saveexec_b32 s8, s5
	s_cbranch_execz .LBB111_58
; %bb.55:
	v_subrev_nc_u32_e32 v103, 41, v0
	s_movk_i32 s57, 0x590
	s_mov_b32 s5, 0
	s_mov_b32 s58, s14
	.p2align	6
.LBB111_56:                             ; =>This Inner Loop Header: Depth=1
	v_mov_b32_e32 v106, s58
	v_add_nc_u32_e32 v103, -1, v103
	s_add_i32 s58, s58, 16
	s_clause 0x3
	buffer_load_dword v104, v106, s[0:3], 0 offen offset:8
	buffer_load_dword v105, v106, s[0:3], 0 offen offset:12
	buffer_load_dword v112, v106, s[0:3], 0 offen
	buffer_load_dword v113, v106, s[0:3], 0 offen offset:4
	v_mov_b32_e32 v106, s57
	v_cmp_eq_u32_e32 vcc_lo, 0, v103
	s_add_i32 s57, s57, 16
	ds_read_b128 v[108:111], v106
	s_or_b32 s5, vcc_lo, s5
	s_waitcnt vmcnt(2) lgkmcnt(0)
	v_mul_f64 v[114:115], v[110:111], v[104:105]
	v_mul_f64 v[104:105], v[108:109], v[104:105]
	s_waitcnt vmcnt(0)
	v_fma_f64 v[108:109], v[108:109], v[112:113], -v[114:115]
	v_fma_f64 v[104:105], v[110:111], v[112:113], v[104:105]
	v_add_f64 v[1:2], v[1:2], v[108:109]
	v_add_f64 v[3:4], v[3:4], v[104:105]
	s_andn2_b32 exec_lo, exec_lo, s5
	s_cbranch_execnz .LBB111_56
; %bb.57:
	s_or_b32 exec_lo, exec_lo, s5
.LBB111_58:
	s_or_b32 exec_lo, exec_lo, s8
	v_mov_b32_e32 v103, 0
	ds_read_b128 v[103:106], v103 offset:640
	s_waitcnt lgkmcnt(0)
	v_mul_f64 v[108:109], v[3:4], v[105:106]
	v_mul_f64 v[105:106], v[1:2], v[105:106]
	v_fma_f64 v[1:2], v[1:2], v[103:104], -v[108:109]
	v_fma_f64 v[3:4], v[3:4], v[103:104], v[105:106]
	buffer_store_dword v2, off, s[0:3], 0 offset:644
	buffer_store_dword v1, off, s[0:3], 0 offset:640
	;; [unrolled: 1-line block ×4, first 2 shown]
.LBB111_59:
	s_or_b32 exec_lo, exec_lo, s6
	v_mov_b32_e32 v4, s16
	v_cmp_lt_u32_e64 s5, 39, v0
	s_clause 0x3
	buffer_load_dword v1, v4, s[0:3], 0 offen
	buffer_load_dword v2, v4, s[0:3], 0 offen offset:4
	buffer_load_dword v3, v4, s[0:3], 0 offen offset:8
	;; [unrolled: 1-line block ×3, first 2 shown]
	s_waitcnt vmcnt(0)
	ds_write_b128 v102, v[1:4]
	s_waitcnt lgkmcnt(0)
	s_waitcnt_vscnt null, 0x0
	s_barrier
	buffer_gl0_inv
	s_and_saveexec_b32 s6, s5
	s_cbranch_execz .LBB111_67
; %bb.60:
	ds_read_b128 v[1:4], v102
	s_andn2_b32 vcc_lo, exec_lo, s56
	s_cbranch_vccnz .LBB111_62
; %bb.61:
	s_clause 0x3
	buffer_load_dword v103, v101, s[0:3], 0 offen offset:8
	buffer_load_dword v104, v101, s[0:3], 0 offen offset:12
	buffer_load_dword v105, v101, s[0:3], 0 offen
	buffer_load_dword v106, v101, s[0:3], 0 offen offset:4
	s_waitcnt vmcnt(2) lgkmcnt(0)
	v_mul_f64 v[108:109], v[3:4], v[103:104]
	v_mul_f64 v[103:104], v[1:2], v[103:104]
	s_waitcnt vmcnt(0)
	v_fma_f64 v[1:2], v[1:2], v[105:106], -v[108:109]
	v_fma_f64 v[3:4], v[3:4], v[105:106], v[103:104]
.LBB111_62:
	s_and_saveexec_b32 s8, s4
	s_cbranch_execz .LBB111_66
; %bb.63:
	v_subrev_nc_u32_e32 v103, 40, v0
	s_movk_i32 s57, 0x580
	s_mov_b32 s4, 0
	s_mov_b32 s58, s15
	.p2align	6
.LBB111_64:                             ; =>This Inner Loop Header: Depth=1
	v_mov_b32_e32 v106, s58
	v_add_nc_u32_e32 v103, -1, v103
	s_add_i32 s58, s58, 16
	s_clause 0x3
	buffer_load_dword v104, v106, s[0:3], 0 offen offset:8
	buffer_load_dword v105, v106, s[0:3], 0 offen offset:12
	buffer_load_dword v112, v106, s[0:3], 0 offen
	buffer_load_dword v113, v106, s[0:3], 0 offen offset:4
	v_mov_b32_e32 v106, s57
	v_cmp_eq_u32_e32 vcc_lo, 0, v103
	s_add_i32 s57, s57, 16
	ds_read_b128 v[108:111], v106
	s_or_b32 s4, vcc_lo, s4
	s_waitcnt vmcnt(2) lgkmcnt(0)
	v_mul_f64 v[114:115], v[110:111], v[104:105]
	v_mul_f64 v[104:105], v[108:109], v[104:105]
	s_waitcnt vmcnt(0)
	v_fma_f64 v[108:109], v[108:109], v[112:113], -v[114:115]
	v_fma_f64 v[104:105], v[110:111], v[112:113], v[104:105]
	v_add_f64 v[1:2], v[1:2], v[108:109]
	v_add_f64 v[3:4], v[3:4], v[104:105]
	s_andn2_b32 exec_lo, exec_lo, s4
	s_cbranch_execnz .LBB111_64
; %bb.65:
	s_or_b32 exec_lo, exec_lo, s4
.LBB111_66:
	s_or_b32 exec_lo, exec_lo, s8
	v_mov_b32_e32 v103, 0
	ds_read_b128 v[103:106], v103 offset:624
	s_waitcnt lgkmcnt(0)
	v_mul_f64 v[108:109], v[3:4], v[105:106]
	v_mul_f64 v[105:106], v[1:2], v[105:106]
	v_fma_f64 v[1:2], v[1:2], v[103:104], -v[108:109]
	v_fma_f64 v[3:4], v[3:4], v[103:104], v[105:106]
	buffer_store_dword v2, off, s[0:3], 0 offset:628
	buffer_store_dword v1, off, s[0:3], 0 offset:624
	;; [unrolled: 1-line block ×4, first 2 shown]
.LBB111_67:
	s_or_b32 exec_lo, exec_lo, s6
	v_mov_b32_e32 v4, s17
	v_cmp_lt_u32_e64 s4, 38, v0
	s_clause 0x3
	buffer_load_dword v1, v4, s[0:3], 0 offen
	buffer_load_dword v2, v4, s[0:3], 0 offen offset:4
	buffer_load_dword v3, v4, s[0:3], 0 offen offset:8
	;; [unrolled: 1-line block ×3, first 2 shown]
	s_waitcnt vmcnt(0)
	ds_write_b128 v102, v[1:4]
	s_waitcnt lgkmcnt(0)
	s_waitcnt_vscnt null, 0x0
	s_barrier
	buffer_gl0_inv
	s_and_saveexec_b32 s6, s4
	s_cbranch_execz .LBB111_75
; %bb.68:
	ds_read_b128 v[1:4], v102
	s_andn2_b32 vcc_lo, exec_lo, s56
	s_cbranch_vccnz .LBB111_70
; %bb.69:
	s_clause 0x3
	buffer_load_dword v103, v101, s[0:3], 0 offen offset:8
	buffer_load_dword v104, v101, s[0:3], 0 offen offset:12
	buffer_load_dword v105, v101, s[0:3], 0 offen
	buffer_load_dword v106, v101, s[0:3], 0 offen offset:4
	s_waitcnt vmcnt(2) lgkmcnt(0)
	v_mul_f64 v[108:109], v[3:4], v[103:104]
	v_mul_f64 v[103:104], v[1:2], v[103:104]
	s_waitcnt vmcnt(0)
	v_fma_f64 v[1:2], v[1:2], v[105:106], -v[108:109]
	v_fma_f64 v[3:4], v[3:4], v[105:106], v[103:104]
.LBB111_70:
	s_and_saveexec_b32 s8, s5
	s_cbranch_execz .LBB111_74
; %bb.71:
	v_subrev_nc_u32_e32 v103, 39, v0
	s_movk_i32 s57, 0x570
	s_mov_b32 s5, 0
	s_mov_b32 s58, s16
	.p2align	6
.LBB111_72:                             ; =>This Inner Loop Header: Depth=1
	v_mov_b32_e32 v106, s58
	v_add_nc_u32_e32 v103, -1, v103
	s_add_i32 s58, s58, 16
	s_clause 0x3
	buffer_load_dword v104, v106, s[0:3], 0 offen offset:8
	buffer_load_dword v105, v106, s[0:3], 0 offen offset:12
	buffer_load_dword v112, v106, s[0:3], 0 offen
	buffer_load_dword v113, v106, s[0:3], 0 offen offset:4
	v_mov_b32_e32 v106, s57
	v_cmp_eq_u32_e32 vcc_lo, 0, v103
	s_add_i32 s57, s57, 16
	ds_read_b128 v[108:111], v106
	s_or_b32 s5, vcc_lo, s5
	s_waitcnt vmcnt(2) lgkmcnt(0)
	v_mul_f64 v[114:115], v[110:111], v[104:105]
	v_mul_f64 v[104:105], v[108:109], v[104:105]
	s_waitcnt vmcnt(0)
	v_fma_f64 v[108:109], v[108:109], v[112:113], -v[114:115]
	v_fma_f64 v[104:105], v[110:111], v[112:113], v[104:105]
	v_add_f64 v[1:2], v[1:2], v[108:109]
	v_add_f64 v[3:4], v[3:4], v[104:105]
	s_andn2_b32 exec_lo, exec_lo, s5
	s_cbranch_execnz .LBB111_72
; %bb.73:
	s_or_b32 exec_lo, exec_lo, s5
.LBB111_74:
	s_or_b32 exec_lo, exec_lo, s8
	v_mov_b32_e32 v103, 0
	ds_read_b128 v[103:106], v103 offset:608
	s_waitcnt lgkmcnt(0)
	v_mul_f64 v[108:109], v[3:4], v[105:106]
	v_mul_f64 v[105:106], v[1:2], v[105:106]
	v_fma_f64 v[1:2], v[1:2], v[103:104], -v[108:109]
	v_fma_f64 v[3:4], v[3:4], v[103:104], v[105:106]
	buffer_store_dword v2, off, s[0:3], 0 offset:612
	buffer_store_dword v1, off, s[0:3], 0 offset:608
	;; [unrolled: 1-line block ×4, first 2 shown]
.LBB111_75:
	s_or_b32 exec_lo, exec_lo, s6
	v_mov_b32_e32 v4, s18
	v_cmp_lt_u32_e64 s5, 37, v0
	s_clause 0x3
	buffer_load_dword v1, v4, s[0:3], 0 offen
	buffer_load_dword v2, v4, s[0:3], 0 offen offset:4
	buffer_load_dword v3, v4, s[0:3], 0 offen offset:8
	;; [unrolled: 1-line block ×3, first 2 shown]
	s_waitcnt vmcnt(0)
	ds_write_b128 v102, v[1:4]
	s_waitcnt lgkmcnt(0)
	s_waitcnt_vscnt null, 0x0
	s_barrier
	buffer_gl0_inv
	s_and_saveexec_b32 s6, s5
	s_cbranch_execz .LBB111_83
; %bb.76:
	ds_read_b128 v[1:4], v102
	s_andn2_b32 vcc_lo, exec_lo, s56
	s_cbranch_vccnz .LBB111_78
; %bb.77:
	s_clause 0x3
	buffer_load_dword v103, v101, s[0:3], 0 offen offset:8
	buffer_load_dword v104, v101, s[0:3], 0 offen offset:12
	buffer_load_dword v105, v101, s[0:3], 0 offen
	buffer_load_dword v106, v101, s[0:3], 0 offen offset:4
	s_waitcnt vmcnt(2) lgkmcnt(0)
	v_mul_f64 v[108:109], v[3:4], v[103:104]
	v_mul_f64 v[103:104], v[1:2], v[103:104]
	s_waitcnt vmcnt(0)
	v_fma_f64 v[1:2], v[1:2], v[105:106], -v[108:109]
	v_fma_f64 v[3:4], v[3:4], v[105:106], v[103:104]
.LBB111_78:
	s_and_saveexec_b32 s8, s4
	s_cbranch_execz .LBB111_82
; %bb.79:
	v_subrev_nc_u32_e32 v103, 38, v0
	s_movk_i32 s57, 0x560
	s_mov_b32 s4, 0
	s_mov_b32 s58, s17
	.p2align	6
.LBB111_80:                             ; =>This Inner Loop Header: Depth=1
	v_mov_b32_e32 v106, s58
	v_add_nc_u32_e32 v103, -1, v103
	s_add_i32 s58, s58, 16
	s_clause 0x3
	buffer_load_dword v104, v106, s[0:3], 0 offen offset:8
	buffer_load_dword v105, v106, s[0:3], 0 offen offset:12
	buffer_load_dword v112, v106, s[0:3], 0 offen
	buffer_load_dword v113, v106, s[0:3], 0 offen offset:4
	v_mov_b32_e32 v106, s57
	v_cmp_eq_u32_e32 vcc_lo, 0, v103
	s_add_i32 s57, s57, 16
	ds_read_b128 v[108:111], v106
	s_or_b32 s4, vcc_lo, s4
	s_waitcnt vmcnt(2) lgkmcnt(0)
	v_mul_f64 v[114:115], v[110:111], v[104:105]
	v_mul_f64 v[104:105], v[108:109], v[104:105]
	s_waitcnt vmcnt(0)
	v_fma_f64 v[108:109], v[108:109], v[112:113], -v[114:115]
	v_fma_f64 v[104:105], v[110:111], v[112:113], v[104:105]
	v_add_f64 v[1:2], v[1:2], v[108:109]
	v_add_f64 v[3:4], v[3:4], v[104:105]
	s_andn2_b32 exec_lo, exec_lo, s4
	s_cbranch_execnz .LBB111_80
; %bb.81:
	s_or_b32 exec_lo, exec_lo, s4
.LBB111_82:
	s_or_b32 exec_lo, exec_lo, s8
	v_mov_b32_e32 v103, 0
	ds_read_b128 v[103:106], v103 offset:592
	s_waitcnt lgkmcnt(0)
	v_mul_f64 v[108:109], v[3:4], v[105:106]
	v_mul_f64 v[105:106], v[1:2], v[105:106]
	v_fma_f64 v[1:2], v[1:2], v[103:104], -v[108:109]
	v_fma_f64 v[3:4], v[3:4], v[103:104], v[105:106]
	buffer_store_dword v2, off, s[0:3], 0 offset:596
	buffer_store_dword v1, off, s[0:3], 0 offset:592
	;; [unrolled: 1-line block ×4, first 2 shown]
.LBB111_83:
	s_or_b32 exec_lo, exec_lo, s6
	v_mov_b32_e32 v4, s19
	v_cmp_lt_u32_e64 s4, 36, v0
	s_clause 0x3
	buffer_load_dword v1, v4, s[0:3], 0 offen
	buffer_load_dword v2, v4, s[0:3], 0 offen offset:4
	buffer_load_dword v3, v4, s[0:3], 0 offen offset:8
	;; [unrolled: 1-line block ×3, first 2 shown]
	s_waitcnt vmcnt(0)
	ds_write_b128 v102, v[1:4]
	s_waitcnt lgkmcnt(0)
	s_waitcnt_vscnt null, 0x0
	s_barrier
	buffer_gl0_inv
	s_and_saveexec_b32 s6, s4
	s_cbranch_execz .LBB111_91
; %bb.84:
	ds_read_b128 v[1:4], v102
	s_andn2_b32 vcc_lo, exec_lo, s56
	s_cbranch_vccnz .LBB111_86
; %bb.85:
	s_clause 0x3
	buffer_load_dword v103, v101, s[0:3], 0 offen offset:8
	buffer_load_dword v104, v101, s[0:3], 0 offen offset:12
	buffer_load_dword v105, v101, s[0:3], 0 offen
	buffer_load_dword v106, v101, s[0:3], 0 offen offset:4
	s_waitcnt vmcnt(2) lgkmcnt(0)
	v_mul_f64 v[108:109], v[3:4], v[103:104]
	v_mul_f64 v[103:104], v[1:2], v[103:104]
	s_waitcnt vmcnt(0)
	v_fma_f64 v[1:2], v[1:2], v[105:106], -v[108:109]
	v_fma_f64 v[3:4], v[3:4], v[105:106], v[103:104]
.LBB111_86:
	s_and_saveexec_b32 s8, s5
	s_cbranch_execz .LBB111_90
; %bb.87:
	v_subrev_nc_u32_e32 v103, 37, v0
	s_movk_i32 s57, 0x550
	s_mov_b32 s5, 0
	s_mov_b32 s58, s18
	.p2align	6
.LBB111_88:                             ; =>This Inner Loop Header: Depth=1
	v_mov_b32_e32 v106, s58
	v_add_nc_u32_e32 v103, -1, v103
	s_add_i32 s58, s58, 16
	s_clause 0x3
	buffer_load_dword v104, v106, s[0:3], 0 offen offset:8
	buffer_load_dword v105, v106, s[0:3], 0 offen offset:12
	buffer_load_dword v112, v106, s[0:3], 0 offen
	buffer_load_dword v113, v106, s[0:3], 0 offen offset:4
	v_mov_b32_e32 v106, s57
	v_cmp_eq_u32_e32 vcc_lo, 0, v103
	s_add_i32 s57, s57, 16
	ds_read_b128 v[108:111], v106
	s_or_b32 s5, vcc_lo, s5
	s_waitcnt vmcnt(2) lgkmcnt(0)
	v_mul_f64 v[114:115], v[110:111], v[104:105]
	v_mul_f64 v[104:105], v[108:109], v[104:105]
	s_waitcnt vmcnt(0)
	v_fma_f64 v[108:109], v[108:109], v[112:113], -v[114:115]
	v_fma_f64 v[104:105], v[110:111], v[112:113], v[104:105]
	v_add_f64 v[1:2], v[1:2], v[108:109]
	v_add_f64 v[3:4], v[3:4], v[104:105]
	s_andn2_b32 exec_lo, exec_lo, s5
	s_cbranch_execnz .LBB111_88
; %bb.89:
	s_or_b32 exec_lo, exec_lo, s5
.LBB111_90:
	s_or_b32 exec_lo, exec_lo, s8
	v_mov_b32_e32 v103, 0
	ds_read_b128 v[103:106], v103 offset:576
	s_waitcnt lgkmcnt(0)
	v_mul_f64 v[108:109], v[3:4], v[105:106]
	v_mul_f64 v[105:106], v[1:2], v[105:106]
	v_fma_f64 v[1:2], v[1:2], v[103:104], -v[108:109]
	v_fma_f64 v[3:4], v[3:4], v[103:104], v[105:106]
	buffer_store_dword v2, off, s[0:3], 0 offset:580
	buffer_store_dword v1, off, s[0:3], 0 offset:576
	;; [unrolled: 1-line block ×4, first 2 shown]
.LBB111_91:
	s_or_b32 exec_lo, exec_lo, s6
	v_mov_b32_e32 v4, s20
	v_cmp_lt_u32_e64 s5, 35, v0
	s_clause 0x3
	buffer_load_dword v1, v4, s[0:3], 0 offen
	buffer_load_dword v2, v4, s[0:3], 0 offen offset:4
	buffer_load_dword v3, v4, s[0:3], 0 offen offset:8
	;; [unrolled: 1-line block ×3, first 2 shown]
	s_waitcnt vmcnt(0)
	ds_write_b128 v102, v[1:4]
	s_waitcnt lgkmcnt(0)
	s_waitcnt_vscnt null, 0x0
	s_barrier
	buffer_gl0_inv
	s_and_saveexec_b32 s6, s5
	s_cbranch_execz .LBB111_99
; %bb.92:
	ds_read_b128 v[1:4], v102
	s_andn2_b32 vcc_lo, exec_lo, s56
	s_cbranch_vccnz .LBB111_94
; %bb.93:
	s_clause 0x3
	buffer_load_dword v103, v101, s[0:3], 0 offen offset:8
	buffer_load_dword v104, v101, s[0:3], 0 offen offset:12
	buffer_load_dword v105, v101, s[0:3], 0 offen
	buffer_load_dword v106, v101, s[0:3], 0 offen offset:4
	s_waitcnt vmcnt(2) lgkmcnt(0)
	v_mul_f64 v[108:109], v[3:4], v[103:104]
	v_mul_f64 v[103:104], v[1:2], v[103:104]
	s_waitcnt vmcnt(0)
	v_fma_f64 v[1:2], v[1:2], v[105:106], -v[108:109]
	v_fma_f64 v[3:4], v[3:4], v[105:106], v[103:104]
.LBB111_94:
	s_and_saveexec_b32 s8, s4
	s_cbranch_execz .LBB111_98
; %bb.95:
	v_subrev_nc_u32_e32 v103, 36, v0
	s_movk_i32 s57, 0x540
	s_mov_b32 s4, 0
	s_mov_b32 s58, s19
	.p2align	6
.LBB111_96:                             ; =>This Inner Loop Header: Depth=1
	v_mov_b32_e32 v106, s58
	v_add_nc_u32_e32 v103, -1, v103
	s_add_i32 s58, s58, 16
	s_clause 0x3
	buffer_load_dword v104, v106, s[0:3], 0 offen offset:8
	buffer_load_dword v105, v106, s[0:3], 0 offen offset:12
	buffer_load_dword v112, v106, s[0:3], 0 offen
	buffer_load_dword v113, v106, s[0:3], 0 offen offset:4
	v_mov_b32_e32 v106, s57
	v_cmp_eq_u32_e32 vcc_lo, 0, v103
	s_add_i32 s57, s57, 16
	ds_read_b128 v[108:111], v106
	s_or_b32 s4, vcc_lo, s4
	s_waitcnt vmcnt(2) lgkmcnt(0)
	v_mul_f64 v[114:115], v[110:111], v[104:105]
	v_mul_f64 v[104:105], v[108:109], v[104:105]
	s_waitcnt vmcnt(0)
	v_fma_f64 v[108:109], v[108:109], v[112:113], -v[114:115]
	v_fma_f64 v[104:105], v[110:111], v[112:113], v[104:105]
	v_add_f64 v[1:2], v[1:2], v[108:109]
	v_add_f64 v[3:4], v[3:4], v[104:105]
	s_andn2_b32 exec_lo, exec_lo, s4
	s_cbranch_execnz .LBB111_96
; %bb.97:
	s_or_b32 exec_lo, exec_lo, s4
.LBB111_98:
	s_or_b32 exec_lo, exec_lo, s8
	v_mov_b32_e32 v103, 0
	ds_read_b128 v[103:106], v103 offset:560
	s_waitcnt lgkmcnt(0)
	v_mul_f64 v[108:109], v[3:4], v[105:106]
	v_mul_f64 v[105:106], v[1:2], v[105:106]
	v_fma_f64 v[1:2], v[1:2], v[103:104], -v[108:109]
	v_fma_f64 v[3:4], v[3:4], v[103:104], v[105:106]
	buffer_store_dword v2, off, s[0:3], 0 offset:564
	buffer_store_dword v1, off, s[0:3], 0 offset:560
	buffer_store_dword v4, off, s[0:3], 0 offset:572
	buffer_store_dword v3, off, s[0:3], 0 offset:568
.LBB111_99:
	s_or_b32 exec_lo, exec_lo, s6
	v_mov_b32_e32 v4, s21
	v_cmp_lt_u32_e64 s4, 34, v0
	s_clause 0x3
	buffer_load_dword v1, v4, s[0:3], 0 offen
	buffer_load_dword v2, v4, s[0:3], 0 offen offset:4
	buffer_load_dword v3, v4, s[0:3], 0 offen offset:8
	buffer_load_dword v4, v4, s[0:3], 0 offen offset:12
	s_waitcnt vmcnt(0)
	ds_write_b128 v102, v[1:4]
	s_waitcnt lgkmcnt(0)
	s_waitcnt_vscnt null, 0x0
	s_barrier
	buffer_gl0_inv
	s_and_saveexec_b32 s6, s4
	s_cbranch_execz .LBB111_107
; %bb.100:
	ds_read_b128 v[1:4], v102
	s_andn2_b32 vcc_lo, exec_lo, s56
	s_cbranch_vccnz .LBB111_102
; %bb.101:
	s_clause 0x3
	buffer_load_dword v103, v101, s[0:3], 0 offen offset:8
	buffer_load_dword v104, v101, s[0:3], 0 offen offset:12
	buffer_load_dword v105, v101, s[0:3], 0 offen
	buffer_load_dword v106, v101, s[0:3], 0 offen offset:4
	s_waitcnt vmcnt(2) lgkmcnt(0)
	v_mul_f64 v[108:109], v[3:4], v[103:104]
	v_mul_f64 v[103:104], v[1:2], v[103:104]
	s_waitcnt vmcnt(0)
	v_fma_f64 v[1:2], v[1:2], v[105:106], -v[108:109]
	v_fma_f64 v[3:4], v[3:4], v[105:106], v[103:104]
.LBB111_102:
	s_and_saveexec_b32 s8, s5
	s_cbranch_execz .LBB111_106
; %bb.103:
	v_subrev_nc_u32_e32 v103, 35, v0
	s_movk_i32 s57, 0x530
	s_mov_b32 s5, 0
	s_mov_b32 s58, s20
	.p2align	6
.LBB111_104:                            ; =>This Inner Loop Header: Depth=1
	v_mov_b32_e32 v106, s58
	v_add_nc_u32_e32 v103, -1, v103
	s_add_i32 s58, s58, 16
	s_clause 0x3
	buffer_load_dword v104, v106, s[0:3], 0 offen offset:8
	buffer_load_dword v105, v106, s[0:3], 0 offen offset:12
	buffer_load_dword v112, v106, s[0:3], 0 offen
	buffer_load_dword v113, v106, s[0:3], 0 offen offset:4
	v_mov_b32_e32 v106, s57
	v_cmp_eq_u32_e32 vcc_lo, 0, v103
	s_add_i32 s57, s57, 16
	ds_read_b128 v[108:111], v106
	s_or_b32 s5, vcc_lo, s5
	s_waitcnt vmcnt(2) lgkmcnt(0)
	v_mul_f64 v[114:115], v[110:111], v[104:105]
	v_mul_f64 v[104:105], v[108:109], v[104:105]
	s_waitcnt vmcnt(0)
	v_fma_f64 v[108:109], v[108:109], v[112:113], -v[114:115]
	v_fma_f64 v[104:105], v[110:111], v[112:113], v[104:105]
	v_add_f64 v[1:2], v[1:2], v[108:109]
	v_add_f64 v[3:4], v[3:4], v[104:105]
	s_andn2_b32 exec_lo, exec_lo, s5
	s_cbranch_execnz .LBB111_104
; %bb.105:
	s_or_b32 exec_lo, exec_lo, s5
.LBB111_106:
	s_or_b32 exec_lo, exec_lo, s8
	v_mov_b32_e32 v103, 0
	ds_read_b128 v[103:106], v103 offset:544
	s_waitcnt lgkmcnt(0)
	v_mul_f64 v[108:109], v[3:4], v[105:106]
	v_mul_f64 v[105:106], v[1:2], v[105:106]
	v_fma_f64 v[1:2], v[1:2], v[103:104], -v[108:109]
	v_fma_f64 v[3:4], v[3:4], v[103:104], v[105:106]
	buffer_store_dword v2, off, s[0:3], 0 offset:548
	buffer_store_dword v1, off, s[0:3], 0 offset:544
	;; [unrolled: 1-line block ×4, first 2 shown]
.LBB111_107:
	s_or_b32 exec_lo, exec_lo, s6
	v_mov_b32_e32 v4, s22
	v_cmp_lt_u32_e64 s5, 33, v0
	s_clause 0x3
	buffer_load_dword v1, v4, s[0:3], 0 offen
	buffer_load_dword v2, v4, s[0:3], 0 offen offset:4
	buffer_load_dword v3, v4, s[0:3], 0 offen offset:8
	;; [unrolled: 1-line block ×3, first 2 shown]
	s_waitcnt vmcnt(0)
	ds_write_b128 v102, v[1:4]
	s_waitcnt lgkmcnt(0)
	s_waitcnt_vscnt null, 0x0
	s_barrier
	buffer_gl0_inv
	s_and_saveexec_b32 s6, s5
	s_cbranch_execz .LBB111_115
; %bb.108:
	ds_read_b128 v[1:4], v102
	s_andn2_b32 vcc_lo, exec_lo, s56
	s_cbranch_vccnz .LBB111_110
; %bb.109:
	s_clause 0x3
	buffer_load_dword v103, v101, s[0:3], 0 offen offset:8
	buffer_load_dword v104, v101, s[0:3], 0 offen offset:12
	buffer_load_dword v105, v101, s[0:3], 0 offen
	buffer_load_dword v106, v101, s[0:3], 0 offen offset:4
	s_waitcnt vmcnt(2) lgkmcnt(0)
	v_mul_f64 v[108:109], v[3:4], v[103:104]
	v_mul_f64 v[103:104], v[1:2], v[103:104]
	s_waitcnt vmcnt(0)
	v_fma_f64 v[1:2], v[1:2], v[105:106], -v[108:109]
	v_fma_f64 v[3:4], v[3:4], v[105:106], v[103:104]
.LBB111_110:
	s_and_saveexec_b32 s8, s4
	s_cbranch_execz .LBB111_114
; %bb.111:
	v_subrev_nc_u32_e32 v103, 34, v0
	s_movk_i32 s57, 0x520
	s_mov_b32 s4, 0
	s_mov_b32 s58, s21
	.p2align	6
.LBB111_112:                            ; =>This Inner Loop Header: Depth=1
	v_mov_b32_e32 v106, s58
	v_add_nc_u32_e32 v103, -1, v103
	s_add_i32 s58, s58, 16
	s_clause 0x3
	buffer_load_dword v104, v106, s[0:3], 0 offen offset:8
	buffer_load_dword v105, v106, s[0:3], 0 offen offset:12
	buffer_load_dword v112, v106, s[0:3], 0 offen
	buffer_load_dword v113, v106, s[0:3], 0 offen offset:4
	v_mov_b32_e32 v106, s57
	v_cmp_eq_u32_e32 vcc_lo, 0, v103
	s_add_i32 s57, s57, 16
	ds_read_b128 v[108:111], v106
	s_or_b32 s4, vcc_lo, s4
	s_waitcnt vmcnt(2) lgkmcnt(0)
	v_mul_f64 v[114:115], v[110:111], v[104:105]
	v_mul_f64 v[104:105], v[108:109], v[104:105]
	s_waitcnt vmcnt(0)
	v_fma_f64 v[108:109], v[108:109], v[112:113], -v[114:115]
	v_fma_f64 v[104:105], v[110:111], v[112:113], v[104:105]
	v_add_f64 v[1:2], v[1:2], v[108:109]
	v_add_f64 v[3:4], v[3:4], v[104:105]
	s_andn2_b32 exec_lo, exec_lo, s4
	s_cbranch_execnz .LBB111_112
; %bb.113:
	s_or_b32 exec_lo, exec_lo, s4
.LBB111_114:
	s_or_b32 exec_lo, exec_lo, s8
	v_mov_b32_e32 v103, 0
	ds_read_b128 v[103:106], v103 offset:528
	s_waitcnt lgkmcnt(0)
	v_mul_f64 v[108:109], v[3:4], v[105:106]
	v_mul_f64 v[105:106], v[1:2], v[105:106]
	v_fma_f64 v[1:2], v[1:2], v[103:104], -v[108:109]
	v_fma_f64 v[3:4], v[3:4], v[103:104], v[105:106]
	buffer_store_dword v2, off, s[0:3], 0 offset:532
	buffer_store_dword v1, off, s[0:3], 0 offset:528
	;; [unrolled: 1-line block ×4, first 2 shown]
.LBB111_115:
	s_or_b32 exec_lo, exec_lo, s6
	v_mov_b32_e32 v4, s23
	v_cmp_lt_u32_e64 s4, 32, v0
	s_clause 0x3
	buffer_load_dword v1, v4, s[0:3], 0 offen
	buffer_load_dword v2, v4, s[0:3], 0 offen offset:4
	buffer_load_dword v3, v4, s[0:3], 0 offen offset:8
	;; [unrolled: 1-line block ×3, first 2 shown]
	s_waitcnt vmcnt(0)
	ds_write_b128 v102, v[1:4]
	s_waitcnt lgkmcnt(0)
	s_waitcnt_vscnt null, 0x0
	s_barrier
	buffer_gl0_inv
	s_and_saveexec_b32 s6, s4
	s_cbranch_execz .LBB111_123
; %bb.116:
	ds_read_b128 v[1:4], v102
	s_andn2_b32 vcc_lo, exec_lo, s56
	s_cbranch_vccnz .LBB111_118
; %bb.117:
	s_clause 0x3
	buffer_load_dword v103, v101, s[0:3], 0 offen offset:8
	buffer_load_dword v104, v101, s[0:3], 0 offen offset:12
	buffer_load_dword v105, v101, s[0:3], 0 offen
	buffer_load_dword v106, v101, s[0:3], 0 offen offset:4
	s_waitcnt vmcnt(2) lgkmcnt(0)
	v_mul_f64 v[108:109], v[3:4], v[103:104]
	v_mul_f64 v[103:104], v[1:2], v[103:104]
	s_waitcnt vmcnt(0)
	v_fma_f64 v[1:2], v[1:2], v[105:106], -v[108:109]
	v_fma_f64 v[3:4], v[3:4], v[105:106], v[103:104]
.LBB111_118:
	s_and_saveexec_b32 s8, s5
	s_cbranch_execz .LBB111_122
; %bb.119:
	v_subrev_nc_u32_e32 v103, 33, v0
	s_movk_i32 s57, 0x510
	s_mov_b32 s5, 0
	s_mov_b32 s58, s22
	.p2align	6
.LBB111_120:                            ; =>This Inner Loop Header: Depth=1
	v_mov_b32_e32 v106, s58
	v_add_nc_u32_e32 v103, -1, v103
	s_add_i32 s58, s58, 16
	s_clause 0x3
	buffer_load_dword v104, v106, s[0:3], 0 offen offset:8
	buffer_load_dword v105, v106, s[0:3], 0 offen offset:12
	buffer_load_dword v112, v106, s[0:3], 0 offen
	buffer_load_dword v113, v106, s[0:3], 0 offen offset:4
	v_mov_b32_e32 v106, s57
	v_cmp_eq_u32_e32 vcc_lo, 0, v103
	s_add_i32 s57, s57, 16
	ds_read_b128 v[108:111], v106
	s_or_b32 s5, vcc_lo, s5
	s_waitcnt vmcnt(2) lgkmcnt(0)
	v_mul_f64 v[114:115], v[110:111], v[104:105]
	v_mul_f64 v[104:105], v[108:109], v[104:105]
	s_waitcnt vmcnt(0)
	v_fma_f64 v[108:109], v[108:109], v[112:113], -v[114:115]
	v_fma_f64 v[104:105], v[110:111], v[112:113], v[104:105]
	v_add_f64 v[1:2], v[1:2], v[108:109]
	v_add_f64 v[3:4], v[3:4], v[104:105]
	s_andn2_b32 exec_lo, exec_lo, s5
	s_cbranch_execnz .LBB111_120
; %bb.121:
	s_or_b32 exec_lo, exec_lo, s5
.LBB111_122:
	s_or_b32 exec_lo, exec_lo, s8
	v_mov_b32_e32 v103, 0
	ds_read_b128 v[103:106], v103 offset:512
	s_waitcnt lgkmcnt(0)
	v_mul_f64 v[108:109], v[3:4], v[105:106]
	v_mul_f64 v[105:106], v[1:2], v[105:106]
	v_fma_f64 v[1:2], v[1:2], v[103:104], -v[108:109]
	v_fma_f64 v[3:4], v[3:4], v[103:104], v[105:106]
	buffer_store_dword v2, off, s[0:3], 0 offset:516
	buffer_store_dword v1, off, s[0:3], 0 offset:512
	;; [unrolled: 1-line block ×4, first 2 shown]
.LBB111_123:
	s_or_b32 exec_lo, exec_lo, s6
	v_mov_b32_e32 v4, s24
	v_cmp_lt_u32_e64 s5, 31, v0
	s_clause 0x3
	buffer_load_dword v1, v4, s[0:3], 0 offen
	buffer_load_dword v2, v4, s[0:3], 0 offen offset:4
	buffer_load_dword v3, v4, s[0:3], 0 offen offset:8
	;; [unrolled: 1-line block ×3, first 2 shown]
	s_waitcnt vmcnt(0)
	ds_write_b128 v102, v[1:4]
	s_waitcnt lgkmcnt(0)
	s_waitcnt_vscnt null, 0x0
	s_barrier
	buffer_gl0_inv
	s_and_saveexec_b32 s6, s5
	s_cbranch_execz .LBB111_131
; %bb.124:
	ds_read_b128 v[1:4], v102
	s_andn2_b32 vcc_lo, exec_lo, s56
	s_cbranch_vccnz .LBB111_126
; %bb.125:
	s_clause 0x3
	buffer_load_dword v103, v101, s[0:3], 0 offen offset:8
	buffer_load_dword v104, v101, s[0:3], 0 offen offset:12
	buffer_load_dword v105, v101, s[0:3], 0 offen
	buffer_load_dword v106, v101, s[0:3], 0 offen offset:4
	s_waitcnt vmcnt(2) lgkmcnt(0)
	v_mul_f64 v[108:109], v[3:4], v[103:104]
	v_mul_f64 v[103:104], v[1:2], v[103:104]
	s_waitcnt vmcnt(0)
	v_fma_f64 v[1:2], v[1:2], v[105:106], -v[108:109]
	v_fma_f64 v[3:4], v[3:4], v[105:106], v[103:104]
.LBB111_126:
	s_and_saveexec_b32 s8, s4
	s_cbranch_execz .LBB111_130
; %bb.127:
	v_subrev_nc_u32_e32 v103, 32, v0
	s_movk_i32 s57, 0x500
	s_mov_b32 s4, 0
	s_mov_b32 s58, s23
	.p2align	6
.LBB111_128:                            ; =>This Inner Loop Header: Depth=1
	v_mov_b32_e32 v106, s58
	v_add_nc_u32_e32 v103, -1, v103
	s_add_i32 s58, s58, 16
	s_clause 0x3
	buffer_load_dword v104, v106, s[0:3], 0 offen offset:8
	buffer_load_dword v105, v106, s[0:3], 0 offen offset:12
	buffer_load_dword v112, v106, s[0:3], 0 offen
	buffer_load_dword v113, v106, s[0:3], 0 offen offset:4
	v_mov_b32_e32 v106, s57
	v_cmp_eq_u32_e32 vcc_lo, 0, v103
	s_add_i32 s57, s57, 16
	ds_read_b128 v[108:111], v106
	s_or_b32 s4, vcc_lo, s4
	s_waitcnt vmcnt(2) lgkmcnt(0)
	v_mul_f64 v[114:115], v[110:111], v[104:105]
	v_mul_f64 v[104:105], v[108:109], v[104:105]
	s_waitcnt vmcnt(0)
	v_fma_f64 v[108:109], v[108:109], v[112:113], -v[114:115]
	v_fma_f64 v[104:105], v[110:111], v[112:113], v[104:105]
	v_add_f64 v[1:2], v[1:2], v[108:109]
	v_add_f64 v[3:4], v[3:4], v[104:105]
	s_andn2_b32 exec_lo, exec_lo, s4
	s_cbranch_execnz .LBB111_128
; %bb.129:
	s_or_b32 exec_lo, exec_lo, s4
.LBB111_130:
	s_or_b32 exec_lo, exec_lo, s8
	v_mov_b32_e32 v103, 0
	ds_read_b128 v[103:106], v103 offset:496
	s_waitcnt lgkmcnt(0)
	v_mul_f64 v[108:109], v[3:4], v[105:106]
	v_mul_f64 v[105:106], v[1:2], v[105:106]
	v_fma_f64 v[1:2], v[1:2], v[103:104], -v[108:109]
	v_fma_f64 v[3:4], v[3:4], v[103:104], v[105:106]
	buffer_store_dword v2, off, s[0:3], 0 offset:500
	buffer_store_dword v1, off, s[0:3], 0 offset:496
	;; [unrolled: 1-line block ×4, first 2 shown]
.LBB111_131:
	s_or_b32 exec_lo, exec_lo, s6
	v_mov_b32_e32 v4, s25
	v_cmp_lt_u32_e64 s4, 30, v0
	s_clause 0x3
	buffer_load_dword v1, v4, s[0:3], 0 offen
	buffer_load_dword v2, v4, s[0:3], 0 offen offset:4
	buffer_load_dword v3, v4, s[0:3], 0 offen offset:8
	;; [unrolled: 1-line block ×3, first 2 shown]
	s_waitcnt vmcnt(0)
	ds_write_b128 v102, v[1:4]
	s_waitcnt lgkmcnt(0)
	s_waitcnt_vscnt null, 0x0
	s_barrier
	buffer_gl0_inv
	s_and_saveexec_b32 s6, s4
	s_cbranch_execz .LBB111_139
; %bb.132:
	ds_read_b128 v[1:4], v102
	s_andn2_b32 vcc_lo, exec_lo, s56
	s_cbranch_vccnz .LBB111_134
; %bb.133:
	s_clause 0x3
	buffer_load_dword v103, v101, s[0:3], 0 offen offset:8
	buffer_load_dword v104, v101, s[0:3], 0 offen offset:12
	buffer_load_dword v105, v101, s[0:3], 0 offen
	buffer_load_dword v106, v101, s[0:3], 0 offen offset:4
	s_waitcnt vmcnt(2) lgkmcnt(0)
	v_mul_f64 v[108:109], v[3:4], v[103:104]
	v_mul_f64 v[103:104], v[1:2], v[103:104]
	s_waitcnt vmcnt(0)
	v_fma_f64 v[1:2], v[1:2], v[105:106], -v[108:109]
	v_fma_f64 v[3:4], v[3:4], v[105:106], v[103:104]
.LBB111_134:
	s_and_saveexec_b32 s8, s5
	s_cbranch_execz .LBB111_138
; %bb.135:
	v_subrev_nc_u32_e32 v103, 31, v0
	s_movk_i32 s57, 0x4f0
	s_mov_b32 s5, 0
	s_mov_b32 s58, s24
	.p2align	6
.LBB111_136:                            ; =>This Inner Loop Header: Depth=1
	v_mov_b32_e32 v106, s58
	v_add_nc_u32_e32 v103, -1, v103
	s_add_i32 s58, s58, 16
	s_clause 0x3
	buffer_load_dword v104, v106, s[0:3], 0 offen offset:8
	buffer_load_dword v105, v106, s[0:3], 0 offen offset:12
	buffer_load_dword v112, v106, s[0:3], 0 offen
	buffer_load_dword v113, v106, s[0:3], 0 offen offset:4
	v_mov_b32_e32 v106, s57
	v_cmp_eq_u32_e32 vcc_lo, 0, v103
	s_add_i32 s57, s57, 16
	ds_read_b128 v[108:111], v106
	s_or_b32 s5, vcc_lo, s5
	s_waitcnt vmcnt(2) lgkmcnt(0)
	v_mul_f64 v[114:115], v[110:111], v[104:105]
	v_mul_f64 v[104:105], v[108:109], v[104:105]
	s_waitcnt vmcnt(0)
	v_fma_f64 v[108:109], v[108:109], v[112:113], -v[114:115]
	v_fma_f64 v[104:105], v[110:111], v[112:113], v[104:105]
	v_add_f64 v[1:2], v[1:2], v[108:109]
	v_add_f64 v[3:4], v[3:4], v[104:105]
	s_andn2_b32 exec_lo, exec_lo, s5
	s_cbranch_execnz .LBB111_136
; %bb.137:
	s_or_b32 exec_lo, exec_lo, s5
.LBB111_138:
	s_or_b32 exec_lo, exec_lo, s8
	v_mov_b32_e32 v103, 0
	ds_read_b128 v[103:106], v103 offset:480
	s_waitcnt lgkmcnt(0)
	v_mul_f64 v[108:109], v[3:4], v[105:106]
	v_mul_f64 v[105:106], v[1:2], v[105:106]
	v_fma_f64 v[1:2], v[1:2], v[103:104], -v[108:109]
	v_fma_f64 v[3:4], v[3:4], v[103:104], v[105:106]
	buffer_store_dword v2, off, s[0:3], 0 offset:484
	buffer_store_dword v1, off, s[0:3], 0 offset:480
	;; [unrolled: 1-line block ×4, first 2 shown]
.LBB111_139:
	s_or_b32 exec_lo, exec_lo, s6
	v_mov_b32_e32 v4, s26
	v_cmp_lt_u32_e64 s5, 29, v0
	s_clause 0x3
	buffer_load_dword v1, v4, s[0:3], 0 offen
	buffer_load_dword v2, v4, s[0:3], 0 offen offset:4
	buffer_load_dword v3, v4, s[0:3], 0 offen offset:8
	;; [unrolled: 1-line block ×3, first 2 shown]
	s_waitcnt vmcnt(0)
	ds_write_b128 v102, v[1:4]
	s_waitcnt lgkmcnt(0)
	s_waitcnt_vscnt null, 0x0
	s_barrier
	buffer_gl0_inv
	s_and_saveexec_b32 s6, s5
	s_cbranch_execz .LBB111_147
; %bb.140:
	ds_read_b128 v[1:4], v102
	s_andn2_b32 vcc_lo, exec_lo, s56
	s_cbranch_vccnz .LBB111_142
; %bb.141:
	s_clause 0x3
	buffer_load_dword v103, v101, s[0:3], 0 offen offset:8
	buffer_load_dword v104, v101, s[0:3], 0 offen offset:12
	buffer_load_dword v105, v101, s[0:3], 0 offen
	buffer_load_dword v106, v101, s[0:3], 0 offen offset:4
	s_waitcnt vmcnt(2) lgkmcnt(0)
	v_mul_f64 v[108:109], v[3:4], v[103:104]
	v_mul_f64 v[103:104], v[1:2], v[103:104]
	s_waitcnt vmcnt(0)
	v_fma_f64 v[1:2], v[1:2], v[105:106], -v[108:109]
	v_fma_f64 v[3:4], v[3:4], v[105:106], v[103:104]
.LBB111_142:
	s_and_saveexec_b32 s8, s4
	s_cbranch_execz .LBB111_146
; %bb.143:
	v_subrev_nc_u32_e32 v103, 30, v0
	s_movk_i32 s57, 0x4e0
	s_mov_b32 s4, 0
	s_mov_b32 s58, s25
	.p2align	6
.LBB111_144:                            ; =>This Inner Loop Header: Depth=1
	v_mov_b32_e32 v106, s58
	v_add_nc_u32_e32 v103, -1, v103
	s_add_i32 s58, s58, 16
	s_clause 0x3
	buffer_load_dword v104, v106, s[0:3], 0 offen offset:8
	buffer_load_dword v105, v106, s[0:3], 0 offen offset:12
	buffer_load_dword v112, v106, s[0:3], 0 offen
	buffer_load_dword v113, v106, s[0:3], 0 offen offset:4
	v_mov_b32_e32 v106, s57
	v_cmp_eq_u32_e32 vcc_lo, 0, v103
	s_add_i32 s57, s57, 16
	ds_read_b128 v[108:111], v106
	s_or_b32 s4, vcc_lo, s4
	s_waitcnt vmcnt(2) lgkmcnt(0)
	v_mul_f64 v[114:115], v[110:111], v[104:105]
	v_mul_f64 v[104:105], v[108:109], v[104:105]
	s_waitcnt vmcnt(0)
	v_fma_f64 v[108:109], v[108:109], v[112:113], -v[114:115]
	v_fma_f64 v[104:105], v[110:111], v[112:113], v[104:105]
	v_add_f64 v[1:2], v[1:2], v[108:109]
	v_add_f64 v[3:4], v[3:4], v[104:105]
	s_andn2_b32 exec_lo, exec_lo, s4
	s_cbranch_execnz .LBB111_144
; %bb.145:
	s_or_b32 exec_lo, exec_lo, s4
.LBB111_146:
	s_or_b32 exec_lo, exec_lo, s8
	v_mov_b32_e32 v103, 0
	ds_read_b128 v[103:106], v103 offset:464
	s_waitcnt lgkmcnt(0)
	v_mul_f64 v[108:109], v[3:4], v[105:106]
	v_mul_f64 v[105:106], v[1:2], v[105:106]
	v_fma_f64 v[1:2], v[1:2], v[103:104], -v[108:109]
	v_fma_f64 v[3:4], v[3:4], v[103:104], v[105:106]
	buffer_store_dword v2, off, s[0:3], 0 offset:468
	buffer_store_dword v1, off, s[0:3], 0 offset:464
	;; [unrolled: 1-line block ×4, first 2 shown]
.LBB111_147:
	s_or_b32 exec_lo, exec_lo, s6
	v_mov_b32_e32 v4, s27
	v_cmp_lt_u32_e64 s4, 28, v0
	s_clause 0x3
	buffer_load_dword v1, v4, s[0:3], 0 offen
	buffer_load_dword v2, v4, s[0:3], 0 offen offset:4
	buffer_load_dword v3, v4, s[0:3], 0 offen offset:8
	;; [unrolled: 1-line block ×3, first 2 shown]
	s_waitcnt vmcnt(0)
	ds_write_b128 v102, v[1:4]
	s_waitcnt lgkmcnt(0)
	s_waitcnt_vscnt null, 0x0
	s_barrier
	buffer_gl0_inv
	s_and_saveexec_b32 s6, s4
	s_cbranch_execz .LBB111_155
; %bb.148:
	ds_read_b128 v[1:4], v102
	s_andn2_b32 vcc_lo, exec_lo, s56
	s_cbranch_vccnz .LBB111_150
; %bb.149:
	s_clause 0x3
	buffer_load_dword v103, v101, s[0:3], 0 offen offset:8
	buffer_load_dword v104, v101, s[0:3], 0 offen offset:12
	buffer_load_dword v105, v101, s[0:3], 0 offen
	buffer_load_dword v106, v101, s[0:3], 0 offen offset:4
	s_waitcnt vmcnt(2) lgkmcnt(0)
	v_mul_f64 v[108:109], v[3:4], v[103:104]
	v_mul_f64 v[103:104], v[1:2], v[103:104]
	s_waitcnt vmcnt(0)
	v_fma_f64 v[1:2], v[1:2], v[105:106], -v[108:109]
	v_fma_f64 v[3:4], v[3:4], v[105:106], v[103:104]
.LBB111_150:
	s_and_saveexec_b32 s8, s5
	s_cbranch_execz .LBB111_154
; %bb.151:
	v_subrev_nc_u32_e32 v103, 29, v0
	s_movk_i32 s57, 0x4d0
	s_mov_b32 s5, 0
	s_mov_b32 s58, s26
	.p2align	6
.LBB111_152:                            ; =>This Inner Loop Header: Depth=1
	v_mov_b32_e32 v106, s58
	v_add_nc_u32_e32 v103, -1, v103
	s_add_i32 s58, s58, 16
	s_clause 0x3
	buffer_load_dword v104, v106, s[0:3], 0 offen offset:8
	buffer_load_dword v105, v106, s[0:3], 0 offen offset:12
	buffer_load_dword v112, v106, s[0:3], 0 offen
	buffer_load_dword v113, v106, s[0:3], 0 offen offset:4
	v_mov_b32_e32 v106, s57
	v_cmp_eq_u32_e32 vcc_lo, 0, v103
	s_add_i32 s57, s57, 16
	ds_read_b128 v[108:111], v106
	s_or_b32 s5, vcc_lo, s5
	s_waitcnt vmcnt(2) lgkmcnt(0)
	v_mul_f64 v[114:115], v[110:111], v[104:105]
	v_mul_f64 v[104:105], v[108:109], v[104:105]
	s_waitcnt vmcnt(0)
	v_fma_f64 v[108:109], v[108:109], v[112:113], -v[114:115]
	v_fma_f64 v[104:105], v[110:111], v[112:113], v[104:105]
	v_add_f64 v[1:2], v[1:2], v[108:109]
	v_add_f64 v[3:4], v[3:4], v[104:105]
	s_andn2_b32 exec_lo, exec_lo, s5
	s_cbranch_execnz .LBB111_152
; %bb.153:
	s_or_b32 exec_lo, exec_lo, s5
.LBB111_154:
	s_or_b32 exec_lo, exec_lo, s8
	v_mov_b32_e32 v103, 0
	ds_read_b128 v[103:106], v103 offset:448
	s_waitcnt lgkmcnt(0)
	v_mul_f64 v[108:109], v[3:4], v[105:106]
	v_mul_f64 v[105:106], v[1:2], v[105:106]
	v_fma_f64 v[1:2], v[1:2], v[103:104], -v[108:109]
	v_fma_f64 v[3:4], v[3:4], v[103:104], v[105:106]
	buffer_store_dword v2, off, s[0:3], 0 offset:452
	buffer_store_dword v1, off, s[0:3], 0 offset:448
	;; [unrolled: 1-line block ×4, first 2 shown]
.LBB111_155:
	s_or_b32 exec_lo, exec_lo, s6
	v_mov_b32_e32 v4, s28
	v_cmp_lt_u32_e64 s5, 27, v0
	s_clause 0x3
	buffer_load_dword v1, v4, s[0:3], 0 offen
	buffer_load_dword v2, v4, s[0:3], 0 offen offset:4
	buffer_load_dword v3, v4, s[0:3], 0 offen offset:8
	;; [unrolled: 1-line block ×3, first 2 shown]
	s_waitcnt vmcnt(0)
	ds_write_b128 v102, v[1:4]
	s_waitcnt lgkmcnt(0)
	s_waitcnt_vscnt null, 0x0
	s_barrier
	buffer_gl0_inv
	s_and_saveexec_b32 s6, s5
	s_cbranch_execz .LBB111_163
; %bb.156:
	ds_read_b128 v[1:4], v102
	s_andn2_b32 vcc_lo, exec_lo, s56
	s_cbranch_vccnz .LBB111_158
; %bb.157:
	s_clause 0x3
	buffer_load_dword v103, v101, s[0:3], 0 offen offset:8
	buffer_load_dword v104, v101, s[0:3], 0 offen offset:12
	buffer_load_dword v105, v101, s[0:3], 0 offen
	buffer_load_dword v106, v101, s[0:3], 0 offen offset:4
	s_waitcnt vmcnt(2) lgkmcnt(0)
	v_mul_f64 v[108:109], v[3:4], v[103:104]
	v_mul_f64 v[103:104], v[1:2], v[103:104]
	s_waitcnt vmcnt(0)
	v_fma_f64 v[1:2], v[1:2], v[105:106], -v[108:109]
	v_fma_f64 v[3:4], v[3:4], v[105:106], v[103:104]
.LBB111_158:
	s_and_saveexec_b32 s8, s4
	s_cbranch_execz .LBB111_162
; %bb.159:
	v_subrev_nc_u32_e32 v103, 28, v0
	s_movk_i32 s57, 0x4c0
	s_mov_b32 s4, 0
	s_mov_b32 s58, s27
	.p2align	6
.LBB111_160:                            ; =>This Inner Loop Header: Depth=1
	v_mov_b32_e32 v106, s58
	v_add_nc_u32_e32 v103, -1, v103
	s_add_i32 s58, s58, 16
	s_clause 0x3
	buffer_load_dword v104, v106, s[0:3], 0 offen offset:8
	buffer_load_dword v105, v106, s[0:3], 0 offen offset:12
	buffer_load_dword v112, v106, s[0:3], 0 offen
	buffer_load_dword v113, v106, s[0:3], 0 offen offset:4
	v_mov_b32_e32 v106, s57
	v_cmp_eq_u32_e32 vcc_lo, 0, v103
	s_add_i32 s57, s57, 16
	ds_read_b128 v[108:111], v106
	s_or_b32 s4, vcc_lo, s4
	s_waitcnt vmcnt(2) lgkmcnt(0)
	v_mul_f64 v[114:115], v[110:111], v[104:105]
	v_mul_f64 v[104:105], v[108:109], v[104:105]
	s_waitcnt vmcnt(0)
	v_fma_f64 v[108:109], v[108:109], v[112:113], -v[114:115]
	v_fma_f64 v[104:105], v[110:111], v[112:113], v[104:105]
	v_add_f64 v[1:2], v[1:2], v[108:109]
	v_add_f64 v[3:4], v[3:4], v[104:105]
	s_andn2_b32 exec_lo, exec_lo, s4
	s_cbranch_execnz .LBB111_160
; %bb.161:
	s_or_b32 exec_lo, exec_lo, s4
.LBB111_162:
	s_or_b32 exec_lo, exec_lo, s8
	v_mov_b32_e32 v103, 0
	ds_read_b128 v[103:106], v103 offset:432
	s_waitcnt lgkmcnt(0)
	v_mul_f64 v[108:109], v[3:4], v[105:106]
	v_mul_f64 v[105:106], v[1:2], v[105:106]
	v_fma_f64 v[1:2], v[1:2], v[103:104], -v[108:109]
	v_fma_f64 v[3:4], v[3:4], v[103:104], v[105:106]
	buffer_store_dword v2, off, s[0:3], 0 offset:436
	buffer_store_dword v1, off, s[0:3], 0 offset:432
	;; [unrolled: 1-line block ×4, first 2 shown]
.LBB111_163:
	s_or_b32 exec_lo, exec_lo, s6
	v_mov_b32_e32 v4, s29
	v_cmp_lt_u32_e64 s4, 26, v0
	s_clause 0x3
	buffer_load_dword v1, v4, s[0:3], 0 offen
	buffer_load_dword v2, v4, s[0:3], 0 offen offset:4
	buffer_load_dword v3, v4, s[0:3], 0 offen offset:8
	;; [unrolled: 1-line block ×3, first 2 shown]
	s_waitcnt vmcnt(0)
	ds_write_b128 v102, v[1:4]
	s_waitcnt lgkmcnt(0)
	s_waitcnt_vscnt null, 0x0
	s_barrier
	buffer_gl0_inv
	s_and_saveexec_b32 s6, s4
	s_cbranch_execz .LBB111_171
; %bb.164:
	ds_read_b128 v[1:4], v102
	s_andn2_b32 vcc_lo, exec_lo, s56
	s_cbranch_vccnz .LBB111_166
; %bb.165:
	s_clause 0x3
	buffer_load_dword v103, v101, s[0:3], 0 offen offset:8
	buffer_load_dword v104, v101, s[0:3], 0 offen offset:12
	buffer_load_dword v105, v101, s[0:3], 0 offen
	buffer_load_dword v106, v101, s[0:3], 0 offen offset:4
	s_waitcnt vmcnt(2) lgkmcnt(0)
	v_mul_f64 v[108:109], v[3:4], v[103:104]
	v_mul_f64 v[103:104], v[1:2], v[103:104]
	s_waitcnt vmcnt(0)
	v_fma_f64 v[1:2], v[1:2], v[105:106], -v[108:109]
	v_fma_f64 v[3:4], v[3:4], v[105:106], v[103:104]
.LBB111_166:
	s_and_saveexec_b32 s8, s5
	s_cbranch_execz .LBB111_170
; %bb.167:
	v_subrev_nc_u32_e32 v103, 27, v0
	s_movk_i32 s57, 0x4b0
	s_mov_b32 s5, 0
	s_mov_b32 s58, s28
	.p2align	6
.LBB111_168:                            ; =>This Inner Loop Header: Depth=1
	v_mov_b32_e32 v106, s58
	v_add_nc_u32_e32 v103, -1, v103
	s_add_i32 s58, s58, 16
	s_clause 0x3
	buffer_load_dword v104, v106, s[0:3], 0 offen offset:8
	buffer_load_dword v105, v106, s[0:3], 0 offen offset:12
	buffer_load_dword v112, v106, s[0:3], 0 offen
	buffer_load_dword v113, v106, s[0:3], 0 offen offset:4
	v_mov_b32_e32 v106, s57
	v_cmp_eq_u32_e32 vcc_lo, 0, v103
	s_add_i32 s57, s57, 16
	ds_read_b128 v[108:111], v106
	s_or_b32 s5, vcc_lo, s5
	s_waitcnt vmcnt(2) lgkmcnt(0)
	v_mul_f64 v[114:115], v[110:111], v[104:105]
	v_mul_f64 v[104:105], v[108:109], v[104:105]
	s_waitcnt vmcnt(0)
	v_fma_f64 v[108:109], v[108:109], v[112:113], -v[114:115]
	v_fma_f64 v[104:105], v[110:111], v[112:113], v[104:105]
	v_add_f64 v[1:2], v[1:2], v[108:109]
	v_add_f64 v[3:4], v[3:4], v[104:105]
	s_andn2_b32 exec_lo, exec_lo, s5
	s_cbranch_execnz .LBB111_168
; %bb.169:
	s_or_b32 exec_lo, exec_lo, s5
.LBB111_170:
	s_or_b32 exec_lo, exec_lo, s8
	v_mov_b32_e32 v103, 0
	ds_read_b128 v[103:106], v103 offset:416
	s_waitcnt lgkmcnt(0)
	v_mul_f64 v[108:109], v[3:4], v[105:106]
	v_mul_f64 v[105:106], v[1:2], v[105:106]
	v_fma_f64 v[1:2], v[1:2], v[103:104], -v[108:109]
	v_fma_f64 v[3:4], v[3:4], v[103:104], v[105:106]
	buffer_store_dword v2, off, s[0:3], 0 offset:420
	buffer_store_dword v1, off, s[0:3], 0 offset:416
	;; [unrolled: 1-line block ×4, first 2 shown]
.LBB111_171:
	s_or_b32 exec_lo, exec_lo, s6
	v_mov_b32_e32 v4, s30
	v_cmp_lt_u32_e64 s5, 25, v0
	s_clause 0x3
	buffer_load_dword v1, v4, s[0:3], 0 offen
	buffer_load_dword v2, v4, s[0:3], 0 offen offset:4
	buffer_load_dword v3, v4, s[0:3], 0 offen offset:8
	;; [unrolled: 1-line block ×3, first 2 shown]
	s_waitcnt vmcnt(0)
	ds_write_b128 v102, v[1:4]
	s_waitcnt lgkmcnt(0)
	s_waitcnt_vscnt null, 0x0
	s_barrier
	buffer_gl0_inv
	s_and_saveexec_b32 s6, s5
	s_cbranch_execz .LBB111_179
; %bb.172:
	ds_read_b128 v[1:4], v102
	s_andn2_b32 vcc_lo, exec_lo, s56
	s_cbranch_vccnz .LBB111_174
; %bb.173:
	s_clause 0x3
	buffer_load_dword v103, v101, s[0:3], 0 offen offset:8
	buffer_load_dword v104, v101, s[0:3], 0 offen offset:12
	buffer_load_dword v105, v101, s[0:3], 0 offen
	buffer_load_dword v106, v101, s[0:3], 0 offen offset:4
	s_waitcnt vmcnt(2) lgkmcnt(0)
	v_mul_f64 v[108:109], v[3:4], v[103:104]
	v_mul_f64 v[103:104], v[1:2], v[103:104]
	s_waitcnt vmcnt(0)
	v_fma_f64 v[1:2], v[1:2], v[105:106], -v[108:109]
	v_fma_f64 v[3:4], v[3:4], v[105:106], v[103:104]
.LBB111_174:
	s_and_saveexec_b32 s8, s4
	s_cbranch_execz .LBB111_178
; %bb.175:
	v_subrev_nc_u32_e32 v103, 26, v0
	s_movk_i32 s57, 0x4a0
	s_mov_b32 s4, 0
	s_mov_b32 s58, s29
	.p2align	6
.LBB111_176:                            ; =>This Inner Loop Header: Depth=1
	v_mov_b32_e32 v106, s58
	v_add_nc_u32_e32 v103, -1, v103
	s_add_i32 s58, s58, 16
	s_clause 0x3
	buffer_load_dword v104, v106, s[0:3], 0 offen offset:8
	buffer_load_dword v105, v106, s[0:3], 0 offen offset:12
	buffer_load_dword v112, v106, s[0:3], 0 offen
	buffer_load_dword v113, v106, s[0:3], 0 offen offset:4
	v_mov_b32_e32 v106, s57
	v_cmp_eq_u32_e32 vcc_lo, 0, v103
	s_add_i32 s57, s57, 16
	ds_read_b128 v[108:111], v106
	s_or_b32 s4, vcc_lo, s4
	s_waitcnt vmcnt(2) lgkmcnt(0)
	v_mul_f64 v[114:115], v[110:111], v[104:105]
	v_mul_f64 v[104:105], v[108:109], v[104:105]
	s_waitcnt vmcnt(0)
	v_fma_f64 v[108:109], v[108:109], v[112:113], -v[114:115]
	v_fma_f64 v[104:105], v[110:111], v[112:113], v[104:105]
	v_add_f64 v[1:2], v[1:2], v[108:109]
	v_add_f64 v[3:4], v[3:4], v[104:105]
	s_andn2_b32 exec_lo, exec_lo, s4
	s_cbranch_execnz .LBB111_176
; %bb.177:
	s_or_b32 exec_lo, exec_lo, s4
.LBB111_178:
	s_or_b32 exec_lo, exec_lo, s8
	v_mov_b32_e32 v103, 0
	ds_read_b128 v[103:106], v103 offset:400
	s_waitcnt lgkmcnt(0)
	v_mul_f64 v[108:109], v[3:4], v[105:106]
	v_mul_f64 v[105:106], v[1:2], v[105:106]
	v_fma_f64 v[1:2], v[1:2], v[103:104], -v[108:109]
	v_fma_f64 v[3:4], v[3:4], v[103:104], v[105:106]
	buffer_store_dword v2, off, s[0:3], 0 offset:404
	buffer_store_dword v1, off, s[0:3], 0 offset:400
	;; [unrolled: 1-line block ×4, first 2 shown]
.LBB111_179:
	s_or_b32 exec_lo, exec_lo, s6
	v_mov_b32_e32 v4, s31
	v_cmp_lt_u32_e64 s4, 24, v0
	s_clause 0x3
	buffer_load_dword v1, v4, s[0:3], 0 offen
	buffer_load_dword v2, v4, s[0:3], 0 offen offset:4
	buffer_load_dword v3, v4, s[0:3], 0 offen offset:8
	;; [unrolled: 1-line block ×3, first 2 shown]
	s_waitcnt vmcnt(0)
	ds_write_b128 v102, v[1:4]
	s_waitcnt lgkmcnt(0)
	s_waitcnt_vscnt null, 0x0
	s_barrier
	buffer_gl0_inv
	s_and_saveexec_b32 s6, s4
	s_cbranch_execz .LBB111_187
; %bb.180:
	ds_read_b128 v[1:4], v102
	s_andn2_b32 vcc_lo, exec_lo, s56
	s_cbranch_vccnz .LBB111_182
; %bb.181:
	s_clause 0x3
	buffer_load_dword v103, v101, s[0:3], 0 offen offset:8
	buffer_load_dword v104, v101, s[0:3], 0 offen offset:12
	buffer_load_dword v105, v101, s[0:3], 0 offen
	buffer_load_dword v106, v101, s[0:3], 0 offen offset:4
	s_waitcnt vmcnt(2) lgkmcnt(0)
	v_mul_f64 v[108:109], v[3:4], v[103:104]
	v_mul_f64 v[103:104], v[1:2], v[103:104]
	s_waitcnt vmcnt(0)
	v_fma_f64 v[1:2], v[1:2], v[105:106], -v[108:109]
	v_fma_f64 v[3:4], v[3:4], v[105:106], v[103:104]
.LBB111_182:
	s_and_saveexec_b32 s8, s5
	s_cbranch_execz .LBB111_186
; %bb.183:
	v_subrev_nc_u32_e32 v103, 25, v0
	s_movk_i32 s57, 0x490
	s_mov_b32 s5, 0
	s_mov_b32 s58, s30
	.p2align	6
.LBB111_184:                            ; =>This Inner Loop Header: Depth=1
	v_mov_b32_e32 v106, s58
	v_add_nc_u32_e32 v103, -1, v103
	s_add_i32 s58, s58, 16
	s_clause 0x3
	buffer_load_dword v104, v106, s[0:3], 0 offen offset:8
	buffer_load_dword v105, v106, s[0:3], 0 offen offset:12
	buffer_load_dword v112, v106, s[0:3], 0 offen
	buffer_load_dword v113, v106, s[0:3], 0 offen offset:4
	v_mov_b32_e32 v106, s57
	v_cmp_eq_u32_e32 vcc_lo, 0, v103
	s_add_i32 s57, s57, 16
	ds_read_b128 v[108:111], v106
	s_or_b32 s5, vcc_lo, s5
	s_waitcnt vmcnt(2) lgkmcnt(0)
	v_mul_f64 v[114:115], v[110:111], v[104:105]
	v_mul_f64 v[104:105], v[108:109], v[104:105]
	s_waitcnt vmcnt(0)
	v_fma_f64 v[108:109], v[108:109], v[112:113], -v[114:115]
	v_fma_f64 v[104:105], v[110:111], v[112:113], v[104:105]
	v_add_f64 v[1:2], v[1:2], v[108:109]
	v_add_f64 v[3:4], v[3:4], v[104:105]
	s_andn2_b32 exec_lo, exec_lo, s5
	s_cbranch_execnz .LBB111_184
; %bb.185:
	s_or_b32 exec_lo, exec_lo, s5
.LBB111_186:
	s_or_b32 exec_lo, exec_lo, s8
	v_mov_b32_e32 v103, 0
	ds_read_b128 v[103:106], v103 offset:384
	s_waitcnt lgkmcnt(0)
	v_mul_f64 v[108:109], v[3:4], v[105:106]
	v_mul_f64 v[105:106], v[1:2], v[105:106]
	v_fma_f64 v[1:2], v[1:2], v[103:104], -v[108:109]
	v_fma_f64 v[3:4], v[3:4], v[103:104], v[105:106]
	buffer_store_dword v2, off, s[0:3], 0 offset:388
	buffer_store_dword v1, off, s[0:3], 0 offset:384
	buffer_store_dword v4, off, s[0:3], 0 offset:396
	buffer_store_dword v3, off, s[0:3], 0 offset:392
.LBB111_187:
	s_or_b32 exec_lo, exec_lo, s6
	v_mov_b32_e32 v4, s33
	v_cmp_lt_u32_e64 s5, 23, v0
	s_clause 0x3
	buffer_load_dword v1, v4, s[0:3], 0 offen
	buffer_load_dword v2, v4, s[0:3], 0 offen offset:4
	buffer_load_dword v3, v4, s[0:3], 0 offen offset:8
	;; [unrolled: 1-line block ×3, first 2 shown]
	s_waitcnt vmcnt(0)
	ds_write_b128 v102, v[1:4]
	s_waitcnt lgkmcnt(0)
	s_waitcnt_vscnt null, 0x0
	s_barrier
	buffer_gl0_inv
	s_and_saveexec_b32 s6, s5
	s_cbranch_execz .LBB111_195
; %bb.188:
	ds_read_b128 v[1:4], v102
	s_andn2_b32 vcc_lo, exec_lo, s56
	s_cbranch_vccnz .LBB111_190
; %bb.189:
	s_clause 0x3
	buffer_load_dword v103, v101, s[0:3], 0 offen offset:8
	buffer_load_dword v104, v101, s[0:3], 0 offen offset:12
	buffer_load_dword v105, v101, s[0:3], 0 offen
	buffer_load_dword v106, v101, s[0:3], 0 offen offset:4
	s_waitcnt vmcnt(2) lgkmcnt(0)
	v_mul_f64 v[108:109], v[3:4], v[103:104]
	v_mul_f64 v[103:104], v[1:2], v[103:104]
	s_waitcnt vmcnt(0)
	v_fma_f64 v[1:2], v[1:2], v[105:106], -v[108:109]
	v_fma_f64 v[3:4], v[3:4], v[105:106], v[103:104]
.LBB111_190:
	s_and_saveexec_b32 s8, s4
	s_cbranch_execz .LBB111_194
; %bb.191:
	v_subrev_nc_u32_e32 v103, 24, v0
	s_movk_i32 s57, 0x480
	s_mov_b32 s4, 0
	s_mov_b32 s58, s31
	.p2align	6
.LBB111_192:                            ; =>This Inner Loop Header: Depth=1
	v_mov_b32_e32 v106, s58
	v_add_nc_u32_e32 v103, -1, v103
	s_add_i32 s58, s58, 16
	s_clause 0x3
	buffer_load_dword v104, v106, s[0:3], 0 offen offset:8
	buffer_load_dword v105, v106, s[0:3], 0 offen offset:12
	buffer_load_dword v112, v106, s[0:3], 0 offen
	buffer_load_dword v113, v106, s[0:3], 0 offen offset:4
	v_mov_b32_e32 v106, s57
	v_cmp_eq_u32_e32 vcc_lo, 0, v103
	s_add_i32 s57, s57, 16
	ds_read_b128 v[108:111], v106
	s_or_b32 s4, vcc_lo, s4
	s_waitcnt vmcnt(2) lgkmcnt(0)
	v_mul_f64 v[114:115], v[110:111], v[104:105]
	v_mul_f64 v[104:105], v[108:109], v[104:105]
	s_waitcnt vmcnt(0)
	v_fma_f64 v[108:109], v[108:109], v[112:113], -v[114:115]
	v_fma_f64 v[104:105], v[110:111], v[112:113], v[104:105]
	v_add_f64 v[1:2], v[1:2], v[108:109]
	v_add_f64 v[3:4], v[3:4], v[104:105]
	s_andn2_b32 exec_lo, exec_lo, s4
	s_cbranch_execnz .LBB111_192
; %bb.193:
	s_or_b32 exec_lo, exec_lo, s4
.LBB111_194:
	s_or_b32 exec_lo, exec_lo, s8
	v_mov_b32_e32 v103, 0
	ds_read_b128 v[103:106], v103 offset:368
	s_waitcnt lgkmcnt(0)
	v_mul_f64 v[108:109], v[3:4], v[105:106]
	v_mul_f64 v[105:106], v[1:2], v[105:106]
	v_fma_f64 v[1:2], v[1:2], v[103:104], -v[108:109]
	v_fma_f64 v[3:4], v[3:4], v[103:104], v[105:106]
	buffer_store_dword v2, off, s[0:3], 0 offset:372
	buffer_store_dword v1, off, s[0:3], 0 offset:368
	;; [unrolled: 1-line block ×4, first 2 shown]
.LBB111_195:
	s_or_b32 exec_lo, exec_lo, s6
	v_mov_b32_e32 v4, s34
	v_cmp_lt_u32_e64 s4, 22, v0
	s_clause 0x3
	buffer_load_dword v1, v4, s[0:3], 0 offen
	buffer_load_dword v2, v4, s[0:3], 0 offen offset:4
	buffer_load_dword v3, v4, s[0:3], 0 offen offset:8
	;; [unrolled: 1-line block ×3, first 2 shown]
	s_waitcnt vmcnt(0)
	ds_write_b128 v102, v[1:4]
	s_waitcnt lgkmcnt(0)
	s_waitcnt_vscnt null, 0x0
	s_barrier
	buffer_gl0_inv
	s_and_saveexec_b32 s6, s4
	s_cbranch_execz .LBB111_203
; %bb.196:
	ds_read_b128 v[1:4], v102
	s_andn2_b32 vcc_lo, exec_lo, s56
	s_cbranch_vccnz .LBB111_198
; %bb.197:
	s_clause 0x3
	buffer_load_dword v103, v101, s[0:3], 0 offen offset:8
	buffer_load_dword v104, v101, s[0:3], 0 offen offset:12
	buffer_load_dword v105, v101, s[0:3], 0 offen
	buffer_load_dword v106, v101, s[0:3], 0 offen offset:4
	s_waitcnt vmcnt(2) lgkmcnt(0)
	v_mul_f64 v[108:109], v[3:4], v[103:104]
	v_mul_f64 v[103:104], v[1:2], v[103:104]
	s_waitcnt vmcnt(0)
	v_fma_f64 v[1:2], v[1:2], v[105:106], -v[108:109]
	v_fma_f64 v[3:4], v[3:4], v[105:106], v[103:104]
.LBB111_198:
	s_and_saveexec_b32 s8, s5
	s_cbranch_execz .LBB111_202
; %bb.199:
	v_subrev_nc_u32_e32 v103, 23, v0
	s_movk_i32 s57, 0x470
	s_mov_b32 s5, 0
	s_mov_b32 s58, s33
	.p2align	6
.LBB111_200:                            ; =>This Inner Loop Header: Depth=1
	v_mov_b32_e32 v106, s58
	v_add_nc_u32_e32 v103, -1, v103
	s_add_i32 s58, s58, 16
	s_clause 0x3
	buffer_load_dword v104, v106, s[0:3], 0 offen offset:8
	buffer_load_dword v105, v106, s[0:3], 0 offen offset:12
	buffer_load_dword v112, v106, s[0:3], 0 offen
	buffer_load_dword v113, v106, s[0:3], 0 offen offset:4
	v_mov_b32_e32 v106, s57
	v_cmp_eq_u32_e32 vcc_lo, 0, v103
	s_add_i32 s57, s57, 16
	ds_read_b128 v[108:111], v106
	s_or_b32 s5, vcc_lo, s5
	s_waitcnt vmcnt(2) lgkmcnt(0)
	v_mul_f64 v[114:115], v[110:111], v[104:105]
	v_mul_f64 v[104:105], v[108:109], v[104:105]
	s_waitcnt vmcnt(0)
	v_fma_f64 v[108:109], v[108:109], v[112:113], -v[114:115]
	v_fma_f64 v[104:105], v[110:111], v[112:113], v[104:105]
	v_add_f64 v[1:2], v[1:2], v[108:109]
	v_add_f64 v[3:4], v[3:4], v[104:105]
	s_andn2_b32 exec_lo, exec_lo, s5
	s_cbranch_execnz .LBB111_200
; %bb.201:
	s_or_b32 exec_lo, exec_lo, s5
.LBB111_202:
	s_or_b32 exec_lo, exec_lo, s8
	v_mov_b32_e32 v103, 0
	ds_read_b128 v[103:106], v103 offset:352
	s_waitcnt lgkmcnt(0)
	v_mul_f64 v[108:109], v[3:4], v[105:106]
	v_mul_f64 v[105:106], v[1:2], v[105:106]
	v_fma_f64 v[1:2], v[1:2], v[103:104], -v[108:109]
	v_fma_f64 v[3:4], v[3:4], v[103:104], v[105:106]
	buffer_store_dword v2, off, s[0:3], 0 offset:356
	buffer_store_dword v1, off, s[0:3], 0 offset:352
	;; [unrolled: 1-line block ×4, first 2 shown]
.LBB111_203:
	s_or_b32 exec_lo, exec_lo, s6
	v_mov_b32_e32 v4, s35
	v_cmp_lt_u32_e64 s5, 21, v0
	s_clause 0x3
	buffer_load_dword v1, v4, s[0:3], 0 offen
	buffer_load_dword v2, v4, s[0:3], 0 offen offset:4
	buffer_load_dword v3, v4, s[0:3], 0 offen offset:8
	;; [unrolled: 1-line block ×3, first 2 shown]
	s_waitcnt vmcnt(0)
	ds_write_b128 v102, v[1:4]
	s_waitcnt lgkmcnt(0)
	s_waitcnt_vscnt null, 0x0
	s_barrier
	buffer_gl0_inv
	s_and_saveexec_b32 s6, s5
	s_cbranch_execz .LBB111_211
; %bb.204:
	ds_read_b128 v[1:4], v102
	s_andn2_b32 vcc_lo, exec_lo, s56
	s_cbranch_vccnz .LBB111_206
; %bb.205:
	s_clause 0x3
	buffer_load_dword v103, v101, s[0:3], 0 offen offset:8
	buffer_load_dword v104, v101, s[0:3], 0 offen offset:12
	buffer_load_dword v105, v101, s[0:3], 0 offen
	buffer_load_dword v106, v101, s[0:3], 0 offen offset:4
	s_waitcnt vmcnt(2) lgkmcnt(0)
	v_mul_f64 v[108:109], v[3:4], v[103:104]
	v_mul_f64 v[103:104], v[1:2], v[103:104]
	s_waitcnt vmcnt(0)
	v_fma_f64 v[1:2], v[1:2], v[105:106], -v[108:109]
	v_fma_f64 v[3:4], v[3:4], v[105:106], v[103:104]
.LBB111_206:
	s_and_saveexec_b32 s8, s4
	s_cbranch_execz .LBB111_210
; %bb.207:
	v_subrev_nc_u32_e32 v103, 22, v0
	s_movk_i32 s57, 0x460
	s_mov_b32 s4, 0
	s_mov_b32 s58, s34
	.p2align	6
.LBB111_208:                            ; =>This Inner Loop Header: Depth=1
	v_mov_b32_e32 v106, s58
	v_add_nc_u32_e32 v103, -1, v103
	s_add_i32 s58, s58, 16
	s_clause 0x3
	buffer_load_dword v104, v106, s[0:3], 0 offen offset:8
	buffer_load_dword v105, v106, s[0:3], 0 offen offset:12
	buffer_load_dword v112, v106, s[0:3], 0 offen
	buffer_load_dword v113, v106, s[0:3], 0 offen offset:4
	v_mov_b32_e32 v106, s57
	v_cmp_eq_u32_e32 vcc_lo, 0, v103
	s_add_i32 s57, s57, 16
	ds_read_b128 v[108:111], v106
	s_or_b32 s4, vcc_lo, s4
	s_waitcnt vmcnt(2) lgkmcnt(0)
	v_mul_f64 v[114:115], v[110:111], v[104:105]
	v_mul_f64 v[104:105], v[108:109], v[104:105]
	s_waitcnt vmcnt(0)
	v_fma_f64 v[108:109], v[108:109], v[112:113], -v[114:115]
	v_fma_f64 v[104:105], v[110:111], v[112:113], v[104:105]
	v_add_f64 v[1:2], v[1:2], v[108:109]
	v_add_f64 v[3:4], v[3:4], v[104:105]
	s_andn2_b32 exec_lo, exec_lo, s4
	s_cbranch_execnz .LBB111_208
; %bb.209:
	s_or_b32 exec_lo, exec_lo, s4
.LBB111_210:
	s_or_b32 exec_lo, exec_lo, s8
	v_mov_b32_e32 v103, 0
	ds_read_b128 v[103:106], v103 offset:336
	s_waitcnt lgkmcnt(0)
	v_mul_f64 v[108:109], v[3:4], v[105:106]
	v_mul_f64 v[105:106], v[1:2], v[105:106]
	v_fma_f64 v[1:2], v[1:2], v[103:104], -v[108:109]
	v_fma_f64 v[3:4], v[3:4], v[103:104], v[105:106]
	buffer_store_dword v2, off, s[0:3], 0 offset:340
	buffer_store_dword v1, off, s[0:3], 0 offset:336
	;; [unrolled: 1-line block ×4, first 2 shown]
.LBB111_211:
	s_or_b32 exec_lo, exec_lo, s6
	v_mov_b32_e32 v4, s36
	v_cmp_lt_u32_e64 s4, 20, v0
	s_clause 0x3
	buffer_load_dword v1, v4, s[0:3], 0 offen
	buffer_load_dword v2, v4, s[0:3], 0 offen offset:4
	buffer_load_dword v3, v4, s[0:3], 0 offen offset:8
	buffer_load_dword v4, v4, s[0:3], 0 offen offset:12
	s_waitcnt vmcnt(0)
	ds_write_b128 v102, v[1:4]
	s_waitcnt lgkmcnt(0)
	s_waitcnt_vscnt null, 0x0
	s_barrier
	buffer_gl0_inv
	s_and_saveexec_b32 s6, s4
	s_cbranch_execz .LBB111_219
; %bb.212:
	ds_read_b128 v[1:4], v102
	s_andn2_b32 vcc_lo, exec_lo, s56
	s_cbranch_vccnz .LBB111_214
; %bb.213:
	s_clause 0x3
	buffer_load_dword v103, v101, s[0:3], 0 offen offset:8
	buffer_load_dword v104, v101, s[0:3], 0 offen offset:12
	buffer_load_dword v105, v101, s[0:3], 0 offen
	buffer_load_dword v106, v101, s[0:3], 0 offen offset:4
	s_waitcnt vmcnt(2) lgkmcnt(0)
	v_mul_f64 v[108:109], v[3:4], v[103:104]
	v_mul_f64 v[103:104], v[1:2], v[103:104]
	s_waitcnt vmcnt(0)
	v_fma_f64 v[1:2], v[1:2], v[105:106], -v[108:109]
	v_fma_f64 v[3:4], v[3:4], v[105:106], v[103:104]
.LBB111_214:
	s_and_saveexec_b32 s8, s5
	s_cbranch_execz .LBB111_218
; %bb.215:
	v_subrev_nc_u32_e32 v103, 21, v0
	s_movk_i32 s57, 0x450
	s_mov_b32 s5, 0
	s_mov_b32 s58, s35
	.p2align	6
.LBB111_216:                            ; =>This Inner Loop Header: Depth=1
	v_mov_b32_e32 v106, s58
	v_add_nc_u32_e32 v103, -1, v103
	s_add_i32 s58, s58, 16
	s_clause 0x3
	buffer_load_dword v104, v106, s[0:3], 0 offen offset:8
	buffer_load_dword v105, v106, s[0:3], 0 offen offset:12
	buffer_load_dword v112, v106, s[0:3], 0 offen
	buffer_load_dword v113, v106, s[0:3], 0 offen offset:4
	v_mov_b32_e32 v106, s57
	v_cmp_eq_u32_e32 vcc_lo, 0, v103
	s_add_i32 s57, s57, 16
	ds_read_b128 v[108:111], v106
	s_or_b32 s5, vcc_lo, s5
	s_waitcnt vmcnt(2) lgkmcnt(0)
	v_mul_f64 v[114:115], v[110:111], v[104:105]
	v_mul_f64 v[104:105], v[108:109], v[104:105]
	s_waitcnt vmcnt(0)
	v_fma_f64 v[108:109], v[108:109], v[112:113], -v[114:115]
	v_fma_f64 v[104:105], v[110:111], v[112:113], v[104:105]
	v_add_f64 v[1:2], v[1:2], v[108:109]
	v_add_f64 v[3:4], v[3:4], v[104:105]
	s_andn2_b32 exec_lo, exec_lo, s5
	s_cbranch_execnz .LBB111_216
; %bb.217:
	s_or_b32 exec_lo, exec_lo, s5
.LBB111_218:
	s_or_b32 exec_lo, exec_lo, s8
	v_mov_b32_e32 v103, 0
	ds_read_b128 v[103:106], v103 offset:320
	s_waitcnt lgkmcnt(0)
	v_mul_f64 v[108:109], v[3:4], v[105:106]
	v_mul_f64 v[105:106], v[1:2], v[105:106]
	v_fma_f64 v[1:2], v[1:2], v[103:104], -v[108:109]
	v_fma_f64 v[3:4], v[3:4], v[103:104], v[105:106]
	buffer_store_dword v2, off, s[0:3], 0 offset:324
	buffer_store_dword v1, off, s[0:3], 0 offset:320
	;; [unrolled: 1-line block ×4, first 2 shown]
.LBB111_219:
	s_or_b32 exec_lo, exec_lo, s6
	v_mov_b32_e32 v4, s37
	v_cmp_lt_u32_e64 s5, 19, v0
	s_clause 0x3
	buffer_load_dword v1, v4, s[0:3], 0 offen
	buffer_load_dword v2, v4, s[0:3], 0 offen offset:4
	buffer_load_dword v3, v4, s[0:3], 0 offen offset:8
	;; [unrolled: 1-line block ×3, first 2 shown]
	s_waitcnt vmcnt(0)
	ds_write_b128 v102, v[1:4]
	s_waitcnt lgkmcnt(0)
	s_waitcnt_vscnt null, 0x0
	s_barrier
	buffer_gl0_inv
	s_and_saveexec_b32 s6, s5
	s_cbranch_execz .LBB111_227
; %bb.220:
	ds_read_b128 v[1:4], v102
	s_andn2_b32 vcc_lo, exec_lo, s56
	s_cbranch_vccnz .LBB111_222
; %bb.221:
	s_clause 0x3
	buffer_load_dword v103, v101, s[0:3], 0 offen offset:8
	buffer_load_dword v104, v101, s[0:3], 0 offen offset:12
	buffer_load_dword v105, v101, s[0:3], 0 offen
	buffer_load_dword v106, v101, s[0:3], 0 offen offset:4
	s_waitcnt vmcnt(2) lgkmcnt(0)
	v_mul_f64 v[108:109], v[3:4], v[103:104]
	v_mul_f64 v[103:104], v[1:2], v[103:104]
	s_waitcnt vmcnt(0)
	v_fma_f64 v[1:2], v[1:2], v[105:106], -v[108:109]
	v_fma_f64 v[3:4], v[3:4], v[105:106], v[103:104]
.LBB111_222:
	s_and_saveexec_b32 s8, s4
	s_cbranch_execz .LBB111_226
; %bb.223:
	v_subrev_nc_u32_e32 v103, 20, v0
	s_movk_i32 s57, 0x440
	s_mov_b32 s4, 0
	s_mov_b32 s58, s36
	.p2align	6
.LBB111_224:                            ; =>This Inner Loop Header: Depth=1
	v_mov_b32_e32 v106, s58
	v_add_nc_u32_e32 v103, -1, v103
	s_add_i32 s58, s58, 16
	s_clause 0x3
	buffer_load_dword v104, v106, s[0:3], 0 offen offset:8
	buffer_load_dword v105, v106, s[0:3], 0 offen offset:12
	buffer_load_dword v112, v106, s[0:3], 0 offen
	buffer_load_dword v113, v106, s[0:3], 0 offen offset:4
	v_mov_b32_e32 v106, s57
	v_cmp_eq_u32_e32 vcc_lo, 0, v103
	s_add_i32 s57, s57, 16
	ds_read_b128 v[108:111], v106
	s_or_b32 s4, vcc_lo, s4
	s_waitcnt vmcnt(2) lgkmcnt(0)
	v_mul_f64 v[114:115], v[110:111], v[104:105]
	v_mul_f64 v[104:105], v[108:109], v[104:105]
	s_waitcnt vmcnt(0)
	v_fma_f64 v[108:109], v[108:109], v[112:113], -v[114:115]
	v_fma_f64 v[104:105], v[110:111], v[112:113], v[104:105]
	v_add_f64 v[1:2], v[1:2], v[108:109]
	v_add_f64 v[3:4], v[3:4], v[104:105]
	s_andn2_b32 exec_lo, exec_lo, s4
	s_cbranch_execnz .LBB111_224
; %bb.225:
	s_or_b32 exec_lo, exec_lo, s4
.LBB111_226:
	s_or_b32 exec_lo, exec_lo, s8
	v_mov_b32_e32 v103, 0
	ds_read_b128 v[103:106], v103 offset:304
	s_waitcnt lgkmcnt(0)
	v_mul_f64 v[108:109], v[3:4], v[105:106]
	v_mul_f64 v[105:106], v[1:2], v[105:106]
	v_fma_f64 v[1:2], v[1:2], v[103:104], -v[108:109]
	v_fma_f64 v[3:4], v[3:4], v[103:104], v[105:106]
	buffer_store_dword v2, off, s[0:3], 0 offset:308
	buffer_store_dword v1, off, s[0:3], 0 offset:304
	buffer_store_dword v4, off, s[0:3], 0 offset:316
	buffer_store_dword v3, off, s[0:3], 0 offset:312
.LBB111_227:
	s_or_b32 exec_lo, exec_lo, s6
	v_mov_b32_e32 v4, s38
	v_cmp_lt_u32_e64 s4, 18, v0
	s_clause 0x3
	buffer_load_dword v1, v4, s[0:3], 0 offen
	buffer_load_dword v2, v4, s[0:3], 0 offen offset:4
	buffer_load_dword v3, v4, s[0:3], 0 offen offset:8
	;; [unrolled: 1-line block ×3, first 2 shown]
	s_waitcnt vmcnt(0)
	ds_write_b128 v102, v[1:4]
	s_waitcnt lgkmcnt(0)
	s_waitcnt_vscnt null, 0x0
	s_barrier
	buffer_gl0_inv
	s_and_saveexec_b32 s6, s4
	s_cbranch_execz .LBB111_235
; %bb.228:
	ds_read_b128 v[1:4], v102
	s_andn2_b32 vcc_lo, exec_lo, s56
	s_cbranch_vccnz .LBB111_230
; %bb.229:
	s_clause 0x3
	buffer_load_dword v103, v101, s[0:3], 0 offen offset:8
	buffer_load_dword v104, v101, s[0:3], 0 offen offset:12
	buffer_load_dword v105, v101, s[0:3], 0 offen
	buffer_load_dword v106, v101, s[0:3], 0 offen offset:4
	s_waitcnt vmcnt(2) lgkmcnt(0)
	v_mul_f64 v[108:109], v[3:4], v[103:104]
	v_mul_f64 v[103:104], v[1:2], v[103:104]
	s_waitcnt vmcnt(0)
	v_fma_f64 v[1:2], v[1:2], v[105:106], -v[108:109]
	v_fma_f64 v[3:4], v[3:4], v[105:106], v[103:104]
.LBB111_230:
	s_and_saveexec_b32 s8, s5
	s_cbranch_execz .LBB111_234
; %bb.231:
	v_subrev_nc_u32_e32 v103, 19, v0
	s_movk_i32 s57, 0x430
	s_mov_b32 s5, 0
	s_mov_b32 s58, s37
	.p2align	6
.LBB111_232:                            ; =>This Inner Loop Header: Depth=1
	v_mov_b32_e32 v106, s58
	v_add_nc_u32_e32 v103, -1, v103
	s_add_i32 s58, s58, 16
	s_clause 0x3
	buffer_load_dword v104, v106, s[0:3], 0 offen offset:8
	buffer_load_dword v105, v106, s[0:3], 0 offen offset:12
	buffer_load_dword v112, v106, s[0:3], 0 offen
	buffer_load_dword v113, v106, s[0:3], 0 offen offset:4
	v_mov_b32_e32 v106, s57
	v_cmp_eq_u32_e32 vcc_lo, 0, v103
	s_add_i32 s57, s57, 16
	ds_read_b128 v[108:111], v106
	s_or_b32 s5, vcc_lo, s5
	s_waitcnt vmcnt(2) lgkmcnt(0)
	v_mul_f64 v[114:115], v[110:111], v[104:105]
	v_mul_f64 v[104:105], v[108:109], v[104:105]
	s_waitcnt vmcnt(0)
	v_fma_f64 v[108:109], v[108:109], v[112:113], -v[114:115]
	v_fma_f64 v[104:105], v[110:111], v[112:113], v[104:105]
	v_add_f64 v[1:2], v[1:2], v[108:109]
	v_add_f64 v[3:4], v[3:4], v[104:105]
	s_andn2_b32 exec_lo, exec_lo, s5
	s_cbranch_execnz .LBB111_232
; %bb.233:
	s_or_b32 exec_lo, exec_lo, s5
.LBB111_234:
	s_or_b32 exec_lo, exec_lo, s8
	v_mov_b32_e32 v103, 0
	ds_read_b128 v[103:106], v103 offset:288
	s_waitcnt lgkmcnt(0)
	v_mul_f64 v[108:109], v[3:4], v[105:106]
	v_mul_f64 v[105:106], v[1:2], v[105:106]
	v_fma_f64 v[1:2], v[1:2], v[103:104], -v[108:109]
	v_fma_f64 v[3:4], v[3:4], v[103:104], v[105:106]
	buffer_store_dword v2, off, s[0:3], 0 offset:292
	buffer_store_dword v1, off, s[0:3], 0 offset:288
	;; [unrolled: 1-line block ×4, first 2 shown]
.LBB111_235:
	s_or_b32 exec_lo, exec_lo, s6
	v_mov_b32_e32 v4, s39
	v_cmp_lt_u32_e64 s5, 17, v0
	s_clause 0x3
	buffer_load_dword v1, v4, s[0:3], 0 offen
	buffer_load_dword v2, v4, s[0:3], 0 offen offset:4
	buffer_load_dword v3, v4, s[0:3], 0 offen offset:8
	buffer_load_dword v4, v4, s[0:3], 0 offen offset:12
	s_waitcnt vmcnt(0)
	ds_write_b128 v102, v[1:4]
	s_waitcnt lgkmcnt(0)
	s_waitcnt_vscnt null, 0x0
	s_barrier
	buffer_gl0_inv
	s_and_saveexec_b32 s6, s5
	s_cbranch_execz .LBB111_243
; %bb.236:
	ds_read_b128 v[1:4], v102
	s_andn2_b32 vcc_lo, exec_lo, s56
	s_cbranch_vccnz .LBB111_238
; %bb.237:
	s_clause 0x3
	buffer_load_dword v103, v101, s[0:3], 0 offen offset:8
	buffer_load_dword v104, v101, s[0:3], 0 offen offset:12
	buffer_load_dword v105, v101, s[0:3], 0 offen
	buffer_load_dword v106, v101, s[0:3], 0 offen offset:4
	s_waitcnt vmcnt(2) lgkmcnt(0)
	v_mul_f64 v[108:109], v[3:4], v[103:104]
	v_mul_f64 v[103:104], v[1:2], v[103:104]
	s_waitcnt vmcnt(0)
	v_fma_f64 v[1:2], v[1:2], v[105:106], -v[108:109]
	v_fma_f64 v[3:4], v[3:4], v[105:106], v[103:104]
.LBB111_238:
	s_and_saveexec_b32 s8, s4
	s_cbranch_execz .LBB111_242
; %bb.239:
	v_subrev_nc_u32_e32 v103, 18, v0
	s_movk_i32 s57, 0x420
	s_mov_b32 s4, 0
	s_mov_b32 s58, s38
	.p2align	6
.LBB111_240:                            ; =>This Inner Loop Header: Depth=1
	v_mov_b32_e32 v106, s58
	v_add_nc_u32_e32 v103, -1, v103
	s_add_i32 s58, s58, 16
	s_clause 0x3
	buffer_load_dword v104, v106, s[0:3], 0 offen offset:8
	buffer_load_dword v105, v106, s[0:3], 0 offen offset:12
	buffer_load_dword v112, v106, s[0:3], 0 offen
	buffer_load_dword v113, v106, s[0:3], 0 offen offset:4
	v_mov_b32_e32 v106, s57
	v_cmp_eq_u32_e32 vcc_lo, 0, v103
	s_add_i32 s57, s57, 16
	ds_read_b128 v[108:111], v106
	s_or_b32 s4, vcc_lo, s4
	s_waitcnt vmcnt(2) lgkmcnt(0)
	v_mul_f64 v[114:115], v[110:111], v[104:105]
	v_mul_f64 v[104:105], v[108:109], v[104:105]
	s_waitcnt vmcnt(0)
	v_fma_f64 v[108:109], v[108:109], v[112:113], -v[114:115]
	v_fma_f64 v[104:105], v[110:111], v[112:113], v[104:105]
	v_add_f64 v[1:2], v[1:2], v[108:109]
	v_add_f64 v[3:4], v[3:4], v[104:105]
	s_andn2_b32 exec_lo, exec_lo, s4
	s_cbranch_execnz .LBB111_240
; %bb.241:
	s_or_b32 exec_lo, exec_lo, s4
.LBB111_242:
	s_or_b32 exec_lo, exec_lo, s8
	v_mov_b32_e32 v103, 0
	ds_read_b128 v[103:106], v103 offset:272
	s_waitcnt lgkmcnt(0)
	v_mul_f64 v[108:109], v[3:4], v[105:106]
	v_mul_f64 v[105:106], v[1:2], v[105:106]
	v_fma_f64 v[1:2], v[1:2], v[103:104], -v[108:109]
	v_fma_f64 v[3:4], v[3:4], v[103:104], v[105:106]
	buffer_store_dword v2, off, s[0:3], 0 offset:276
	buffer_store_dword v1, off, s[0:3], 0 offset:272
	;; [unrolled: 1-line block ×4, first 2 shown]
.LBB111_243:
	s_or_b32 exec_lo, exec_lo, s6
	v_mov_b32_e32 v4, s40
	v_cmp_lt_u32_e64 s4, 16, v0
	s_clause 0x3
	buffer_load_dword v1, v4, s[0:3], 0 offen
	buffer_load_dword v2, v4, s[0:3], 0 offen offset:4
	buffer_load_dword v3, v4, s[0:3], 0 offen offset:8
	;; [unrolled: 1-line block ×3, first 2 shown]
	s_waitcnt vmcnt(0)
	ds_write_b128 v102, v[1:4]
	s_waitcnt lgkmcnt(0)
	s_waitcnt_vscnt null, 0x0
	s_barrier
	buffer_gl0_inv
	s_and_saveexec_b32 s6, s4
	s_cbranch_execz .LBB111_251
; %bb.244:
	ds_read_b128 v[1:4], v102
	s_andn2_b32 vcc_lo, exec_lo, s56
	s_cbranch_vccnz .LBB111_246
; %bb.245:
	s_clause 0x3
	buffer_load_dword v103, v101, s[0:3], 0 offen offset:8
	buffer_load_dword v104, v101, s[0:3], 0 offen offset:12
	buffer_load_dword v105, v101, s[0:3], 0 offen
	buffer_load_dword v106, v101, s[0:3], 0 offen offset:4
	s_waitcnt vmcnt(2) lgkmcnt(0)
	v_mul_f64 v[108:109], v[3:4], v[103:104]
	v_mul_f64 v[103:104], v[1:2], v[103:104]
	s_waitcnt vmcnt(0)
	v_fma_f64 v[1:2], v[1:2], v[105:106], -v[108:109]
	v_fma_f64 v[3:4], v[3:4], v[105:106], v[103:104]
.LBB111_246:
	s_and_saveexec_b32 s8, s5
	s_cbranch_execz .LBB111_250
; %bb.247:
	v_subrev_nc_u32_e32 v103, 17, v0
	s_movk_i32 s57, 0x410
	s_mov_b32 s5, 0
	s_mov_b32 s58, s39
	.p2align	6
.LBB111_248:                            ; =>This Inner Loop Header: Depth=1
	v_mov_b32_e32 v106, s58
	v_add_nc_u32_e32 v103, -1, v103
	s_add_i32 s58, s58, 16
	s_clause 0x3
	buffer_load_dword v104, v106, s[0:3], 0 offen offset:8
	buffer_load_dword v105, v106, s[0:3], 0 offen offset:12
	buffer_load_dword v112, v106, s[0:3], 0 offen
	buffer_load_dword v113, v106, s[0:3], 0 offen offset:4
	v_mov_b32_e32 v106, s57
	v_cmp_eq_u32_e32 vcc_lo, 0, v103
	s_add_i32 s57, s57, 16
	ds_read_b128 v[108:111], v106
	s_or_b32 s5, vcc_lo, s5
	s_waitcnt vmcnt(2) lgkmcnt(0)
	v_mul_f64 v[114:115], v[110:111], v[104:105]
	v_mul_f64 v[104:105], v[108:109], v[104:105]
	s_waitcnt vmcnt(0)
	v_fma_f64 v[108:109], v[108:109], v[112:113], -v[114:115]
	v_fma_f64 v[104:105], v[110:111], v[112:113], v[104:105]
	v_add_f64 v[1:2], v[1:2], v[108:109]
	v_add_f64 v[3:4], v[3:4], v[104:105]
	s_andn2_b32 exec_lo, exec_lo, s5
	s_cbranch_execnz .LBB111_248
; %bb.249:
	s_or_b32 exec_lo, exec_lo, s5
.LBB111_250:
	s_or_b32 exec_lo, exec_lo, s8
	v_mov_b32_e32 v103, 0
	ds_read_b128 v[103:106], v103 offset:256
	s_waitcnt lgkmcnt(0)
	v_mul_f64 v[108:109], v[3:4], v[105:106]
	v_mul_f64 v[105:106], v[1:2], v[105:106]
	v_fma_f64 v[1:2], v[1:2], v[103:104], -v[108:109]
	v_fma_f64 v[3:4], v[3:4], v[103:104], v[105:106]
	buffer_store_dword v2, off, s[0:3], 0 offset:260
	buffer_store_dword v1, off, s[0:3], 0 offset:256
	;; [unrolled: 1-line block ×4, first 2 shown]
.LBB111_251:
	s_or_b32 exec_lo, exec_lo, s6
	v_mov_b32_e32 v4, s41
	v_cmp_lt_u32_e64 s5, 15, v0
	s_clause 0x3
	buffer_load_dword v1, v4, s[0:3], 0 offen
	buffer_load_dword v2, v4, s[0:3], 0 offen offset:4
	buffer_load_dword v3, v4, s[0:3], 0 offen offset:8
	;; [unrolled: 1-line block ×3, first 2 shown]
	s_waitcnt vmcnt(0)
	ds_write_b128 v102, v[1:4]
	s_waitcnt lgkmcnt(0)
	s_waitcnt_vscnt null, 0x0
	s_barrier
	buffer_gl0_inv
	s_and_saveexec_b32 s6, s5
	s_cbranch_execz .LBB111_259
; %bb.252:
	ds_read_b128 v[1:4], v102
	s_andn2_b32 vcc_lo, exec_lo, s56
	s_cbranch_vccnz .LBB111_254
; %bb.253:
	s_clause 0x3
	buffer_load_dword v103, v101, s[0:3], 0 offen offset:8
	buffer_load_dword v104, v101, s[0:3], 0 offen offset:12
	buffer_load_dword v105, v101, s[0:3], 0 offen
	buffer_load_dword v106, v101, s[0:3], 0 offen offset:4
	s_waitcnt vmcnt(2) lgkmcnt(0)
	v_mul_f64 v[108:109], v[3:4], v[103:104]
	v_mul_f64 v[103:104], v[1:2], v[103:104]
	s_waitcnt vmcnt(0)
	v_fma_f64 v[1:2], v[1:2], v[105:106], -v[108:109]
	v_fma_f64 v[3:4], v[3:4], v[105:106], v[103:104]
.LBB111_254:
	s_and_saveexec_b32 s8, s4
	s_cbranch_execz .LBB111_258
; %bb.255:
	v_add_nc_u32_e32 v103, -16, v0
	s_movk_i32 s57, 0x400
	s_mov_b32 s4, 0
	s_mov_b32 s58, s40
	.p2align	6
.LBB111_256:                            ; =>This Inner Loop Header: Depth=1
	v_mov_b32_e32 v106, s58
	v_add_nc_u32_e32 v103, -1, v103
	s_add_i32 s58, s58, 16
	s_clause 0x3
	buffer_load_dword v104, v106, s[0:3], 0 offen offset:8
	buffer_load_dword v105, v106, s[0:3], 0 offen offset:12
	buffer_load_dword v112, v106, s[0:3], 0 offen
	buffer_load_dword v113, v106, s[0:3], 0 offen offset:4
	v_mov_b32_e32 v106, s57
	v_cmp_eq_u32_e32 vcc_lo, 0, v103
	s_add_i32 s57, s57, 16
	ds_read_b128 v[108:111], v106
	s_or_b32 s4, vcc_lo, s4
	s_waitcnt vmcnt(2) lgkmcnt(0)
	v_mul_f64 v[114:115], v[110:111], v[104:105]
	v_mul_f64 v[104:105], v[108:109], v[104:105]
	s_waitcnt vmcnt(0)
	v_fma_f64 v[108:109], v[108:109], v[112:113], -v[114:115]
	v_fma_f64 v[104:105], v[110:111], v[112:113], v[104:105]
	v_add_f64 v[1:2], v[1:2], v[108:109]
	v_add_f64 v[3:4], v[3:4], v[104:105]
	s_andn2_b32 exec_lo, exec_lo, s4
	s_cbranch_execnz .LBB111_256
; %bb.257:
	s_or_b32 exec_lo, exec_lo, s4
.LBB111_258:
	s_or_b32 exec_lo, exec_lo, s8
	v_mov_b32_e32 v103, 0
	ds_read_b128 v[103:106], v103 offset:240
	s_waitcnt lgkmcnt(0)
	v_mul_f64 v[108:109], v[3:4], v[105:106]
	v_mul_f64 v[105:106], v[1:2], v[105:106]
	v_fma_f64 v[1:2], v[1:2], v[103:104], -v[108:109]
	v_fma_f64 v[3:4], v[3:4], v[103:104], v[105:106]
	buffer_store_dword v2, off, s[0:3], 0 offset:244
	buffer_store_dword v1, off, s[0:3], 0 offset:240
	buffer_store_dword v4, off, s[0:3], 0 offset:252
	buffer_store_dword v3, off, s[0:3], 0 offset:248
.LBB111_259:
	s_or_b32 exec_lo, exec_lo, s6
	v_mov_b32_e32 v4, s42
	v_cmp_lt_u32_e64 s4, 14, v0
	s_clause 0x3
	buffer_load_dword v1, v4, s[0:3], 0 offen
	buffer_load_dword v2, v4, s[0:3], 0 offen offset:4
	buffer_load_dword v3, v4, s[0:3], 0 offen offset:8
	;; [unrolled: 1-line block ×3, first 2 shown]
	s_waitcnt vmcnt(0)
	ds_write_b128 v102, v[1:4]
	s_waitcnt lgkmcnt(0)
	s_waitcnt_vscnt null, 0x0
	s_barrier
	buffer_gl0_inv
	s_and_saveexec_b32 s6, s4
	s_cbranch_execz .LBB111_267
; %bb.260:
	ds_read_b128 v[1:4], v102
	s_andn2_b32 vcc_lo, exec_lo, s56
	s_cbranch_vccnz .LBB111_262
; %bb.261:
	s_clause 0x3
	buffer_load_dword v103, v101, s[0:3], 0 offen offset:8
	buffer_load_dword v104, v101, s[0:3], 0 offen offset:12
	buffer_load_dword v105, v101, s[0:3], 0 offen
	buffer_load_dword v106, v101, s[0:3], 0 offen offset:4
	s_waitcnt vmcnt(2) lgkmcnt(0)
	v_mul_f64 v[108:109], v[3:4], v[103:104]
	v_mul_f64 v[103:104], v[1:2], v[103:104]
	s_waitcnt vmcnt(0)
	v_fma_f64 v[1:2], v[1:2], v[105:106], -v[108:109]
	v_fma_f64 v[3:4], v[3:4], v[105:106], v[103:104]
.LBB111_262:
	s_and_saveexec_b32 s8, s5
	s_cbranch_execz .LBB111_266
; %bb.263:
	v_add_nc_u32_e32 v103, -15, v0
	s_movk_i32 s57, 0x3f0
	s_mov_b32 s5, 0
	s_mov_b32 s58, s41
	.p2align	6
.LBB111_264:                            ; =>This Inner Loop Header: Depth=1
	v_mov_b32_e32 v106, s58
	v_add_nc_u32_e32 v103, -1, v103
	s_add_i32 s58, s58, 16
	s_clause 0x3
	buffer_load_dword v104, v106, s[0:3], 0 offen offset:8
	buffer_load_dword v105, v106, s[0:3], 0 offen offset:12
	buffer_load_dword v112, v106, s[0:3], 0 offen
	buffer_load_dword v113, v106, s[0:3], 0 offen offset:4
	v_mov_b32_e32 v106, s57
	v_cmp_eq_u32_e32 vcc_lo, 0, v103
	s_add_i32 s57, s57, 16
	ds_read_b128 v[108:111], v106
	s_or_b32 s5, vcc_lo, s5
	s_waitcnt vmcnt(2) lgkmcnt(0)
	v_mul_f64 v[114:115], v[110:111], v[104:105]
	v_mul_f64 v[104:105], v[108:109], v[104:105]
	s_waitcnt vmcnt(0)
	v_fma_f64 v[108:109], v[108:109], v[112:113], -v[114:115]
	v_fma_f64 v[104:105], v[110:111], v[112:113], v[104:105]
	v_add_f64 v[1:2], v[1:2], v[108:109]
	v_add_f64 v[3:4], v[3:4], v[104:105]
	s_andn2_b32 exec_lo, exec_lo, s5
	s_cbranch_execnz .LBB111_264
; %bb.265:
	s_or_b32 exec_lo, exec_lo, s5
.LBB111_266:
	s_or_b32 exec_lo, exec_lo, s8
	v_mov_b32_e32 v103, 0
	ds_read_b128 v[103:106], v103 offset:224
	s_waitcnt lgkmcnt(0)
	v_mul_f64 v[108:109], v[3:4], v[105:106]
	v_mul_f64 v[105:106], v[1:2], v[105:106]
	v_fma_f64 v[1:2], v[1:2], v[103:104], -v[108:109]
	v_fma_f64 v[3:4], v[3:4], v[103:104], v[105:106]
	buffer_store_dword v2, off, s[0:3], 0 offset:228
	buffer_store_dword v1, off, s[0:3], 0 offset:224
	;; [unrolled: 1-line block ×4, first 2 shown]
.LBB111_267:
	s_or_b32 exec_lo, exec_lo, s6
	v_mov_b32_e32 v4, s43
	v_cmp_lt_u32_e64 s5, 13, v0
	s_clause 0x3
	buffer_load_dword v1, v4, s[0:3], 0 offen
	buffer_load_dword v2, v4, s[0:3], 0 offen offset:4
	buffer_load_dword v3, v4, s[0:3], 0 offen offset:8
	;; [unrolled: 1-line block ×3, first 2 shown]
	s_waitcnt vmcnt(0)
	ds_write_b128 v102, v[1:4]
	s_waitcnt lgkmcnt(0)
	s_waitcnt_vscnt null, 0x0
	s_barrier
	buffer_gl0_inv
	s_and_saveexec_b32 s6, s5
	s_cbranch_execz .LBB111_275
; %bb.268:
	ds_read_b128 v[1:4], v102
	s_andn2_b32 vcc_lo, exec_lo, s56
	s_cbranch_vccnz .LBB111_270
; %bb.269:
	s_clause 0x3
	buffer_load_dword v103, v101, s[0:3], 0 offen offset:8
	buffer_load_dword v104, v101, s[0:3], 0 offen offset:12
	buffer_load_dword v105, v101, s[0:3], 0 offen
	buffer_load_dword v106, v101, s[0:3], 0 offen offset:4
	s_waitcnt vmcnt(2) lgkmcnt(0)
	v_mul_f64 v[108:109], v[3:4], v[103:104]
	v_mul_f64 v[103:104], v[1:2], v[103:104]
	s_waitcnt vmcnt(0)
	v_fma_f64 v[1:2], v[1:2], v[105:106], -v[108:109]
	v_fma_f64 v[3:4], v[3:4], v[105:106], v[103:104]
.LBB111_270:
	s_and_saveexec_b32 s8, s4
	s_cbranch_execz .LBB111_274
; %bb.271:
	v_add_nc_u32_e32 v103, -14, v0
	s_movk_i32 s57, 0x3e0
	s_mov_b32 s4, 0
	s_mov_b32 s58, s42
	.p2align	6
.LBB111_272:                            ; =>This Inner Loop Header: Depth=1
	v_mov_b32_e32 v106, s58
	v_add_nc_u32_e32 v103, -1, v103
	s_add_i32 s58, s58, 16
	s_clause 0x3
	buffer_load_dword v104, v106, s[0:3], 0 offen offset:8
	buffer_load_dword v105, v106, s[0:3], 0 offen offset:12
	buffer_load_dword v112, v106, s[0:3], 0 offen
	buffer_load_dword v113, v106, s[0:3], 0 offen offset:4
	v_mov_b32_e32 v106, s57
	v_cmp_eq_u32_e32 vcc_lo, 0, v103
	s_add_i32 s57, s57, 16
	ds_read_b128 v[108:111], v106
	s_or_b32 s4, vcc_lo, s4
	s_waitcnt vmcnt(2) lgkmcnt(0)
	v_mul_f64 v[114:115], v[110:111], v[104:105]
	v_mul_f64 v[104:105], v[108:109], v[104:105]
	s_waitcnt vmcnt(0)
	v_fma_f64 v[108:109], v[108:109], v[112:113], -v[114:115]
	v_fma_f64 v[104:105], v[110:111], v[112:113], v[104:105]
	v_add_f64 v[1:2], v[1:2], v[108:109]
	v_add_f64 v[3:4], v[3:4], v[104:105]
	s_andn2_b32 exec_lo, exec_lo, s4
	s_cbranch_execnz .LBB111_272
; %bb.273:
	s_or_b32 exec_lo, exec_lo, s4
.LBB111_274:
	s_or_b32 exec_lo, exec_lo, s8
	v_mov_b32_e32 v103, 0
	ds_read_b128 v[103:106], v103 offset:208
	s_waitcnt lgkmcnt(0)
	v_mul_f64 v[108:109], v[3:4], v[105:106]
	v_mul_f64 v[105:106], v[1:2], v[105:106]
	v_fma_f64 v[1:2], v[1:2], v[103:104], -v[108:109]
	v_fma_f64 v[3:4], v[3:4], v[103:104], v[105:106]
	buffer_store_dword v2, off, s[0:3], 0 offset:212
	buffer_store_dword v1, off, s[0:3], 0 offset:208
	;; [unrolled: 1-line block ×4, first 2 shown]
.LBB111_275:
	s_or_b32 exec_lo, exec_lo, s6
	v_mov_b32_e32 v4, s44
	v_cmp_lt_u32_e64 s4, 12, v0
	s_clause 0x3
	buffer_load_dword v1, v4, s[0:3], 0 offen
	buffer_load_dword v2, v4, s[0:3], 0 offen offset:4
	buffer_load_dword v3, v4, s[0:3], 0 offen offset:8
	;; [unrolled: 1-line block ×3, first 2 shown]
	s_waitcnt vmcnt(0)
	ds_write_b128 v102, v[1:4]
	s_waitcnt lgkmcnt(0)
	s_waitcnt_vscnt null, 0x0
	s_barrier
	buffer_gl0_inv
	s_and_saveexec_b32 s6, s4
	s_cbranch_execz .LBB111_283
; %bb.276:
	ds_read_b128 v[1:4], v102
	s_andn2_b32 vcc_lo, exec_lo, s56
	s_cbranch_vccnz .LBB111_278
; %bb.277:
	s_clause 0x3
	buffer_load_dword v103, v101, s[0:3], 0 offen offset:8
	buffer_load_dword v104, v101, s[0:3], 0 offen offset:12
	buffer_load_dword v105, v101, s[0:3], 0 offen
	buffer_load_dword v106, v101, s[0:3], 0 offen offset:4
	s_waitcnt vmcnt(2) lgkmcnt(0)
	v_mul_f64 v[108:109], v[3:4], v[103:104]
	v_mul_f64 v[103:104], v[1:2], v[103:104]
	s_waitcnt vmcnt(0)
	v_fma_f64 v[1:2], v[1:2], v[105:106], -v[108:109]
	v_fma_f64 v[3:4], v[3:4], v[105:106], v[103:104]
.LBB111_278:
	s_and_saveexec_b32 s8, s5
	s_cbranch_execz .LBB111_282
; %bb.279:
	v_add_nc_u32_e32 v103, -13, v0
	s_movk_i32 s57, 0x3d0
	s_mov_b32 s5, 0
	s_mov_b32 s58, s43
	.p2align	6
.LBB111_280:                            ; =>This Inner Loop Header: Depth=1
	v_mov_b32_e32 v106, s58
	v_add_nc_u32_e32 v103, -1, v103
	s_add_i32 s58, s58, 16
	s_clause 0x3
	buffer_load_dword v104, v106, s[0:3], 0 offen offset:8
	buffer_load_dword v105, v106, s[0:3], 0 offen offset:12
	buffer_load_dword v112, v106, s[0:3], 0 offen
	buffer_load_dword v113, v106, s[0:3], 0 offen offset:4
	v_mov_b32_e32 v106, s57
	v_cmp_eq_u32_e32 vcc_lo, 0, v103
	s_add_i32 s57, s57, 16
	ds_read_b128 v[108:111], v106
	s_or_b32 s5, vcc_lo, s5
	s_waitcnt vmcnt(2) lgkmcnt(0)
	v_mul_f64 v[114:115], v[110:111], v[104:105]
	v_mul_f64 v[104:105], v[108:109], v[104:105]
	s_waitcnt vmcnt(0)
	v_fma_f64 v[108:109], v[108:109], v[112:113], -v[114:115]
	v_fma_f64 v[104:105], v[110:111], v[112:113], v[104:105]
	v_add_f64 v[1:2], v[1:2], v[108:109]
	v_add_f64 v[3:4], v[3:4], v[104:105]
	s_andn2_b32 exec_lo, exec_lo, s5
	s_cbranch_execnz .LBB111_280
; %bb.281:
	s_or_b32 exec_lo, exec_lo, s5
.LBB111_282:
	s_or_b32 exec_lo, exec_lo, s8
	v_mov_b32_e32 v103, 0
	ds_read_b128 v[103:106], v103 offset:192
	s_waitcnt lgkmcnt(0)
	v_mul_f64 v[108:109], v[3:4], v[105:106]
	v_mul_f64 v[105:106], v[1:2], v[105:106]
	v_fma_f64 v[1:2], v[1:2], v[103:104], -v[108:109]
	v_fma_f64 v[3:4], v[3:4], v[103:104], v[105:106]
	buffer_store_dword v2, off, s[0:3], 0 offset:196
	buffer_store_dword v1, off, s[0:3], 0 offset:192
	;; [unrolled: 1-line block ×4, first 2 shown]
.LBB111_283:
	s_or_b32 exec_lo, exec_lo, s6
	v_mov_b32_e32 v4, s45
	v_cmp_lt_u32_e64 s5, 11, v0
	s_clause 0x3
	buffer_load_dword v1, v4, s[0:3], 0 offen
	buffer_load_dword v2, v4, s[0:3], 0 offen offset:4
	buffer_load_dword v3, v4, s[0:3], 0 offen offset:8
	;; [unrolled: 1-line block ×3, first 2 shown]
	s_waitcnt vmcnt(0)
	ds_write_b128 v102, v[1:4]
	s_waitcnt lgkmcnt(0)
	s_waitcnt_vscnt null, 0x0
	s_barrier
	buffer_gl0_inv
	s_and_saveexec_b32 s6, s5
	s_cbranch_execz .LBB111_291
; %bb.284:
	ds_read_b128 v[1:4], v102
	s_andn2_b32 vcc_lo, exec_lo, s56
	s_cbranch_vccnz .LBB111_286
; %bb.285:
	s_clause 0x3
	buffer_load_dword v103, v101, s[0:3], 0 offen offset:8
	buffer_load_dword v104, v101, s[0:3], 0 offen offset:12
	buffer_load_dword v105, v101, s[0:3], 0 offen
	buffer_load_dword v106, v101, s[0:3], 0 offen offset:4
	s_waitcnt vmcnt(2) lgkmcnt(0)
	v_mul_f64 v[108:109], v[3:4], v[103:104]
	v_mul_f64 v[103:104], v[1:2], v[103:104]
	s_waitcnt vmcnt(0)
	v_fma_f64 v[1:2], v[1:2], v[105:106], -v[108:109]
	v_fma_f64 v[3:4], v[3:4], v[105:106], v[103:104]
.LBB111_286:
	s_and_saveexec_b32 s8, s4
	s_cbranch_execz .LBB111_290
; %bb.287:
	v_add_nc_u32_e32 v103, -12, v0
	s_movk_i32 s57, 0x3c0
	s_mov_b32 s4, 0
	s_mov_b32 s58, s44
	.p2align	6
.LBB111_288:                            ; =>This Inner Loop Header: Depth=1
	v_mov_b32_e32 v106, s58
	v_add_nc_u32_e32 v103, -1, v103
	s_add_i32 s58, s58, 16
	s_clause 0x3
	buffer_load_dword v104, v106, s[0:3], 0 offen offset:8
	buffer_load_dword v105, v106, s[0:3], 0 offen offset:12
	buffer_load_dword v112, v106, s[0:3], 0 offen
	buffer_load_dword v113, v106, s[0:3], 0 offen offset:4
	v_mov_b32_e32 v106, s57
	v_cmp_eq_u32_e32 vcc_lo, 0, v103
	s_add_i32 s57, s57, 16
	ds_read_b128 v[108:111], v106
	s_or_b32 s4, vcc_lo, s4
	s_waitcnt vmcnt(2) lgkmcnt(0)
	v_mul_f64 v[114:115], v[110:111], v[104:105]
	v_mul_f64 v[104:105], v[108:109], v[104:105]
	s_waitcnt vmcnt(0)
	v_fma_f64 v[108:109], v[108:109], v[112:113], -v[114:115]
	v_fma_f64 v[104:105], v[110:111], v[112:113], v[104:105]
	v_add_f64 v[1:2], v[1:2], v[108:109]
	v_add_f64 v[3:4], v[3:4], v[104:105]
	s_andn2_b32 exec_lo, exec_lo, s4
	s_cbranch_execnz .LBB111_288
; %bb.289:
	s_or_b32 exec_lo, exec_lo, s4
.LBB111_290:
	s_or_b32 exec_lo, exec_lo, s8
	v_mov_b32_e32 v103, 0
	ds_read_b128 v[103:106], v103 offset:176
	s_waitcnt lgkmcnt(0)
	v_mul_f64 v[108:109], v[3:4], v[105:106]
	v_mul_f64 v[105:106], v[1:2], v[105:106]
	v_fma_f64 v[1:2], v[1:2], v[103:104], -v[108:109]
	v_fma_f64 v[3:4], v[3:4], v[103:104], v[105:106]
	buffer_store_dword v2, off, s[0:3], 0 offset:180
	buffer_store_dword v1, off, s[0:3], 0 offset:176
	;; [unrolled: 1-line block ×4, first 2 shown]
.LBB111_291:
	s_or_b32 exec_lo, exec_lo, s6
	v_mov_b32_e32 v4, s46
	v_cmp_lt_u32_e64 s4, 10, v0
	s_clause 0x3
	buffer_load_dword v1, v4, s[0:3], 0 offen
	buffer_load_dword v2, v4, s[0:3], 0 offen offset:4
	buffer_load_dword v3, v4, s[0:3], 0 offen offset:8
	;; [unrolled: 1-line block ×3, first 2 shown]
	s_waitcnt vmcnt(0)
	ds_write_b128 v102, v[1:4]
	s_waitcnt lgkmcnt(0)
	s_waitcnt_vscnt null, 0x0
	s_barrier
	buffer_gl0_inv
	s_and_saveexec_b32 s6, s4
	s_cbranch_execz .LBB111_299
; %bb.292:
	ds_read_b128 v[1:4], v102
	s_andn2_b32 vcc_lo, exec_lo, s56
	s_cbranch_vccnz .LBB111_294
; %bb.293:
	s_clause 0x3
	buffer_load_dword v103, v101, s[0:3], 0 offen offset:8
	buffer_load_dword v104, v101, s[0:3], 0 offen offset:12
	buffer_load_dword v105, v101, s[0:3], 0 offen
	buffer_load_dword v106, v101, s[0:3], 0 offen offset:4
	s_waitcnt vmcnt(2) lgkmcnt(0)
	v_mul_f64 v[108:109], v[3:4], v[103:104]
	v_mul_f64 v[103:104], v[1:2], v[103:104]
	s_waitcnt vmcnt(0)
	v_fma_f64 v[1:2], v[1:2], v[105:106], -v[108:109]
	v_fma_f64 v[3:4], v[3:4], v[105:106], v[103:104]
.LBB111_294:
	s_and_saveexec_b32 s8, s5
	s_cbranch_execz .LBB111_298
; %bb.295:
	v_add_nc_u32_e32 v103, -11, v0
	s_movk_i32 s57, 0x3b0
	s_mov_b32 s5, 0
	s_mov_b32 s58, s45
	.p2align	6
.LBB111_296:                            ; =>This Inner Loop Header: Depth=1
	v_mov_b32_e32 v106, s58
	v_add_nc_u32_e32 v103, -1, v103
	s_add_i32 s58, s58, 16
	s_clause 0x3
	buffer_load_dword v104, v106, s[0:3], 0 offen offset:8
	buffer_load_dword v105, v106, s[0:3], 0 offen offset:12
	buffer_load_dword v112, v106, s[0:3], 0 offen
	buffer_load_dword v113, v106, s[0:3], 0 offen offset:4
	v_mov_b32_e32 v106, s57
	v_cmp_eq_u32_e32 vcc_lo, 0, v103
	s_add_i32 s57, s57, 16
	ds_read_b128 v[108:111], v106
	s_or_b32 s5, vcc_lo, s5
	s_waitcnt vmcnt(2) lgkmcnt(0)
	v_mul_f64 v[114:115], v[110:111], v[104:105]
	v_mul_f64 v[104:105], v[108:109], v[104:105]
	s_waitcnt vmcnt(0)
	v_fma_f64 v[108:109], v[108:109], v[112:113], -v[114:115]
	v_fma_f64 v[104:105], v[110:111], v[112:113], v[104:105]
	v_add_f64 v[1:2], v[1:2], v[108:109]
	v_add_f64 v[3:4], v[3:4], v[104:105]
	s_andn2_b32 exec_lo, exec_lo, s5
	s_cbranch_execnz .LBB111_296
; %bb.297:
	s_or_b32 exec_lo, exec_lo, s5
.LBB111_298:
	s_or_b32 exec_lo, exec_lo, s8
	v_mov_b32_e32 v103, 0
	ds_read_b128 v[103:106], v103 offset:160
	s_waitcnt lgkmcnt(0)
	v_mul_f64 v[108:109], v[3:4], v[105:106]
	v_mul_f64 v[105:106], v[1:2], v[105:106]
	v_fma_f64 v[1:2], v[1:2], v[103:104], -v[108:109]
	v_fma_f64 v[3:4], v[3:4], v[103:104], v[105:106]
	buffer_store_dword v2, off, s[0:3], 0 offset:164
	buffer_store_dword v1, off, s[0:3], 0 offset:160
	;; [unrolled: 1-line block ×4, first 2 shown]
.LBB111_299:
	s_or_b32 exec_lo, exec_lo, s6
	v_mov_b32_e32 v4, s47
	v_cmp_lt_u32_e64 s5, 9, v0
	s_clause 0x3
	buffer_load_dword v1, v4, s[0:3], 0 offen
	buffer_load_dword v2, v4, s[0:3], 0 offen offset:4
	buffer_load_dword v3, v4, s[0:3], 0 offen offset:8
	;; [unrolled: 1-line block ×3, first 2 shown]
	s_waitcnt vmcnt(0)
	ds_write_b128 v102, v[1:4]
	s_waitcnt lgkmcnt(0)
	s_waitcnt_vscnt null, 0x0
	s_barrier
	buffer_gl0_inv
	s_and_saveexec_b32 s6, s5
	s_cbranch_execz .LBB111_307
; %bb.300:
	ds_read_b128 v[1:4], v102
	s_andn2_b32 vcc_lo, exec_lo, s56
	s_cbranch_vccnz .LBB111_302
; %bb.301:
	s_clause 0x3
	buffer_load_dword v103, v101, s[0:3], 0 offen offset:8
	buffer_load_dword v104, v101, s[0:3], 0 offen offset:12
	buffer_load_dword v105, v101, s[0:3], 0 offen
	buffer_load_dword v106, v101, s[0:3], 0 offen offset:4
	s_waitcnt vmcnt(2) lgkmcnt(0)
	v_mul_f64 v[108:109], v[3:4], v[103:104]
	v_mul_f64 v[103:104], v[1:2], v[103:104]
	s_waitcnt vmcnt(0)
	v_fma_f64 v[1:2], v[1:2], v[105:106], -v[108:109]
	v_fma_f64 v[3:4], v[3:4], v[105:106], v[103:104]
.LBB111_302:
	s_and_saveexec_b32 s8, s4
	s_cbranch_execz .LBB111_306
; %bb.303:
	v_add_nc_u32_e32 v103, -10, v0
	s_movk_i32 s57, 0x3a0
	s_mov_b32 s4, 0
	s_mov_b32 s58, s46
	.p2align	6
.LBB111_304:                            ; =>This Inner Loop Header: Depth=1
	v_mov_b32_e32 v106, s58
	v_add_nc_u32_e32 v103, -1, v103
	s_add_i32 s58, s58, 16
	s_clause 0x3
	buffer_load_dword v104, v106, s[0:3], 0 offen offset:8
	buffer_load_dword v105, v106, s[0:3], 0 offen offset:12
	buffer_load_dword v112, v106, s[0:3], 0 offen
	buffer_load_dword v113, v106, s[0:3], 0 offen offset:4
	v_mov_b32_e32 v106, s57
	v_cmp_eq_u32_e32 vcc_lo, 0, v103
	s_add_i32 s57, s57, 16
	ds_read_b128 v[108:111], v106
	s_or_b32 s4, vcc_lo, s4
	s_waitcnt vmcnt(2) lgkmcnt(0)
	v_mul_f64 v[114:115], v[110:111], v[104:105]
	v_mul_f64 v[104:105], v[108:109], v[104:105]
	s_waitcnt vmcnt(0)
	v_fma_f64 v[108:109], v[108:109], v[112:113], -v[114:115]
	v_fma_f64 v[104:105], v[110:111], v[112:113], v[104:105]
	v_add_f64 v[1:2], v[1:2], v[108:109]
	v_add_f64 v[3:4], v[3:4], v[104:105]
	s_andn2_b32 exec_lo, exec_lo, s4
	s_cbranch_execnz .LBB111_304
; %bb.305:
	s_or_b32 exec_lo, exec_lo, s4
.LBB111_306:
	s_or_b32 exec_lo, exec_lo, s8
	v_mov_b32_e32 v103, 0
	ds_read_b128 v[103:106], v103 offset:144
	s_waitcnt lgkmcnt(0)
	v_mul_f64 v[108:109], v[3:4], v[105:106]
	v_mul_f64 v[105:106], v[1:2], v[105:106]
	v_fma_f64 v[1:2], v[1:2], v[103:104], -v[108:109]
	v_fma_f64 v[3:4], v[3:4], v[103:104], v[105:106]
	buffer_store_dword v2, off, s[0:3], 0 offset:148
	buffer_store_dword v1, off, s[0:3], 0 offset:144
	;; [unrolled: 1-line block ×4, first 2 shown]
.LBB111_307:
	s_or_b32 exec_lo, exec_lo, s6
	v_mov_b32_e32 v4, s48
	v_cmp_lt_u32_e64 s4, 8, v0
	s_clause 0x3
	buffer_load_dword v1, v4, s[0:3], 0 offen
	buffer_load_dword v2, v4, s[0:3], 0 offen offset:4
	buffer_load_dword v3, v4, s[0:3], 0 offen offset:8
	;; [unrolled: 1-line block ×3, first 2 shown]
	s_waitcnt vmcnt(0)
	ds_write_b128 v102, v[1:4]
	s_waitcnt lgkmcnt(0)
	s_waitcnt_vscnt null, 0x0
	s_barrier
	buffer_gl0_inv
	s_and_saveexec_b32 s6, s4
	s_cbranch_execz .LBB111_315
; %bb.308:
	ds_read_b128 v[1:4], v102
	s_andn2_b32 vcc_lo, exec_lo, s56
	s_cbranch_vccnz .LBB111_310
; %bb.309:
	s_clause 0x3
	buffer_load_dword v103, v101, s[0:3], 0 offen offset:8
	buffer_load_dword v104, v101, s[0:3], 0 offen offset:12
	buffer_load_dword v105, v101, s[0:3], 0 offen
	buffer_load_dword v106, v101, s[0:3], 0 offen offset:4
	s_waitcnt vmcnt(2) lgkmcnt(0)
	v_mul_f64 v[108:109], v[3:4], v[103:104]
	v_mul_f64 v[103:104], v[1:2], v[103:104]
	s_waitcnt vmcnt(0)
	v_fma_f64 v[1:2], v[1:2], v[105:106], -v[108:109]
	v_fma_f64 v[3:4], v[3:4], v[105:106], v[103:104]
.LBB111_310:
	s_and_saveexec_b32 s8, s5
	s_cbranch_execz .LBB111_314
; %bb.311:
	v_add_nc_u32_e32 v103, -9, v0
	s_movk_i32 s57, 0x390
	s_mov_b32 s5, 0
	s_mov_b32 s58, s47
	.p2align	6
.LBB111_312:                            ; =>This Inner Loop Header: Depth=1
	v_mov_b32_e32 v106, s58
	v_add_nc_u32_e32 v103, -1, v103
	s_add_i32 s58, s58, 16
	s_clause 0x3
	buffer_load_dword v104, v106, s[0:3], 0 offen offset:8
	buffer_load_dword v105, v106, s[0:3], 0 offen offset:12
	buffer_load_dword v112, v106, s[0:3], 0 offen
	buffer_load_dword v113, v106, s[0:3], 0 offen offset:4
	v_mov_b32_e32 v106, s57
	v_cmp_eq_u32_e32 vcc_lo, 0, v103
	s_add_i32 s57, s57, 16
	ds_read_b128 v[108:111], v106
	s_or_b32 s5, vcc_lo, s5
	s_waitcnt vmcnt(2) lgkmcnt(0)
	v_mul_f64 v[114:115], v[110:111], v[104:105]
	v_mul_f64 v[104:105], v[108:109], v[104:105]
	s_waitcnt vmcnt(0)
	v_fma_f64 v[108:109], v[108:109], v[112:113], -v[114:115]
	v_fma_f64 v[104:105], v[110:111], v[112:113], v[104:105]
	v_add_f64 v[1:2], v[1:2], v[108:109]
	v_add_f64 v[3:4], v[3:4], v[104:105]
	s_andn2_b32 exec_lo, exec_lo, s5
	s_cbranch_execnz .LBB111_312
; %bb.313:
	s_or_b32 exec_lo, exec_lo, s5
.LBB111_314:
	s_or_b32 exec_lo, exec_lo, s8
	v_mov_b32_e32 v103, 0
	ds_read_b128 v[103:106], v103 offset:128
	s_waitcnt lgkmcnt(0)
	v_mul_f64 v[108:109], v[3:4], v[105:106]
	v_mul_f64 v[105:106], v[1:2], v[105:106]
	v_fma_f64 v[1:2], v[1:2], v[103:104], -v[108:109]
	v_fma_f64 v[3:4], v[3:4], v[103:104], v[105:106]
	buffer_store_dword v2, off, s[0:3], 0 offset:132
	buffer_store_dword v1, off, s[0:3], 0 offset:128
	;; [unrolled: 1-line block ×4, first 2 shown]
.LBB111_315:
	s_or_b32 exec_lo, exec_lo, s6
	v_mov_b32_e32 v4, s49
	v_cmp_lt_u32_e64 s5, 7, v0
	s_clause 0x3
	buffer_load_dword v1, v4, s[0:3], 0 offen
	buffer_load_dword v2, v4, s[0:3], 0 offen offset:4
	buffer_load_dword v3, v4, s[0:3], 0 offen offset:8
	;; [unrolled: 1-line block ×3, first 2 shown]
	s_waitcnt vmcnt(0)
	ds_write_b128 v102, v[1:4]
	s_waitcnt lgkmcnt(0)
	s_waitcnt_vscnt null, 0x0
	s_barrier
	buffer_gl0_inv
	s_and_saveexec_b32 s6, s5
	s_cbranch_execz .LBB111_323
; %bb.316:
	ds_read_b128 v[1:4], v102
	s_andn2_b32 vcc_lo, exec_lo, s56
	s_cbranch_vccnz .LBB111_318
; %bb.317:
	s_clause 0x3
	buffer_load_dword v103, v101, s[0:3], 0 offen offset:8
	buffer_load_dword v104, v101, s[0:3], 0 offen offset:12
	buffer_load_dword v105, v101, s[0:3], 0 offen
	buffer_load_dword v106, v101, s[0:3], 0 offen offset:4
	s_waitcnt vmcnt(2) lgkmcnt(0)
	v_mul_f64 v[108:109], v[3:4], v[103:104]
	v_mul_f64 v[103:104], v[1:2], v[103:104]
	s_waitcnt vmcnt(0)
	v_fma_f64 v[1:2], v[1:2], v[105:106], -v[108:109]
	v_fma_f64 v[3:4], v[3:4], v[105:106], v[103:104]
.LBB111_318:
	s_and_saveexec_b32 s8, s4
	s_cbranch_execz .LBB111_322
; %bb.319:
	v_add_nc_u32_e32 v103, -8, v0
	s_movk_i32 s57, 0x380
	s_mov_b32 s4, 0
	s_mov_b32 s58, s48
	.p2align	6
.LBB111_320:                            ; =>This Inner Loop Header: Depth=1
	v_mov_b32_e32 v106, s58
	v_add_nc_u32_e32 v103, -1, v103
	s_add_i32 s58, s58, 16
	s_clause 0x3
	buffer_load_dword v104, v106, s[0:3], 0 offen offset:8
	buffer_load_dword v105, v106, s[0:3], 0 offen offset:12
	buffer_load_dword v112, v106, s[0:3], 0 offen
	buffer_load_dword v113, v106, s[0:3], 0 offen offset:4
	v_mov_b32_e32 v106, s57
	v_cmp_eq_u32_e32 vcc_lo, 0, v103
	s_add_i32 s57, s57, 16
	ds_read_b128 v[108:111], v106
	s_or_b32 s4, vcc_lo, s4
	s_waitcnt vmcnt(2) lgkmcnt(0)
	v_mul_f64 v[114:115], v[110:111], v[104:105]
	v_mul_f64 v[104:105], v[108:109], v[104:105]
	s_waitcnt vmcnt(0)
	v_fma_f64 v[108:109], v[108:109], v[112:113], -v[114:115]
	v_fma_f64 v[104:105], v[110:111], v[112:113], v[104:105]
	v_add_f64 v[1:2], v[1:2], v[108:109]
	v_add_f64 v[3:4], v[3:4], v[104:105]
	s_andn2_b32 exec_lo, exec_lo, s4
	s_cbranch_execnz .LBB111_320
; %bb.321:
	s_or_b32 exec_lo, exec_lo, s4
.LBB111_322:
	s_or_b32 exec_lo, exec_lo, s8
	v_mov_b32_e32 v103, 0
	ds_read_b128 v[103:106], v103 offset:112
	s_waitcnt lgkmcnt(0)
	v_mul_f64 v[108:109], v[3:4], v[105:106]
	v_mul_f64 v[105:106], v[1:2], v[105:106]
	v_fma_f64 v[1:2], v[1:2], v[103:104], -v[108:109]
	v_fma_f64 v[3:4], v[3:4], v[103:104], v[105:106]
	buffer_store_dword v2, off, s[0:3], 0 offset:116
	buffer_store_dword v1, off, s[0:3], 0 offset:112
	;; [unrolled: 1-line block ×4, first 2 shown]
.LBB111_323:
	s_or_b32 exec_lo, exec_lo, s6
	v_mov_b32_e32 v4, s50
	v_cmp_lt_u32_e64 s4, 6, v0
	s_clause 0x3
	buffer_load_dword v1, v4, s[0:3], 0 offen
	buffer_load_dword v2, v4, s[0:3], 0 offen offset:4
	buffer_load_dword v3, v4, s[0:3], 0 offen offset:8
	;; [unrolled: 1-line block ×3, first 2 shown]
	s_waitcnt vmcnt(0)
	ds_write_b128 v102, v[1:4]
	s_waitcnt lgkmcnt(0)
	s_waitcnt_vscnt null, 0x0
	s_barrier
	buffer_gl0_inv
	s_and_saveexec_b32 s6, s4
	s_cbranch_execz .LBB111_331
; %bb.324:
	ds_read_b128 v[1:4], v102
	s_andn2_b32 vcc_lo, exec_lo, s56
	s_cbranch_vccnz .LBB111_326
; %bb.325:
	s_clause 0x3
	buffer_load_dword v103, v101, s[0:3], 0 offen offset:8
	buffer_load_dword v104, v101, s[0:3], 0 offen offset:12
	buffer_load_dword v105, v101, s[0:3], 0 offen
	buffer_load_dword v106, v101, s[0:3], 0 offen offset:4
	s_waitcnt vmcnt(2) lgkmcnt(0)
	v_mul_f64 v[108:109], v[3:4], v[103:104]
	v_mul_f64 v[103:104], v[1:2], v[103:104]
	s_waitcnt vmcnt(0)
	v_fma_f64 v[1:2], v[1:2], v[105:106], -v[108:109]
	v_fma_f64 v[3:4], v[3:4], v[105:106], v[103:104]
.LBB111_326:
	s_and_saveexec_b32 s8, s5
	s_cbranch_execz .LBB111_330
; %bb.327:
	v_add_nc_u32_e32 v103, -7, v0
	s_movk_i32 s57, 0x370
	s_mov_b32 s5, 0
	s_mov_b32 s58, s49
	.p2align	6
.LBB111_328:                            ; =>This Inner Loop Header: Depth=1
	v_mov_b32_e32 v106, s58
	v_add_nc_u32_e32 v103, -1, v103
	s_add_i32 s58, s58, 16
	s_clause 0x3
	buffer_load_dword v104, v106, s[0:3], 0 offen offset:8
	buffer_load_dword v105, v106, s[0:3], 0 offen offset:12
	buffer_load_dword v112, v106, s[0:3], 0 offen
	buffer_load_dword v113, v106, s[0:3], 0 offen offset:4
	v_mov_b32_e32 v106, s57
	v_cmp_eq_u32_e32 vcc_lo, 0, v103
	s_add_i32 s57, s57, 16
	ds_read_b128 v[108:111], v106
	s_or_b32 s5, vcc_lo, s5
	s_waitcnt vmcnt(2) lgkmcnt(0)
	v_mul_f64 v[114:115], v[110:111], v[104:105]
	v_mul_f64 v[104:105], v[108:109], v[104:105]
	s_waitcnt vmcnt(0)
	v_fma_f64 v[108:109], v[108:109], v[112:113], -v[114:115]
	v_fma_f64 v[104:105], v[110:111], v[112:113], v[104:105]
	v_add_f64 v[1:2], v[1:2], v[108:109]
	v_add_f64 v[3:4], v[3:4], v[104:105]
	s_andn2_b32 exec_lo, exec_lo, s5
	s_cbranch_execnz .LBB111_328
; %bb.329:
	s_or_b32 exec_lo, exec_lo, s5
.LBB111_330:
	s_or_b32 exec_lo, exec_lo, s8
	v_mov_b32_e32 v103, 0
	ds_read_b128 v[103:106], v103 offset:96
	s_waitcnt lgkmcnt(0)
	v_mul_f64 v[108:109], v[3:4], v[105:106]
	v_mul_f64 v[105:106], v[1:2], v[105:106]
	v_fma_f64 v[1:2], v[1:2], v[103:104], -v[108:109]
	v_fma_f64 v[3:4], v[3:4], v[103:104], v[105:106]
	buffer_store_dword v2, off, s[0:3], 0 offset:100
	buffer_store_dword v1, off, s[0:3], 0 offset:96
	;; [unrolled: 1-line block ×4, first 2 shown]
.LBB111_331:
	s_or_b32 exec_lo, exec_lo, s6
	v_mov_b32_e32 v4, s51
	v_cmp_lt_u32_e64 s5, 5, v0
	s_clause 0x3
	buffer_load_dword v1, v4, s[0:3], 0 offen
	buffer_load_dword v2, v4, s[0:3], 0 offen offset:4
	buffer_load_dword v3, v4, s[0:3], 0 offen offset:8
	;; [unrolled: 1-line block ×3, first 2 shown]
	s_waitcnt vmcnt(0)
	ds_write_b128 v102, v[1:4]
	s_waitcnt lgkmcnt(0)
	s_waitcnt_vscnt null, 0x0
	s_barrier
	buffer_gl0_inv
	s_and_saveexec_b32 s6, s5
	s_cbranch_execz .LBB111_339
; %bb.332:
	ds_read_b128 v[1:4], v102
	s_andn2_b32 vcc_lo, exec_lo, s56
	s_cbranch_vccnz .LBB111_334
; %bb.333:
	s_clause 0x3
	buffer_load_dword v103, v101, s[0:3], 0 offen offset:8
	buffer_load_dword v104, v101, s[0:3], 0 offen offset:12
	buffer_load_dword v105, v101, s[0:3], 0 offen
	buffer_load_dword v106, v101, s[0:3], 0 offen offset:4
	s_waitcnt vmcnt(2) lgkmcnt(0)
	v_mul_f64 v[108:109], v[3:4], v[103:104]
	v_mul_f64 v[103:104], v[1:2], v[103:104]
	s_waitcnt vmcnt(0)
	v_fma_f64 v[1:2], v[1:2], v[105:106], -v[108:109]
	v_fma_f64 v[3:4], v[3:4], v[105:106], v[103:104]
.LBB111_334:
	s_and_saveexec_b32 s8, s4
	s_cbranch_execz .LBB111_338
; %bb.335:
	v_add_nc_u32_e32 v103, -6, v0
	s_movk_i32 s57, 0x360
	s_mov_b32 s4, 0
	s_mov_b32 s58, s50
	.p2align	6
.LBB111_336:                            ; =>This Inner Loop Header: Depth=1
	v_mov_b32_e32 v106, s58
	v_add_nc_u32_e32 v103, -1, v103
	s_add_i32 s58, s58, 16
	s_clause 0x3
	buffer_load_dword v104, v106, s[0:3], 0 offen offset:8
	buffer_load_dword v105, v106, s[0:3], 0 offen offset:12
	buffer_load_dword v112, v106, s[0:3], 0 offen
	buffer_load_dword v113, v106, s[0:3], 0 offen offset:4
	v_mov_b32_e32 v106, s57
	v_cmp_eq_u32_e32 vcc_lo, 0, v103
	s_add_i32 s57, s57, 16
	ds_read_b128 v[108:111], v106
	s_or_b32 s4, vcc_lo, s4
	s_waitcnt vmcnt(2) lgkmcnt(0)
	v_mul_f64 v[114:115], v[110:111], v[104:105]
	v_mul_f64 v[104:105], v[108:109], v[104:105]
	s_waitcnt vmcnt(0)
	v_fma_f64 v[108:109], v[108:109], v[112:113], -v[114:115]
	v_fma_f64 v[104:105], v[110:111], v[112:113], v[104:105]
	v_add_f64 v[1:2], v[1:2], v[108:109]
	v_add_f64 v[3:4], v[3:4], v[104:105]
	s_andn2_b32 exec_lo, exec_lo, s4
	s_cbranch_execnz .LBB111_336
; %bb.337:
	s_or_b32 exec_lo, exec_lo, s4
.LBB111_338:
	s_or_b32 exec_lo, exec_lo, s8
	v_mov_b32_e32 v103, 0
	ds_read_b128 v[103:106], v103 offset:80
	s_waitcnt lgkmcnt(0)
	v_mul_f64 v[108:109], v[3:4], v[105:106]
	v_mul_f64 v[105:106], v[1:2], v[105:106]
	v_fma_f64 v[1:2], v[1:2], v[103:104], -v[108:109]
	v_fma_f64 v[3:4], v[3:4], v[103:104], v[105:106]
	buffer_store_dword v2, off, s[0:3], 0 offset:84
	buffer_store_dword v1, off, s[0:3], 0 offset:80
	;; [unrolled: 1-line block ×4, first 2 shown]
.LBB111_339:
	s_or_b32 exec_lo, exec_lo, s6
	v_mov_b32_e32 v4, s52
	v_cmp_lt_u32_e64 s4, 4, v0
	s_clause 0x3
	buffer_load_dword v1, v4, s[0:3], 0 offen
	buffer_load_dword v2, v4, s[0:3], 0 offen offset:4
	buffer_load_dword v3, v4, s[0:3], 0 offen offset:8
	;; [unrolled: 1-line block ×3, first 2 shown]
	s_waitcnt vmcnt(0)
	ds_write_b128 v102, v[1:4]
	s_waitcnt lgkmcnt(0)
	s_waitcnt_vscnt null, 0x0
	s_barrier
	buffer_gl0_inv
	s_and_saveexec_b32 s6, s4
	s_cbranch_execz .LBB111_347
; %bb.340:
	ds_read_b128 v[1:4], v102
	s_andn2_b32 vcc_lo, exec_lo, s56
	s_cbranch_vccnz .LBB111_342
; %bb.341:
	s_clause 0x3
	buffer_load_dword v103, v101, s[0:3], 0 offen offset:8
	buffer_load_dword v104, v101, s[0:3], 0 offen offset:12
	buffer_load_dword v105, v101, s[0:3], 0 offen
	buffer_load_dword v106, v101, s[0:3], 0 offen offset:4
	s_waitcnt vmcnt(2) lgkmcnt(0)
	v_mul_f64 v[108:109], v[3:4], v[103:104]
	v_mul_f64 v[103:104], v[1:2], v[103:104]
	s_waitcnt vmcnt(0)
	v_fma_f64 v[1:2], v[1:2], v[105:106], -v[108:109]
	v_fma_f64 v[3:4], v[3:4], v[105:106], v[103:104]
.LBB111_342:
	s_and_saveexec_b32 s8, s5
	s_cbranch_execz .LBB111_346
; %bb.343:
	v_add_nc_u32_e32 v103, -5, v0
	s_movk_i32 s57, 0x350
	s_mov_b32 s5, 0
	s_mov_b32 s58, s51
	.p2align	6
.LBB111_344:                            ; =>This Inner Loop Header: Depth=1
	v_mov_b32_e32 v106, s58
	v_add_nc_u32_e32 v103, -1, v103
	s_add_i32 s58, s58, 16
	s_clause 0x3
	buffer_load_dword v104, v106, s[0:3], 0 offen offset:8
	buffer_load_dword v105, v106, s[0:3], 0 offen offset:12
	buffer_load_dword v112, v106, s[0:3], 0 offen
	buffer_load_dword v113, v106, s[0:3], 0 offen offset:4
	v_mov_b32_e32 v106, s57
	v_cmp_eq_u32_e32 vcc_lo, 0, v103
	s_add_i32 s57, s57, 16
	ds_read_b128 v[108:111], v106
	s_or_b32 s5, vcc_lo, s5
	s_waitcnt vmcnt(2) lgkmcnt(0)
	v_mul_f64 v[114:115], v[110:111], v[104:105]
	v_mul_f64 v[104:105], v[108:109], v[104:105]
	s_waitcnt vmcnt(0)
	v_fma_f64 v[108:109], v[108:109], v[112:113], -v[114:115]
	v_fma_f64 v[104:105], v[110:111], v[112:113], v[104:105]
	v_add_f64 v[1:2], v[1:2], v[108:109]
	v_add_f64 v[3:4], v[3:4], v[104:105]
	s_andn2_b32 exec_lo, exec_lo, s5
	s_cbranch_execnz .LBB111_344
; %bb.345:
	s_or_b32 exec_lo, exec_lo, s5
.LBB111_346:
	s_or_b32 exec_lo, exec_lo, s8
	v_mov_b32_e32 v103, 0
	ds_read_b128 v[103:106], v103 offset:64
	s_waitcnt lgkmcnt(0)
	v_mul_f64 v[108:109], v[3:4], v[105:106]
	v_mul_f64 v[105:106], v[1:2], v[105:106]
	v_fma_f64 v[1:2], v[1:2], v[103:104], -v[108:109]
	v_fma_f64 v[3:4], v[3:4], v[103:104], v[105:106]
	buffer_store_dword v2, off, s[0:3], 0 offset:68
	buffer_store_dword v1, off, s[0:3], 0 offset:64
	;; [unrolled: 1-line block ×4, first 2 shown]
.LBB111_347:
	s_or_b32 exec_lo, exec_lo, s6
	v_mov_b32_e32 v4, s53
	v_cmp_lt_u32_e64 s5, 3, v0
	s_clause 0x3
	buffer_load_dword v1, v4, s[0:3], 0 offen
	buffer_load_dword v2, v4, s[0:3], 0 offen offset:4
	buffer_load_dword v3, v4, s[0:3], 0 offen offset:8
	;; [unrolled: 1-line block ×3, first 2 shown]
	s_waitcnt vmcnt(0)
	ds_write_b128 v102, v[1:4]
	s_waitcnt lgkmcnt(0)
	s_waitcnt_vscnt null, 0x0
	s_barrier
	buffer_gl0_inv
	s_and_saveexec_b32 s6, s5
	s_cbranch_execz .LBB111_355
; %bb.348:
	ds_read_b128 v[1:4], v102
	s_andn2_b32 vcc_lo, exec_lo, s56
	s_cbranch_vccnz .LBB111_350
; %bb.349:
	s_clause 0x3
	buffer_load_dword v103, v101, s[0:3], 0 offen offset:8
	buffer_load_dword v104, v101, s[0:3], 0 offen offset:12
	buffer_load_dword v105, v101, s[0:3], 0 offen
	buffer_load_dword v106, v101, s[0:3], 0 offen offset:4
	s_waitcnt vmcnt(2) lgkmcnt(0)
	v_mul_f64 v[108:109], v[3:4], v[103:104]
	v_mul_f64 v[103:104], v[1:2], v[103:104]
	s_waitcnt vmcnt(0)
	v_fma_f64 v[1:2], v[1:2], v[105:106], -v[108:109]
	v_fma_f64 v[3:4], v[3:4], v[105:106], v[103:104]
.LBB111_350:
	s_and_saveexec_b32 s8, s4
	s_cbranch_execz .LBB111_354
; %bb.351:
	v_add_nc_u32_e32 v103, -4, v0
	s_movk_i32 s57, 0x340
	s_mov_b32 s4, 0
	s_mov_b32 s58, s52
	.p2align	6
.LBB111_352:                            ; =>This Inner Loop Header: Depth=1
	v_mov_b32_e32 v106, s58
	v_add_nc_u32_e32 v103, -1, v103
	s_add_i32 s58, s58, 16
	s_clause 0x3
	buffer_load_dword v104, v106, s[0:3], 0 offen offset:8
	buffer_load_dword v105, v106, s[0:3], 0 offen offset:12
	buffer_load_dword v112, v106, s[0:3], 0 offen
	buffer_load_dword v113, v106, s[0:3], 0 offen offset:4
	v_mov_b32_e32 v106, s57
	v_cmp_eq_u32_e32 vcc_lo, 0, v103
	s_add_i32 s57, s57, 16
	ds_read_b128 v[108:111], v106
	s_or_b32 s4, vcc_lo, s4
	s_waitcnt vmcnt(2) lgkmcnt(0)
	v_mul_f64 v[114:115], v[110:111], v[104:105]
	v_mul_f64 v[104:105], v[108:109], v[104:105]
	s_waitcnt vmcnt(0)
	v_fma_f64 v[108:109], v[108:109], v[112:113], -v[114:115]
	v_fma_f64 v[104:105], v[110:111], v[112:113], v[104:105]
	v_add_f64 v[1:2], v[1:2], v[108:109]
	v_add_f64 v[3:4], v[3:4], v[104:105]
	s_andn2_b32 exec_lo, exec_lo, s4
	s_cbranch_execnz .LBB111_352
; %bb.353:
	s_or_b32 exec_lo, exec_lo, s4
.LBB111_354:
	s_or_b32 exec_lo, exec_lo, s8
	v_mov_b32_e32 v103, 0
	ds_read_b128 v[103:106], v103 offset:48
	s_waitcnt lgkmcnt(0)
	v_mul_f64 v[108:109], v[3:4], v[105:106]
	v_mul_f64 v[105:106], v[1:2], v[105:106]
	v_fma_f64 v[1:2], v[1:2], v[103:104], -v[108:109]
	v_fma_f64 v[3:4], v[3:4], v[103:104], v[105:106]
	buffer_store_dword v2, off, s[0:3], 0 offset:52
	buffer_store_dword v1, off, s[0:3], 0 offset:48
	;; [unrolled: 1-line block ×4, first 2 shown]
.LBB111_355:
	s_or_b32 exec_lo, exec_lo, s6
	v_mov_b32_e32 v4, s54
	v_cmp_lt_u32_e64 s6, 2, v0
	s_clause 0x3
	buffer_load_dword v1, v4, s[0:3], 0 offen
	buffer_load_dword v2, v4, s[0:3], 0 offen offset:4
	buffer_load_dword v3, v4, s[0:3], 0 offen offset:8
	;; [unrolled: 1-line block ×3, first 2 shown]
	s_waitcnt vmcnt(0)
	ds_write_b128 v102, v[1:4]
	s_waitcnt lgkmcnt(0)
	s_waitcnt_vscnt null, 0x0
	s_barrier
	buffer_gl0_inv
	s_and_saveexec_b32 s4, s6
	s_cbranch_execz .LBB111_363
; %bb.356:
	ds_read_b128 v[1:4], v102
	s_andn2_b32 vcc_lo, exec_lo, s56
	s_cbranch_vccnz .LBB111_358
; %bb.357:
	s_clause 0x3
	buffer_load_dword v103, v101, s[0:3], 0 offen offset:8
	buffer_load_dword v104, v101, s[0:3], 0 offen offset:12
	buffer_load_dword v105, v101, s[0:3], 0 offen
	buffer_load_dword v106, v101, s[0:3], 0 offen offset:4
	s_waitcnt vmcnt(2) lgkmcnt(0)
	v_mul_f64 v[108:109], v[3:4], v[103:104]
	v_mul_f64 v[103:104], v[1:2], v[103:104]
	s_waitcnt vmcnt(0)
	v_fma_f64 v[1:2], v[1:2], v[105:106], -v[108:109]
	v_fma_f64 v[3:4], v[3:4], v[105:106], v[103:104]
.LBB111_358:
	s_and_saveexec_b32 s8, s5
	s_cbranch_execz .LBB111_362
; %bb.359:
	v_add_nc_u32_e32 v103, -3, v0
	s_movk_i32 s57, 0x330
	s_mov_b32 s5, 0
	s_mov_b32 s58, s53
	.p2align	6
.LBB111_360:                            ; =>This Inner Loop Header: Depth=1
	v_mov_b32_e32 v106, s58
	v_add_nc_u32_e32 v103, -1, v103
	s_add_i32 s58, s58, 16
	s_clause 0x3
	buffer_load_dword v104, v106, s[0:3], 0 offen offset:8
	buffer_load_dword v105, v106, s[0:3], 0 offen offset:12
	buffer_load_dword v112, v106, s[0:3], 0 offen
	buffer_load_dword v113, v106, s[0:3], 0 offen offset:4
	v_mov_b32_e32 v106, s57
	v_cmp_eq_u32_e32 vcc_lo, 0, v103
	s_add_i32 s57, s57, 16
	ds_read_b128 v[108:111], v106
	s_or_b32 s5, vcc_lo, s5
	s_waitcnt vmcnt(2) lgkmcnt(0)
	v_mul_f64 v[114:115], v[110:111], v[104:105]
	v_mul_f64 v[104:105], v[108:109], v[104:105]
	s_waitcnt vmcnt(0)
	v_fma_f64 v[108:109], v[108:109], v[112:113], -v[114:115]
	v_fma_f64 v[104:105], v[110:111], v[112:113], v[104:105]
	v_add_f64 v[1:2], v[1:2], v[108:109]
	v_add_f64 v[3:4], v[3:4], v[104:105]
	s_andn2_b32 exec_lo, exec_lo, s5
	s_cbranch_execnz .LBB111_360
; %bb.361:
	s_or_b32 exec_lo, exec_lo, s5
.LBB111_362:
	s_or_b32 exec_lo, exec_lo, s8
	v_mov_b32_e32 v103, 0
	ds_read_b128 v[103:106], v103 offset:32
	s_waitcnt lgkmcnt(0)
	v_mul_f64 v[108:109], v[3:4], v[105:106]
	v_mul_f64 v[105:106], v[1:2], v[105:106]
	v_fma_f64 v[1:2], v[1:2], v[103:104], -v[108:109]
	v_fma_f64 v[3:4], v[3:4], v[103:104], v[105:106]
	buffer_store_dword v2, off, s[0:3], 0 offset:36
	buffer_store_dword v1, off, s[0:3], 0 offset:32
	;; [unrolled: 1-line block ×4, first 2 shown]
.LBB111_363:
	s_or_b32 exec_lo, exec_lo, s4
	v_mov_b32_e32 v4, s55
	v_cmp_lt_u32_e64 s4, 1, v0
	s_clause 0x3
	buffer_load_dword v1, v4, s[0:3], 0 offen
	buffer_load_dword v2, v4, s[0:3], 0 offen offset:4
	buffer_load_dword v3, v4, s[0:3], 0 offen offset:8
	buffer_load_dword v4, v4, s[0:3], 0 offen offset:12
	s_waitcnt vmcnt(0)
	ds_write_b128 v102, v[1:4]
	s_waitcnt lgkmcnt(0)
	s_waitcnt_vscnt null, 0x0
	s_barrier
	buffer_gl0_inv
	s_and_saveexec_b32 s5, s4
	s_cbranch_execz .LBB111_371
; %bb.364:
	ds_read_b128 v[1:4], v102
	s_andn2_b32 vcc_lo, exec_lo, s56
	s_cbranch_vccnz .LBB111_366
; %bb.365:
	s_clause 0x3
	buffer_load_dword v103, v101, s[0:3], 0 offen offset:8
	buffer_load_dword v104, v101, s[0:3], 0 offen offset:12
	buffer_load_dword v105, v101, s[0:3], 0 offen
	buffer_load_dword v106, v101, s[0:3], 0 offen offset:4
	s_waitcnt vmcnt(2) lgkmcnt(0)
	v_mul_f64 v[108:109], v[3:4], v[103:104]
	v_mul_f64 v[103:104], v[1:2], v[103:104]
	s_waitcnt vmcnt(0)
	v_fma_f64 v[1:2], v[1:2], v[105:106], -v[108:109]
	v_fma_f64 v[3:4], v[3:4], v[105:106], v[103:104]
.LBB111_366:
	s_and_saveexec_b32 s8, s6
	s_cbranch_execz .LBB111_370
; %bb.367:
	v_add_nc_u32_e32 v103, -2, v0
	s_movk_i32 s57, 0x320
	s_mov_b32 s6, 0
	s_mov_b32 s58, s54
	.p2align	6
.LBB111_368:                            ; =>This Inner Loop Header: Depth=1
	v_mov_b32_e32 v106, s58
	v_add_nc_u32_e32 v103, -1, v103
	s_add_i32 s58, s58, 16
	s_clause 0x3
	buffer_load_dword v104, v106, s[0:3], 0 offen offset:8
	buffer_load_dword v105, v106, s[0:3], 0 offen offset:12
	buffer_load_dword v112, v106, s[0:3], 0 offen
	buffer_load_dword v113, v106, s[0:3], 0 offen offset:4
	v_mov_b32_e32 v106, s57
	v_cmp_eq_u32_e32 vcc_lo, 0, v103
	s_add_i32 s57, s57, 16
	ds_read_b128 v[108:111], v106
	s_or_b32 s6, vcc_lo, s6
	s_waitcnt vmcnt(2) lgkmcnt(0)
	v_mul_f64 v[114:115], v[110:111], v[104:105]
	v_mul_f64 v[104:105], v[108:109], v[104:105]
	s_waitcnt vmcnt(0)
	v_fma_f64 v[108:109], v[108:109], v[112:113], -v[114:115]
	v_fma_f64 v[104:105], v[110:111], v[112:113], v[104:105]
	v_add_f64 v[1:2], v[1:2], v[108:109]
	v_add_f64 v[3:4], v[3:4], v[104:105]
	s_andn2_b32 exec_lo, exec_lo, s6
	s_cbranch_execnz .LBB111_368
; %bb.369:
	s_or_b32 exec_lo, exec_lo, s6
.LBB111_370:
	s_or_b32 exec_lo, exec_lo, s8
	v_mov_b32_e32 v103, 0
	ds_read_b128 v[103:106], v103 offset:16
	s_waitcnt lgkmcnt(0)
	v_mul_f64 v[108:109], v[3:4], v[105:106]
	v_mul_f64 v[105:106], v[1:2], v[105:106]
	v_fma_f64 v[1:2], v[1:2], v[103:104], -v[108:109]
	v_fma_f64 v[3:4], v[3:4], v[103:104], v[105:106]
	buffer_store_dword v2, off, s[0:3], 0 offset:20
	buffer_store_dword v1, off, s[0:3], 0 offset:16
	buffer_store_dword v4, off, s[0:3], 0 offset:28
	buffer_store_dword v3, off, s[0:3], 0 offset:24
.LBB111_371:
	s_or_b32 exec_lo, exec_lo, s5
	s_clause 0x3
	buffer_load_dword v1, off, s[0:3], 0
	buffer_load_dword v2, off, s[0:3], 0 offset:4
	buffer_load_dword v3, off, s[0:3], 0 offset:8
	;; [unrolled: 1-line block ×3, first 2 shown]
	s_mov_b32 s6, 0
	s_mov_b32 s5, 0
	s_mov_b32 s8, exec_lo
                                        ; implicit-def: $sgpr57
	s_waitcnt vmcnt(0)
	ds_write_b128 v102, v[1:4]
	s_waitcnt lgkmcnt(0)
	s_waitcnt_vscnt null, 0x0
	s_barrier
	buffer_gl0_inv
                                        ; implicit-def: $vgpr1_vgpr2
	v_cmpx_ne_u32_e32 0, v0
	s_cbranch_execz .LBB111_379
; %bb.372:
	ds_read_b128 v[1:4], v102
	s_andn2_b32 vcc_lo, exec_lo, s56
	s_cbranch_vccnz .LBB111_374
; %bb.373:
	s_clause 0x3
	buffer_load_dword v103, v101, s[0:3], 0 offen offset:8
	buffer_load_dword v104, v101, s[0:3], 0 offen offset:12
	buffer_load_dword v105, v101, s[0:3], 0 offen
	buffer_load_dword v106, v101, s[0:3], 0 offen offset:4
	s_waitcnt vmcnt(2) lgkmcnt(0)
	v_mul_f64 v[108:109], v[3:4], v[103:104]
	v_mul_f64 v[103:104], v[1:2], v[103:104]
	s_waitcnt vmcnt(0)
	v_fma_f64 v[1:2], v[1:2], v[105:106], -v[108:109]
	v_fma_f64 v[3:4], v[3:4], v[105:106], v[103:104]
.LBB111_374:
	s_and_saveexec_b32 s5, s4
	s_cbranch_execz .LBB111_378
; %bb.375:
	v_add_nc_u32_e32 v103, -1, v0
	s_movk_i32 s57, 0x310
	s_mov_b32 s4, 0
	s_mov_b32 s58, s55
	.p2align	6
.LBB111_376:                            ; =>This Inner Loop Header: Depth=1
	v_mov_b32_e32 v106, s58
	v_add_nc_u32_e32 v103, -1, v103
	s_add_i32 s58, s58, 16
	s_clause 0x3
	buffer_load_dword v104, v106, s[0:3], 0 offen offset:8
	buffer_load_dword v105, v106, s[0:3], 0 offen offset:12
	buffer_load_dword v112, v106, s[0:3], 0 offen
	buffer_load_dword v113, v106, s[0:3], 0 offen offset:4
	v_mov_b32_e32 v106, s57
	v_cmp_eq_u32_e32 vcc_lo, 0, v103
	s_add_i32 s57, s57, 16
	ds_read_b128 v[108:111], v106
	s_or_b32 s4, vcc_lo, s4
	s_waitcnt vmcnt(2) lgkmcnt(0)
	v_mul_f64 v[114:115], v[110:111], v[104:105]
	v_mul_f64 v[104:105], v[108:109], v[104:105]
	s_waitcnt vmcnt(0)
	v_fma_f64 v[108:109], v[108:109], v[112:113], -v[114:115]
	v_fma_f64 v[104:105], v[110:111], v[112:113], v[104:105]
	v_add_f64 v[1:2], v[1:2], v[108:109]
	v_add_f64 v[3:4], v[3:4], v[104:105]
	s_andn2_b32 exec_lo, exec_lo, s4
	s_cbranch_execnz .LBB111_376
; %bb.377:
	s_or_b32 exec_lo, exec_lo, s4
.LBB111_378:
	s_or_b32 exec_lo, exec_lo, s5
	v_mov_b32_e32 v103, 0
	s_mov_b32 s5, exec_lo
	s_or_b32 s57, 0, 8
	ds_read_b128 v[103:106], v103
	s_waitcnt lgkmcnt(0)
	v_mul_f64 v[108:109], v[3:4], v[105:106]
	v_mul_f64 v[105:106], v[1:2], v[105:106]
	v_fma_f64 v[108:109], v[1:2], v[103:104], -v[108:109]
	v_fma_f64 v[1:2], v[3:4], v[103:104], v[105:106]
	buffer_store_dword v109, off, s[0:3], 0 offset:4
	buffer_store_dword v108, off, s[0:3], 0
.LBB111_379:
	s_or_b32 exec_lo, exec_lo, s8
	s_and_b32 vcc_lo, exec_lo, s6
	s_cbranch_vccnz .LBB111_381
	s_branch .LBB111_752
.LBB111_380:
	s_mov_b32 s5, 0
                                        ; implicit-def: $vgpr1_vgpr2
                                        ; implicit-def: $sgpr57
	s_cbranch_execz .LBB111_752
.LBB111_381:
	v_mov_b32_e32 v4, s55
	v_cmp_eq_u32_e64 s4, 0, v0
	v_cndmask_b32_e64 v103, 0, 1, s56
	s_clause 0x3
	buffer_load_dword v1, v4, s[0:3], 0 offen
	buffer_load_dword v2, v4, s[0:3], 0 offen offset:4
	buffer_load_dword v3, v4, s[0:3], 0 offen offset:8
	;; [unrolled: 1-line block ×3, first 2 shown]
	s_waitcnt vmcnt(0)
	ds_write_b128 v102, v[1:4]
	s_waitcnt lgkmcnt(0)
	s_waitcnt_vscnt null, 0x0
	s_barrier
	buffer_gl0_inv
	s_and_saveexec_b32 s6, s4
	s_cbranch_execz .LBB111_385
; %bb.382:
	ds_read_b128 v[1:4], v102
	s_andn2_b32 vcc_lo, exec_lo, s56
	s_cbranch_vccnz .LBB111_384
; %bb.383:
	s_clause 0x3
	buffer_load_dword v104, v101, s[0:3], 0 offen offset:8
	buffer_load_dword v105, v101, s[0:3], 0 offen offset:12
	buffer_load_dword v108, v101, s[0:3], 0 offen
	buffer_load_dword v109, v101, s[0:3], 0 offen offset:4
	s_waitcnt vmcnt(2) lgkmcnt(0)
	v_mul_f64 v[110:111], v[3:4], v[104:105]
	v_mul_f64 v[104:105], v[1:2], v[104:105]
	s_waitcnt vmcnt(0)
	v_fma_f64 v[1:2], v[1:2], v[108:109], -v[110:111]
	v_fma_f64 v[3:4], v[3:4], v[108:109], v[104:105]
.LBB111_384:
	v_mov_b32_e32 v104, 0
	ds_read_b128 v[108:111], v104 offset:16
	s_waitcnt lgkmcnt(0)
	v_mul_f64 v[104:105], v[3:4], v[110:111]
	v_mul_f64 v[110:111], v[1:2], v[110:111]
	v_fma_f64 v[1:2], v[1:2], v[108:109], -v[104:105]
	v_fma_f64 v[3:4], v[3:4], v[108:109], v[110:111]
	buffer_store_dword v2, off, s[0:3], 0 offset:20
	buffer_store_dword v1, off, s[0:3], 0 offset:16
	;; [unrolled: 1-line block ×4, first 2 shown]
.LBB111_385:
	s_or_b32 exec_lo, exec_lo, s6
	v_mov_b32_e32 v4, s54
	s_mov_b32 s6, exec_lo
	s_clause 0x3
	buffer_load_dword v1, v4, s[0:3], 0 offen
	buffer_load_dword v2, v4, s[0:3], 0 offen offset:4
	buffer_load_dword v3, v4, s[0:3], 0 offen offset:8
	;; [unrolled: 1-line block ×3, first 2 shown]
	s_waitcnt vmcnt(0)
	ds_write_b128 v102, v[1:4]
	s_waitcnt lgkmcnt(0)
	s_waitcnt_vscnt null, 0x0
	s_barrier
	buffer_gl0_inv
	v_cmpx_gt_u32_e32 2, v0
	s_cbranch_execz .LBB111_391
; %bb.386:
	ds_read_b128 v[1:4], v102
	v_cmp_ne_u32_e32 vcc_lo, 1, v103
	s_cbranch_vccnz .LBB111_388
; %bb.387:
	s_clause 0x3
	buffer_load_dword v104, v101, s[0:3], 0 offen offset:8
	buffer_load_dword v105, v101, s[0:3], 0 offen offset:12
	buffer_load_dword v108, v101, s[0:3], 0 offen
	buffer_load_dword v109, v101, s[0:3], 0 offen offset:4
	s_waitcnt vmcnt(2) lgkmcnt(0)
	v_mul_f64 v[110:111], v[3:4], v[104:105]
	v_mul_f64 v[104:105], v[1:2], v[104:105]
	s_waitcnt vmcnt(0)
	v_fma_f64 v[1:2], v[1:2], v[108:109], -v[110:111]
	v_fma_f64 v[3:4], v[3:4], v[108:109], v[104:105]
.LBB111_388:
	s_and_saveexec_b32 s8, s4
	s_cbranch_execz .LBB111_390
; %bb.389:
	s_clause 0x3
	buffer_load_dword v104, off, s[0:3], 0 offset:24
	buffer_load_dword v105, off, s[0:3], 0 offset:28
	;; [unrolled: 1-line block ×4, first 2 shown]
	v_mov_b32_e32 v106, 0
	ds_read_b128 v[108:111], v106 offset:784
	s_waitcnt vmcnt(2) lgkmcnt(0)
	v_mul_f64 v[114:115], v[110:111], v[104:105]
	v_mul_f64 v[104:105], v[108:109], v[104:105]
	s_waitcnt vmcnt(0)
	v_fma_f64 v[108:109], v[108:109], v[112:113], -v[114:115]
	v_fma_f64 v[104:105], v[110:111], v[112:113], v[104:105]
	v_add_f64 v[1:2], v[1:2], v[108:109]
	v_add_f64 v[3:4], v[3:4], v[104:105]
.LBB111_390:
	s_or_b32 exec_lo, exec_lo, s8
	v_mov_b32_e32 v104, 0
	ds_read_b128 v[108:111], v104 offset:32
	s_waitcnt lgkmcnt(0)
	v_mul_f64 v[104:105], v[3:4], v[110:111]
	v_mul_f64 v[110:111], v[1:2], v[110:111]
	v_fma_f64 v[1:2], v[1:2], v[108:109], -v[104:105]
	v_fma_f64 v[3:4], v[3:4], v[108:109], v[110:111]
	buffer_store_dword v2, off, s[0:3], 0 offset:36
	buffer_store_dword v1, off, s[0:3], 0 offset:32
	;; [unrolled: 1-line block ×4, first 2 shown]
.LBB111_391:
	s_or_b32 exec_lo, exec_lo, s6
	v_mov_b32_e32 v4, s53
	s_mov_b32 s6, exec_lo
	s_clause 0x3
	buffer_load_dword v1, v4, s[0:3], 0 offen
	buffer_load_dword v2, v4, s[0:3], 0 offen offset:4
	buffer_load_dword v3, v4, s[0:3], 0 offen offset:8
	;; [unrolled: 1-line block ×3, first 2 shown]
	s_waitcnt vmcnt(0)
	ds_write_b128 v102, v[1:4]
	s_waitcnt lgkmcnt(0)
	s_waitcnt_vscnt null, 0x0
	s_barrier
	buffer_gl0_inv
	v_cmpx_gt_u32_e32 3, v0
	s_cbranch_execz .LBB111_399
; %bb.392:
	ds_read_b128 v[1:4], v102
	v_cmp_ne_u32_e32 vcc_lo, 1, v103
	s_cbranch_vccnz .LBB111_394
; %bb.393:
	s_clause 0x3
	buffer_load_dword v104, v101, s[0:3], 0 offen offset:8
	buffer_load_dword v105, v101, s[0:3], 0 offen offset:12
	buffer_load_dword v108, v101, s[0:3], 0 offen
	buffer_load_dword v109, v101, s[0:3], 0 offen offset:4
	s_waitcnt vmcnt(2) lgkmcnt(0)
	v_mul_f64 v[110:111], v[3:4], v[104:105]
	v_mul_f64 v[104:105], v[1:2], v[104:105]
	s_waitcnt vmcnt(0)
	v_fma_f64 v[1:2], v[1:2], v[108:109], -v[110:111]
	v_fma_f64 v[3:4], v[3:4], v[108:109], v[104:105]
.LBB111_394:
	s_mov_b32 s8, exec_lo
	v_cmpx_ne_u32_e32 2, v0
	s_cbranch_execz .LBB111_398
; %bb.395:
	s_clause 0x3
	buffer_load_dword v104, v101, s[0:3], 0 offen offset:24
	buffer_load_dword v105, v101, s[0:3], 0 offen offset:28
	;; [unrolled: 1-line block ×4, first 2 shown]
	ds_read_b128 v[108:111], v102 offset:16
	s_waitcnt vmcnt(2) lgkmcnt(0)
	v_mul_f64 v[114:115], v[110:111], v[104:105]
	v_mul_f64 v[104:105], v[108:109], v[104:105]
	s_waitcnt vmcnt(0)
	v_fma_f64 v[108:109], v[108:109], v[112:113], -v[114:115]
	v_fma_f64 v[104:105], v[110:111], v[112:113], v[104:105]
	v_add_f64 v[1:2], v[1:2], v[108:109]
	v_add_f64 v[3:4], v[3:4], v[104:105]
	s_and_saveexec_b32 s56, s4
	s_cbranch_execz .LBB111_397
; %bb.396:
	s_clause 0x3
	buffer_load_dword v104, off, s[0:3], 0 offset:40
	buffer_load_dword v105, off, s[0:3], 0 offset:44
	buffer_load_dword v112, off, s[0:3], 0 offset:32
	buffer_load_dword v113, off, s[0:3], 0 offset:36
	v_mov_b32_e32 v106, 0
	ds_read_b128 v[108:111], v106 offset:800
	s_waitcnt vmcnt(2) lgkmcnt(0)
	v_mul_f64 v[114:115], v[108:109], v[104:105]
	v_mul_f64 v[104:105], v[110:111], v[104:105]
	s_waitcnt vmcnt(0)
	v_fma_f64 v[110:111], v[110:111], v[112:113], v[114:115]
	v_fma_f64 v[104:105], v[108:109], v[112:113], -v[104:105]
	v_add_f64 v[3:4], v[3:4], v[110:111]
	v_add_f64 v[1:2], v[1:2], v[104:105]
.LBB111_397:
	s_or_b32 exec_lo, exec_lo, s56
.LBB111_398:
	s_or_b32 exec_lo, exec_lo, s8
	v_mov_b32_e32 v104, 0
	ds_read_b128 v[108:111], v104 offset:48
	s_waitcnt lgkmcnt(0)
	v_mul_f64 v[104:105], v[3:4], v[110:111]
	v_mul_f64 v[110:111], v[1:2], v[110:111]
	v_fma_f64 v[1:2], v[1:2], v[108:109], -v[104:105]
	v_fma_f64 v[3:4], v[3:4], v[108:109], v[110:111]
	buffer_store_dword v2, off, s[0:3], 0 offset:52
	buffer_store_dword v1, off, s[0:3], 0 offset:48
	;; [unrolled: 1-line block ×4, first 2 shown]
.LBB111_399:
	s_or_b32 exec_lo, exec_lo, s6
	v_mov_b32_e32 v4, s52
	s_mov_b32 s4, exec_lo
	s_clause 0x3
	buffer_load_dword v1, v4, s[0:3], 0 offen
	buffer_load_dword v2, v4, s[0:3], 0 offen offset:4
	buffer_load_dword v3, v4, s[0:3], 0 offen offset:8
	;; [unrolled: 1-line block ×3, first 2 shown]
	s_waitcnt vmcnt(0)
	ds_write_b128 v102, v[1:4]
	s_waitcnt lgkmcnt(0)
	s_waitcnt_vscnt null, 0x0
	s_barrier
	buffer_gl0_inv
	v_cmpx_gt_u32_e32 4, v0
	s_cbranch_execz .LBB111_407
; %bb.400:
	ds_read_b128 v[1:4], v102
	v_cmp_ne_u32_e32 vcc_lo, 1, v103
	s_cbranch_vccnz .LBB111_402
; %bb.401:
	s_clause 0x3
	buffer_load_dword v104, v101, s[0:3], 0 offen offset:8
	buffer_load_dword v105, v101, s[0:3], 0 offen offset:12
	buffer_load_dword v108, v101, s[0:3], 0 offen
	buffer_load_dword v109, v101, s[0:3], 0 offen offset:4
	s_waitcnt vmcnt(2) lgkmcnt(0)
	v_mul_f64 v[110:111], v[3:4], v[104:105]
	v_mul_f64 v[104:105], v[1:2], v[104:105]
	s_waitcnt vmcnt(0)
	v_fma_f64 v[1:2], v[1:2], v[108:109], -v[110:111]
	v_fma_f64 v[3:4], v[3:4], v[108:109], v[104:105]
.LBB111_402:
	s_mov_b32 s6, exec_lo
	v_cmpx_ne_u32_e32 3, v0
	s_cbranch_execz .LBB111_406
; %bb.403:
	v_add_nc_u32_e32 v104, 0x310, v107
	v_add3_u32 v105, 0, v107, 16
	v_mov_b32_e32 v106, v0
	s_mov_b32 s8, 0
	.p2align	6
.LBB111_404:                            ; =>This Inner Loop Header: Depth=1
	s_clause 0x3
	buffer_load_dword v112, v105, s[0:3], 0 offen offset:8
	buffer_load_dword v113, v105, s[0:3], 0 offen offset:12
	buffer_load_dword v114, v105, s[0:3], 0 offen
	buffer_load_dword v115, v105, s[0:3], 0 offen offset:4
	ds_read_b128 v[108:111], v104
	v_add_nc_u32_e32 v106, 1, v106
	v_add_nc_u32_e32 v104, 16, v104
	;; [unrolled: 1-line block ×3, first 2 shown]
	v_cmp_lt_u32_e32 vcc_lo, 2, v106
	s_or_b32 s8, vcc_lo, s8
	s_waitcnt vmcnt(2) lgkmcnt(0)
	v_mul_f64 v[116:117], v[110:111], v[112:113]
	v_mul_f64 v[112:113], v[108:109], v[112:113]
	s_waitcnt vmcnt(0)
	v_fma_f64 v[108:109], v[108:109], v[114:115], -v[116:117]
	v_fma_f64 v[110:111], v[110:111], v[114:115], v[112:113]
	v_add_f64 v[1:2], v[1:2], v[108:109]
	v_add_f64 v[3:4], v[3:4], v[110:111]
	s_andn2_b32 exec_lo, exec_lo, s8
	s_cbranch_execnz .LBB111_404
; %bb.405:
	s_or_b32 exec_lo, exec_lo, s8
.LBB111_406:
	s_or_b32 exec_lo, exec_lo, s6
	v_mov_b32_e32 v104, 0
	ds_read_b128 v[108:111], v104 offset:64
	s_waitcnt lgkmcnt(0)
	v_mul_f64 v[104:105], v[3:4], v[110:111]
	v_mul_f64 v[110:111], v[1:2], v[110:111]
	v_fma_f64 v[1:2], v[1:2], v[108:109], -v[104:105]
	v_fma_f64 v[3:4], v[3:4], v[108:109], v[110:111]
	buffer_store_dword v2, off, s[0:3], 0 offset:68
	buffer_store_dword v1, off, s[0:3], 0 offset:64
	;; [unrolled: 1-line block ×4, first 2 shown]
.LBB111_407:
	s_or_b32 exec_lo, exec_lo, s4
	v_mov_b32_e32 v4, s51
	s_mov_b32 s4, exec_lo
	s_clause 0x3
	buffer_load_dword v1, v4, s[0:3], 0 offen
	buffer_load_dword v2, v4, s[0:3], 0 offen offset:4
	buffer_load_dword v3, v4, s[0:3], 0 offen offset:8
	;; [unrolled: 1-line block ×3, first 2 shown]
	s_waitcnt vmcnt(0)
	ds_write_b128 v102, v[1:4]
	s_waitcnt lgkmcnt(0)
	s_waitcnt_vscnt null, 0x0
	s_barrier
	buffer_gl0_inv
	v_cmpx_gt_u32_e32 5, v0
	s_cbranch_execz .LBB111_415
; %bb.408:
	ds_read_b128 v[1:4], v102
	v_cmp_ne_u32_e32 vcc_lo, 1, v103
	s_cbranch_vccnz .LBB111_410
; %bb.409:
	s_clause 0x3
	buffer_load_dword v104, v101, s[0:3], 0 offen offset:8
	buffer_load_dword v105, v101, s[0:3], 0 offen offset:12
	buffer_load_dword v108, v101, s[0:3], 0 offen
	buffer_load_dword v109, v101, s[0:3], 0 offen offset:4
	s_waitcnt vmcnt(2) lgkmcnt(0)
	v_mul_f64 v[110:111], v[3:4], v[104:105]
	v_mul_f64 v[104:105], v[1:2], v[104:105]
	s_waitcnt vmcnt(0)
	v_fma_f64 v[1:2], v[1:2], v[108:109], -v[110:111]
	v_fma_f64 v[3:4], v[3:4], v[108:109], v[104:105]
.LBB111_410:
	s_mov_b32 s6, exec_lo
	v_cmpx_ne_u32_e32 4, v0
	s_cbranch_execz .LBB111_414
; %bb.411:
	v_add_nc_u32_e32 v104, 0x310, v107
	v_add3_u32 v105, 0, v107, 16
	v_mov_b32_e32 v106, v0
	s_mov_b32 s8, 0
	.p2align	6
.LBB111_412:                            ; =>This Inner Loop Header: Depth=1
	s_clause 0x3
	buffer_load_dword v112, v105, s[0:3], 0 offen offset:8
	buffer_load_dword v113, v105, s[0:3], 0 offen offset:12
	buffer_load_dword v114, v105, s[0:3], 0 offen
	buffer_load_dword v115, v105, s[0:3], 0 offen offset:4
	ds_read_b128 v[108:111], v104
	v_add_nc_u32_e32 v106, 1, v106
	v_add_nc_u32_e32 v104, 16, v104
	;; [unrolled: 1-line block ×3, first 2 shown]
	v_cmp_lt_u32_e32 vcc_lo, 3, v106
	s_or_b32 s8, vcc_lo, s8
	s_waitcnt vmcnt(2) lgkmcnt(0)
	v_mul_f64 v[116:117], v[110:111], v[112:113]
	v_mul_f64 v[112:113], v[108:109], v[112:113]
	s_waitcnt vmcnt(0)
	v_fma_f64 v[108:109], v[108:109], v[114:115], -v[116:117]
	v_fma_f64 v[110:111], v[110:111], v[114:115], v[112:113]
	v_add_f64 v[1:2], v[1:2], v[108:109]
	v_add_f64 v[3:4], v[3:4], v[110:111]
	s_andn2_b32 exec_lo, exec_lo, s8
	s_cbranch_execnz .LBB111_412
; %bb.413:
	s_or_b32 exec_lo, exec_lo, s8
.LBB111_414:
	s_or_b32 exec_lo, exec_lo, s6
	v_mov_b32_e32 v104, 0
	ds_read_b128 v[108:111], v104 offset:80
	s_waitcnt lgkmcnt(0)
	v_mul_f64 v[104:105], v[3:4], v[110:111]
	v_mul_f64 v[110:111], v[1:2], v[110:111]
	v_fma_f64 v[1:2], v[1:2], v[108:109], -v[104:105]
	v_fma_f64 v[3:4], v[3:4], v[108:109], v[110:111]
	buffer_store_dword v2, off, s[0:3], 0 offset:84
	buffer_store_dword v1, off, s[0:3], 0 offset:80
	;; [unrolled: 1-line block ×4, first 2 shown]
.LBB111_415:
	s_or_b32 exec_lo, exec_lo, s4
	v_mov_b32_e32 v4, s50
	s_mov_b32 s4, exec_lo
	s_clause 0x3
	buffer_load_dword v1, v4, s[0:3], 0 offen
	buffer_load_dword v2, v4, s[0:3], 0 offen offset:4
	buffer_load_dword v3, v4, s[0:3], 0 offen offset:8
	;; [unrolled: 1-line block ×3, first 2 shown]
	s_waitcnt vmcnt(0)
	ds_write_b128 v102, v[1:4]
	s_waitcnt lgkmcnt(0)
	s_waitcnt_vscnt null, 0x0
	s_barrier
	buffer_gl0_inv
	v_cmpx_gt_u32_e32 6, v0
	s_cbranch_execz .LBB111_423
; %bb.416:
	ds_read_b128 v[1:4], v102
	v_cmp_ne_u32_e32 vcc_lo, 1, v103
	s_cbranch_vccnz .LBB111_418
; %bb.417:
	s_clause 0x3
	buffer_load_dword v104, v101, s[0:3], 0 offen offset:8
	buffer_load_dword v105, v101, s[0:3], 0 offen offset:12
	buffer_load_dword v108, v101, s[0:3], 0 offen
	buffer_load_dword v109, v101, s[0:3], 0 offen offset:4
	s_waitcnt vmcnt(2) lgkmcnt(0)
	v_mul_f64 v[110:111], v[3:4], v[104:105]
	v_mul_f64 v[104:105], v[1:2], v[104:105]
	s_waitcnt vmcnt(0)
	v_fma_f64 v[1:2], v[1:2], v[108:109], -v[110:111]
	v_fma_f64 v[3:4], v[3:4], v[108:109], v[104:105]
.LBB111_418:
	s_mov_b32 s6, exec_lo
	v_cmpx_ne_u32_e32 5, v0
	s_cbranch_execz .LBB111_422
; %bb.419:
	v_add_nc_u32_e32 v104, 0x310, v107
	v_add3_u32 v105, 0, v107, 16
	v_mov_b32_e32 v106, v0
	s_mov_b32 s8, 0
	.p2align	6
.LBB111_420:                            ; =>This Inner Loop Header: Depth=1
	s_clause 0x3
	buffer_load_dword v112, v105, s[0:3], 0 offen offset:8
	buffer_load_dword v113, v105, s[0:3], 0 offen offset:12
	buffer_load_dword v114, v105, s[0:3], 0 offen
	buffer_load_dword v115, v105, s[0:3], 0 offen offset:4
	ds_read_b128 v[108:111], v104
	v_add_nc_u32_e32 v106, 1, v106
	v_add_nc_u32_e32 v104, 16, v104
	;; [unrolled: 1-line block ×3, first 2 shown]
	v_cmp_lt_u32_e32 vcc_lo, 4, v106
	s_or_b32 s8, vcc_lo, s8
	s_waitcnt vmcnt(2) lgkmcnt(0)
	v_mul_f64 v[116:117], v[110:111], v[112:113]
	v_mul_f64 v[112:113], v[108:109], v[112:113]
	s_waitcnt vmcnt(0)
	v_fma_f64 v[108:109], v[108:109], v[114:115], -v[116:117]
	v_fma_f64 v[110:111], v[110:111], v[114:115], v[112:113]
	v_add_f64 v[1:2], v[1:2], v[108:109]
	v_add_f64 v[3:4], v[3:4], v[110:111]
	s_andn2_b32 exec_lo, exec_lo, s8
	s_cbranch_execnz .LBB111_420
; %bb.421:
	s_or_b32 exec_lo, exec_lo, s8
.LBB111_422:
	s_or_b32 exec_lo, exec_lo, s6
	v_mov_b32_e32 v104, 0
	ds_read_b128 v[108:111], v104 offset:96
	s_waitcnt lgkmcnt(0)
	v_mul_f64 v[104:105], v[3:4], v[110:111]
	v_mul_f64 v[110:111], v[1:2], v[110:111]
	v_fma_f64 v[1:2], v[1:2], v[108:109], -v[104:105]
	v_fma_f64 v[3:4], v[3:4], v[108:109], v[110:111]
	buffer_store_dword v2, off, s[0:3], 0 offset:100
	buffer_store_dword v1, off, s[0:3], 0 offset:96
	;; [unrolled: 1-line block ×4, first 2 shown]
.LBB111_423:
	s_or_b32 exec_lo, exec_lo, s4
	v_mov_b32_e32 v4, s49
	s_mov_b32 s4, exec_lo
	s_clause 0x3
	buffer_load_dword v1, v4, s[0:3], 0 offen
	buffer_load_dword v2, v4, s[0:3], 0 offen offset:4
	buffer_load_dword v3, v4, s[0:3], 0 offen offset:8
	;; [unrolled: 1-line block ×3, first 2 shown]
	s_waitcnt vmcnt(0)
	ds_write_b128 v102, v[1:4]
	s_waitcnt lgkmcnt(0)
	s_waitcnt_vscnt null, 0x0
	s_barrier
	buffer_gl0_inv
	v_cmpx_gt_u32_e32 7, v0
	s_cbranch_execz .LBB111_431
; %bb.424:
	ds_read_b128 v[1:4], v102
	v_cmp_ne_u32_e32 vcc_lo, 1, v103
	s_cbranch_vccnz .LBB111_426
; %bb.425:
	s_clause 0x3
	buffer_load_dword v104, v101, s[0:3], 0 offen offset:8
	buffer_load_dword v105, v101, s[0:3], 0 offen offset:12
	buffer_load_dword v108, v101, s[0:3], 0 offen
	buffer_load_dword v109, v101, s[0:3], 0 offen offset:4
	s_waitcnt vmcnt(2) lgkmcnt(0)
	v_mul_f64 v[110:111], v[3:4], v[104:105]
	v_mul_f64 v[104:105], v[1:2], v[104:105]
	s_waitcnt vmcnt(0)
	v_fma_f64 v[1:2], v[1:2], v[108:109], -v[110:111]
	v_fma_f64 v[3:4], v[3:4], v[108:109], v[104:105]
.LBB111_426:
	s_mov_b32 s6, exec_lo
	v_cmpx_ne_u32_e32 6, v0
	s_cbranch_execz .LBB111_430
; %bb.427:
	v_add_nc_u32_e32 v104, 0x310, v107
	v_add3_u32 v105, 0, v107, 16
	v_mov_b32_e32 v106, v0
	s_mov_b32 s8, 0
	.p2align	6
.LBB111_428:                            ; =>This Inner Loop Header: Depth=1
	s_clause 0x3
	buffer_load_dword v112, v105, s[0:3], 0 offen offset:8
	buffer_load_dword v113, v105, s[0:3], 0 offen offset:12
	buffer_load_dword v114, v105, s[0:3], 0 offen
	buffer_load_dword v115, v105, s[0:3], 0 offen offset:4
	ds_read_b128 v[108:111], v104
	v_add_nc_u32_e32 v106, 1, v106
	v_add_nc_u32_e32 v104, 16, v104
	;; [unrolled: 1-line block ×3, first 2 shown]
	v_cmp_lt_u32_e32 vcc_lo, 5, v106
	s_or_b32 s8, vcc_lo, s8
	s_waitcnt vmcnt(2) lgkmcnt(0)
	v_mul_f64 v[116:117], v[110:111], v[112:113]
	v_mul_f64 v[112:113], v[108:109], v[112:113]
	s_waitcnt vmcnt(0)
	v_fma_f64 v[108:109], v[108:109], v[114:115], -v[116:117]
	v_fma_f64 v[110:111], v[110:111], v[114:115], v[112:113]
	v_add_f64 v[1:2], v[1:2], v[108:109]
	v_add_f64 v[3:4], v[3:4], v[110:111]
	s_andn2_b32 exec_lo, exec_lo, s8
	s_cbranch_execnz .LBB111_428
; %bb.429:
	s_or_b32 exec_lo, exec_lo, s8
.LBB111_430:
	s_or_b32 exec_lo, exec_lo, s6
	v_mov_b32_e32 v104, 0
	ds_read_b128 v[108:111], v104 offset:112
	s_waitcnt lgkmcnt(0)
	v_mul_f64 v[104:105], v[3:4], v[110:111]
	v_mul_f64 v[110:111], v[1:2], v[110:111]
	v_fma_f64 v[1:2], v[1:2], v[108:109], -v[104:105]
	v_fma_f64 v[3:4], v[3:4], v[108:109], v[110:111]
	buffer_store_dword v2, off, s[0:3], 0 offset:116
	buffer_store_dword v1, off, s[0:3], 0 offset:112
	;; [unrolled: 1-line block ×4, first 2 shown]
.LBB111_431:
	s_or_b32 exec_lo, exec_lo, s4
	v_mov_b32_e32 v4, s48
	s_mov_b32 s4, exec_lo
	s_clause 0x3
	buffer_load_dword v1, v4, s[0:3], 0 offen
	buffer_load_dword v2, v4, s[0:3], 0 offen offset:4
	buffer_load_dword v3, v4, s[0:3], 0 offen offset:8
	;; [unrolled: 1-line block ×3, first 2 shown]
	s_waitcnt vmcnt(0)
	ds_write_b128 v102, v[1:4]
	s_waitcnt lgkmcnt(0)
	s_waitcnt_vscnt null, 0x0
	s_barrier
	buffer_gl0_inv
	v_cmpx_gt_u32_e32 8, v0
	s_cbranch_execz .LBB111_439
; %bb.432:
	ds_read_b128 v[1:4], v102
	v_cmp_ne_u32_e32 vcc_lo, 1, v103
	s_cbranch_vccnz .LBB111_434
; %bb.433:
	s_clause 0x3
	buffer_load_dword v104, v101, s[0:3], 0 offen offset:8
	buffer_load_dword v105, v101, s[0:3], 0 offen offset:12
	buffer_load_dword v108, v101, s[0:3], 0 offen
	buffer_load_dword v109, v101, s[0:3], 0 offen offset:4
	s_waitcnt vmcnt(2) lgkmcnt(0)
	v_mul_f64 v[110:111], v[3:4], v[104:105]
	v_mul_f64 v[104:105], v[1:2], v[104:105]
	s_waitcnt vmcnt(0)
	v_fma_f64 v[1:2], v[1:2], v[108:109], -v[110:111]
	v_fma_f64 v[3:4], v[3:4], v[108:109], v[104:105]
.LBB111_434:
	s_mov_b32 s6, exec_lo
	v_cmpx_ne_u32_e32 7, v0
	s_cbranch_execz .LBB111_438
; %bb.435:
	v_add_nc_u32_e32 v104, 0x310, v107
	v_add3_u32 v105, 0, v107, 16
	v_mov_b32_e32 v106, v0
	s_mov_b32 s8, 0
	.p2align	6
.LBB111_436:                            ; =>This Inner Loop Header: Depth=1
	s_clause 0x3
	buffer_load_dword v112, v105, s[0:3], 0 offen offset:8
	buffer_load_dword v113, v105, s[0:3], 0 offen offset:12
	buffer_load_dword v114, v105, s[0:3], 0 offen
	buffer_load_dword v115, v105, s[0:3], 0 offen offset:4
	ds_read_b128 v[108:111], v104
	v_add_nc_u32_e32 v106, 1, v106
	v_add_nc_u32_e32 v104, 16, v104
	;; [unrolled: 1-line block ×3, first 2 shown]
	v_cmp_lt_u32_e32 vcc_lo, 6, v106
	s_or_b32 s8, vcc_lo, s8
	s_waitcnt vmcnt(2) lgkmcnt(0)
	v_mul_f64 v[116:117], v[110:111], v[112:113]
	v_mul_f64 v[112:113], v[108:109], v[112:113]
	s_waitcnt vmcnt(0)
	v_fma_f64 v[108:109], v[108:109], v[114:115], -v[116:117]
	v_fma_f64 v[110:111], v[110:111], v[114:115], v[112:113]
	v_add_f64 v[1:2], v[1:2], v[108:109]
	v_add_f64 v[3:4], v[3:4], v[110:111]
	s_andn2_b32 exec_lo, exec_lo, s8
	s_cbranch_execnz .LBB111_436
; %bb.437:
	s_or_b32 exec_lo, exec_lo, s8
.LBB111_438:
	s_or_b32 exec_lo, exec_lo, s6
	v_mov_b32_e32 v104, 0
	ds_read_b128 v[108:111], v104 offset:128
	s_waitcnt lgkmcnt(0)
	v_mul_f64 v[104:105], v[3:4], v[110:111]
	v_mul_f64 v[110:111], v[1:2], v[110:111]
	v_fma_f64 v[1:2], v[1:2], v[108:109], -v[104:105]
	v_fma_f64 v[3:4], v[3:4], v[108:109], v[110:111]
	buffer_store_dword v2, off, s[0:3], 0 offset:132
	buffer_store_dword v1, off, s[0:3], 0 offset:128
	;; [unrolled: 1-line block ×4, first 2 shown]
.LBB111_439:
	s_or_b32 exec_lo, exec_lo, s4
	v_mov_b32_e32 v4, s47
	s_mov_b32 s4, exec_lo
	s_clause 0x3
	buffer_load_dword v1, v4, s[0:3], 0 offen
	buffer_load_dword v2, v4, s[0:3], 0 offen offset:4
	buffer_load_dword v3, v4, s[0:3], 0 offen offset:8
	;; [unrolled: 1-line block ×3, first 2 shown]
	s_waitcnt vmcnt(0)
	ds_write_b128 v102, v[1:4]
	s_waitcnt lgkmcnt(0)
	s_waitcnt_vscnt null, 0x0
	s_barrier
	buffer_gl0_inv
	v_cmpx_gt_u32_e32 9, v0
	s_cbranch_execz .LBB111_447
; %bb.440:
	ds_read_b128 v[1:4], v102
	v_cmp_ne_u32_e32 vcc_lo, 1, v103
	s_cbranch_vccnz .LBB111_442
; %bb.441:
	s_clause 0x3
	buffer_load_dword v104, v101, s[0:3], 0 offen offset:8
	buffer_load_dword v105, v101, s[0:3], 0 offen offset:12
	buffer_load_dword v108, v101, s[0:3], 0 offen
	buffer_load_dword v109, v101, s[0:3], 0 offen offset:4
	s_waitcnt vmcnt(2) lgkmcnt(0)
	v_mul_f64 v[110:111], v[3:4], v[104:105]
	v_mul_f64 v[104:105], v[1:2], v[104:105]
	s_waitcnt vmcnt(0)
	v_fma_f64 v[1:2], v[1:2], v[108:109], -v[110:111]
	v_fma_f64 v[3:4], v[3:4], v[108:109], v[104:105]
.LBB111_442:
	s_mov_b32 s6, exec_lo
	v_cmpx_ne_u32_e32 8, v0
	s_cbranch_execz .LBB111_446
; %bb.443:
	v_add_nc_u32_e32 v104, 0x310, v107
	v_add3_u32 v105, 0, v107, 16
	v_mov_b32_e32 v106, v0
	s_mov_b32 s8, 0
	.p2align	6
.LBB111_444:                            ; =>This Inner Loop Header: Depth=1
	s_clause 0x3
	buffer_load_dword v112, v105, s[0:3], 0 offen offset:8
	buffer_load_dword v113, v105, s[0:3], 0 offen offset:12
	buffer_load_dword v114, v105, s[0:3], 0 offen
	buffer_load_dword v115, v105, s[0:3], 0 offen offset:4
	ds_read_b128 v[108:111], v104
	v_add_nc_u32_e32 v106, 1, v106
	v_add_nc_u32_e32 v104, 16, v104
	;; [unrolled: 1-line block ×3, first 2 shown]
	v_cmp_lt_u32_e32 vcc_lo, 7, v106
	s_or_b32 s8, vcc_lo, s8
	s_waitcnt vmcnt(2) lgkmcnt(0)
	v_mul_f64 v[116:117], v[110:111], v[112:113]
	v_mul_f64 v[112:113], v[108:109], v[112:113]
	s_waitcnt vmcnt(0)
	v_fma_f64 v[108:109], v[108:109], v[114:115], -v[116:117]
	v_fma_f64 v[110:111], v[110:111], v[114:115], v[112:113]
	v_add_f64 v[1:2], v[1:2], v[108:109]
	v_add_f64 v[3:4], v[3:4], v[110:111]
	s_andn2_b32 exec_lo, exec_lo, s8
	s_cbranch_execnz .LBB111_444
; %bb.445:
	s_or_b32 exec_lo, exec_lo, s8
.LBB111_446:
	s_or_b32 exec_lo, exec_lo, s6
	v_mov_b32_e32 v104, 0
	ds_read_b128 v[108:111], v104 offset:144
	s_waitcnt lgkmcnt(0)
	v_mul_f64 v[104:105], v[3:4], v[110:111]
	v_mul_f64 v[110:111], v[1:2], v[110:111]
	v_fma_f64 v[1:2], v[1:2], v[108:109], -v[104:105]
	v_fma_f64 v[3:4], v[3:4], v[108:109], v[110:111]
	buffer_store_dword v2, off, s[0:3], 0 offset:148
	buffer_store_dword v1, off, s[0:3], 0 offset:144
	;; [unrolled: 1-line block ×4, first 2 shown]
.LBB111_447:
	s_or_b32 exec_lo, exec_lo, s4
	v_mov_b32_e32 v4, s46
	s_mov_b32 s4, exec_lo
	s_clause 0x3
	buffer_load_dword v1, v4, s[0:3], 0 offen
	buffer_load_dword v2, v4, s[0:3], 0 offen offset:4
	buffer_load_dword v3, v4, s[0:3], 0 offen offset:8
	;; [unrolled: 1-line block ×3, first 2 shown]
	s_waitcnt vmcnt(0)
	ds_write_b128 v102, v[1:4]
	s_waitcnt lgkmcnt(0)
	s_waitcnt_vscnt null, 0x0
	s_barrier
	buffer_gl0_inv
	v_cmpx_gt_u32_e32 10, v0
	s_cbranch_execz .LBB111_455
; %bb.448:
	ds_read_b128 v[1:4], v102
	v_cmp_ne_u32_e32 vcc_lo, 1, v103
	s_cbranch_vccnz .LBB111_450
; %bb.449:
	s_clause 0x3
	buffer_load_dword v104, v101, s[0:3], 0 offen offset:8
	buffer_load_dword v105, v101, s[0:3], 0 offen offset:12
	buffer_load_dword v108, v101, s[0:3], 0 offen
	buffer_load_dword v109, v101, s[0:3], 0 offen offset:4
	s_waitcnt vmcnt(2) lgkmcnt(0)
	v_mul_f64 v[110:111], v[3:4], v[104:105]
	v_mul_f64 v[104:105], v[1:2], v[104:105]
	s_waitcnt vmcnt(0)
	v_fma_f64 v[1:2], v[1:2], v[108:109], -v[110:111]
	v_fma_f64 v[3:4], v[3:4], v[108:109], v[104:105]
.LBB111_450:
	s_mov_b32 s6, exec_lo
	v_cmpx_ne_u32_e32 9, v0
	s_cbranch_execz .LBB111_454
; %bb.451:
	v_add_nc_u32_e32 v104, 0x310, v107
	v_add3_u32 v105, 0, v107, 16
	v_mov_b32_e32 v106, v0
	s_mov_b32 s8, 0
	.p2align	6
.LBB111_452:                            ; =>This Inner Loop Header: Depth=1
	s_clause 0x3
	buffer_load_dword v112, v105, s[0:3], 0 offen offset:8
	buffer_load_dword v113, v105, s[0:3], 0 offen offset:12
	buffer_load_dword v114, v105, s[0:3], 0 offen
	buffer_load_dword v115, v105, s[0:3], 0 offen offset:4
	ds_read_b128 v[108:111], v104
	v_add_nc_u32_e32 v106, 1, v106
	v_add_nc_u32_e32 v104, 16, v104
	;; [unrolled: 1-line block ×3, first 2 shown]
	v_cmp_lt_u32_e32 vcc_lo, 8, v106
	s_or_b32 s8, vcc_lo, s8
	s_waitcnt vmcnt(2) lgkmcnt(0)
	v_mul_f64 v[116:117], v[110:111], v[112:113]
	v_mul_f64 v[112:113], v[108:109], v[112:113]
	s_waitcnt vmcnt(0)
	v_fma_f64 v[108:109], v[108:109], v[114:115], -v[116:117]
	v_fma_f64 v[110:111], v[110:111], v[114:115], v[112:113]
	v_add_f64 v[1:2], v[1:2], v[108:109]
	v_add_f64 v[3:4], v[3:4], v[110:111]
	s_andn2_b32 exec_lo, exec_lo, s8
	s_cbranch_execnz .LBB111_452
; %bb.453:
	s_or_b32 exec_lo, exec_lo, s8
.LBB111_454:
	s_or_b32 exec_lo, exec_lo, s6
	v_mov_b32_e32 v104, 0
	ds_read_b128 v[108:111], v104 offset:160
	s_waitcnt lgkmcnt(0)
	v_mul_f64 v[104:105], v[3:4], v[110:111]
	v_mul_f64 v[110:111], v[1:2], v[110:111]
	v_fma_f64 v[1:2], v[1:2], v[108:109], -v[104:105]
	v_fma_f64 v[3:4], v[3:4], v[108:109], v[110:111]
	buffer_store_dword v2, off, s[0:3], 0 offset:164
	buffer_store_dword v1, off, s[0:3], 0 offset:160
	buffer_store_dword v4, off, s[0:3], 0 offset:172
	buffer_store_dword v3, off, s[0:3], 0 offset:168
.LBB111_455:
	s_or_b32 exec_lo, exec_lo, s4
	v_mov_b32_e32 v4, s45
	s_mov_b32 s4, exec_lo
	s_clause 0x3
	buffer_load_dword v1, v4, s[0:3], 0 offen
	buffer_load_dword v2, v4, s[0:3], 0 offen offset:4
	buffer_load_dword v3, v4, s[0:3], 0 offen offset:8
	buffer_load_dword v4, v4, s[0:3], 0 offen offset:12
	s_waitcnt vmcnt(0)
	ds_write_b128 v102, v[1:4]
	s_waitcnt lgkmcnt(0)
	s_waitcnt_vscnt null, 0x0
	s_barrier
	buffer_gl0_inv
	v_cmpx_gt_u32_e32 11, v0
	s_cbranch_execz .LBB111_463
; %bb.456:
	ds_read_b128 v[1:4], v102
	v_cmp_ne_u32_e32 vcc_lo, 1, v103
	s_cbranch_vccnz .LBB111_458
; %bb.457:
	s_clause 0x3
	buffer_load_dword v104, v101, s[0:3], 0 offen offset:8
	buffer_load_dword v105, v101, s[0:3], 0 offen offset:12
	buffer_load_dword v108, v101, s[0:3], 0 offen
	buffer_load_dword v109, v101, s[0:3], 0 offen offset:4
	s_waitcnt vmcnt(2) lgkmcnt(0)
	v_mul_f64 v[110:111], v[3:4], v[104:105]
	v_mul_f64 v[104:105], v[1:2], v[104:105]
	s_waitcnt vmcnt(0)
	v_fma_f64 v[1:2], v[1:2], v[108:109], -v[110:111]
	v_fma_f64 v[3:4], v[3:4], v[108:109], v[104:105]
.LBB111_458:
	s_mov_b32 s6, exec_lo
	v_cmpx_ne_u32_e32 10, v0
	s_cbranch_execz .LBB111_462
; %bb.459:
	v_add_nc_u32_e32 v104, 0x310, v107
	v_add3_u32 v105, 0, v107, 16
	v_mov_b32_e32 v106, v0
	s_mov_b32 s8, 0
	.p2align	6
.LBB111_460:                            ; =>This Inner Loop Header: Depth=1
	s_clause 0x3
	buffer_load_dword v112, v105, s[0:3], 0 offen offset:8
	buffer_load_dword v113, v105, s[0:3], 0 offen offset:12
	buffer_load_dword v114, v105, s[0:3], 0 offen
	buffer_load_dword v115, v105, s[0:3], 0 offen offset:4
	ds_read_b128 v[108:111], v104
	v_add_nc_u32_e32 v106, 1, v106
	v_add_nc_u32_e32 v104, 16, v104
	;; [unrolled: 1-line block ×3, first 2 shown]
	v_cmp_lt_u32_e32 vcc_lo, 9, v106
	s_or_b32 s8, vcc_lo, s8
	s_waitcnt vmcnt(2) lgkmcnt(0)
	v_mul_f64 v[116:117], v[110:111], v[112:113]
	v_mul_f64 v[112:113], v[108:109], v[112:113]
	s_waitcnt vmcnt(0)
	v_fma_f64 v[108:109], v[108:109], v[114:115], -v[116:117]
	v_fma_f64 v[110:111], v[110:111], v[114:115], v[112:113]
	v_add_f64 v[1:2], v[1:2], v[108:109]
	v_add_f64 v[3:4], v[3:4], v[110:111]
	s_andn2_b32 exec_lo, exec_lo, s8
	s_cbranch_execnz .LBB111_460
; %bb.461:
	s_or_b32 exec_lo, exec_lo, s8
.LBB111_462:
	s_or_b32 exec_lo, exec_lo, s6
	v_mov_b32_e32 v104, 0
	ds_read_b128 v[108:111], v104 offset:176
	s_waitcnt lgkmcnt(0)
	v_mul_f64 v[104:105], v[3:4], v[110:111]
	v_mul_f64 v[110:111], v[1:2], v[110:111]
	v_fma_f64 v[1:2], v[1:2], v[108:109], -v[104:105]
	v_fma_f64 v[3:4], v[3:4], v[108:109], v[110:111]
	buffer_store_dword v2, off, s[0:3], 0 offset:180
	buffer_store_dword v1, off, s[0:3], 0 offset:176
	;; [unrolled: 1-line block ×4, first 2 shown]
.LBB111_463:
	s_or_b32 exec_lo, exec_lo, s4
	v_mov_b32_e32 v4, s44
	s_mov_b32 s4, exec_lo
	s_clause 0x3
	buffer_load_dword v1, v4, s[0:3], 0 offen
	buffer_load_dword v2, v4, s[0:3], 0 offen offset:4
	buffer_load_dword v3, v4, s[0:3], 0 offen offset:8
	;; [unrolled: 1-line block ×3, first 2 shown]
	s_waitcnt vmcnt(0)
	ds_write_b128 v102, v[1:4]
	s_waitcnt lgkmcnt(0)
	s_waitcnt_vscnt null, 0x0
	s_barrier
	buffer_gl0_inv
	v_cmpx_gt_u32_e32 12, v0
	s_cbranch_execz .LBB111_471
; %bb.464:
	ds_read_b128 v[1:4], v102
	v_cmp_ne_u32_e32 vcc_lo, 1, v103
	s_cbranch_vccnz .LBB111_466
; %bb.465:
	s_clause 0x3
	buffer_load_dword v104, v101, s[0:3], 0 offen offset:8
	buffer_load_dword v105, v101, s[0:3], 0 offen offset:12
	buffer_load_dword v108, v101, s[0:3], 0 offen
	buffer_load_dword v109, v101, s[0:3], 0 offen offset:4
	s_waitcnt vmcnt(2) lgkmcnt(0)
	v_mul_f64 v[110:111], v[3:4], v[104:105]
	v_mul_f64 v[104:105], v[1:2], v[104:105]
	s_waitcnt vmcnt(0)
	v_fma_f64 v[1:2], v[1:2], v[108:109], -v[110:111]
	v_fma_f64 v[3:4], v[3:4], v[108:109], v[104:105]
.LBB111_466:
	s_mov_b32 s6, exec_lo
	v_cmpx_ne_u32_e32 11, v0
	s_cbranch_execz .LBB111_470
; %bb.467:
	v_add_nc_u32_e32 v104, 0x310, v107
	v_add3_u32 v105, 0, v107, 16
	v_mov_b32_e32 v106, v0
	s_mov_b32 s8, 0
	.p2align	6
.LBB111_468:                            ; =>This Inner Loop Header: Depth=1
	s_clause 0x3
	buffer_load_dword v112, v105, s[0:3], 0 offen offset:8
	buffer_load_dword v113, v105, s[0:3], 0 offen offset:12
	buffer_load_dword v114, v105, s[0:3], 0 offen
	buffer_load_dword v115, v105, s[0:3], 0 offen offset:4
	ds_read_b128 v[108:111], v104
	v_add_nc_u32_e32 v106, 1, v106
	v_add_nc_u32_e32 v104, 16, v104
	;; [unrolled: 1-line block ×3, first 2 shown]
	v_cmp_lt_u32_e32 vcc_lo, 10, v106
	s_or_b32 s8, vcc_lo, s8
	s_waitcnt vmcnt(2) lgkmcnt(0)
	v_mul_f64 v[116:117], v[110:111], v[112:113]
	v_mul_f64 v[112:113], v[108:109], v[112:113]
	s_waitcnt vmcnt(0)
	v_fma_f64 v[108:109], v[108:109], v[114:115], -v[116:117]
	v_fma_f64 v[110:111], v[110:111], v[114:115], v[112:113]
	v_add_f64 v[1:2], v[1:2], v[108:109]
	v_add_f64 v[3:4], v[3:4], v[110:111]
	s_andn2_b32 exec_lo, exec_lo, s8
	s_cbranch_execnz .LBB111_468
; %bb.469:
	s_or_b32 exec_lo, exec_lo, s8
.LBB111_470:
	s_or_b32 exec_lo, exec_lo, s6
	v_mov_b32_e32 v104, 0
	ds_read_b128 v[108:111], v104 offset:192
	s_waitcnt lgkmcnt(0)
	v_mul_f64 v[104:105], v[3:4], v[110:111]
	v_mul_f64 v[110:111], v[1:2], v[110:111]
	v_fma_f64 v[1:2], v[1:2], v[108:109], -v[104:105]
	v_fma_f64 v[3:4], v[3:4], v[108:109], v[110:111]
	buffer_store_dword v2, off, s[0:3], 0 offset:196
	buffer_store_dword v1, off, s[0:3], 0 offset:192
	;; [unrolled: 1-line block ×4, first 2 shown]
.LBB111_471:
	s_or_b32 exec_lo, exec_lo, s4
	v_mov_b32_e32 v4, s43
	s_mov_b32 s4, exec_lo
	s_clause 0x3
	buffer_load_dword v1, v4, s[0:3], 0 offen
	buffer_load_dword v2, v4, s[0:3], 0 offen offset:4
	buffer_load_dword v3, v4, s[0:3], 0 offen offset:8
	;; [unrolled: 1-line block ×3, first 2 shown]
	s_waitcnt vmcnt(0)
	ds_write_b128 v102, v[1:4]
	s_waitcnt lgkmcnt(0)
	s_waitcnt_vscnt null, 0x0
	s_barrier
	buffer_gl0_inv
	v_cmpx_gt_u32_e32 13, v0
	s_cbranch_execz .LBB111_479
; %bb.472:
	ds_read_b128 v[1:4], v102
	v_cmp_ne_u32_e32 vcc_lo, 1, v103
	s_cbranch_vccnz .LBB111_474
; %bb.473:
	s_clause 0x3
	buffer_load_dword v104, v101, s[0:3], 0 offen offset:8
	buffer_load_dword v105, v101, s[0:3], 0 offen offset:12
	buffer_load_dword v108, v101, s[0:3], 0 offen
	buffer_load_dword v109, v101, s[0:3], 0 offen offset:4
	s_waitcnt vmcnt(2) lgkmcnt(0)
	v_mul_f64 v[110:111], v[3:4], v[104:105]
	v_mul_f64 v[104:105], v[1:2], v[104:105]
	s_waitcnt vmcnt(0)
	v_fma_f64 v[1:2], v[1:2], v[108:109], -v[110:111]
	v_fma_f64 v[3:4], v[3:4], v[108:109], v[104:105]
.LBB111_474:
	s_mov_b32 s6, exec_lo
	v_cmpx_ne_u32_e32 12, v0
	s_cbranch_execz .LBB111_478
; %bb.475:
	v_add_nc_u32_e32 v104, 0x310, v107
	v_add3_u32 v105, 0, v107, 16
	v_mov_b32_e32 v106, v0
	s_mov_b32 s8, 0
	.p2align	6
.LBB111_476:                            ; =>This Inner Loop Header: Depth=1
	s_clause 0x3
	buffer_load_dword v112, v105, s[0:3], 0 offen offset:8
	buffer_load_dword v113, v105, s[0:3], 0 offen offset:12
	buffer_load_dword v114, v105, s[0:3], 0 offen
	buffer_load_dword v115, v105, s[0:3], 0 offen offset:4
	ds_read_b128 v[108:111], v104
	v_add_nc_u32_e32 v106, 1, v106
	v_add_nc_u32_e32 v104, 16, v104
	;; [unrolled: 1-line block ×3, first 2 shown]
	v_cmp_lt_u32_e32 vcc_lo, 11, v106
	s_or_b32 s8, vcc_lo, s8
	s_waitcnt vmcnt(2) lgkmcnt(0)
	v_mul_f64 v[116:117], v[110:111], v[112:113]
	v_mul_f64 v[112:113], v[108:109], v[112:113]
	s_waitcnt vmcnt(0)
	v_fma_f64 v[108:109], v[108:109], v[114:115], -v[116:117]
	v_fma_f64 v[110:111], v[110:111], v[114:115], v[112:113]
	v_add_f64 v[1:2], v[1:2], v[108:109]
	v_add_f64 v[3:4], v[3:4], v[110:111]
	s_andn2_b32 exec_lo, exec_lo, s8
	s_cbranch_execnz .LBB111_476
; %bb.477:
	s_or_b32 exec_lo, exec_lo, s8
.LBB111_478:
	s_or_b32 exec_lo, exec_lo, s6
	v_mov_b32_e32 v104, 0
	ds_read_b128 v[108:111], v104 offset:208
	s_waitcnt lgkmcnt(0)
	v_mul_f64 v[104:105], v[3:4], v[110:111]
	v_mul_f64 v[110:111], v[1:2], v[110:111]
	v_fma_f64 v[1:2], v[1:2], v[108:109], -v[104:105]
	v_fma_f64 v[3:4], v[3:4], v[108:109], v[110:111]
	buffer_store_dword v2, off, s[0:3], 0 offset:212
	buffer_store_dword v1, off, s[0:3], 0 offset:208
	;; [unrolled: 1-line block ×4, first 2 shown]
.LBB111_479:
	s_or_b32 exec_lo, exec_lo, s4
	v_mov_b32_e32 v4, s42
	s_mov_b32 s4, exec_lo
	s_clause 0x3
	buffer_load_dword v1, v4, s[0:3], 0 offen
	buffer_load_dword v2, v4, s[0:3], 0 offen offset:4
	buffer_load_dword v3, v4, s[0:3], 0 offen offset:8
	;; [unrolled: 1-line block ×3, first 2 shown]
	s_waitcnt vmcnt(0)
	ds_write_b128 v102, v[1:4]
	s_waitcnt lgkmcnt(0)
	s_waitcnt_vscnt null, 0x0
	s_barrier
	buffer_gl0_inv
	v_cmpx_gt_u32_e32 14, v0
	s_cbranch_execz .LBB111_487
; %bb.480:
	ds_read_b128 v[1:4], v102
	v_cmp_ne_u32_e32 vcc_lo, 1, v103
	s_cbranch_vccnz .LBB111_482
; %bb.481:
	s_clause 0x3
	buffer_load_dword v104, v101, s[0:3], 0 offen offset:8
	buffer_load_dword v105, v101, s[0:3], 0 offen offset:12
	buffer_load_dword v108, v101, s[0:3], 0 offen
	buffer_load_dword v109, v101, s[0:3], 0 offen offset:4
	s_waitcnt vmcnt(2) lgkmcnt(0)
	v_mul_f64 v[110:111], v[3:4], v[104:105]
	v_mul_f64 v[104:105], v[1:2], v[104:105]
	s_waitcnt vmcnt(0)
	v_fma_f64 v[1:2], v[1:2], v[108:109], -v[110:111]
	v_fma_f64 v[3:4], v[3:4], v[108:109], v[104:105]
.LBB111_482:
	s_mov_b32 s6, exec_lo
	v_cmpx_ne_u32_e32 13, v0
	s_cbranch_execz .LBB111_486
; %bb.483:
	v_add_nc_u32_e32 v104, 0x310, v107
	v_add3_u32 v105, 0, v107, 16
	v_mov_b32_e32 v106, v0
	s_mov_b32 s8, 0
	.p2align	6
.LBB111_484:                            ; =>This Inner Loop Header: Depth=1
	s_clause 0x3
	buffer_load_dword v112, v105, s[0:3], 0 offen offset:8
	buffer_load_dword v113, v105, s[0:3], 0 offen offset:12
	buffer_load_dword v114, v105, s[0:3], 0 offen
	buffer_load_dword v115, v105, s[0:3], 0 offen offset:4
	ds_read_b128 v[108:111], v104
	v_add_nc_u32_e32 v106, 1, v106
	v_add_nc_u32_e32 v104, 16, v104
	;; [unrolled: 1-line block ×3, first 2 shown]
	v_cmp_lt_u32_e32 vcc_lo, 12, v106
	s_or_b32 s8, vcc_lo, s8
	s_waitcnt vmcnt(2) lgkmcnt(0)
	v_mul_f64 v[116:117], v[110:111], v[112:113]
	v_mul_f64 v[112:113], v[108:109], v[112:113]
	s_waitcnt vmcnt(0)
	v_fma_f64 v[108:109], v[108:109], v[114:115], -v[116:117]
	v_fma_f64 v[110:111], v[110:111], v[114:115], v[112:113]
	v_add_f64 v[1:2], v[1:2], v[108:109]
	v_add_f64 v[3:4], v[3:4], v[110:111]
	s_andn2_b32 exec_lo, exec_lo, s8
	s_cbranch_execnz .LBB111_484
; %bb.485:
	s_or_b32 exec_lo, exec_lo, s8
.LBB111_486:
	s_or_b32 exec_lo, exec_lo, s6
	v_mov_b32_e32 v104, 0
	ds_read_b128 v[108:111], v104 offset:224
	s_waitcnt lgkmcnt(0)
	v_mul_f64 v[104:105], v[3:4], v[110:111]
	v_mul_f64 v[110:111], v[1:2], v[110:111]
	v_fma_f64 v[1:2], v[1:2], v[108:109], -v[104:105]
	v_fma_f64 v[3:4], v[3:4], v[108:109], v[110:111]
	buffer_store_dword v2, off, s[0:3], 0 offset:228
	buffer_store_dword v1, off, s[0:3], 0 offset:224
	;; [unrolled: 1-line block ×4, first 2 shown]
.LBB111_487:
	s_or_b32 exec_lo, exec_lo, s4
	v_mov_b32_e32 v4, s41
	s_mov_b32 s4, exec_lo
	s_clause 0x3
	buffer_load_dword v1, v4, s[0:3], 0 offen
	buffer_load_dword v2, v4, s[0:3], 0 offen offset:4
	buffer_load_dword v3, v4, s[0:3], 0 offen offset:8
	buffer_load_dword v4, v4, s[0:3], 0 offen offset:12
	s_waitcnt vmcnt(0)
	ds_write_b128 v102, v[1:4]
	s_waitcnt lgkmcnt(0)
	s_waitcnt_vscnt null, 0x0
	s_barrier
	buffer_gl0_inv
	v_cmpx_gt_u32_e32 15, v0
	s_cbranch_execz .LBB111_495
; %bb.488:
	ds_read_b128 v[1:4], v102
	v_cmp_ne_u32_e32 vcc_lo, 1, v103
	s_cbranch_vccnz .LBB111_490
; %bb.489:
	s_clause 0x3
	buffer_load_dword v104, v101, s[0:3], 0 offen offset:8
	buffer_load_dword v105, v101, s[0:3], 0 offen offset:12
	buffer_load_dword v108, v101, s[0:3], 0 offen
	buffer_load_dword v109, v101, s[0:3], 0 offen offset:4
	s_waitcnt vmcnt(2) lgkmcnt(0)
	v_mul_f64 v[110:111], v[3:4], v[104:105]
	v_mul_f64 v[104:105], v[1:2], v[104:105]
	s_waitcnt vmcnt(0)
	v_fma_f64 v[1:2], v[1:2], v[108:109], -v[110:111]
	v_fma_f64 v[3:4], v[3:4], v[108:109], v[104:105]
.LBB111_490:
	s_mov_b32 s6, exec_lo
	v_cmpx_ne_u32_e32 14, v0
	s_cbranch_execz .LBB111_494
; %bb.491:
	v_add_nc_u32_e32 v104, 0x310, v107
	v_add3_u32 v105, 0, v107, 16
	v_mov_b32_e32 v106, v0
	s_mov_b32 s8, 0
	.p2align	6
.LBB111_492:                            ; =>This Inner Loop Header: Depth=1
	s_clause 0x3
	buffer_load_dword v112, v105, s[0:3], 0 offen offset:8
	buffer_load_dword v113, v105, s[0:3], 0 offen offset:12
	buffer_load_dword v114, v105, s[0:3], 0 offen
	buffer_load_dword v115, v105, s[0:3], 0 offen offset:4
	ds_read_b128 v[108:111], v104
	v_add_nc_u32_e32 v106, 1, v106
	v_add_nc_u32_e32 v104, 16, v104
	;; [unrolled: 1-line block ×3, first 2 shown]
	v_cmp_lt_u32_e32 vcc_lo, 13, v106
	s_or_b32 s8, vcc_lo, s8
	s_waitcnt vmcnt(2) lgkmcnt(0)
	v_mul_f64 v[116:117], v[110:111], v[112:113]
	v_mul_f64 v[112:113], v[108:109], v[112:113]
	s_waitcnt vmcnt(0)
	v_fma_f64 v[108:109], v[108:109], v[114:115], -v[116:117]
	v_fma_f64 v[110:111], v[110:111], v[114:115], v[112:113]
	v_add_f64 v[1:2], v[1:2], v[108:109]
	v_add_f64 v[3:4], v[3:4], v[110:111]
	s_andn2_b32 exec_lo, exec_lo, s8
	s_cbranch_execnz .LBB111_492
; %bb.493:
	s_or_b32 exec_lo, exec_lo, s8
.LBB111_494:
	s_or_b32 exec_lo, exec_lo, s6
	v_mov_b32_e32 v104, 0
	ds_read_b128 v[108:111], v104 offset:240
	s_waitcnt lgkmcnt(0)
	v_mul_f64 v[104:105], v[3:4], v[110:111]
	v_mul_f64 v[110:111], v[1:2], v[110:111]
	v_fma_f64 v[1:2], v[1:2], v[108:109], -v[104:105]
	v_fma_f64 v[3:4], v[3:4], v[108:109], v[110:111]
	buffer_store_dword v2, off, s[0:3], 0 offset:244
	buffer_store_dword v1, off, s[0:3], 0 offset:240
	;; [unrolled: 1-line block ×4, first 2 shown]
.LBB111_495:
	s_or_b32 exec_lo, exec_lo, s4
	v_mov_b32_e32 v4, s40
	s_mov_b32 s4, exec_lo
	s_clause 0x3
	buffer_load_dword v1, v4, s[0:3], 0 offen
	buffer_load_dword v2, v4, s[0:3], 0 offen offset:4
	buffer_load_dword v3, v4, s[0:3], 0 offen offset:8
	;; [unrolled: 1-line block ×3, first 2 shown]
	s_waitcnt vmcnt(0)
	ds_write_b128 v102, v[1:4]
	s_waitcnt lgkmcnt(0)
	s_waitcnt_vscnt null, 0x0
	s_barrier
	buffer_gl0_inv
	v_cmpx_gt_u32_e32 16, v0
	s_cbranch_execz .LBB111_503
; %bb.496:
	ds_read_b128 v[1:4], v102
	v_cmp_ne_u32_e32 vcc_lo, 1, v103
	s_cbranch_vccnz .LBB111_498
; %bb.497:
	s_clause 0x3
	buffer_load_dword v104, v101, s[0:3], 0 offen offset:8
	buffer_load_dword v105, v101, s[0:3], 0 offen offset:12
	buffer_load_dword v108, v101, s[0:3], 0 offen
	buffer_load_dword v109, v101, s[0:3], 0 offen offset:4
	s_waitcnt vmcnt(2) lgkmcnt(0)
	v_mul_f64 v[110:111], v[3:4], v[104:105]
	v_mul_f64 v[104:105], v[1:2], v[104:105]
	s_waitcnt vmcnt(0)
	v_fma_f64 v[1:2], v[1:2], v[108:109], -v[110:111]
	v_fma_f64 v[3:4], v[3:4], v[108:109], v[104:105]
.LBB111_498:
	s_mov_b32 s6, exec_lo
	v_cmpx_ne_u32_e32 15, v0
	s_cbranch_execz .LBB111_502
; %bb.499:
	v_add_nc_u32_e32 v104, 0x310, v107
	v_add3_u32 v105, 0, v107, 16
	v_mov_b32_e32 v106, v0
	s_mov_b32 s8, 0
	.p2align	6
.LBB111_500:                            ; =>This Inner Loop Header: Depth=1
	s_clause 0x3
	buffer_load_dword v112, v105, s[0:3], 0 offen offset:8
	buffer_load_dword v113, v105, s[0:3], 0 offen offset:12
	buffer_load_dword v114, v105, s[0:3], 0 offen
	buffer_load_dword v115, v105, s[0:3], 0 offen offset:4
	ds_read_b128 v[108:111], v104
	v_add_nc_u32_e32 v106, 1, v106
	v_add_nc_u32_e32 v104, 16, v104
	;; [unrolled: 1-line block ×3, first 2 shown]
	v_cmp_lt_u32_e32 vcc_lo, 14, v106
	s_or_b32 s8, vcc_lo, s8
	s_waitcnt vmcnt(2) lgkmcnt(0)
	v_mul_f64 v[116:117], v[110:111], v[112:113]
	v_mul_f64 v[112:113], v[108:109], v[112:113]
	s_waitcnt vmcnt(0)
	v_fma_f64 v[108:109], v[108:109], v[114:115], -v[116:117]
	v_fma_f64 v[110:111], v[110:111], v[114:115], v[112:113]
	v_add_f64 v[1:2], v[1:2], v[108:109]
	v_add_f64 v[3:4], v[3:4], v[110:111]
	s_andn2_b32 exec_lo, exec_lo, s8
	s_cbranch_execnz .LBB111_500
; %bb.501:
	s_or_b32 exec_lo, exec_lo, s8
.LBB111_502:
	s_or_b32 exec_lo, exec_lo, s6
	v_mov_b32_e32 v104, 0
	ds_read_b128 v[108:111], v104 offset:256
	s_waitcnt lgkmcnt(0)
	v_mul_f64 v[104:105], v[3:4], v[110:111]
	v_mul_f64 v[110:111], v[1:2], v[110:111]
	v_fma_f64 v[1:2], v[1:2], v[108:109], -v[104:105]
	v_fma_f64 v[3:4], v[3:4], v[108:109], v[110:111]
	buffer_store_dword v2, off, s[0:3], 0 offset:260
	buffer_store_dword v1, off, s[0:3], 0 offset:256
	buffer_store_dword v4, off, s[0:3], 0 offset:268
	buffer_store_dword v3, off, s[0:3], 0 offset:264
.LBB111_503:
	s_or_b32 exec_lo, exec_lo, s4
	v_mov_b32_e32 v4, s39
	s_mov_b32 s4, exec_lo
	s_clause 0x3
	buffer_load_dword v1, v4, s[0:3], 0 offen
	buffer_load_dword v2, v4, s[0:3], 0 offen offset:4
	buffer_load_dword v3, v4, s[0:3], 0 offen offset:8
	;; [unrolled: 1-line block ×3, first 2 shown]
	s_waitcnt vmcnt(0)
	ds_write_b128 v102, v[1:4]
	s_waitcnt lgkmcnt(0)
	s_waitcnt_vscnt null, 0x0
	s_barrier
	buffer_gl0_inv
	v_cmpx_gt_u32_e32 17, v0
	s_cbranch_execz .LBB111_511
; %bb.504:
	ds_read_b128 v[1:4], v102
	v_cmp_ne_u32_e32 vcc_lo, 1, v103
	s_cbranch_vccnz .LBB111_506
; %bb.505:
	s_clause 0x3
	buffer_load_dword v104, v101, s[0:3], 0 offen offset:8
	buffer_load_dword v105, v101, s[0:3], 0 offen offset:12
	buffer_load_dword v108, v101, s[0:3], 0 offen
	buffer_load_dword v109, v101, s[0:3], 0 offen offset:4
	s_waitcnt vmcnt(2) lgkmcnt(0)
	v_mul_f64 v[110:111], v[3:4], v[104:105]
	v_mul_f64 v[104:105], v[1:2], v[104:105]
	s_waitcnt vmcnt(0)
	v_fma_f64 v[1:2], v[1:2], v[108:109], -v[110:111]
	v_fma_f64 v[3:4], v[3:4], v[108:109], v[104:105]
.LBB111_506:
	s_mov_b32 s6, exec_lo
	v_cmpx_ne_u32_e32 16, v0
	s_cbranch_execz .LBB111_510
; %bb.507:
	v_add_nc_u32_e32 v104, 0x310, v107
	v_add3_u32 v105, 0, v107, 16
	v_mov_b32_e32 v106, v0
	s_mov_b32 s8, 0
	.p2align	6
.LBB111_508:                            ; =>This Inner Loop Header: Depth=1
	s_clause 0x3
	buffer_load_dword v112, v105, s[0:3], 0 offen offset:8
	buffer_load_dword v113, v105, s[0:3], 0 offen offset:12
	buffer_load_dword v114, v105, s[0:3], 0 offen
	buffer_load_dword v115, v105, s[0:3], 0 offen offset:4
	ds_read_b128 v[108:111], v104
	v_add_nc_u32_e32 v106, 1, v106
	v_add_nc_u32_e32 v104, 16, v104
	;; [unrolled: 1-line block ×3, first 2 shown]
	v_cmp_lt_u32_e32 vcc_lo, 15, v106
	s_or_b32 s8, vcc_lo, s8
	s_waitcnt vmcnt(2) lgkmcnt(0)
	v_mul_f64 v[116:117], v[110:111], v[112:113]
	v_mul_f64 v[112:113], v[108:109], v[112:113]
	s_waitcnt vmcnt(0)
	v_fma_f64 v[108:109], v[108:109], v[114:115], -v[116:117]
	v_fma_f64 v[110:111], v[110:111], v[114:115], v[112:113]
	v_add_f64 v[1:2], v[1:2], v[108:109]
	v_add_f64 v[3:4], v[3:4], v[110:111]
	s_andn2_b32 exec_lo, exec_lo, s8
	s_cbranch_execnz .LBB111_508
; %bb.509:
	s_or_b32 exec_lo, exec_lo, s8
.LBB111_510:
	s_or_b32 exec_lo, exec_lo, s6
	v_mov_b32_e32 v104, 0
	ds_read_b128 v[108:111], v104 offset:272
	s_waitcnt lgkmcnt(0)
	v_mul_f64 v[104:105], v[3:4], v[110:111]
	v_mul_f64 v[110:111], v[1:2], v[110:111]
	v_fma_f64 v[1:2], v[1:2], v[108:109], -v[104:105]
	v_fma_f64 v[3:4], v[3:4], v[108:109], v[110:111]
	buffer_store_dword v2, off, s[0:3], 0 offset:276
	buffer_store_dword v1, off, s[0:3], 0 offset:272
	;; [unrolled: 1-line block ×4, first 2 shown]
.LBB111_511:
	s_or_b32 exec_lo, exec_lo, s4
	v_mov_b32_e32 v4, s38
	s_mov_b32 s4, exec_lo
	s_clause 0x3
	buffer_load_dword v1, v4, s[0:3], 0 offen
	buffer_load_dword v2, v4, s[0:3], 0 offen offset:4
	buffer_load_dword v3, v4, s[0:3], 0 offen offset:8
	;; [unrolled: 1-line block ×3, first 2 shown]
	s_waitcnt vmcnt(0)
	ds_write_b128 v102, v[1:4]
	s_waitcnt lgkmcnt(0)
	s_waitcnt_vscnt null, 0x0
	s_barrier
	buffer_gl0_inv
	v_cmpx_gt_u32_e32 18, v0
	s_cbranch_execz .LBB111_519
; %bb.512:
	ds_read_b128 v[1:4], v102
	v_cmp_ne_u32_e32 vcc_lo, 1, v103
	s_cbranch_vccnz .LBB111_514
; %bb.513:
	s_clause 0x3
	buffer_load_dword v104, v101, s[0:3], 0 offen offset:8
	buffer_load_dword v105, v101, s[0:3], 0 offen offset:12
	buffer_load_dword v108, v101, s[0:3], 0 offen
	buffer_load_dword v109, v101, s[0:3], 0 offen offset:4
	s_waitcnt vmcnt(2) lgkmcnt(0)
	v_mul_f64 v[110:111], v[3:4], v[104:105]
	v_mul_f64 v[104:105], v[1:2], v[104:105]
	s_waitcnt vmcnt(0)
	v_fma_f64 v[1:2], v[1:2], v[108:109], -v[110:111]
	v_fma_f64 v[3:4], v[3:4], v[108:109], v[104:105]
.LBB111_514:
	s_mov_b32 s6, exec_lo
	v_cmpx_ne_u32_e32 17, v0
	s_cbranch_execz .LBB111_518
; %bb.515:
	v_add_nc_u32_e32 v104, 0x310, v107
	v_add3_u32 v105, 0, v107, 16
	v_mov_b32_e32 v106, v0
	s_mov_b32 s8, 0
	.p2align	6
.LBB111_516:                            ; =>This Inner Loop Header: Depth=1
	s_clause 0x3
	buffer_load_dword v112, v105, s[0:3], 0 offen offset:8
	buffer_load_dword v113, v105, s[0:3], 0 offen offset:12
	buffer_load_dword v114, v105, s[0:3], 0 offen
	buffer_load_dword v115, v105, s[0:3], 0 offen offset:4
	ds_read_b128 v[108:111], v104
	v_add_nc_u32_e32 v106, 1, v106
	v_add_nc_u32_e32 v104, 16, v104
	;; [unrolled: 1-line block ×3, first 2 shown]
	v_cmp_lt_u32_e32 vcc_lo, 16, v106
	s_or_b32 s8, vcc_lo, s8
	s_waitcnt vmcnt(2) lgkmcnt(0)
	v_mul_f64 v[116:117], v[110:111], v[112:113]
	v_mul_f64 v[112:113], v[108:109], v[112:113]
	s_waitcnt vmcnt(0)
	v_fma_f64 v[108:109], v[108:109], v[114:115], -v[116:117]
	v_fma_f64 v[110:111], v[110:111], v[114:115], v[112:113]
	v_add_f64 v[1:2], v[1:2], v[108:109]
	v_add_f64 v[3:4], v[3:4], v[110:111]
	s_andn2_b32 exec_lo, exec_lo, s8
	s_cbranch_execnz .LBB111_516
; %bb.517:
	s_or_b32 exec_lo, exec_lo, s8
.LBB111_518:
	s_or_b32 exec_lo, exec_lo, s6
	v_mov_b32_e32 v104, 0
	ds_read_b128 v[108:111], v104 offset:288
	s_waitcnt lgkmcnt(0)
	v_mul_f64 v[104:105], v[3:4], v[110:111]
	v_mul_f64 v[110:111], v[1:2], v[110:111]
	v_fma_f64 v[1:2], v[1:2], v[108:109], -v[104:105]
	v_fma_f64 v[3:4], v[3:4], v[108:109], v[110:111]
	buffer_store_dword v2, off, s[0:3], 0 offset:292
	buffer_store_dword v1, off, s[0:3], 0 offset:288
	buffer_store_dword v4, off, s[0:3], 0 offset:300
	buffer_store_dword v3, off, s[0:3], 0 offset:296
.LBB111_519:
	s_or_b32 exec_lo, exec_lo, s4
	v_mov_b32_e32 v4, s37
	s_mov_b32 s4, exec_lo
	s_clause 0x3
	buffer_load_dword v1, v4, s[0:3], 0 offen
	buffer_load_dword v2, v4, s[0:3], 0 offen offset:4
	buffer_load_dword v3, v4, s[0:3], 0 offen offset:8
	;; [unrolled: 1-line block ×3, first 2 shown]
	s_waitcnt vmcnt(0)
	ds_write_b128 v102, v[1:4]
	s_waitcnt lgkmcnt(0)
	s_waitcnt_vscnt null, 0x0
	s_barrier
	buffer_gl0_inv
	v_cmpx_gt_u32_e32 19, v0
	s_cbranch_execz .LBB111_527
; %bb.520:
	ds_read_b128 v[1:4], v102
	v_cmp_ne_u32_e32 vcc_lo, 1, v103
	s_cbranch_vccnz .LBB111_522
; %bb.521:
	s_clause 0x3
	buffer_load_dword v104, v101, s[0:3], 0 offen offset:8
	buffer_load_dword v105, v101, s[0:3], 0 offen offset:12
	buffer_load_dword v108, v101, s[0:3], 0 offen
	buffer_load_dword v109, v101, s[0:3], 0 offen offset:4
	s_waitcnt vmcnt(2) lgkmcnt(0)
	v_mul_f64 v[110:111], v[3:4], v[104:105]
	v_mul_f64 v[104:105], v[1:2], v[104:105]
	s_waitcnt vmcnt(0)
	v_fma_f64 v[1:2], v[1:2], v[108:109], -v[110:111]
	v_fma_f64 v[3:4], v[3:4], v[108:109], v[104:105]
.LBB111_522:
	s_mov_b32 s6, exec_lo
	v_cmpx_ne_u32_e32 18, v0
	s_cbranch_execz .LBB111_526
; %bb.523:
	v_add_nc_u32_e32 v104, 0x310, v107
	v_add3_u32 v105, 0, v107, 16
	v_mov_b32_e32 v106, v0
	s_mov_b32 s8, 0
	.p2align	6
.LBB111_524:                            ; =>This Inner Loop Header: Depth=1
	s_clause 0x3
	buffer_load_dword v112, v105, s[0:3], 0 offen offset:8
	buffer_load_dword v113, v105, s[0:3], 0 offen offset:12
	buffer_load_dword v114, v105, s[0:3], 0 offen
	buffer_load_dword v115, v105, s[0:3], 0 offen offset:4
	ds_read_b128 v[108:111], v104
	v_add_nc_u32_e32 v106, 1, v106
	v_add_nc_u32_e32 v104, 16, v104
	;; [unrolled: 1-line block ×3, first 2 shown]
	v_cmp_lt_u32_e32 vcc_lo, 17, v106
	s_or_b32 s8, vcc_lo, s8
	s_waitcnt vmcnt(2) lgkmcnt(0)
	v_mul_f64 v[116:117], v[110:111], v[112:113]
	v_mul_f64 v[112:113], v[108:109], v[112:113]
	s_waitcnt vmcnt(0)
	v_fma_f64 v[108:109], v[108:109], v[114:115], -v[116:117]
	v_fma_f64 v[110:111], v[110:111], v[114:115], v[112:113]
	v_add_f64 v[1:2], v[1:2], v[108:109]
	v_add_f64 v[3:4], v[3:4], v[110:111]
	s_andn2_b32 exec_lo, exec_lo, s8
	s_cbranch_execnz .LBB111_524
; %bb.525:
	s_or_b32 exec_lo, exec_lo, s8
.LBB111_526:
	s_or_b32 exec_lo, exec_lo, s6
	v_mov_b32_e32 v104, 0
	ds_read_b128 v[108:111], v104 offset:304
	s_waitcnt lgkmcnt(0)
	v_mul_f64 v[104:105], v[3:4], v[110:111]
	v_mul_f64 v[110:111], v[1:2], v[110:111]
	v_fma_f64 v[1:2], v[1:2], v[108:109], -v[104:105]
	v_fma_f64 v[3:4], v[3:4], v[108:109], v[110:111]
	buffer_store_dword v2, off, s[0:3], 0 offset:308
	buffer_store_dword v1, off, s[0:3], 0 offset:304
	;; [unrolled: 1-line block ×4, first 2 shown]
.LBB111_527:
	s_or_b32 exec_lo, exec_lo, s4
	v_mov_b32_e32 v4, s36
	s_mov_b32 s4, exec_lo
	s_clause 0x3
	buffer_load_dword v1, v4, s[0:3], 0 offen
	buffer_load_dword v2, v4, s[0:3], 0 offen offset:4
	buffer_load_dword v3, v4, s[0:3], 0 offen offset:8
	;; [unrolled: 1-line block ×3, first 2 shown]
	s_waitcnt vmcnt(0)
	ds_write_b128 v102, v[1:4]
	s_waitcnt lgkmcnt(0)
	s_waitcnt_vscnt null, 0x0
	s_barrier
	buffer_gl0_inv
	v_cmpx_gt_u32_e32 20, v0
	s_cbranch_execz .LBB111_535
; %bb.528:
	ds_read_b128 v[1:4], v102
	v_cmp_ne_u32_e32 vcc_lo, 1, v103
	s_cbranch_vccnz .LBB111_530
; %bb.529:
	s_clause 0x3
	buffer_load_dword v104, v101, s[0:3], 0 offen offset:8
	buffer_load_dword v105, v101, s[0:3], 0 offen offset:12
	buffer_load_dword v108, v101, s[0:3], 0 offen
	buffer_load_dword v109, v101, s[0:3], 0 offen offset:4
	s_waitcnt vmcnt(2) lgkmcnt(0)
	v_mul_f64 v[110:111], v[3:4], v[104:105]
	v_mul_f64 v[104:105], v[1:2], v[104:105]
	s_waitcnt vmcnt(0)
	v_fma_f64 v[1:2], v[1:2], v[108:109], -v[110:111]
	v_fma_f64 v[3:4], v[3:4], v[108:109], v[104:105]
.LBB111_530:
	s_mov_b32 s6, exec_lo
	v_cmpx_ne_u32_e32 19, v0
	s_cbranch_execz .LBB111_534
; %bb.531:
	v_add_nc_u32_e32 v104, 0x310, v107
	v_add3_u32 v105, 0, v107, 16
	v_mov_b32_e32 v106, v0
	s_mov_b32 s8, 0
	.p2align	6
.LBB111_532:                            ; =>This Inner Loop Header: Depth=1
	s_clause 0x3
	buffer_load_dword v112, v105, s[0:3], 0 offen offset:8
	buffer_load_dword v113, v105, s[0:3], 0 offen offset:12
	buffer_load_dword v114, v105, s[0:3], 0 offen
	buffer_load_dword v115, v105, s[0:3], 0 offen offset:4
	ds_read_b128 v[108:111], v104
	v_add_nc_u32_e32 v106, 1, v106
	v_add_nc_u32_e32 v104, 16, v104
	;; [unrolled: 1-line block ×3, first 2 shown]
	v_cmp_lt_u32_e32 vcc_lo, 18, v106
	s_or_b32 s8, vcc_lo, s8
	s_waitcnt vmcnt(2) lgkmcnt(0)
	v_mul_f64 v[116:117], v[110:111], v[112:113]
	v_mul_f64 v[112:113], v[108:109], v[112:113]
	s_waitcnt vmcnt(0)
	v_fma_f64 v[108:109], v[108:109], v[114:115], -v[116:117]
	v_fma_f64 v[110:111], v[110:111], v[114:115], v[112:113]
	v_add_f64 v[1:2], v[1:2], v[108:109]
	v_add_f64 v[3:4], v[3:4], v[110:111]
	s_andn2_b32 exec_lo, exec_lo, s8
	s_cbranch_execnz .LBB111_532
; %bb.533:
	s_or_b32 exec_lo, exec_lo, s8
.LBB111_534:
	s_or_b32 exec_lo, exec_lo, s6
	v_mov_b32_e32 v104, 0
	ds_read_b128 v[108:111], v104 offset:320
	s_waitcnt lgkmcnt(0)
	v_mul_f64 v[104:105], v[3:4], v[110:111]
	v_mul_f64 v[110:111], v[1:2], v[110:111]
	v_fma_f64 v[1:2], v[1:2], v[108:109], -v[104:105]
	v_fma_f64 v[3:4], v[3:4], v[108:109], v[110:111]
	buffer_store_dword v2, off, s[0:3], 0 offset:324
	buffer_store_dword v1, off, s[0:3], 0 offset:320
	;; [unrolled: 1-line block ×4, first 2 shown]
.LBB111_535:
	s_or_b32 exec_lo, exec_lo, s4
	v_mov_b32_e32 v4, s35
	s_mov_b32 s4, exec_lo
	s_clause 0x3
	buffer_load_dword v1, v4, s[0:3], 0 offen
	buffer_load_dword v2, v4, s[0:3], 0 offen offset:4
	buffer_load_dword v3, v4, s[0:3], 0 offen offset:8
	;; [unrolled: 1-line block ×3, first 2 shown]
	s_waitcnt vmcnt(0)
	ds_write_b128 v102, v[1:4]
	s_waitcnt lgkmcnt(0)
	s_waitcnt_vscnt null, 0x0
	s_barrier
	buffer_gl0_inv
	v_cmpx_gt_u32_e32 21, v0
	s_cbranch_execz .LBB111_543
; %bb.536:
	ds_read_b128 v[1:4], v102
	v_cmp_ne_u32_e32 vcc_lo, 1, v103
	s_cbranch_vccnz .LBB111_538
; %bb.537:
	s_clause 0x3
	buffer_load_dword v104, v101, s[0:3], 0 offen offset:8
	buffer_load_dword v105, v101, s[0:3], 0 offen offset:12
	buffer_load_dword v108, v101, s[0:3], 0 offen
	buffer_load_dword v109, v101, s[0:3], 0 offen offset:4
	s_waitcnt vmcnt(2) lgkmcnt(0)
	v_mul_f64 v[110:111], v[3:4], v[104:105]
	v_mul_f64 v[104:105], v[1:2], v[104:105]
	s_waitcnt vmcnt(0)
	v_fma_f64 v[1:2], v[1:2], v[108:109], -v[110:111]
	v_fma_f64 v[3:4], v[3:4], v[108:109], v[104:105]
.LBB111_538:
	s_mov_b32 s6, exec_lo
	v_cmpx_ne_u32_e32 20, v0
	s_cbranch_execz .LBB111_542
; %bb.539:
	v_add_nc_u32_e32 v104, 0x310, v107
	v_add3_u32 v105, 0, v107, 16
	v_mov_b32_e32 v106, v0
	s_mov_b32 s8, 0
	.p2align	6
.LBB111_540:                            ; =>This Inner Loop Header: Depth=1
	s_clause 0x3
	buffer_load_dword v112, v105, s[0:3], 0 offen offset:8
	buffer_load_dword v113, v105, s[0:3], 0 offen offset:12
	buffer_load_dword v114, v105, s[0:3], 0 offen
	buffer_load_dword v115, v105, s[0:3], 0 offen offset:4
	ds_read_b128 v[108:111], v104
	v_add_nc_u32_e32 v106, 1, v106
	v_add_nc_u32_e32 v104, 16, v104
	;; [unrolled: 1-line block ×3, first 2 shown]
	v_cmp_lt_u32_e32 vcc_lo, 19, v106
	s_or_b32 s8, vcc_lo, s8
	s_waitcnt vmcnt(2) lgkmcnt(0)
	v_mul_f64 v[116:117], v[110:111], v[112:113]
	v_mul_f64 v[112:113], v[108:109], v[112:113]
	s_waitcnt vmcnt(0)
	v_fma_f64 v[108:109], v[108:109], v[114:115], -v[116:117]
	v_fma_f64 v[110:111], v[110:111], v[114:115], v[112:113]
	v_add_f64 v[1:2], v[1:2], v[108:109]
	v_add_f64 v[3:4], v[3:4], v[110:111]
	s_andn2_b32 exec_lo, exec_lo, s8
	s_cbranch_execnz .LBB111_540
; %bb.541:
	s_or_b32 exec_lo, exec_lo, s8
.LBB111_542:
	s_or_b32 exec_lo, exec_lo, s6
	v_mov_b32_e32 v104, 0
	ds_read_b128 v[108:111], v104 offset:336
	s_waitcnt lgkmcnt(0)
	v_mul_f64 v[104:105], v[3:4], v[110:111]
	v_mul_f64 v[110:111], v[1:2], v[110:111]
	v_fma_f64 v[1:2], v[1:2], v[108:109], -v[104:105]
	v_fma_f64 v[3:4], v[3:4], v[108:109], v[110:111]
	buffer_store_dword v2, off, s[0:3], 0 offset:340
	buffer_store_dword v1, off, s[0:3], 0 offset:336
	;; [unrolled: 1-line block ×4, first 2 shown]
.LBB111_543:
	s_or_b32 exec_lo, exec_lo, s4
	v_mov_b32_e32 v4, s34
	s_mov_b32 s4, exec_lo
	s_clause 0x3
	buffer_load_dword v1, v4, s[0:3], 0 offen
	buffer_load_dword v2, v4, s[0:3], 0 offen offset:4
	buffer_load_dword v3, v4, s[0:3], 0 offen offset:8
	;; [unrolled: 1-line block ×3, first 2 shown]
	s_waitcnt vmcnt(0)
	ds_write_b128 v102, v[1:4]
	s_waitcnt lgkmcnt(0)
	s_waitcnt_vscnt null, 0x0
	s_barrier
	buffer_gl0_inv
	v_cmpx_gt_u32_e32 22, v0
	s_cbranch_execz .LBB111_551
; %bb.544:
	ds_read_b128 v[1:4], v102
	v_cmp_ne_u32_e32 vcc_lo, 1, v103
	s_cbranch_vccnz .LBB111_546
; %bb.545:
	s_clause 0x3
	buffer_load_dword v104, v101, s[0:3], 0 offen offset:8
	buffer_load_dword v105, v101, s[0:3], 0 offen offset:12
	buffer_load_dword v108, v101, s[0:3], 0 offen
	buffer_load_dword v109, v101, s[0:3], 0 offen offset:4
	s_waitcnt vmcnt(2) lgkmcnt(0)
	v_mul_f64 v[110:111], v[3:4], v[104:105]
	v_mul_f64 v[104:105], v[1:2], v[104:105]
	s_waitcnt vmcnt(0)
	v_fma_f64 v[1:2], v[1:2], v[108:109], -v[110:111]
	v_fma_f64 v[3:4], v[3:4], v[108:109], v[104:105]
.LBB111_546:
	s_mov_b32 s6, exec_lo
	v_cmpx_ne_u32_e32 21, v0
	s_cbranch_execz .LBB111_550
; %bb.547:
	v_add_nc_u32_e32 v104, 0x310, v107
	v_add3_u32 v105, 0, v107, 16
	v_mov_b32_e32 v106, v0
	s_mov_b32 s8, 0
	.p2align	6
.LBB111_548:                            ; =>This Inner Loop Header: Depth=1
	s_clause 0x3
	buffer_load_dword v112, v105, s[0:3], 0 offen offset:8
	buffer_load_dword v113, v105, s[0:3], 0 offen offset:12
	buffer_load_dword v114, v105, s[0:3], 0 offen
	buffer_load_dword v115, v105, s[0:3], 0 offen offset:4
	ds_read_b128 v[108:111], v104
	v_add_nc_u32_e32 v106, 1, v106
	v_add_nc_u32_e32 v104, 16, v104
	;; [unrolled: 1-line block ×3, first 2 shown]
	v_cmp_lt_u32_e32 vcc_lo, 20, v106
	s_or_b32 s8, vcc_lo, s8
	s_waitcnt vmcnt(2) lgkmcnt(0)
	v_mul_f64 v[116:117], v[110:111], v[112:113]
	v_mul_f64 v[112:113], v[108:109], v[112:113]
	s_waitcnt vmcnt(0)
	v_fma_f64 v[108:109], v[108:109], v[114:115], -v[116:117]
	v_fma_f64 v[110:111], v[110:111], v[114:115], v[112:113]
	v_add_f64 v[1:2], v[1:2], v[108:109]
	v_add_f64 v[3:4], v[3:4], v[110:111]
	s_andn2_b32 exec_lo, exec_lo, s8
	s_cbranch_execnz .LBB111_548
; %bb.549:
	s_or_b32 exec_lo, exec_lo, s8
.LBB111_550:
	s_or_b32 exec_lo, exec_lo, s6
	v_mov_b32_e32 v104, 0
	ds_read_b128 v[108:111], v104 offset:352
	s_waitcnt lgkmcnt(0)
	v_mul_f64 v[104:105], v[3:4], v[110:111]
	v_mul_f64 v[110:111], v[1:2], v[110:111]
	v_fma_f64 v[1:2], v[1:2], v[108:109], -v[104:105]
	v_fma_f64 v[3:4], v[3:4], v[108:109], v[110:111]
	buffer_store_dword v2, off, s[0:3], 0 offset:356
	buffer_store_dword v1, off, s[0:3], 0 offset:352
	;; [unrolled: 1-line block ×4, first 2 shown]
.LBB111_551:
	s_or_b32 exec_lo, exec_lo, s4
	v_mov_b32_e32 v4, s33
	s_mov_b32 s4, exec_lo
	s_clause 0x3
	buffer_load_dword v1, v4, s[0:3], 0 offen
	buffer_load_dword v2, v4, s[0:3], 0 offen offset:4
	buffer_load_dword v3, v4, s[0:3], 0 offen offset:8
	;; [unrolled: 1-line block ×3, first 2 shown]
	s_waitcnt vmcnt(0)
	ds_write_b128 v102, v[1:4]
	s_waitcnt lgkmcnt(0)
	s_waitcnt_vscnt null, 0x0
	s_barrier
	buffer_gl0_inv
	v_cmpx_gt_u32_e32 23, v0
	s_cbranch_execz .LBB111_559
; %bb.552:
	ds_read_b128 v[1:4], v102
	v_cmp_ne_u32_e32 vcc_lo, 1, v103
	s_cbranch_vccnz .LBB111_554
; %bb.553:
	s_clause 0x3
	buffer_load_dword v104, v101, s[0:3], 0 offen offset:8
	buffer_load_dword v105, v101, s[0:3], 0 offen offset:12
	buffer_load_dword v108, v101, s[0:3], 0 offen
	buffer_load_dword v109, v101, s[0:3], 0 offen offset:4
	s_waitcnt vmcnt(2) lgkmcnt(0)
	v_mul_f64 v[110:111], v[3:4], v[104:105]
	v_mul_f64 v[104:105], v[1:2], v[104:105]
	s_waitcnt vmcnt(0)
	v_fma_f64 v[1:2], v[1:2], v[108:109], -v[110:111]
	v_fma_f64 v[3:4], v[3:4], v[108:109], v[104:105]
.LBB111_554:
	s_mov_b32 s6, exec_lo
	v_cmpx_ne_u32_e32 22, v0
	s_cbranch_execz .LBB111_558
; %bb.555:
	v_add_nc_u32_e32 v104, 0x310, v107
	v_add3_u32 v105, 0, v107, 16
	v_mov_b32_e32 v106, v0
	s_mov_b32 s8, 0
	.p2align	6
.LBB111_556:                            ; =>This Inner Loop Header: Depth=1
	s_clause 0x3
	buffer_load_dword v112, v105, s[0:3], 0 offen offset:8
	buffer_load_dword v113, v105, s[0:3], 0 offen offset:12
	buffer_load_dword v114, v105, s[0:3], 0 offen
	buffer_load_dword v115, v105, s[0:3], 0 offen offset:4
	ds_read_b128 v[108:111], v104
	v_add_nc_u32_e32 v106, 1, v106
	v_add_nc_u32_e32 v104, 16, v104
	;; [unrolled: 1-line block ×3, first 2 shown]
	v_cmp_lt_u32_e32 vcc_lo, 21, v106
	s_or_b32 s8, vcc_lo, s8
	s_waitcnt vmcnt(2) lgkmcnt(0)
	v_mul_f64 v[116:117], v[110:111], v[112:113]
	v_mul_f64 v[112:113], v[108:109], v[112:113]
	s_waitcnt vmcnt(0)
	v_fma_f64 v[108:109], v[108:109], v[114:115], -v[116:117]
	v_fma_f64 v[110:111], v[110:111], v[114:115], v[112:113]
	v_add_f64 v[1:2], v[1:2], v[108:109]
	v_add_f64 v[3:4], v[3:4], v[110:111]
	s_andn2_b32 exec_lo, exec_lo, s8
	s_cbranch_execnz .LBB111_556
; %bb.557:
	s_or_b32 exec_lo, exec_lo, s8
.LBB111_558:
	s_or_b32 exec_lo, exec_lo, s6
	v_mov_b32_e32 v104, 0
	ds_read_b128 v[108:111], v104 offset:368
	s_waitcnt lgkmcnt(0)
	v_mul_f64 v[104:105], v[3:4], v[110:111]
	v_mul_f64 v[110:111], v[1:2], v[110:111]
	v_fma_f64 v[1:2], v[1:2], v[108:109], -v[104:105]
	v_fma_f64 v[3:4], v[3:4], v[108:109], v[110:111]
	buffer_store_dword v2, off, s[0:3], 0 offset:372
	buffer_store_dword v1, off, s[0:3], 0 offset:368
	;; [unrolled: 1-line block ×4, first 2 shown]
.LBB111_559:
	s_or_b32 exec_lo, exec_lo, s4
	v_mov_b32_e32 v4, s31
	s_mov_b32 s4, exec_lo
	s_clause 0x3
	buffer_load_dword v1, v4, s[0:3], 0 offen
	buffer_load_dword v2, v4, s[0:3], 0 offen offset:4
	buffer_load_dword v3, v4, s[0:3], 0 offen offset:8
	;; [unrolled: 1-line block ×3, first 2 shown]
	s_waitcnt vmcnt(0)
	ds_write_b128 v102, v[1:4]
	s_waitcnt lgkmcnt(0)
	s_waitcnt_vscnt null, 0x0
	s_barrier
	buffer_gl0_inv
	v_cmpx_gt_u32_e32 24, v0
	s_cbranch_execz .LBB111_567
; %bb.560:
	ds_read_b128 v[1:4], v102
	v_cmp_ne_u32_e32 vcc_lo, 1, v103
	s_cbranch_vccnz .LBB111_562
; %bb.561:
	s_clause 0x3
	buffer_load_dword v104, v101, s[0:3], 0 offen offset:8
	buffer_load_dword v105, v101, s[0:3], 0 offen offset:12
	buffer_load_dword v108, v101, s[0:3], 0 offen
	buffer_load_dword v109, v101, s[0:3], 0 offen offset:4
	s_waitcnt vmcnt(2) lgkmcnt(0)
	v_mul_f64 v[110:111], v[3:4], v[104:105]
	v_mul_f64 v[104:105], v[1:2], v[104:105]
	s_waitcnt vmcnt(0)
	v_fma_f64 v[1:2], v[1:2], v[108:109], -v[110:111]
	v_fma_f64 v[3:4], v[3:4], v[108:109], v[104:105]
.LBB111_562:
	s_mov_b32 s6, exec_lo
	v_cmpx_ne_u32_e32 23, v0
	s_cbranch_execz .LBB111_566
; %bb.563:
	v_add_nc_u32_e32 v104, 0x310, v107
	v_add3_u32 v105, 0, v107, 16
	v_mov_b32_e32 v106, v0
	s_mov_b32 s8, 0
	.p2align	6
.LBB111_564:                            ; =>This Inner Loop Header: Depth=1
	s_clause 0x3
	buffer_load_dword v112, v105, s[0:3], 0 offen offset:8
	buffer_load_dword v113, v105, s[0:3], 0 offen offset:12
	buffer_load_dword v114, v105, s[0:3], 0 offen
	buffer_load_dword v115, v105, s[0:3], 0 offen offset:4
	ds_read_b128 v[108:111], v104
	v_add_nc_u32_e32 v106, 1, v106
	v_add_nc_u32_e32 v104, 16, v104
	;; [unrolled: 1-line block ×3, first 2 shown]
	v_cmp_lt_u32_e32 vcc_lo, 22, v106
	s_or_b32 s8, vcc_lo, s8
	s_waitcnt vmcnt(2) lgkmcnt(0)
	v_mul_f64 v[116:117], v[110:111], v[112:113]
	v_mul_f64 v[112:113], v[108:109], v[112:113]
	s_waitcnt vmcnt(0)
	v_fma_f64 v[108:109], v[108:109], v[114:115], -v[116:117]
	v_fma_f64 v[110:111], v[110:111], v[114:115], v[112:113]
	v_add_f64 v[1:2], v[1:2], v[108:109]
	v_add_f64 v[3:4], v[3:4], v[110:111]
	s_andn2_b32 exec_lo, exec_lo, s8
	s_cbranch_execnz .LBB111_564
; %bb.565:
	s_or_b32 exec_lo, exec_lo, s8
.LBB111_566:
	s_or_b32 exec_lo, exec_lo, s6
	v_mov_b32_e32 v104, 0
	ds_read_b128 v[108:111], v104 offset:384
	s_waitcnt lgkmcnt(0)
	v_mul_f64 v[104:105], v[3:4], v[110:111]
	v_mul_f64 v[110:111], v[1:2], v[110:111]
	v_fma_f64 v[1:2], v[1:2], v[108:109], -v[104:105]
	v_fma_f64 v[3:4], v[3:4], v[108:109], v[110:111]
	buffer_store_dword v2, off, s[0:3], 0 offset:388
	buffer_store_dword v1, off, s[0:3], 0 offset:384
	;; [unrolled: 1-line block ×4, first 2 shown]
.LBB111_567:
	s_or_b32 exec_lo, exec_lo, s4
	v_mov_b32_e32 v4, s30
	s_mov_b32 s4, exec_lo
	s_clause 0x3
	buffer_load_dword v1, v4, s[0:3], 0 offen
	buffer_load_dword v2, v4, s[0:3], 0 offen offset:4
	buffer_load_dword v3, v4, s[0:3], 0 offen offset:8
	;; [unrolled: 1-line block ×3, first 2 shown]
	s_waitcnt vmcnt(0)
	ds_write_b128 v102, v[1:4]
	s_waitcnt lgkmcnt(0)
	s_waitcnt_vscnt null, 0x0
	s_barrier
	buffer_gl0_inv
	v_cmpx_gt_u32_e32 25, v0
	s_cbranch_execz .LBB111_575
; %bb.568:
	ds_read_b128 v[1:4], v102
	v_cmp_ne_u32_e32 vcc_lo, 1, v103
	s_cbranch_vccnz .LBB111_570
; %bb.569:
	s_clause 0x3
	buffer_load_dword v104, v101, s[0:3], 0 offen offset:8
	buffer_load_dword v105, v101, s[0:3], 0 offen offset:12
	buffer_load_dword v108, v101, s[0:3], 0 offen
	buffer_load_dword v109, v101, s[0:3], 0 offen offset:4
	s_waitcnt vmcnt(2) lgkmcnt(0)
	v_mul_f64 v[110:111], v[3:4], v[104:105]
	v_mul_f64 v[104:105], v[1:2], v[104:105]
	s_waitcnt vmcnt(0)
	v_fma_f64 v[1:2], v[1:2], v[108:109], -v[110:111]
	v_fma_f64 v[3:4], v[3:4], v[108:109], v[104:105]
.LBB111_570:
	s_mov_b32 s6, exec_lo
	v_cmpx_ne_u32_e32 24, v0
	s_cbranch_execz .LBB111_574
; %bb.571:
	v_add_nc_u32_e32 v104, 0x310, v107
	v_add3_u32 v105, 0, v107, 16
	v_mov_b32_e32 v106, v0
	s_mov_b32 s8, 0
	.p2align	6
.LBB111_572:                            ; =>This Inner Loop Header: Depth=1
	s_clause 0x3
	buffer_load_dword v112, v105, s[0:3], 0 offen offset:8
	buffer_load_dword v113, v105, s[0:3], 0 offen offset:12
	buffer_load_dword v114, v105, s[0:3], 0 offen
	buffer_load_dword v115, v105, s[0:3], 0 offen offset:4
	ds_read_b128 v[108:111], v104
	v_add_nc_u32_e32 v106, 1, v106
	v_add_nc_u32_e32 v104, 16, v104
	;; [unrolled: 1-line block ×3, first 2 shown]
	v_cmp_lt_u32_e32 vcc_lo, 23, v106
	s_or_b32 s8, vcc_lo, s8
	s_waitcnt vmcnt(2) lgkmcnt(0)
	v_mul_f64 v[116:117], v[110:111], v[112:113]
	v_mul_f64 v[112:113], v[108:109], v[112:113]
	s_waitcnt vmcnt(0)
	v_fma_f64 v[108:109], v[108:109], v[114:115], -v[116:117]
	v_fma_f64 v[110:111], v[110:111], v[114:115], v[112:113]
	v_add_f64 v[1:2], v[1:2], v[108:109]
	v_add_f64 v[3:4], v[3:4], v[110:111]
	s_andn2_b32 exec_lo, exec_lo, s8
	s_cbranch_execnz .LBB111_572
; %bb.573:
	s_or_b32 exec_lo, exec_lo, s8
.LBB111_574:
	s_or_b32 exec_lo, exec_lo, s6
	v_mov_b32_e32 v104, 0
	ds_read_b128 v[108:111], v104 offset:400
	s_waitcnt lgkmcnt(0)
	v_mul_f64 v[104:105], v[3:4], v[110:111]
	v_mul_f64 v[110:111], v[1:2], v[110:111]
	v_fma_f64 v[1:2], v[1:2], v[108:109], -v[104:105]
	v_fma_f64 v[3:4], v[3:4], v[108:109], v[110:111]
	buffer_store_dword v2, off, s[0:3], 0 offset:404
	buffer_store_dword v1, off, s[0:3], 0 offset:400
	buffer_store_dword v4, off, s[0:3], 0 offset:412
	buffer_store_dword v3, off, s[0:3], 0 offset:408
.LBB111_575:
	s_or_b32 exec_lo, exec_lo, s4
	v_mov_b32_e32 v4, s29
	s_mov_b32 s4, exec_lo
	s_clause 0x3
	buffer_load_dword v1, v4, s[0:3], 0 offen
	buffer_load_dword v2, v4, s[0:3], 0 offen offset:4
	buffer_load_dword v3, v4, s[0:3], 0 offen offset:8
	buffer_load_dword v4, v4, s[0:3], 0 offen offset:12
	s_waitcnt vmcnt(0)
	ds_write_b128 v102, v[1:4]
	s_waitcnt lgkmcnt(0)
	s_waitcnt_vscnt null, 0x0
	s_barrier
	buffer_gl0_inv
	v_cmpx_gt_u32_e32 26, v0
	s_cbranch_execz .LBB111_583
; %bb.576:
	ds_read_b128 v[1:4], v102
	v_cmp_ne_u32_e32 vcc_lo, 1, v103
	s_cbranch_vccnz .LBB111_578
; %bb.577:
	s_clause 0x3
	buffer_load_dword v104, v101, s[0:3], 0 offen offset:8
	buffer_load_dword v105, v101, s[0:3], 0 offen offset:12
	buffer_load_dword v108, v101, s[0:3], 0 offen
	buffer_load_dword v109, v101, s[0:3], 0 offen offset:4
	s_waitcnt vmcnt(2) lgkmcnt(0)
	v_mul_f64 v[110:111], v[3:4], v[104:105]
	v_mul_f64 v[104:105], v[1:2], v[104:105]
	s_waitcnt vmcnt(0)
	v_fma_f64 v[1:2], v[1:2], v[108:109], -v[110:111]
	v_fma_f64 v[3:4], v[3:4], v[108:109], v[104:105]
.LBB111_578:
	s_mov_b32 s6, exec_lo
	v_cmpx_ne_u32_e32 25, v0
	s_cbranch_execz .LBB111_582
; %bb.579:
	v_add_nc_u32_e32 v104, 0x310, v107
	v_add3_u32 v105, 0, v107, 16
	v_mov_b32_e32 v106, v0
	s_mov_b32 s8, 0
	.p2align	6
.LBB111_580:                            ; =>This Inner Loop Header: Depth=1
	s_clause 0x3
	buffer_load_dword v112, v105, s[0:3], 0 offen offset:8
	buffer_load_dword v113, v105, s[0:3], 0 offen offset:12
	buffer_load_dword v114, v105, s[0:3], 0 offen
	buffer_load_dword v115, v105, s[0:3], 0 offen offset:4
	ds_read_b128 v[108:111], v104
	v_add_nc_u32_e32 v106, 1, v106
	v_add_nc_u32_e32 v104, 16, v104
	;; [unrolled: 1-line block ×3, first 2 shown]
	v_cmp_lt_u32_e32 vcc_lo, 24, v106
	s_or_b32 s8, vcc_lo, s8
	s_waitcnt vmcnt(2) lgkmcnt(0)
	v_mul_f64 v[116:117], v[110:111], v[112:113]
	v_mul_f64 v[112:113], v[108:109], v[112:113]
	s_waitcnt vmcnt(0)
	v_fma_f64 v[108:109], v[108:109], v[114:115], -v[116:117]
	v_fma_f64 v[110:111], v[110:111], v[114:115], v[112:113]
	v_add_f64 v[1:2], v[1:2], v[108:109]
	v_add_f64 v[3:4], v[3:4], v[110:111]
	s_andn2_b32 exec_lo, exec_lo, s8
	s_cbranch_execnz .LBB111_580
; %bb.581:
	s_or_b32 exec_lo, exec_lo, s8
.LBB111_582:
	s_or_b32 exec_lo, exec_lo, s6
	v_mov_b32_e32 v104, 0
	ds_read_b128 v[108:111], v104 offset:416
	s_waitcnt lgkmcnt(0)
	v_mul_f64 v[104:105], v[3:4], v[110:111]
	v_mul_f64 v[110:111], v[1:2], v[110:111]
	v_fma_f64 v[1:2], v[1:2], v[108:109], -v[104:105]
	v_fma_f64 v[3:4], v[3:4], v[108:109], v[110:111]
	buffer_store_dword v2, off, s[0:3], 0 offset:420
	buffer_store_dword v1, off, s[0:3], 0 offset:416
	;; [unrolled: 1-line block ×4, first 2 shown]
.LBB111_583:
	s_or_b32 exec_lo, exec_lo, s4
	v_mov_b32_e32 v4, s28
	s_mov_b32 s4, exec_lo
	s_clause 0x3
	buffer_load_dword v1, v4, s[0:3], 0 offen
	buffer_load_dword v2, v4, s[0:3], 0 offen offset:4
	buffer_load_dword v3, v4, s[0:3], 0 offen offset:8
	;; [unrolled: 1-line block ×3, first 2 shown]
	s_waitcnt vmcnt(0)
	ds_write_b128 v102, v[1:4]
	s_waitcnt lgkmcnt(0)
	s_waitcnt_vscnt null, 0x0
	s_barrier
	buffer_gl0_inv
	v_cmpx_gt_u32_e32 27, v0
	s_cbranch_execz .LBB111_591
; %bb.584:
	ds_read_b128 v[1:4], v102
	v_cmp_ne_u32_e32 vcc_lo, 1, v103
	s_cbranch_vccnz .LBB111_586
; %bb.585:
	s_clause 0x3
	buffer_load_dword v104, v101, s[0:3], 0 offen offset:8
	buffer_load_dword v105, v101, s[0:3], 0 offen offset:12
	buffer_load_dword v108, v101, s[0:3], 0 offen
	buffer_load_dword v109, v101, s[0:3], 0 offen offset:4
	s_waitcnt vmcnt(2) lgkmcnt(0)
	v_mul_f64 v[110:111], v[3:4], v[104:105]
	v_mul_f64 v[104:105], v[1:2], v[104:105]
	s_waitcnt vmcnt(0)
	v_fma_f64 v[1:2], v[1:2], v[108:109], -v[110:111]
	v_fma_f64 v[3:4], v[3:4], v[108:109], v[104:105]
.LBB111_586:
	s_mov_b32 s6, exec_lo
	v_cmpx_ne_u32_e32 26, v0
	s_cbranch_execz .LBB111_590
; %bb.587:
	v_add_nc_u32_e32 v104, 0x310, v107
	v_add3_u32 v105, 0, v107, 16
	v_mov_b32_e32 v106, v0
	s_mov_b32 s8, 0
	.p2align	6
.LBB111_588:                            ; =>This Inner Loop Header: Depth=1
	s_clause 0x3
	buffer_load_dword v112, v105, s[0:3], 0 offen offset:8
	buffer_load_dword v113, v105, s[0:3], 0 offen offset:12
	buffer_load_dword v114, v105, s[0:3], 0 offen
	buffer_load_dword v115, v105, s[0:3], 0 offen offset:4
	ds_read_b128 v[108:111], v104
	v_add_nc_u32_e32 v106, 1, v106
	v_add_nc_u32_e32 v104, 16, v104
	;; [unrolled: 1-line block ×3, first 2 shown]
	v_cmp_lt_u32_e32 vcc_lo, 25, v106
	s_or_b32 s8, vcc_lo, s8
	s_waitcnt vmcnt(2) lgkmcnt(0)
	v_mul_f64 v[116:117], v[110:111], v[112:113]
	v_mul_f64 v[112:113], v[108:109], v[112:113]
	s_waitcnt vmcnt(0)
	v_fma_f64 v[108:109], v[108:109], v[114:115], -v[116:117]
	v_fma_f64 v[110:111], v[110:111], v[114:115], v[112:113]
	v_add_f64 v[1:2], v[1:2], v[108:109]
	v_add_f64 v[3:4], v[3:4], v[110:111]
	s_andn2_b32 exec_lo, exec_lo, s8
	s_cbranch_execnz .LBB111_588
; %bb.589:
	s_or_b32 exec_lo, exec_lo, s8
.LBB111_590:
	s_or_b32 exec_lo, exec_lo, s6
	v_mov_b32_e32 v104, 0
	ds_read_b128 v[108:111], v104 offset:432
	s_waitcnt lgkmcnt(0)
	v_mul_f64 v[104:105], v[3:4], v[110:111]
	v_mul_f64 v[110:111], v[1:2], v[110:111]
	v_fma_f64 v[1:2], v[1:2], v[108:109], -v[104:105]
	v_fma_f64 v[3:4], v[3:4], v[108:109], v[110:111]
	buffer_store_dword v2, off, s[0:3], 0 offset:436
	buffer_store_dword v1, off, s[0:3], 0 offset:432
	;; [unrolled: 1-line block ×4, first 2 shown]
.LBB111_591:
	s_or_b32 exec_lo, exec_lo, s4
	v_mov_b32_e32 v4, s27
	s_mov_b32 s4, exec_lo
	s_clause 0x3
	buffer_load_dword v1, v4, s[0:3], 0 offen
	buffer_load_dword v2, v4, s[0:3], 0 offen offset:4
	buffer_load_dword v3, v4, s[0:3], 0 offen offset:8
	;; [unrolled: 1-line block ×3, first 2 shown]
	s_waitcnt vmcnt(0)
	ds_write_b128 v102, v[1:4]
	s_waitcnt lgkmcnt(0)
	s_waitcnt_vscnt null, 0x0
	s_barrier
	buffer_gl0_inv
	v_cmpx_gt_u32_e32 28, v0
	s_cbranch_execz .LBB111_599
; %bb.592:
	ds_read_b128 v[1:4], v102
	v_cmp_ne_u32_e32 vcc_lo, 1, v103
	s_cbranch_vccnz .LBB111_594
; %bb.593:
	s_clause 0x3
	buffer_load_dword v104, v101, s[0:3], 0 offen offset:8
	buffer_load_dword v105, v101, s[0:3], 0 offen offset:12
	buffer_load_dword v108, v101, s[0:3], 0 offen
	buffer_load_dword v109, v101, s[0:3], 0 offen offset:4
	s_waitcnt vmcnt(2) lgkmcnt(0)
	v_mul_f64 v[110:111], v[3:4], v[104:105]
	v_mul_f64 v[104:105], v[1:2], v[104:105]
	s_waitcnt vmcnt(0)
	v_fma_f64 v[1:2], v[1:2], v[108:109], -v[110:111]
	v_fma_f64 v[3:4], v[3:4], v[108:109], v[104:105]
.LBB111_594:
	s_mov_b32 s6, exec_lo
	v_cmpx_ne_u32_e32 27, v0
	s_cbranch_execz .LBB111_598
; %bb.595:
	v_add_nc_u32_e32 v104, 0x310, v107
	v_add3_u32 v105, 0, v107, 16
	v_mov_b32_e32 v106, v0
	s_mov_b32 s8, 0
	.p2align	6
.LBB111_596:                            ; =>This Inner Loop Header: Depth=1
	s_clause 0x3
	buffer_load_dword v112, v105, s[0:3], 0 offen offset:8
	buffer_load_dword v113, v105, s[0:3], 0 offen offset:12
	buffer_load_dword v114, v105, s[0:3], 0 offen
	buffer_load_dword v115, v105, s[0:3], 0 offen offset:4
	ds_read_b128 v[108:111], v104
	v_add_nc_u32_e32 v106, 1, v106
	v_add_nc_u32_e32 v104, 16, v104
	;; [unrolled: 1-line block ×3, first 2 shown]
	v_cmp_lt_u32_e32 vcc_lo, 26, v106
	s_or_b32 s8, vcc_lo, s8
	s_waitcnt vmcnt(2) lgkmcnt(0)
	v_mul_f64 v[116:117], v[110:111], v[112:113]
	v_mul_f64 v[112:113], v[108:109], v[112:113]
	s_waitcnt vmcnt(0)
	v_fma_f64 v[108:109], v[108:109], v[114:115], -v[116:117]
	v_fma_f64 v[110:111], v[110:111], v[114:115], v[112:113]
	v_add_f64 v[1:2], v[1:2], v[108:109]
	v_add_f64 v[3:4], v[3:4], v[110:111]
	s_andn2_b32 exec_lo, exec_lo, s8
	s_cbranch_execnz .LBB111_596
; %bb.597:
	s_or_b32 exec_lo, exec_lo, s8
.LBB111_598:
	s_or_b32 exec_lo, exec_lo, s6
	v_mov_b32_e32 v104, 0
	ds_read_b128 v[108:111], v104 offset:448
	s_waitcnt lgkmcnt(0)
	v_mul_f64 v[104:105], v[3:4], v[110:111]
	v_mul_f64 v[110:111], v[1:2], v[110:111]
	v_fma_f64 v[1:2], v[1:2], v[108:109], -v[104:105]
	v_fma_f64 v[3:4], v[3:4], v[108:109], v[110:111]
	buffer_store_dword v2, off, s[0:3], 0 offset:452
	buffer_store_dword v1, off, s[0:3], 0 offset:448
	buffer_store_dword v4, off, s[0:3], 0 offset:460
	buffer_store_dword v3, off, s[0:3], 0 offset:456
.LBB111_599:
	s_or_b32 exec_lo, exec_lo, s4
	v_mov_b32_e32 v4, s26
	s_mov_b32 s4, exec_lo
	s_clause 0x3
	buffer_load_dword v1, v4, s[0:3], 0 offen
	buffer_load_dword v2, v4, s[0:3], 0 offen offset:4
	buffer_load_dword v3, v4, s[0:3], 0 offen offset:8
	;; [unrolled: 1-line block ×3, first 2 shown]
	s_waitcnt vmcnt(0)
	ds_write_b128 v102, v[1:4]
	s_waitcnt lgkmcnt(0)
	s_waitcnt_vscnt null, 0x0
	s_barrier
	buffer_gl0_inv
	v_cmpx_gt_u32_e32 29, v0
	s_cbranch_execz .LBB111_607
; %bb.600:
	ds_read_b128 v[1:4], v102
	v_cmp_ne_u32_e32 vcc_lo, 1, v103
	s_cbranch_vccnz .LBB111_602
; %bb.601:
	s_clause 0x3
	buffer_load_dword v104, v101, s[0:3], 0 offen offset:8
	buffer_load_dword v105, v101, s[0:3], 0 offen offset:12
	buffer_load_dword v108, v101, s[0:3], 0 offen
	buffer_load_dword v109, v101, s[0:3], 0 offen offset:4
	s_waitcnt vmcnt(2) lgkmcnt(0)
	v_mul_f64 v[110:111], v[3:4], v[104:105]
	v_mul_f64 v[104:105], v[1:2], v[104:105]
	s_waitcnt vmcnt(0)
	v_fma_f64 v[1:2], v[1:2], v[108:109], -v[110:111]
	v_fma_f64 v[3:4], v[3:4], v[108:109], v[104:105]
.LBB111_602:
	s_mov_b32 s6, exec_lo
	v_cmpx_ne_u32_e32 28, v0
	s_cbranch_execz .LBB111_606
; %bb.603:
	v_add_nc_u32_e32 v104, 0x310, v107
	v_add3_u32 v105, 0, v107, 16
	v_mov_b32_e32 v106, v0
	s_mov_b32 s8, 0
	.p2align	6
.LBB111_604:                            ; =>This Inner Loop Header: Depth=1
	s_clause 0x3
	buffer_load_dword v112, v105, s[0:3], 0 offen offset:8
	buffer_load_dword v113, v105, s[0:3], 0 offen offset:12
	buffer_load_dword v114, v105, s[0:3], 0 offen
	buffer_load_dword v115, v105, s[0:3], 0 offen offset:4
	ds_read_b128 v[108:111], v104
	v_add_nc_u32_e32 v106, 1, v106
	v_add_nc_u32_e32 v104, 16, v104
	;; [unrolled: 1-line block ×3, first 2 shown]
	v_cmp_lt_u32_e32 vcc_lo, 27, v106
	s_or_b32 s8, vcc_lo, s8
	s_waitcnt vmcnt(2) lgkmcnt(0)
	v_mul_f64 v[116:117], v[110:111], v[112:113]
	v_mul_f64 v[112:113], v[108:109], v[112:113]
	s_waitcnt vmcnt(0)
	v_fma_f64 v[108:109], v[108:109], v[114:115], -v[116:117]
	v_fma_f64 v[110:111], v[110:111], v[114:115], v[112:113]
	v_add_f64 v[1:2], v[1:2], v[108:109]
	v_add_f64 v[3:4], v[3:4], v[110:111]
	s_andn2_b32 exec_lo, exec_lo, s8
	s_cbranch_execnz .LBB111_604
; %bb.605:
	s_or_b32 exec_lo, exec_lo, s8
.LBB111_606:
	s_or_b32 exec_lo, exec_lo, s6
	v_mov_b32_e32 v104, 0
	ds_read_b128 v[108:111], v104 offset:464
	s_waitcnt lgkmcnt(0)
	v_mul_f64 v[104:105], v[3:4], v[110:111]
	v_mul_f64 v[110:111], v[1:2], v[110:111]
	v_fma_f64 v[1:2], v[1:2], v[108:109], -v[104:105]
	v_fma_f64 v[3:4], v[3:4], v[108:109], v[110:111]
	buffer_store_dword v2, off, s[0:3], 0 offset:468
	buffer_store_dword v1, off, s[0:3], 0 offset:464
	;; [unrolled: 1-line block ×4, first 2 shown]
.LBB111_607:
	s_or_b32 exec_lo, exec_lo, s4
	v_mov_b32_e32 v4, s25
	s_mov_b32 s4, exec_lo
	s_clause 0x3
	buffer_load_dword v1, v4, s[0:3], 0 offen
	buffer_load_dword v2, v4, s[0:3], 0 offen offset:4
	buffer_load_dword v3, v4, s[0:3], 0 offen offset:8
	buffer_load_dword v4, v4, s[0:3], 0 offen offset:12
	s_waitcnt vmcnt(0)
	ds_write_b128 v102, v[1:4]
	s_waitcnt lgkmcnt(0)
	s_waitcnt_vscnt null, 0x0
	s_barrier
	buffer_gl0_inv
	v_cmpx_gt_u32_e32 30, v0
	s_cbranch_execz .LBB111_615
; %bb.608:
	ds_read_b128 v[1:4], v102
	v_cmp_ne_u32_e32 vcc_lo, 1, v103
	s_cbranch_vccnz .LBB111_610
; %bb.609:
	s_clause 0x3
	buffer_load_dword v104, v101, s[0:3], 0 offen offset:8
	buffer_load_dword v105, v101, s[0:3], 0 offen offset:12
	buffer_load_dword v108, v101, s[0:3], 0 offen
	buffer_load_dword v109, v101, s[0:3], 0 offen offset:4
	s_waitcnt vmcnt(2) lgkmcnt(0)
	v_mul_f64 v[110:111], v[3:4], v[104:105]
	v_mul_f64 v[104:105], v[1:2], v[104:105]
	s_waitcnt vmcnt(0)
	v_fma_f64 v[1:2], v[1:2], v[108:109], -v[110:111]
	v_fma_f64 v[3:4], v[3:4], v[108:109], v[104:105]
.LBB111_610:
	s_mov_b32 s6, exec_lo
	v_cmpx_ne_u32_e32 29, v0
	s_cbranch_execz .LBB111_614
; %bb.611:
	v_add_nc_u32_e32 v104, 0x310, v107
	v_add3_u32 v105, 0, v107, 16
	v_mov_b32_e32 v106, v0
	s_mov_b32 s8, 0
	.p2align	6
.LBB111_612:                            ; =>This Inner Loop Header: Depth=1
	s_clause 0x3
	buffer_load_dword v112, v105, s[0:3], 0 offen offset:8
	buffer_load_dword v113, v105, s[0:3], 0 offen offset:12
	buffer_load_dword v114, v105, s[0:3], 0 offen
	buffer_load_dword v115, v105, s[0:3], 0 offen offset:4
	ds_read_b128 v[108:111], v104
	v_add_nc_u32_e32 v106, 1, v106
	v_add_nc_u32_e32 v104, 16, v104
	;; [unrolled: 1-line block ×3, first 2 shown]
	v_cmp_lt_u32_e32 vcc_lo, 28, v106
	s_or_b32 s8, vcc_lo, s8
	s_waitcnt vmcnt(2) lgkmcnt(0)
	v_mul_f64 v[116:117], v[110:111], v[112:113]
	v_mul_f64 v[112:113], v[108:109], v[112:113]
	s_waitcnt vmcnt(0)
	v_fma_f64 v[108:109], v[108:109], v[114:115], -v[116:117]
	v_fma_f64 v[110:111], v[110:111], v[114:115], v[112:113]
	v_add_f64 v[1:2], v[1:2], v[108:109]
	v_add_f64 v[3:4], v[3:4], v[110:111]
	s_andn2_b32 exec_lo, exec_lo, s8
	s_cbranch_execnz .LBB111_612
; %bb.613:
	s_or_b32 exec_lo, exec_lo, s8
.LBB111_614:
	s_or_b32 exec_lo, exec_lo, s6
	v_mov_b32_e32 v104, 0
	ds_read_b128 v[108:111], v104 offset:480
	s_waitcnt lgkmcnt(0)
	v_mul_f64 v[104:105], v[3:4], v[110:111]
	v_mul_f64 v[110:111], v[1:2], v[110:111]
	v_fma_f64 v[1:2], v[1:2], v[108:109], -v[104:105]
	v_fma_f64 v[3:4], v[3:4], v[108:109], v[110:111]
	buffer_store_dword v2, off, s[0:3], 0 offset:484
	buffer_store_dword v1, off, s[0:3], 0 offset:480
	buffer_store_dword v4, off, s[0:3], 0 offset:492
	buffer_store_dword v3, off, s[0:3], 0 offset:488
.LBB111_615:
	s_or_b32 exec_lo, exec_lo, s4
	v_mov_b32_e32 v4, s24
	s_mov_b32 s4, exec_lo
	s_clause 0x3
	buffer_load_dword v1, v4, s[0:3], 0 offen
	buffer_load_dword v2, v4, s[0:3], 0 offen offset:4
	buffer_load_dword v3, v4, s[0:3], 0 offen offset:8
	;; [unrolled: 1-line block ×3, first 2 shown]
	s_waitcnt vmcnt(0)
	ds_write_b128 v102, v[1:4]
	s_waitcnt lgkmcnt(0)
	s_waitcnt_vscnt null, 0x0
	s_barrier
	buffer_gl0_inv
	v_cmpx_gt_u32_e32 31, v0
	s_cbranch_execz .LBB111_623
; %bb.616:
	ds_read_b128 v[1:4], v102
	v_cmp_ne_u32_e32 vcc_lo, 1, v103
	s_cbranch_vccnz .LBB111_618
; %bb.617:
	s_clause 0x3
	buffer_load_dword v104, v101, s[0:3], 0 offen offset:8
	buffer_load_dword v105, v101, s[0:3], 0 offen offset:12
	buffer_load_dword v108, v101, s[0:3], 0 offen
	buffer_load_dword v109, v101, s[0:3], 0 offen offset:4
	s_waitcnt vmcnt(2) lgkmcnt(0)
	v_mul_f64 v[110:111], v[3:4], v[104:105]
	v_mul_f64 v[104:105], v[1:2], v[104:105]
	s_waitcnt vmcnt(0)
	v_fma_f64 v[1:2], v[1:2], v[108:109], -v[110:111]
	v_fma_f64 v[3:4], v[3:4], v[108:109], v[104:105]
.LBB111_618:
	s_mov_b32 s6, exec_lo
	v_cmpx_ne_u32_e32 30, v0
	s_cbranch_execz .LBB111_622
; %bb.619:
	v_add_nc_u32_e32 v104, 0x310, v107
	v_add3_u32 v105, 0, v107, 16
	v_mov_b32_e32 v106, v0
	s_mov_b32 s8, 0
	.p2align	6
.LBB111_620:                            ; =>This Inner Loop Header: Depth=1
	s_clause 0x3
	buffer_load_dword v112, v105, s[0:3], 0 offen offset:8
	buffer_load_dword v113, v105, s[0:3], 0 offen offset:12
	buffer_load_dword v114, v105, s[0:3], 0 offen
	buffer_load_dword v115, v105, s[0:3], 0 offen offset:4
	ds_read_b128 v[108:111], v104
	v_add_nc_u32_e32 v106, 1, v106
	v_add_nc_u32_e32 v104, 16, v104
	;; [unrolled: 1-line block ×3, first 2 shown]
	v_cmp_lt_u32_e32 vcc_lo, 29, v106
	s_or_b32 s8, vcc_lo, s8
	s_waitcnt vmcnt(2) lgkmcnt(0)
	v_mul_f64 v[116:117], v[110:111], v[112:113]
	v_mul_f64 v[112:113], v[108:109], v[112:113]
	s_waitcnt vmcnt(0)
	v_fma_f64 v[108:109], v[108:109], v[114:115], -v[116:117]
	v_fma_f64 v[110:111], v[110:111], v[114:115], v[112:113]
	v_add_f64 v[1:2], v[1:2], v[108:109]
	v_add_f64 v[3:4], v[3:4], v[110:111]
	s_andn2_b32 exec_lo, exec_lo, s8
	s_cbranch_execnz .LBB111_620
; %bb.621:
	s_or_b32 exec_lo, exec_lo, s8
.LBB111_622:
	s_or_b32 exec_lo, exec_lo, s6
	v_mov_b32_e32 v104, 0
	ds_read_b128 v[108:111], v104 offset:496
	s_waitcnt lgkmcnt(0)
	v_mul_f64 v[104:105], v[3:4], v[110:111]
	v_mul_f64 v[110:111], v[1:2], v[110:111]
	v_fma_f64 v[1:2], v[1:2], v[108:109], -v[104:105]
	v_fma_f64 v[3:4], v[3:4], v[108:109], v[110:111]
	buffer_store_dword v2, off, s[0:3], 0 offset:500
	buffer_store_dword v1, off, s[0:3], 0 offset:496
	;; [unrolled: 1-line block ×4, first 2 shown]
.LBB111_623:
	s_or_b32 exec_lo, exec_lo, s4
	v_mov_b32_e32 v4, s23
	s_mov_b32 s4, exec_lo
	s_clause 0x3
	buffer_load_dword v1, v4, s[0:3], 0 offen
	buffer_load_dword v2, v4, s[0:3], 0 offen offset:4
	buffer_load_dword v3, v4, s[0:3], 0 offen offset:8
	;; [unrolled: 1-line block ×3, first 2 shown]
	s_waitcnt vmcnt(0)
	ds_write_b128 v102, v[1:4]
	s_waitcnt lgkmcnt(0)
	s_waitcnt_vscnt null, 0x0
	s_barrier
	buffer_gl0_inv
	v_cmpx_gt_u32_e32 32, v0
	s_cbranch_execz .LBB111_631
; %bb.624:
	ds_read_b128 v[1:4], v102
	v_cmp_ne_u32_e32 vcc_lo, 1, v103
	s_cbranch_vccnz .LBB111_626
; %bb.625:
	s_clause 0x3
	buffer_load_dword v104, v101, s[0:3], 0 offen offset:8
	buffer_load_dword v105, v101, s[0:3], 0 offen offset:12
	buffer_load_dword v108, v101, s[0:3], 0 offen
	buffer_load_dword v109, v101, s[0:3], 0 offen offset:4
	s_waitcnt vmcnt(2) lgkmcnt(0)
	v_mul_f64 v[110:111], v[3:4], v[104:105]
	v_mul_f64 v[104:105], v[1:2], v[104:105]
	s_waitcnt vmcnt(0)
	v_fma_f64 v[1:2], v[1:2], v[108:109], -v[110:111]
	v_fma_f64 v[3:4], v[3:4], v[108:109], v[104:105]
.LBB111_626:
	s_mov_b32 s6, exec_lo
	v_cmpx_ne_u32_e32 31, v0
	s_cbranch_execz .LBB111_630
; %bb.627:
	v_add_nc_u32_e32 v104, 0x310, v107
	v_add3_u32 v105, 0, v107, 16
	v_mov_b32_e32 v106, v0
	s_mov_b32 s8, 0
	.p2align	6
.LBB111_628:                            ; =>This Inner Loop Header: Depth=1
	s_clause 0x3
	buffer_load_dword v112, v105, s[0:3], 0 offen offset:8
	buffer_load_dword v113, v105, s[0:3], 0 offen offset:12
	buffer_load_dword v114, v105, s[0:3], 0 offen
	buffer_load_dword v115, v105, s[0:3], 0 offen offset:4
	ds_read_b128 v[108:111], v104
	v_add_nc_u32_e32 v106, 1, v106
	v_add_nc_u32_e32 v104, 16, v104
	;; [unrolled: 1-line block ×3, first 2 shown]
	v_cmp_lt_u32_e32 vcc_lo, 30, v106
	s_or_b32 s8, vcc_lo, s8
	s_waitcnt vmcnt(2) lgkmcnt(0)
	v_mul_f64 v[116:117], v[110:111], v[112:113]
	v_mul_f64 v[112:113], v[108:109], v[112:113]
	s_waitcnt vmcnt(0)
	v_fma_f64 v[108:109], v[108:109], v[114:115], -v[116:117]
	v_fma_f64 v[110:111], v[110:111], v[114:115], v[112:113]
	v_add_f64 v[1:2], v[1:2], v[108:109]
	v_add_f64 v[3:4], v[3:4], v[110:111]
	s_andn2_b32 exec_lo, exec_lo, s8
	s_cbranch_execnz .LBB111_628
; %bb.629:
	s_or_b32 exec_lo, exec_lo, s8
.LBB111_630:
	s_or_b32 exec_lo, exec_lo, s6
	v_mov_b32_e32 v104, 0
	ds_read_b128 v[108:111], v104 offset:512
	s_waitcnt lgkmcnt(0)
	v_mul_f64 v[104:105], v[3:4], v[110:111]
	v_mul_f64 v[110:111], v[1:2], v[110:111]
	v_fma_f64 v[1:2], v[1:2], v[108:109], -v[104:105]
	v_fma_f64 v[3:4], v[3:4], v[108:109], v[110:111]
	buffer_store_dword v2, off, s[0:3], 0 offset:516
	buffer_store_dword v1, off, s[0:3], 0 offset:512
	;; [unrolled: 1-line block ×4, first 2 shown]
.LBB111_631:
	s_or_b32 exec_lo, exec_lo, s4
	v_mov_b32_e32 v4, s22
	s_mov_b32 s4, exec_lo
	s_clause 0x3
	buffer_load_dword v1, v4, s[0:3], 0 offen
	buffer_load_dword v2, v4, s[0:3], 0 offen offset:4
	buffer_load_dword v3, v4, s[0:3], 0 offen offset:8
	;; [unrolled: 1-line block ×3, first 2 shown]
	s_waitcnt vmcnt(0)
	ds_write_b128 v102, v[1:4]
	s_waitcnt lgkmcnt(0)
	s_waitcnt_vscnt null, 0x0
	s_barrier
	buffer_gl0_inv
	v_cmpx_gt_u32_e32 33, v0
	s_cbranch_execz .LBB111_639
; %bb.632:
	ds_read_b128 v[1:4], v102
	v_cmp_ne_u32_e32 vcc_lo, 1, v103
	s_cbranch_vccnz .LBB111_634
; %bb.633:
	s_clause 0x3
	buffer_load_dword v104, v101, s[0:3], 0 offen offset:8
	buffer_load_dword v105, v101, s[0:3], 0 offen offset:12
	buffer_load_dword v108, v101, s[0:3], 0 offen
	buffer_load_dword v109, v101, s[0:3], 0 offen offset:4
	s_waitcnt vmcnt(2) lgkmcnt(0)
	v_mul_f64 v[110:111], v[3:4], v[104:105]
	v_mul_f64 v[104:105], v[1:2], v[104:105]
	s_waitcnt vmcnt(0)
	v_fma_f64 v[1:2], v[1:2], v[108:109], -v[110:111]
	v_fma_f64 v[3:4], v[3:4], v[108:109], v[104:105]
.LBB111_634:
	s_mov_b32 s6, exec_lo
	v_cmpx_ne_u32_e32 32, v0
	s_cbranch_execz .LBB111_638
; %bb.635:
	v_add_nc_u32_e32 v104, 0x310, v107
	v_add3_u32 v105, 0, v107, 16
	v_mov_b32_e32 v106, v0
	s_mov_b32 s8, 0
	.p2align	6
.LBB111_636:                            ; =>This Inner Loop Header: Depth=1
	s_clause 0x3
	buffer_load_dword v112, v105, s[0:3], 0 offen offset:8
	buffer_load_dword v113, v105, s[0:3], 0 offen offset:12
	buffer_load_dword v114, v105, s[0:3], 0 offen
	buffer_load_dword v115, v105, s[0:3], 0 offen offset:4
	ds_read_b128 v[108:111], v104
	v_add_nc_u32_e32 v106, 1, v106
	v_add_nc_u32_e32 v104, 16, v104
	v_add_nc_u32_e32 v105, 16, v105
	v_cmp_lt_u32_e32 vcc_lo, 31, v106
	s_or_b32 s8, vcc_lo, s8
	s_waitcnt vmcnt(2) lgkmcnt(0)
	v_mul_f64 v[116:117], v[110:111], v[112:113]
	v_mul_f64 v[112:113], v[108:109], v[112:113]
	s_waitcnt vmcnt(0)
	v_fma_f64 v[108:109], v[108:109], v[114:115], -v[116:117]
	v_fma_f64 v[110:111], v[110:111], v[114:115], v[112:113]
	v_add_f64 v[1:2], v[1:2], v[108:109]
	v_add_f64 v[3:4], v[3:4], v[110:111]
	s_andn2_b32 exec_lo, exec_lo, s8
	s_cbranch_execnz .LBB111_636
; %bb.637:
	s_or_b32 exec_lo, exec_lo, s8
.LBB111_638:
	s_or_b32 exec_lo, exec_lo, s6
	v_mov_b32_e32 v104, 0
	ds_read_b128 v[108:111], v104 offset:528
	s_waitcnt lgkmcnt(0)
	v_mul_f64 v[104:105], v[3:4], v[110:111]
	v_mul_f64 v[110:111], v[1:2], v[110:111]
	v_fma_f64 v[1:2], v[1:2], v[108:109], -v[104:105]
	v_fma_f64 v[3:4], v[3:4], v[108:109], v[110:111]
	buffer_store_dword v2, off, s[0:3], 0 offset:532
	buffer_store_dword v1, off, s[0:3], 0 offset:528
	;; [unrolled: 1-line block ×4, first 2 shown]
.LBB111_639:
	s_or_b32 exec_lo, exec_lo, s4
	v_mov_b32_e32 v4, s21
	s_mov_b32 s4, exec_lo
	s_clause 0x3
	buffer_load_dword v1, v4, s[0:3], 0 offen
	buffer_load_dword v2, v4, s[0:3], 0 offen offset:4
	buffer_load_dword v3, v4, s[0:3], 0 offen offset:8
	buffer_load_dword v4, v4, s[0:3], 0 offen offset:12
	s_waitcnt vmcnt(0)
	ds_write_b128 v102, v[1:4]
	s_waitcnt lgkmcnt(0)
	s_waitcnt_vscnt null, 0x0
	s_barrier
	buffer_gl0_inv
	v_cmpx_gt_u32_e32 34, v0
	s_cbranch_execz .LBB111_647
; %bb.640:
	ds_read_b128 v[1:4], v102
	v_cmp_ne_u32_e32 vcc_lo, 1, v103
	s_cbranch_vccnz .LBB111_642
; %bb.641:
	s_clause 0x3
	buffer_load_dword v104, v101, s[0:3], 0 offen offset:8
	buffer_load_dword v105, v101, s[0:3], 0 offen offset:12
	buffer_load_dword v108, v101, s[0:3], 0 offen
	buffer_load_dword v109, v101, s[0:3], 0 offen offset:4
	s_waitcnt vmcnt(2) lgkmcnt(0)
	v_mul_f64 v[110:111], v[3:4], v[104:105]
	v_mul_f64 v[104:105], v[1:2], v[104:105]
	s_waitcnt vmcnt(0)
	v_fma_f64 v[1:2], v[1:2], v[108:109], -v[110:111]
	v_fma_f64 v[3:4], v[3:4], v[108:109], v[104:105]
.LBB111_642:
	s_mov_b32 s6, exec_lo
	v_cmpx_ne_u32_e32 33, v0
	s_cbranch_execz .LBB111_646
; %bb.643:
	v_add_nc_u32_e32 v104, 0x310, v107
	v_add3_u32 v105, 0, v107, 16
	v_mov_b32_e32 v106, v0
	s_mov_b32 s8, 0
	.p2align	6
.LBB111_644:                            ; =>This Inner Loop Header: Depth=1
	s_clause 0x3
	buffer_load_dword v112, v105, s[0:3], 0 offen offset:8
	buffer_load_dword v113, v105, s[0:3], 0 offen offset:12
	buffer_load_dword v114, v105, s[0:3], 0 offen
	buffer_load_dword v115, v105, s[0:3], 0 offen offset:4
	ds_read_b128 v[108:111], v104
	v_add_nc_u32_e32 v106, 1, v106
	v_add_nc_u32_e32 v104, 16, v104
	;; [unrolled: 1-line block ×3, first 2 shown]
	v_cmp_lt_u32_e32 vcc_lo, 32, v106
	s_or_b32 s8, vcc_lo, s8
	s_waitcnt vmcnt(2) lgkmcnt(0)
	v_mul_f64 v[116:117], v[110:111], v[112:113]
	v_mul_f64 v[112:113], v[108:109], v[112:113]
	s_waitcnt vmcnt(0)
	v_fma_f64 v[108:109], v[108:109], v[114:115], -v[116:117]
	v_fma_f64 v[110:111], v[110:111], v[114:115], v[112:113]
	v_add_f64 v[1:2], v[1:2], v[108:109]
	v_add_f64 v[3:4], v[3:4], v[110:111]
	s_andn2_b32 exec_lo, exec_lo, s8
	s_cbranch_execnz .LBB111_644
; %bb.645:
	s_or_b32 exec_lo, exec_lo, s8
.LBB111_646:
	s_or_b32 exec_lo, exec_lo, s6
	v_mov_b32_e32 v104, 0
	ds_read_b128 v[108:111], v104 offset:544
	s_waitcnt lgkmcnt(0)
	v_mul_f64 v[104:105], v[3:4], v[110:111]
	v_mul_f64 v[110:111], v[1:2], v[110:111]
	v_fma_f64 v[1:2], v[1:2], v[108:109], -v[104:105]
	v_fma_f64 v[3:4], v[3:4], v[108:109], v[110:111]
	buffer_store_dword v2, off, s[0:3], 0 offset:548
	buffer_store_dword v1, off, s[0:3], 0 offset:544
	;; [unrolled: 1-line block ×4, first 2 shown]
.LBB111_647:
	s_or_b32 exec_lo, exec_lo, s4
	v_mov_b32_e32 v4, s20
	s_mov_b32 s4, exec_lo
	s_clause 0x3
	buffer_load_dword v1, v4, s[0:3], 0 offen
	buffer_load_dword v2, v4, s[0:3], 0 offen offset:4
	buffer_load_dword v3, v4, s[0:3], 0 offen offset:8
	;; [unrolled: 1-line block ×3, first 2 shown]
	s_waitcnt vmcnt(0)
	ds_write_b128 v102, v[1:4]
	s_waitcnt lgkmcnt(0)
	s_waitcnt_vscnt null, 0x0
	s_barrier
	buffer_gl0_inv
	v_cmpx_gt_u32_e32 35, v0
	s_cbranch_execz .LBB111_655
; %bb.648:
	ds_read_b128 v[1:4], v102
	v_cmp_ne_u32_e32 vcc_lo, 1, v103
	s_cbranch_vccnz .LBB111_650
; %bb.649:
	s_clause 0x3
	buffer_load_dword v104, v101, s[0:3], 0 offen offset:8
	buffer_load_dword v105, v101, s[0:3], 0 offen offset:12
	buffer_load_dword v108, v101, s[0:3], 0 offen
	buffer_load_dword v109, v101, s[0:3], 0 offen offset:4
	s_waitcnt vmcnt(2) lgkmcnt(0)
	v_mul_f64 v[110:111], v[3:4], v[104:105]
	v_mul_f64 v[104:105], v[1:2], v[104:105]
	s_waitcnt vmcnt(0)
	v_fma_f64 v[1:2], v[1:2], v[108:109], -v[110:111]
	v_fma_f64 v[3:4], v[3:4], v[108:109], v[104:105]
.LBB111_650:
	s_mov_b32 s6, exec_lo
	v_cmpx_ne_u32_e32 34, v0
	s_cbranch_execz .LBB111_654
; %bb.651:
	v_add_nc_u32_e32 v104, 0x310, v107
	v_add3_u32 v105, 0, v107, 16
	v_mov_b32_e32 v106, v0
	s_mov_b32 s8, 0
	.p2align	6
.LBB111_652:                            ; =>This Inner Loop Header: Depth=1
	s_clause 0x3
	buffer_load_dword v112, v105, s[0:3], 0 offen offset:8
	buffer_load_dword v113, v105, s[0:3], 0 offen offset:12
	buffer_load_dword v114, v105, s[0:3], 0 offen
	buffer_load_dword v115, v105, s[0:3], 0 offen offset:4
	ds_read_b128 v[108:111], v104
	v_add_nc_u32_e32 v106, 1, v106
	v_add_nc_u32_e32 v104, 16, v104
	v_add_nc_u32_e32 v105, 16, v105
	v_cmp_lt_u32_e32 vcc_lo, 33, v106
	s_or_b32 s8, vcc_lo, s8
	s_waitcnt vmcnt(2) lgkmcnt(0)
	v_mul_f64 v[116:117], v[110:111], v[112:113]
	v_mul_f64 v[112:113], v[108:109], v[112:113]
	s_waitcnt vmcnt(0)
	v_fma_f64 v[108:109], v[108:109], v[114:115], -v[116:117]
	v_fma_f64 v[110:111], v[110:111], v[114:115], v[112:113]
	v_add_f64 v[1:2], v[1:2], v[108:109]
	v_add_f64 v[3:4], v[3:4], v[110:111]
	s_andn2_b32 exec_lo, exec_lo, s8
	s_cbranch_execnz .LBB111_652
; %bb.653:
	s_or_b32 exec_lo, exec_lo, s8
.LBB111_654:
	s_or_b32 exec_lo, exec_lo, s6
	v_mov_b32_e32 v104, 0
	ds_read_b128 v[108:111], v104 offset:560
	s_waitcnt lgkmcnt(0)
	v_mul_f64 v[104:105], v[3:4], v[110:111]
	v_mul_f64 v[110:111], v[1:2], v[110:111]
	v_fma_f64 v[1:2], v[1:2], v[108:109], -v[104:105]
	v_fma_f64 v[3:4], v[3:4], v[108:109], v[110:111]
	buffer_store_dword v2, off, s[0:3], 0 offset:564
	buffer_store_dword v1, off, s[0:3], 0 offset:560
	buffer_store_dword v4, off, s[0:3], 0 offset:572
	buffer_store_dword v3, off, s[0:3], 0 offset:568
.LBB111_655:
	s_or_b32 exec_lo, exec_lo, s4
	v_mov_b32_e32 v4, s19
	s_mov_b32 s4, exec_lo
	s_clause 0x3
	buffer_load_dword v1, v4, s[0:3], 0 offen
	buffer_load_dword v2, v4, s[0:3], 0 offen offset:4
	buffer_load_dword v3, v4, s[0:3], 0 offen offset:8
	;; [unrolled: 1-line block ×3, first 2 shown]
	s_waitcnt vmcnt(0)
	ds_write_b128 v102, v[1:4]
	s_waitcnt lgkmcnt(0)
	s_waitcnt_vscnt null, 0x0
	s_barrier
	buffer_gl0_inv
	v_cmpx_gt_u32_e32 36, v0
	s_cbranch_execz .LBB111_663
; %bb.656:
	ds_read_b128 v[1:4], v102
	v_cmp_ne_u32_e32 vcc_lo, 1, v103
	s_cbranch_vccnz .LBB111_658
; %bb.657:
	s_clause 0x3
	buffer_load_dword v104, v101, s[0:3], 0 offen offset:8
	buffer_load_dword v105, v101, s[0:3], 0 offen offset:12
	buffer_load_dword v108, v101, s[0:3], 0 offen
	buffer_load_dword v109, v101, s[0:3], 0 offen offset:4
	s_waitcnt vmcnt(2) lgkmcnt(0)
	v_mul_f64 v[110:111], v[3:4], v[104:105]
	v_mul_f64 v[104:105], v[1:2], v[104:105]
	s_waitcnt vmcnt(0)
	v_fma_f64 v[1:2], v[1:2], v[108:109], -v[110:111]
	v_fma_f64 v[3:4], v[3:4], v[108:109], v[104:105]
.LBB111_658:
	s_mov_b32 s6, exec_lo
	v_cmpx_ne_u32_e32 35, v0
	s_cbranch_execz .LBB111_662
; %bb.659:
	v_add_nc_u32_e32 v104, 0x310, v107
	v_add3_u32 v105, 0, v107, 16
	v_mov_b32_e32 v106, v0
	s_mov_b32 s8, 0
	.p2align	6
.LBB111_660:                            ; =>This Inner Loop Header: Depth=1
	s_clause 0x3
	buffer_load_dword v112, v105, s[0:3], 0 offen offset:8
	buffer_load_dword v113, v105, s[0:3], 0 offen offset:12
	buffer_load_dword v114, v105, s[0:3], 0 offen
	buffer_load_dword v115, v105, s[0:3], 0 offen offset:4
	ds_read_b128 v[108:111], v104
	v_add_nc_u32_e32 v106, 1, v106
	v_add_nc_u32_e32 v104, 16, v104
	;; [unrolled: 1-line block ×3, first 2 shown]
	v_cmp_lt_u32_e32 vcc_lo, 34, v106
	s_or_b32 s8, vcc_lo, s8
	s_waitcnt vmcnt(2) lgkmcnt(0)
	v_mul_f64 v[116:117], v[110:111], v[112:113]
	v_mul_f64 v[112:113], v[108:109], v[112:113]
	s_waitcnt vmcnt(0)
	v_fma_f64 v[108:109], v[108:109], v[114:115], -v[116:117]
	v_fma_f64 v[110:111], v[110:111], v[114:115], v[112:113]
	v_add_f64 v[1:2], v[1:2], v[108:109]
	v_add_f64 v[3:4], v[3:4], v[110:111]
	s_andn2_b32 exec_lo, exec_lo, s8
	s_cbranch_execnz .LBB111_660
; %bb.661:
	s_or_b32 exec_lo, exec_lo, s8
.LBB111_662:
	s_or_b32 exec_lo, exec_lo, s6
	v_mov_b32_e32 v104, 0
	ds_read_b128 v[108:111], v104 offset:576
	s_waitcnt lgkmcnt(0)
	v_mul_f64 v[104:105], v[3:4], v[110:111]
	v_mul_f64 v[110:111], v[1:2], v[110:111]
	v_fma_f64 v[1:2], v[1:2], v[108:109], -v[104:105]
	v_fma_f64 v[3:4], v[3:4], v[108:109], v[110:111]
	buffer_store_dword v2, off, s[0:3], 0 offset:580
	buffer_store_dword v1, off, s[0:3], 0 offset:576
	;; [unrolled: 1-line block ×4, first 2 shown]
.LBB111_663:
	s_or_b32 exec_lo, exec_lo, s4
	v_mov_b32_e32 v4, s18
	s_mov_b32 s4, exec_lo
	s_clause 0x3
	buffer_load_dword v1, v4, s[0:3], 0 offen
	buffer_load_dword v2, v4, s[0:3], 0 offen offset:4
	buffer_load_dword v3, v4, s[0:3], 0 offen offset:8
	;; [unrolled: 1-line block ×3, first 2 shown]
	s_waitcnt vmcnt(0)
	ds_write_b128 v102, v[1:4]
	s_waitcnt lgkmcnt(0)
	s_waitcnt_vscnt null, 0x0
	s_barrier
	buffer_gl0_inv
	v_cmpx_gt_u32_e32 37, v0
	s_cbranch_execz .LBB111_671
; %bb.664:
	ds_read_b128 v[1:4], v102
	v_cmp_ne_u32_e32 vcc_lo, 1, v103
	s_cbranch_vccnz .LBB111_666
; %bb.665:
	s_clause 0x3
	buffer_load_dword v104, v101, s[0:3], 0 offen offset:8
	buffer_load_dword v105, v101, s[0:3], 0 offen offset:12
	buffer_load_dword v108, v101, s[0:3], 0 offen
	buffer_load_dword v109, v101, s[0:3], 0 offen offset:4
	s_waitcnt vmcnt(2) lgkmcnt(0)
	v_mul_f64 v[110:111], v[3:4], v[104:105]
	v_mul_f64 v[104:105], v[1:2], v[104:105]
	s_waitcnt vmcnt(0)
	v_fma_f64 v[1:2], v[1:2], v[108:109], -v[110:111]
	v_fma_f64 v[3:4], v[3:4], v[108:109], v[104:105]
.LBB111_666:
	s_mov_b32 s6, exec_lo
	v_cmpx_ne_u32_e32 36, v0
	s_cbranch_execz .LBB111_670
; %bb.667:
	v_add_nc_u32_e32 v104, 0x310, v107
	v_add3_u32 v105, 0, v107, 16
	v_mov_b32_e32 v106, v0
	s_mov_b32 s8, 0
	.p2align	6
.LBB111_668:                            ; =>This Inner Loop Header: Depth=1
	s_clause 0x3
	buffer_load_dword v112, v105, s[0:3], 0 offen offset:8
	buffer_load_dword v113, v105, s[0:3], 0 offen offset:12
	buffer_load_dword v114, v105, s[0:3], 0 offen
	buffer_load_dword v115, v105, s[0:3], 0 offen offset:4
	ds_read_b128 v[108:111], v104
	v_add_nc_u32_e32 v106, 1, v106
	v_add_nc_u32_e32 v104, 16, v104
	;; [unrolled: 1-line block ×3, first 2 shown]
	v_cmp_lt_u32_e32 vcc_lo, 35, v106
	s_or_b32 s8, vcc_lo, s8
	s_waitcnt vmcnt(2) lgkmcnt(0)
	v_mul_f64 v[116:117], v[110:111], v[112:113]
	v_mul_f64 v[112:113], v[108:109], v[112:113]
	s_waitcnt vmcnt(0)
	v_fma_f64 v[108:109], v[108:109], v[114:115], -v[116:117]
	v_fma_f64 v[110:111], v[110:111], v[114:115], v[112:113]
	v_add_f64 v[1:2], v[1:2], v[108:109]
	v_add_f64 v[3:4], v[3:4], v[110:111]
	s_andn2_b32 exec_lo, exec_lo, s8
	s_cbranch_execnz .LBB111_668
; %bb.669:
	s_or_b32 exec_lo, exec_lo, s8
.LBB111_670:
	s_or_b32 exec_lo, exec_lo, s6
	v_mov_b32_e32 v104, 0
	ds_read_b128 v[108:111], v104 offset:592
	s_waitcnt lgkmcnt(0)
	v_mul_f64 v[104:105], v[3:4], v[110:111]
	v_mul_f64 v[110:111], v[1:2], v[110:111]
	v_fma_f64 v[1:2], v[1:2], v[108:109], -v[104:105]
	v_fma_f64 v[3:4], v[3:4], v[108:109], v[110:111]
	buffer_store_dword v2, off, s[0:3], 0 offset:596
	buffer_store_dword v1, off, s[0:3], 0 offset:592
	;; [unrolled: 1-line block ×4, first 2 shown]
.LBB111_671:
	s_or_b32 exec_lo, exec_lo, s4
	v_mov_b32_e32 v4, s17
	s_mov_b32 s4, exec_lo
	s_clause 0x3
	buffer_load_dword v1, v4, s[0:3], 0 offen
	buffer_load_dword v2, v4, s[0:3], 0 offen offset:4
	buffer_load_dword v3, v4, s[0:3], 0 offen offset:8
	;; [unrolled: 1-line block ×3, first 2 shown]
	s_waitcnt vmcnt(0)
	ds_write_b128 v102, v[1:4]
	s_waitcnt lgkmcnt(0)
	s_waitcnt_vscnt null, 0x0
	s_barrier
	buffer_gl0_inv
	v_cmpx_gt_u32_e32 38, v0
	s_cbranch_execz .LBB111_679
; %bb.672:
	ds_read_b128 v[1:4], v102
	v_cmp_ne_u32_e32 vcc_lo, 1, v103
	s_cbranch_vccnz .LBB111_674
; %bb.673:
	s_clause 0x3
	buffer_load_dword v104, v101, s[0:3], 0 offen offset:8
	buffer_load_dword v105, v101, s[0:3], 0 offen offset:12
	buffer_load_dword v108, v101, s[0:3], 0 offen
	buffer_load_dword v109, v101, s[0:3], 0 offen offset:4
	s_waitcnt vmcnt(2) lgkmcnt(0)
	v_mul_f64 v[110:111], v[3:4], v[104:105]
	v_mul_f64 v[104:105], v[1:2], v[104:105]
	s_waitcnt vmcnt(0)
	v_fma_f64 v[1:2], v[1:2], v[108:109], -v[110:111]
	v_fma_f64 v[3:4], v[3:4], v[108:109], v[104:105]
.LBB111_674:
	s_mov_b32 s6, exec_lo
	v_cmpx_ne_u32_e32 37, v0
	s_cbranch_execz .LBB111_678
; %bb.675:
	v_add_nc_u32_e32 v104, 0x310, v107
	v_add3_u32 v105, 0, v107, 16
	v_mov_b32_e32 v106, v0
	s_mov_b32 s8, 0
	.p2align	6
.LBB111_676:                            ; =>This Inner Loop Header: Depth=1
	s_clause 0x3
	buffer_load_dword v112, v105, s[0:3], 0 offen offset:8
	buffer_load_dword v113, v105, s[0:3], 0 offen offset:12
	buffer_load_dword v114, v105, s[0:3], 0 offen
	buffer_load_dword v115, v105, s[0:3], 0 offen offset:4
	ds_read_b128 v[108:111], v104
	v_add_nc_u32_e32 v106, 1, v106
	v_add_nc_u32_e32 v104, 16, v104
	;; [unrolled: 1-line block ×3, first 2 shown]
	v_cmp_lt_u32_e32 vcc_lo, 36, v106
	s_or_b32 s8, vcc_lo, s8
	s_waitcnt vmcnt(2) lgkmcnt(0)
	v_mul_f64 v[116:117], v[110:111], v[112:113]
	v_mul_f64 v[112:113], v[108:109], v[112:113]
	s_waitcnt vmcnt(0)
	v_fma_f64 v[108:109], v[108:109], v[114:115], -v[116:117]
	v_fma_f64 v[110:111], v[110:111], v[114:115], v[112:113]
	v_add_f64 v[1:2], v[1:2], v[108:109]
	v_add_f64 v[3:4], v[3:4], v[110:111]
	s_andn2_b32 exec_lo, exec_lo, s8
	s_cbranch_execnz .LBB111_676
; %bb.677:
	s_or_b32 exec_lo, exec_lo, s8
.LBB111_678:
	s_or_b32 exec_lo, exec_lo, s6
	v_mov_b32_e32 v104, 0
	ds_read_b128 v[108:111], v104 offset:608
	s_waitcnt lgkmcnt(0)
	v_mul_f64 v[104:105], v[3:4], v[110:111]
	v_mul_f64 v[110:111], v[1:2], v[110:111]
	v_fma_f64 v[1:2], v[1:2], v[108:109], -v[104:105]
	v_fma_f64 v[3:4], v[3:4], v[108:109], v[110:111]
	buffer_store_dword v2, off, s[0:3], 0 offset:612
	buffer_store_dword v1, off, s[0:3], 0 offset:608
	;; [unrolled: 1-line block ×4, first 2 shown]
.LBB111_679:
	s_or_b32 exec_lo, exec_lo, s4
	v_mov_b32_e32 v4, s16
	s_mov_b32 s4, exec_lo
	s_clause 0x3
	buffer_load_dword v1, v4, s[0:3], 0 offen
	buffer_load_dword v2, v4, s[0:3], 0 offen offset:4
	buffer_load_dword v3, v4, s[0:3], 0 offen offset:8
	;; [unrolled: 1-line block ×3, first 2 shown]
	s_waitcnt vmcnt(0)
	ds_write_b128 v102, v[1:4]
	s_waitcnt lgkmcnt(0)
	s_waitcnt_vscnt null, 0x0
	s_barrier
	buffer_gl0_inv
	v_cmpx_gt_u32_e32 39, v0
	s_cbranch_execz .LBB111_687
; %bb.680:
	ds_read_b128 v[1:4], v102
	v_cmp_ne_u32_e32 vcc_lo, 1, v103
	s_cbranch_vccnz .LBB111_682
; %bb.681:
	s_clause 0x3
	buffer_load_dword v104, v101, s[0:3], 0 offen offset:8
	buffer_load_dword v105, v101, s[0:3], 0 offen offset:12
	buffer_load_dword v108, v101, s[0:3], 0 offen
	buffer_load_dword v109, v101, s[0:3], 0 offen offset:4
	s_waitcnt vmcnt(2) lgkmcnt(0)
	v_mul_f64 v[110:111], v[3:4], v[104:105]
	v_mul_f64 v[104:105], v[1:2], v[104:105]
	s_waitcnt vmcnt(0)
	v_fma_f64 v[1:2], v[1:2], v[108:109], -v[110:111]
	v_fma_f64 v[3:4], v[3:4], v[108:109], v[104:105]
.LBB111_682:
	s_mov_b32 s6, exec_lo
	v_cmpx_ne_u32_e32 38, v0
	s_cbranch_execz .LBB111_686
; %bb.683:
	v_add_nc_u32_e32 v104, 0x310, v107
	v_add3_u32 v105, 0, v107, 16
	v_mov_b32_e32 v106, v0
	s_mov_b32 s8, 0
	.p2align	6
.LBB111_684:                            ; =>This Inner Loop Header: Depth=1
	s_clause 0x3
	buffer_load_dword v112, v105, s[0:3], 0 offen offset:8
	buffer_load_dword v113, v105, s[0:3], 0 offen offset:12
	buffer_load_dword v114, v105, s[0:3], 0 offen
	buffer_load_dword v115, v105, s[0:3], 0 offen offset:4
	ds_read_b128 v[108:111], v104
	v_add_nc_u32_e32 v106, 1, v106
	v_add_nc_u32_e32 v104, 16, v104
	;; [unrolled: 1-line block ×3, first 2 shown]
	v_cmp_lt_u32_e32 vcc_lo, 37, v106
	s_or_b32 s8, vcc_lo, s8
	s_waitcnt vmcnt(2) lgkmcnt(0)
	v_mul_f64 v[116:117], v[110:111], v[112:113]
	v_mul_f64 v[112:113], v[108:109], v[112:113]
	s_waitcnt vmcnt(0)
	v_fma_f64 v[108:109], v[108:109], v[114:115], -v[116:117]
	v_fma_f64 v[110:111], v[110:111], v[114:115], v[112:113]
	v_add_f64 v[1:2], v[1:2], v[108:109]
	v_add_f64 v[3:4], v[3:4], v[110:111]
	s_andn2_b32 exec_lo, exec_lo, s8
	s_cbranch_execnz .LBB111_684
; %bb.685:
	s_or_b32 exec_lo, exec_lo, s8
.LBB111_686:
	s_or_b32 exec_lo, exec_lo, s6
	v_mov_b32_e32 v104, 0
	ds_read_b128 v[108:111], v104 offset:624
	s_waitcnt lgkmcnt(0)
	v_mul_f64 v[104:105], v[3:4], v[110:111]
	v_mul_f64 v[110:111], v[1:2], v[110:111]
	v_fma_f64 v[1:2], v[1:2], v[108:109], -v[104:105]
	v_fma_f64 v[3:4], v[3:4], v[108:109], v[110:111]
	buffer_store_dword v2, off, s[0:3], 0 offset:628
	buffer_store_dword v1, off, s[0:3], 0 offset:624
	;; [unrolled: 1-line block ×4, first 2 shown]
.LBB111_687:
	s_or_b32 exec_lo, exec_lo, s4
	v_mov_b32_e32 v4, s15
	s_mov_b32 s4, exec_lo
	s_clause 0x3
	buffer_load_dword v1, v4, s[0:3], 0 offen
	buffer_load_dword v2, v4, s[0:3], 0 offen offset:4
	buffer_load_dword v3, v4, s[0:3], 0 offen offset:8
	buffer_load_dword v4, v4, s[0:3], 0 offen offset:12
	s_waitcnt vmcnt(0)
	ds_write_b128 v102, v[1:4]
	s_waitcnt lgkmcnt(0)
	s_waitcnt_vscnt null, 0x0
	s_barrier
	buffer_gl0_inv
	v_cmpx_gt_u32_e32 40, v0
	s_cbranch_execz .LBB111_695
; %bb.688:
	ds_read_b128 v[1:4], v102
	v_cmp_ne_u32_e32 vcc_lo, 1, v103
	s_cbranch_vccnz .LBB111_690
; %bb.689:
	s_clause 0x3
	buffer_load_dword v104, v101, s[0:3], 0 offen offset:8
	buffer_load_dword v105, v101, s[0:3], 0 offen offset:12
	buffer_load_dword v108, v101, s[0:3], 0 offen
	buffer_load_dword v109, v101, s[0:3], 0 offen offset:4
	s_waitcnt vmcnt(2) lgkmcnt(0)
	v_mul_f64 v[110:111], v[3:4], v[104:105]
	v_mul_f64 v[104:105], v[1:2], v[104:105]
	s_waitcnt vmcnt(0)
	v_fma_f64 v[1:2], v[1:2], v[108:109], -v[110:111]
	v_fma_f64 v[3:4], v[3:4], v[108:109], v[104:105]
.LBB111_690:
	s_mov_b32 s6, exec_lo
	v_cmpx_ne_u32_e32 39, v0
	s_cbranch_execz .LBB111_694
; %bb.691:
	v_add_nc_u32_e32 v104, 0x310, v107
	v_add3_u32 v105, 0, v107, 16
	v_mov_b32_e32 v106, v0
	s_mov_b32 s8, 0
	.p2align	6
.LBB111_692:                            ; =>This Inner Loop Header: Depth=1
	s_clause 0x3
	buffer_load_dword v112, v105, s[0:3], 0 offen offset:8
	buffer_load_dword v113, v105, s[0:3], 0 offen offset:12
	buffer_load_dword v114, v105, s[0:3], 0 offen
	buffer_load_dword v115, v105, s[0:3], 0 offen offset:4
	ds_read_b128 v[108:111], v104
	v_add_nc_u32_e32 v106, 1, v106
	v_add_nc_u32_e32 v104, 16, v104
	;; [unrolled: 1-line block ×3, first 2 shown]
	v_cmp_lt_u32_e32 vcc_lo, 38, v106
	s_or_b32 s8, vcc_lo, s8
	s_waitcnt vmcnt(2) lgkmcnt(0)
	v_mul_f64 v[116:117], v[110:111], v[112:113]
	v_mul_f64 v[112:113], v[108:109], v[112:113]
	s_waitcnt vmcnt(0)
	v_fma_f64 v[108:109], v[108:109], v[114:115], -v[116:117]
	v_fma_f64 v[110:111], v[110:111], v[114:115], v[112:113]
	v_add_f64 v[1:2], v[1:2], v[108:109]
	v_add_f64 v[3:4], v[3:4], v[110:111]
	s_andn2_b32 exec_lo, exec_lo, s8
	s_cbranch_execnz .LBB111_692
; %bb.693:
	s_or_b32 exec_lo, exec_lo, s8
.LBB111_694:
	s_or_b32 exec_lo, exec_lo, s6
	v_mov_b32_e32 v104, 0
	ds_read_b128 v[108:111], v104 offset:640
	s_waitcnt lgkmcnt(0)
	v_mul_f64 v[104:105], v[3:4], v[110:111]
	v_mul_f64 v[110:111], v[1:2], v[110:111]
	v_fma_f64 v[1:2], v[1:2], v[108:109], -v[104:105]
	v_fma_f64 v[3:4], v[3:4], v[108:109], v[110:111]
	buffer_store_dword v2, off, s[0:3], 0 offset:644
	buffer_store_dword v1, off, s[0:3], 0 offset:640
	;; [unrolled: 1-line block ×4, first 2 shown]
.LBB111_695:
	s_or_b32 exec_lo, exec_lo, s4
	v_mov_b32_e32 v4, s14
	s_mov_b32 s4, exec_lo
	s_clause 0x3
	buffer_load_dword v1, v4, s[0:3], 0 offen
	buffer_load_dword v2, v4, s[0:3], 0 offen offset:4
	buffer_load_dword v3, v4, s[0:3], 0 offen offset:8
	;; [unrolled: 1-line block ×3, first 2 shown]
	s_waitcnt vmcnt(0)
	ds_write_b128 v102, v[1:4]
	s_waitcnt lgkmcnt(0)
	s_waitcnt_vscnt null, 0x0
	s_barrier
	buffer_gl0_inv
	v_cmpx_gt_u32_e32 41, v0
	s_cbranch_execz .LBB111_703
; %bb.696:
	ds_read_b128 v[1:4], v102
	v_cmp_ne_u32_e32 vcc_lo, 1, v103
	s_cbranch_vccnz .LBB111_698
; %bb.697:
	s_clause 0x3
	buffer_load_dword v104, v101, s[0:3], 0 offen offset:8
	buffer_load_dword v105, v101, s[0:3], 0 offen offset:12
	buffer_load_dword v108, v101, s[0:3], 0 offen
	buffer_load_dword v109, v101, s[0:3], 0 offen offset:4
	s_waitcnt vmcnt(2) lgkmcnt(0)
	v_mul_f64 v[110:111], v[3:4], v[104:105]
	v_mul_f64 v[104:105], v[1:2], v[104:105]
	s_waitcnt vmcnt(0)
	v_fma_f64 v[1:2], v[1:2], v[108:109], -v[110:111]
	v_fma_f64 v[3:4], v[3:4], v[108:109], v[104:105]
.LBB111_698:
	s_mov_b32 s6, exec_lo
	v_cmpx_ne_u32_e32 40, v0
	s_cbranch_execz .LBB111_702
; %bb.699:
	v_add_nc_u32_e32 v104, 0x310, v107
	v_add3_u32 v105, 0, v107, 16
	v_mov_b32_e32 v106, v0
	s_mov_b32 s8, 0
	.p2align	6
.LBB111_700:                            ; =>This Inner Loop Header: Depth=1
	s_clause 0x3
	buffer_load_dword v112, v105, s[0:3], 0 offen offset:8
	buffer_load_dword v113, v105, s[0:3], 0 offen offset:12
	buffer_load_dword v114, v105, s[0:3], 0 offen
	buffer_load_dword v115, v105, s[0:3], 0 offen offset:4
	ds_read_b128 v[108:111], v104
	v_add_nc_u32_e32 v106, 1, v106
	v_add_nc_u32_e32 v104, 16, v104
	v_add_nc_u32_e32 v105, 16, v105
	v_cmp_lt_u32_e32 vcc_lo, 39, v106
	s_or_b32 s8, vcc_lo, s8
	s_waitcnt vmcnt(2) lgkmcnt(0)
	v_mul_f64 v[116:117], v[110:111], v[112:113]
	v_mul_f64 v[112:113], v[108:109], v[112:113]
	s_waitcnt vmcnt(0)
	v_fma_f64 v[108:109], v[108:109], v[114:115], -v[116:117]
	v_fma_f64 v[110:111], v[110:111], v[114:115], v[112:113]
	v_add_f64 v[1:2], v[1:2], v[108:109]
	v_add_f64 v[3:4], v[3:4], v[110:111]
	s_andn2_b32 exec_lo, exec_lo, s8
	s_cbranch_execnz .LBB111_700
; %bb.701:
	s_or_b32 exec_lo, exec_lo, s8
.LBB111_702:
	s_or_b32 exec_lo, exec_lo, s6
	v_mov_b32_e32 v104, 0
	ds_read_b128 v[108:111], v104 offset:656
	s_waitcnt lgkmcnt(0)
	v_mul_f64 v[104:105], v[3:4], v[110:111]
	v_mul_f64 v[110:111], v[1:2], v[110:111]
	v_fma_f64 v[1:2], v[1:2], v[108:109], -v[104:105]
	v_fma_f64 v[3:4], v[3:4], v[108:109], v[110:111]
	buffer_store_dword v2, off, s[0:3], 0 offset:660
	buffer_store_dword v1, off, s[0:3], 0 offset:656
	;; [unrolled: 1-line block ×4, first 2 shown]
.LBB111_703:
	s_or_b32 exec_lo, exec_lo, s4
	v_mov_b32_e32 v4, s13
	s_mov_b32 s4, exec_lo
	s_clause 0x3
	buffer_load_dword v1, v4, s[0:3], 0 offen
	buffer_load_dword v2, v4, s[0:3], 0 offen offset:4
	buffer_load_dword v3, v4, s[0:3], 0 offen offset:8
	;; [unrolled: 1-line block ×3, first 2 shown]
	s_waitcnt vmcnt(0)
	ds_write_b128 v102, v[1:4]
	s_waitcnt lgkmcnt(0)
	s_waitcnt_vscnt null, 0x0
	s_barrier
	buffer_gl0_inv
	v_cmpx_gt_u32_e32 42, v0
	s_cbranch_execz .LBB111_711
; %bb.704:
	ds_read_b128 v[1:4], v102
	v_cmp_ne_u32_e32 vcc_lo, 1, v103
	s_cbranch_vccnz .LBB111_706
; %bb.705:
	s_clause 0x3
	buffer_load_dword v104, v101, s[0:3], 0 offen offset:8
	buffer_load_dword v105, v101, s[0:3], 0 offen offset:12
	buffer_load_dword v108, v101, s[0:3], 0 offen
	buffer_load_dword v109, v101, s[0:3], 0 offen offset:4
	s_waitcnt vmcnt(2) lgkmcnt(0)
	v_mul_f64 v[110:111], v[3:4], v[104:105]
	v_mul_f64 v[104:105], v[1:2], v[104:105]
	s_waitcnt vmcnt(0)
	v_fma_f64 v[1:2], v[1:2], v[108:109], -v[110:111]
	v_fma_f64 v[3:4], v[3:4], v[108:109], v[104:105]
.LBB111_706:
	s_mov_b32 s6, exec_lo
	v_cmpx_ne_u32_e32 41, v0
	s_cbranch_execz .LBB111_710
; %bb.707:
	v_add_nc_u32_e32 v104, 0x310, v107
	v_add3_u32 v105, 0, v107, 16
	v_mov_b32_e32 v106, v0
	s_mov_b32 s8, 0
	.p2align	6
.LBB111_708:                            ; =>This Inner Loop Header: Depth=1
	s_clause 0x3
	buffer_load_dword v112, v105, s[0:3], 0 offen offset:8
	buffer_load_dword v113, v105, s[0:3], 0 offen offset:12
	buffer_load_dword v114, v105, s[0:3], 0 offen
	buffer_load_dword v115, v105, s[0:3], 0 offen offset:4
	ds_read_b128 v[108:111], v104
	v_add_nc_u32_e32 v106, 1, v106
	v_add_nc_u32_e32 v104, 16, v104
	;; [unrolled: 1-line block ×3, first 2 shown]
	v_cmp_lt_u32_e32 vcc_lo, 40, v106
	s_or_b32 s8, vcc_lo, s8
	s_waitcnt vmcnt(2) lgkmcnt(0)
	v_mul_f64 v[116:117], v[110:111], v[112:113]
	v_mul_f64 v[112:113], v[108:109], v[112:113]
	s_waitcnt vmcnt(0)
	v_fma_f64 v[108:109], v[108:109], v[114:115], -v[116:117]
	v_fma_f64 v[110:111], v[110:111], v[114:115], v[112:113]
	v_add_f64 v[1:2], v[1:2], v[108:109]
	v_add_f64 v[3:4], v[3:4], v[110:111]
	s_andn2_b32 exec_lo, exec_lo, s8
	s_cbranch_execnz .LBB111_708
; %bb.709:
	s_or_b32 exec_lo, exec_lo, s8
.LBB111_710:
	s_or_b32 exec_lo, exec_lo, s6
	v_mov_b32_e32 v104, 0
	ds_read_b128 v[108:111], v104 offset:672
	s_waitcnt lgkmcnt(0)
	v_mul_f64 v[104:105], v[3:4], v[110:111]
	v_mul_f64 v[110:111], v[1:2], v[110:111]
	v_fma_f64 v[1:2], v[1:2], v[108:109], -v[104:105]
	v_fma_f64 v[3:4], v[3:4], v[108:109], v[110:111]
	buffer_store_dword v2, off, s[0:3], 0 offset:676
	buffer_store_dword v1, off, s[0:3], 0 offset:672
	;; [unrolled: 1-line block ×4, first 2 shown]
.LBB111_711:
	s_or_b32 exec_lo, exec_lo, s4
	v_mov_b32_e32 v4, s12
	s_mov_b32 s4, exec_lo
	s_clause 0x3
	buffer_load_dword v1, v4, s[0:3], 0 offen
	buffer_load_dword v2, v4, s[0:3], 0 offen offset:4
	buffer_load_dword v3, v4, s[0:3], 0 offen offset:8
	;; [unrolled: 1-line block ×3, first 2 shown]
	s_waitcnt vmcnt(0)
	ds_write_b128 v102, v[1:4]
	s_waitcnt lgkmcnt(0)
	s_waitcnt_vscnt null, 0x0
	s_barrier
	buffer_gl0_inv
	v_cmpx_gt_u32_e32 43, v0
	s_cbranch_execz .LBB111_719
; %bb.712:
	ds_read_b128 v[1:4], v102
	v_cmp_ne_u32_e32 vcc_lo, 1, v103
	s_cbranch_vccnz .LBB111_714
; %bb.713:
	s_clause 0x3
	buffer_load_dword v104, v101, s[0:3], 0 offen offset:8
	buffer_load_dword v105, v101, s[0:3], 0 offen offset:12
	buffer_load_dword v108, v101, s[0:3], 0 offen
	buffer_load_dword v109, v101, s[0:3], 0 offen offset:4
	s_waitcnt vmcnt(2) lgkmcnt(0)
	v_mul_f64 v[110:111], v[3:4], v[104:105]
	v_mul_f64 v[104:105], v[1:2], v[104:105]
	s_waitcnt vmcnt(0)
	v_fma_f64 v[1:2], v[1:2], v[108:109], -v[110:111]
	v_fma_f64 v[3:4], v[3:4], v[108:109], v[104:105]
.LBB111_714:
	s_mov_b32 s6, exec_lo
	v_cmpx_ne_u32_e32 42, v0
	s_cbranch_execz .LBB111_718
; %bb.715:
	v_add_nc_u32_e32 v104, 0x310, v107
	v_add3_u32 v105, 0, v107, 16
	v_mov_b32_e32 v106, v0
	s_mov_b32 s8, 0
	.p2align	6
.LBB111_716:                            ; =>This Inner Loop Header: Depth=1
	s_clause 0x3
	buffer_load_dword v112, v105, s[0:3], 0 offen offset:8
	buffer_load_dword v113, v105, s[0:3], 0 offen offset:12
	buffer_load_dword v114, v105, s[0:3], 0 offen
	buffer_load_dword v115, v105, s[0:3], 0 offen offset:4
	ds_read_b128 v[108:111], v104
	v_add_nc_u32_e32 v106, 1, v106
	v_add_nc_u32_e32 v104, 16, v104
	;; [unrolled: 1-line block ×3, first 2 shown]
	v_cmp_lt_u32_e32 vcc_lo, 41, v106
	s_or_b32 s8, vcc_lo, s8
	s_waitcnt vmcnt(2) lgkmcnt(0)
	v_mul_f64 v[116:117], v[110:111], v[112:113]
	v_mul_f64 v[112:113], v[108:109], v[112:113]
	s_waitcnt vmcnt(0)
	v_fma_f64 v[108:109], v[108:109], v[114:115], -v[116:117]
	v_fma_f64 v[110:111], v[110:111], v[114:115], v[112:113]
	v_add_f64 v[1:2], v[1:2], v[108:109]
	v_add_f64 v[3:4], v[3:4], v[110:111]
	s_andn2_b32 exec_lo, exec_lo, s8
	s_cbranch_execnz .LBB111_716
; %bb.717:
	s_or_b32 exec_lo, exec_lo, s8
.LBB111_718:
	s_or_b32 exec_lo, exec_lo, s6
	v_mov_b32_e32 v104, 0
	ds_read_b128 v[108:111], v104 offset:688
	s_waitcnt lgkmcnt(0)
	v_mul_f64 v[104:105], v[3:4], v[110:111]
	v_mul_f64 v[110:111], v[1:2], v[110:111]
	v_fma_f64 v[1:2], v[1:2], v[108:109], -v[104:105]
	v_fma_f64 v[3:4], v[3:4], v[108:109], v[110:111]
	buffer_store_dword v2, off, s[0:3], 0 offset:692
	buffer_store_dword v1, off, s[0:3], 0 offset:688
	;; [unrolled: 1-line block ×4, first 2 shown]
.LBB111_719:
	s_or_b32 exec_lo, exec_lo, s4
	v_mov_b32_e32 v4, s11
	s_mov_b32 s4, exec_lo
	s_clause 0x3
	buffer_load_dword v1, v4, s[0:3], 0 offen
	buffer_load_dword v2, v4, s[0:3], 0 offen offset:4
	buffer_load_dword v3, v4, s[0:3], 0 offen offset:8
	;; [unrolled: 1-line block ×3, first 2 shown]
	s_waitcnt vmcnt(0)
	ds_write_b128 v102, v[1:4]
	s_waitcnt lgkmcnt(0)
	s_waitcnt_vscnt null, 0x0
	s_barrier
	buffer_gl0_inv
	v_cmpx_gt_u32_e32 44, v0
	s_cbranch_execz .LBB111_727
; %bb.720:
	ds_read_b128 v[1:4], v102
	v_cmp_ne_u32_e32 vcc_lo, 1, v103
	s_cbranch_vccnz .LBB111_722
; %bb.721:
	s_clause 0x3
	buffer_load_dword v104, v101, s[0:3], 0 offen offset:8
	buffer_load_dword v105, v101, s[0:3], 0 offen offset:12
	buffer_load_dword v108, v101, s[0:3], 0 offen
	buffer_load_dword v109, v101, s[0:3], 0 offen offset:4
	s_waitcnt vmcnt(2) lgkmcnt(0)
	v_mul_f64 v[110:111], v[3:4], v[104:105]
	v_mul_f64 v[104:105], v[1:2], v[104:105]
	s_waitcnt vmcnt(0)
	v_fma_f64 v[1:2], v[1:2], v[108:109], -v[110:111]
	v_fma_f64 v[3:4], v[3:4], v[108:109], v[104:105]
.LBB111_722:
	s_mov_b32 s6, exec_lo
	v_cmpx_ne_u32_e32 43, v0
	s_cbranch_execz .LBB111_726
; %bb.723:
	v_add_nc_u32_e32 v104, 0x310, v107
	v_add3_u32 v105, 0, v107, 16
	v_mov_b32_e32 v106, v0
	s_mov_b32 s8, 0
	.p2align	6
.LBB111_724:                            ; =>This Inner Loop Header: Depth=1
	s_clause 0x3
	buffer_load_dword v112, v105, s[0:3], 0 offen offset:8
	buffer_load_dword v113, v105, s[0:3], 0 offen offset:12
	buffer_load_dword v114, v105, s[0:3], 0 offen
	buffer_load_dword v115, v105, s[0:3], 0 offen offset:4
	ds_read_b128 v[108:111], v104
	v_add_nc_u32_e32 v106, 1, v106
	v_add_nc_u32_e32 v104, 16, v104
	v_add_nc_u32_e32 v105, 16, v105
	v_cmp_lt_u32_e32 vcc_lo, 42, v106
	s_or_b32 s8, vcc_lo, s8
	s_waitcnt vmcnt(2) lgkmcnt(0)
	v_mul_f64 v[116:117], v[110:111], v[112:113]
	v_mul_f64 v[112:113], v[108:109], v[112:113]
	s_waitcnt vmcnt(0)
	v_fma_f64 v[108:109], v[108:109], v[114:115], -v[116:117]
	v_fma_f64 v[110:111], v[110:111], v[114:115], v[112:113]
	v_add_f64 v[1:2], v[1:2], v[108:109]
	v_add_f64 v[3:4], v[3:4], v[110:111]
	s_andn2_b32 exec_lo, exec_lo, s8
	s_cbranch_execnz .LBB111_724
; %bb.725:
	s_or_b32 exec_lo, exec_lo, s8
.LBB111_726:
	s_or_b32 exec_lo, exec_lo, s6
	v_mov_b32_e32 v104, 0
	ds_read_b128 v[108:111], v104 offset:704
	s_waitcnt lgkmcnt(0)
	v_mul_f64 v[104:105], v[3:4], v[110:111]
	v_mul_f64 v[110:111], v[1:2], v[110:111]
	v_fma_f64 v[1:2], v[1:2], v[108:109], -v[104:105]
	v_fma_f64 v[3:4], v[3:4], v[108:109], v[110:111]
	buffer_store_dword v2, off, s[0:3], 0 offset:708
	buffer_store_dword v1, off, s[0:3], 0 offset:704
	;; [unrolled: 1-line block ×4, first 2 shown]
.LBB111_727:
	s_or_b32 exec_lo, exec_lo, s4
	v_mov_b32_e32 v4, s10
	s_mov_b32 s4, exec_lo
	s_clause 0x3
	buffer_load_dword v1, v4, s[0:3], 0 offen
	buffer_load_dword v2, v4, s[0:3], 0 offen offset:4
	buffer_load_dword v3, v4, s[0:3], 0 offen offset:8
	;; [unrolled: 1-line block ×3, first 2 shown]
	s_waitcnt vmcnt(0)
	ds_write_b128 v102, v[1:4]
	s_waitcnt lgkmcnt(0)
	s_waitcnt_vscnt null, 0x0
	s_barrier
	buffer_gl0_inv
	v_cmpx_gt_u32_e32 45, v0
	s_cbranch_execz .LBB111_735
; %bb.728:
	ds_read_b128 v[1:4], v102
	v_cmp_ne_u32_e32 vcc_lo, 1, v103
	s_cbranch_vccnz .LBB111_730
; %bb.729:
	s_clause 0x3
	buffer_load_dword v104, v101, s[0:3], 0 offen offset:8
	buffer_load_dword v105, v101, s[0:3], 0 offen offset:12
	buffer_load_dword v108, v101, s[0:3], 0 offen
	buffer_load_dword v109, v101, s[0:3], 0 offen offset:4
	s_waitcnt vmcnt(2) lgkmcnt(0)
	v_mul_f64 v[110:111], v[3:4], v[104:105]
	v_mul_f64 v[104:105], v[1:2], v[104:105]
	s_waitcnt vmcnt(0)
	v_fma_f64 v[1:2], v[1:2], v[108:109], -v[110:111]
	v_fma_f64 v[3:4], v[3:4], v[108:109], v[104:105]
.LBB111_730:
	s_mov_b32 s6, exec_lo
	v_cmpx_ne_u32_e32 44, v0
	s_cbranch_execz .LBB111_734
; %bb.731:
	v_add_nc_u32_e32 v104, 0x310, v107
	v_add3_u32 v105, 0, v107, 16
	v_mov_b32_e32 v106, v0
	s_mov_b32 s8, 0
	.p2align	6
.LBB111_732:                            ; =>This Inner Loop Header: Depth=1
	s_clause 0x3
	buffer_load_dword v112, v105, s[0:3], 0 offen offset:8
	buffer_load_dword v113, v105, s[0:3], 0 offen offset:12
	buffer_load_dword v114, v105, s[0:3], 0 offen
	buffer_load_dword v115, v105, s[0:3], 0 offen offset:4
	ds_read_b128 v[108:111], v104
	v_add_nc_u32_e32 v106, 1, v106
	v_add_nc_u32_e32 v104, 16, v104
	;; [unrolled: 1-line block ×3, first 2 shown]
	v_cmp_lt_u32_e32 vcc_lo, 43, v106
	s_or_b32 s8, vcc_lo, s8
	s_waitcnt vmcnt(2) lgkmcnt(0)
	v_mul_f64 v[116:117], v[110:111], v[112:113]
	v_mul_f64 v[112:113], v[108:109], v[112:113]
	s_waitcnt vmcnt(0)
	v_fma_f64 v[108:109], v[108:109], v[114:115], -v[116:117]
	v_fma_f64 v[110:111], v[110:111], v[114:115], v[112:113]
	v_add_f64 v[1:2], v[1:2], v[108:109]
	v_add_f64 v[3:4], v[3:4], v[110:111]
	s_andn2_b32 exec_lo, exec_lo, s8
	s_cbranch_execnz .LBB111_732
; %bb.733:
	s_or_b32 exec_lo, exec_lo, s8
.LBB111_734:
	s_or_b32 exec_lo, exec_lo, s6
	v_mov_b32_e32 v104, 0
	ds_read_b128 v[108:111], v104 offset:720
	s_waitcnt lgkmcnt(0)
	v_mul_f64 v[104:105], v[3:4], v[110:111]
	v_mul_f64 v[110:111], v[1:2], v[110:111]
	v_fma_f64 v[1:2], v[1:2], v[108:109], -v[104:105]
	v_fma_f64 v[3:4], v[3:4], v[108:109], v[110:111]
	buffer_store_dword v2, off, s[0:3], 0 offset:724
	buffer_store_dword v1, off, s[0:3], 0 offset:720
	;; [unrolled: 1-line block ×4, first 2 shown]
.LBB111_735:
	s_or_b32 exec_lo, exec_lo, s4
	v_mov_b32_e32 v4, s9
	v_cmp_gt_u32_e64 s4, 46, v0
	s_clause 0x3
	buffer_load_dword v1, v4, s[0:3], 0 offen
	buffer_load_dword v2, v4, s[0:3], 0 offen offset:4
	buffer_load_dword v3, v4, s[0:3], 0 offen offset:8
	buffer_load_dword v4, v4, s[0:3], 0 offen offset:12
	s_waitcnt vmcnt(0)
	ds_write_b128 v102, v[1:4]
	s_waitcnt lgkmcnt(0)
	s_waitcnt_vscnt null, 0x0
	s_barrier
	buffer_gl0_inv
	s_and_saveexec_b32 s6, s4
	s_cbranch_execz .LBB111_743
; %bb.736:
	ds_read_b128 v[1:4], v102
	v_cmp_ne_u32_e32 vcc_lo, 1, v103
	s_cbranch_vccnz .LBB111_738
; %bb.737:
	s_clause 0x3
	buffer_load_dword v104, v101, s[0:3], 0 offen offset:8
	buffer_load_dword v105, v101, s[0:3], 0 offen offset:12
	buffer_load_dword v108, v101, s[0:3], 0 offen
	buffer_load_dword v109, v101, s[0:3], 0 offen offset:4
	s_waitcnt vmcnt(2) lgkmcnt(0)
	v_mul_f64 v[110:111], v[3:4], v[104:105]
	v_mul_f64 v[104:105], v[1:2], v[104:105]
	s_waitcnt vmcnt(0)
	v_fma_f64 v[1:2], v[1:2], v[108:109], -v[110:111]
	v_fma_f64 v[3:4], v[3:4], v[108:109], v[104:105]
.LBB111_738:
	s_mov_b32 s8, exec_lo
	v_cmpx_ne_u32_e32 45, v0
	s_cbranch_execz .LBB111_742
; %bb.739:
	v_add_nc_u32_e32 v104, 0x310, v107
	v_add3_u32 v105, 0, v107, 16
	v_mov_b32_e32 v106, v0
	s_mov_b32 s56, 0
	.p2align	6
.LBB111_740:                            ; =>This Inner Loop Header: Depth=1
	s_clause 0x3
	buffer_load_dword v112, v105, s[0:3], 0 offen offset:8
	buffer_load_dword v113, v105, s[0:3], 0 offen offset:12
	buffer_load_dword v114, v105, s[0:3], 0 offen
	buffer_load_dword v115, v105, s[0:3], 0 offen offset:4
	ds_read_b128 v[108:111], v104
	v_add_nc_u32_e32 v106, 1, v106
	v_add_nc_u32_e32 v104, 16, v104
	;; [unrolled: 1-line block ×3, first 2 shown]
	v_cmp_lt_u32_e32 vcc_lo, 44, v106
	s_or_b32 s56, vcc_lo, s56
	s_waitcnt vmcnt(2) lgkmcnt(0)
	v_mul_f64 v[116:117], v[110:111], v[112:113]
	v_mul_f64 v[112:113], v[108:109], v[112:113]
	s_waitcnt vmcnt(0)
	v_fma_f64 v[108:109], v[108:109], v[114:115], -v[116:117]
	v_fma_f64 v[110:111], v[110:111], v[114:115], v[112:113]
	v_add_f64 v[1:2], v[1:2], v[108:109]
	v_add_f64 v[3:4], v[3:4], v[110:111]
	s_andn2_b32 exec_lo, exec_lo, s56
	s_cbranch_execnz .LBB111_740
; %bb.741:
	s_or_b32 exec_lo, exec_lo, s56
.LBB111_742:
	s_or_b32 exec_lo, exec_lo, s8
	v_mov_b32_e32 v104, 0
	ds_read_b128 v[108:111], v104 offset:736
	s_waitcnt lgkmcnt(0)
	v_mul_f64 v[104:105], v[3:4], v[110:111]
	v_mul_f64 v[110:111], v[1:2], v[110:111]
	v_fma_f64 v[1:2], v[1:2], v[108:109], -v[104:105]
	v_fma_f64 v[3:4], v[3:4], v[108:109], v[110:111]
	buffer_store_dword v2, off, s[0:3], 0 offset:740
	buffer_store_dword v1, off, s[0:3], 0 offset:736
	;; [unrolled: 1-line block ×4, first 2 shown]
.LBB111_743:
	s_or_b32 exec_lo, exec_lo, s6
	v_mov_b32_e32 v4, s7
	s_mov_b32 s6, exec_lo
                                        ; implicit-def: $sgpr57
	s_clause 0x3
	buffer_load_dword v1, v4, s[0:3], 0 offen
	buffer_load_dword v2, v4, s[0:3], 0 offen offset:4
	buffer_load_dword v3, v4, s[0:3], 0 offen offset:8
	;; [unrolled: 1-line block ×3, first 2 shown]
	s_waitcnt vmcnt(0)
	ds_write_b128 v102, v[1:4]
	s_waitcnt lgkmcnt(0)
	s_waitcnt_vscnt null, 0x0
	s_barrier
	buffer_gl0_inv
                                        ; implicit-def: $vgpr1_vgpr2
	v_cmpx_ne_u32_e32 47, v0
	s_cbranch_execz .LBB111_751
; %bb.744:
	ds_read_b128 v[1:4], v102
	v_cmp_ne_u32_e32 vcc_lo, 1, v103
	s_cbranch_vccnz .LBB111_746
; %bb.745:
	s_clause 0x3
	buffer_load_dword v102, v101, s[0:3], 0 offen offset:8
	buffer_load_dword v103, v101, s[0:3], 0 offen offset:12
	buffer_load_dword v104, v101, s[0:3], 0 offen
	buffer_load_dword v105, v101, s[0:3], 0 offen offset:4
	s_waitcnt vmcnt(2) lgkmcnt(0)
	v_mul_f64 v[108:109], v[3:4], v[102:103]
	v_mul_f64 v[101:102], v[1:2], v[102:103]
	s_waitcnt vmcnt(0)
	v_fma_f64 v[1:2], v[1:2], v[104:105], -v[108:109]
	v_fma_f64 v[3:4], v[3:4], v[104:105], v[101:102]
.LBB111_746:
	s_and_saveexec_b32 s8, s4
	s_cbranch_execz .LBB111_750
; %bb.747:
	v_add_nc_u32_e32 v101, 0x310, v107
	v_add3_u32 v102, 0, v107, 16
	s_mov_b32 s4, 0
	.p2align	6
.LBB111_748:                            ; =>This Inner Loop Header: Depth=1
	s_clause 0x3
	buffer_load_dword v107, v102, s[0:3], 0 offen offset:8
	buffer_load_dword v108, v102, s[0:3], 0 offen offset:12
	buffer_load_dword v109, v102, s[0:3], 0 offen
	buffer_load_dword v110, v102, s[0:3], 0 offen offset:4
	ds_read_b128 v[103:106], v101
	v_add_nc_u32_e32 v0, 1, v0
	v_add_nc_u32_e32 v101, 16, v101
	;; [unrolled: 1-line block ×3, first 2 shown]
	v_cmp_lt_u32_e32 vcc_lo, 45, v0
	s_or_b32 s4, vcc_lo, s4
	s_waitcnt vmcnt(2) lgkmcnt(0)
	v_mul_f64 v[111:112], v[105:106], v[107:108]
	v_mul_f64 v[107:108], v[103:104], v[107:108]
	s_waitcnt vmcnt(0)
	v_fma_f64 v[103:104], v[103:104], v[109:110], -v[111:112]
	v_fma_f64 v[105:106], v[105:106], v[109:110], v[107:108]
	v_add_f64 v[1:2], v[1:2], v[103:104]
	v_add_f64 v[3:4], v[3:4], v[105:106]
	s_andn2_b32 exec_lo, exec_lo, s4
	s_cbranch_execnz .LBB111_748
; %bb.749:
	s_or_b32 exec_lo, exec_lo, s4
.LBB111_750:
	s_or_b32 exec_lo, exec_lo, s8
	v_mov_b32_e32 v0, 0
	s_movk_i32 s57, 0x2f8
	s_or_b32 s5, s5, exec_lo
	ds_read_b128 v[101:104], v0 offset:752
	s_waitcnt lgkmcnt(0)
	v_mul_f64 v[105:106], v[3:4], v[103:104]
	v_mul_f64 v[103:104], v[1:2], v[103:104]
	v_fma_f64 v[105:106], v[1:2], v[101:102], -v[105:106]
	v_fma_f64 v[1:2], v[3:4], v[101:102], v[103:104]
	buffer_store_dword v106, off, s[0:3], 0 offset:756
	buffer_store_dword v105, off, s[0:3], 0 offset:752
.LBB111_751:
	s_or_b32 exec_lo, exec_lo, s6
.LBB111_752:
	s_and_saveexec_b32 s4, s5
	s_cbranch_execz .LBB111_754
; %bb.753:
	v_mov_b32_e32 v0, s57
	buffer_store_dword v2, v0, s[0:3], 0 offen offset:4
	buffer_store_dword v1, v0, s[0:3], 0 offen
.LBB111_754:
	s_or_b32 exec_lo, exec_lo, s4
	s_clause 0x3
	buffer_load_dword v0, off, s[0:3], 0
	buffer_load_dword v1, off, s[0:3], 0 offset:4
	buffer_load_dword v2, off, s[0:3], 0 offset:8
	;; [unrolled: 1-line block ×3, first 2 shown]
	v_mov_b32_e32 v4, s55
	s_waitcnt vmcnt(0)
	flat_store_dwordx4 v[5:6], v[0:3]
	s_clause 0x3
	buffer_load_dword v0, v4, s[0:3], 0 offen
	buffer_load_dword v1, v4, s[0:3], 0 offen offset:4
	buffer_load_dword v2, v4, s[0:3], 0 offen offset:8
	buffer_load_dword v3, v4, s[0:3], 0 offen offset:12
	v_mov_b32_e32 v4, s54
	s_waitcnt vmcnt(0)
	flat_store_dwordx4 v[59:60], v[0:3]
	s_clause 0x3
	buffer_load_dword v0, v4, s[0:3], 0 offen
	buffer_load_dword v1, v4, s[0:3], 0 offen offset:4
	buffer_load_dword v2, v4, s[0:3], 0 offen offset:8
	buffer_load_dword v3, v4, s[0:3], 0 offen offset:12
	;; [unrolled: 8-line block ×47, first 2 shown]
	s_waitcnt vmcnt(0)
	flat_store_dwordx4 v[99:100], v[0:3]
.LBB111_755:
	s_endpgm
	.section	.rodata,"a",@progbits
	.p2align	6, 0x0
	.amdhsa_kernel _ZN9rocsolver6v33100L18trti2_kernel_smallILi48E19rocblas_complex_numIdEPKPS3_EEv13rocblas_fill_17rocblas_diagonal_T1_iil
		.amdhsa_group_segment_fixed_size 1536
		.amdhsa_private_segment_fixed_size 784
		.amdhsa_kernarg_size 32
		.amdhsa_user_sgpr_count 6
		.amdhsa_user_sgpr_private_segment_buffer 1
		.amdhsa_user_sgpr_dispatch_ptr 0
		.amdhsa_user_sgpr_queue_ptr 0
		.amdhsa_user_sgpr_kernarg_segment_ptr 1
		.amdhsa_user_sgpr_dispatch_id 0
		.amdhsa_user_sgpr_flat_scratch_init 0
		.amdhsa_user_sgpr_private_segment_size 0
		.amdhsa_wavefront_size32 1
		.amdhsa_uses_dynamic_stack 0
		.amdhsa_system_sgpr_private_segment_wavefront_offset 1
		.amdhsa_system_sgpr_workgroup_id_x 1
		.amdhsa_system_sgpr_workgroup_id_y 0
		.amdhsa_system_sgpr_workgroup_id_z 0
		.amdhsa_system_sgpr_workgroup_info 0
		.amdhsa_system_vgpr_workitem_id 0
		.amdhsa_next_free_vgpr 118
		.amdhsa_next_free_sgpr 77
		.amdhsa_reserve_vcc 1
		.amdhsa_reserve_flat_scratch 0
		.amdhsa_float_round_mode_32 0
		.amdhsa_float_round_mode_16_64 0
		.amdhsa_float_denorm_mode_32 3
		.amdhsa_float_denorm_mode_16_64 3
		.amdhsa_dx10_clamp 1
		.amdhsa_ieee_mode 1
		.amdhsa_fp16_overflow 0
		.amdhsa_workgroup_processor_mode 1
		.amdhsa_memory_ordered 1
		.amdhsa_forward_progress 1
		.amdhsa_shared_vgpr_count 0
		.amdhsa_exception_fp_ieee_invalid_op 0
		.amdhsa_exception_fp_denorm_src 0
		.amdhsa_exception_fp_ieee_div_zero 0
		.amdhsa_exception_fp_ieee_overflow 0
		.amdhsa_exception_fp_ieee_underflow 0
		.amdhsa_exception_fp_ieee_inexact 0
		.amdhsa_exception_int_div_zero 0
	.end_amdhsa_kernel
	.section	.text._ZN9rocsolver6v33100L18trti2_kernel_smallILi48E19rocblas_complex_numIdEPKPS3_EEv13rocblas_fill_17rocblas_diagonal_T1_iil,"axG",@progbits,_ZN9rocsolver6v33100L18trti2_kernel_smallILi48E19rocblas_complex_numIdEPKPS3_EEv13rocblas_fill_17rocblas_diagonal_T1_iil,comdat
.Lfunc_end111:
	.size	_ZN9rocsolver6v33100L18trti2_kernel_smallILi48E19rocblas_complex_numIdEPKPS3_EEv13rocblas_fill_17rocblas_diagonal_T1_iil, .Lfunc_end111-_ZN9rocsolver6v33100L18trti2_kernel_smallILi48E19rocblas_complex_numIdEPKPS3_EEv13rocblas_fill_17rocblas_diagonal_T1_iil
                                        ; -- End function
	.set _ZN9rocsolver6v33100L18trti2_kernel_smallILi48E19rocblas_complex_numIdEPKPS3_EEv13rocblas_fill_17rocblas_diagonal_T1_iil.num_vgpr, 118
	.set _ZN9rocsolver6v33100L18trti2_kernel_smallILi48E19rocblas_complex_numIdEPKPS3_EEv13rocblas_fill_17rocblas_diagonal_T1_iil.num_agpr, 0
	.set _ZN9rocsolver6v33100L18trti2_kernel_smallILi48E19rocblas_complex_numIdEPKPS3_EEv13rocblas_fill_17rocblas_diagonal_T1_iil.numbered_sgpr, 77
	.set _ZN9rocsolver6v33100L18trti2_kernel_smallILi48E19rocblas_complex_numIdEPKPS3_EEv13rocblas_fill_17rocblas_diagonal_T1_iil.num_named_barrier, 0
	.set _ZN9rocsolver6v33100L18trti2_kernel_smallILi48E19rocblas_complex_numIdEPKPS3_EEv13rocblas_fill_17rocblas_diagonal_T1_iil.private_seg_size, 784
	.set _ZN9rocsolver6v33100L18trti2_kernel_smallILi48E19rocblas_complex_numIdEPKPS3_EEv13rocblas_fill_17rocblas_diagonal_T1_iil.uses_vcc, 1
	.set _ZN9rocsolver6v33100L18trti2_kernel_smallILi48E19rocblas_complex_numIdEPKPS3_EEv13rocblas_fill_17rocblas_diagonal_T1_iil.uses_flat_scratch, 0
	.set _ZN9rocsolver6v33100L18trti2_kernel_smallILi48E19rocblas_complex_numIdEPKPS3_EEv13rocblas_fill_17rocblas_diagonal_T1_iil.has_dyn_sized_stack, 0
	.set _ZN9rocsolver6v33100L18trti2_kernel_smallILi48E19rocblas_complex_numIdEPKPS3_EEv13rocblas_fill_17rocblas_diagonal_T1_iil.has_recursion, 0
	.set _ZN9rocsolver6v33100L18trti2_kernel_smallILi48E19rocblas_complex_numIdEPKPS3_EEv13rocblas_fill_17rocblas_diagonal_T1_iil.has_indirect_call, 0
	.section	.AMDGPU.csdata,"",@progbits
; Kernel info:
; codeLenInByte = 48884
; TotalNumSgprs: 79
; NumVgprs: 118
; ScratchSize: 784
; MemoryBound: 0
; FloatMode: 240
; IeeeMode: 1
; LDSByteSize: 1536 bytes/workgroup (compile time only)
; SGPRBlocks: 0
; VGPRBlocks: 14
; NumSGPRsForWavesPerEU: 79
; NumVGPRsForWavesPerEU: 118
; Occupancy: 8
; WaveLimiterHint : 1
; COMPUTE_PGM_RSRC2:SCRATCH_EN: 1
; COMPUTE_PGM_RSRC2:USER_SGPR: 6
; COMPUTE_PGM_RSRC2:TRAP_HANDLER: 0
; COMPUTE_PGM_RSRC2:TGID_X_EN: 1
; COMPUTE_PGM_RSRC2:TGID_Y_EN: 0
; COMPUTE_PGM_RSRC2:TGID_Z_EN: 0
; COMPUTE_PGM_RSRC2:TIDIG_COMP_CNT: 0
	.section	.text._ZN9rocsolver6v33100L18trti2_kernel_smallILi49E19rocblas_complex_numIdEPKPS3_EEv13rocblas_fill_17rocblas_diagonal_T1_iil,"axG",@progbits,_ZN9rocsolver6v33100L18trti2_kernel_smallILi49E19rocblas_complex_numIdEPKPS3_EEv13rocblas_fill_17rocblas_diagonal_T1_iil,comdat
	.globl	_ZN9rocsolver6v33100L18trti2_kernel_smallILi49E19rocblas_complex_numIdEPKPS3_EEv13rocblas_fill_17rocblas_diagonal_T1_iil ; -- Begin function _ZN9rocsolver6v33100L18trti2_kernel_smallILi49E19rocblas_complex_numIdEPKPS3_EEv13rocblas_fill_17rocblas_diagonal_T1_iil
	.p2align	8
	.type	_ZN9rocsolver6v33100L18trti2_kernel_smallILi49E19rocblas_complex_numIdEPKPS3_EEv13rocblas_fill_17rocblas_diagonal_T1_iil,@function
_ZN9rocsolver6v33100L18trti2_kernel_smallILi49E19rocblas_complex_numIdEPKPS3_EEv13rocblas_fill_17rocblas_diagonal_T1_iil: ; @_ZN9rocsolver6v33100L18trti2_kernel_smallILi49E19rocblas_complex_numIdEPKPS3_EEv13rocblas_fill_17rocblas_diagonal_T1_iil
; %bb.0:
	s_add_u32 s0, s0, s7
	s_addc_u32 s1, s1, 0
	s_mov_b32 s7, exec_lo
	v_cmpx_gt_u32_e32 49, v0
	s_cbranch_execz .LBB112_771
; %bb.1:
	s_clause 0x1
	s_load_dwordx2 s[12:13], s[4:5], 0x10
	s_load_dwordx4 s[8:11], s[4:5], 0x0
	s_ashr_i32 s7, s6, 31
	v_lshlrev_b32_e32 v109, 4, v0
	s_lshl_b64 s[4:5], s[6:7], 3
	s_movk_i32 s14, 0xd0
	s_movk_i32 s15, 0xe0
	;; [unrolled: 1-line block ×15, first 2 shown]
	s_waitcnt lgkmcnt(0)
	s_ashr_i32 s7, s12, 31
	s_add_u32 s4, s10, s4
	s_addc_u32 s5, s11, s5
	s_mov_b32 s6, s12
	s_load_dwordx2 s[4:5], s[4:5], 0x0
	s_lshl_b64 s[6:7], s[6:7], 4
	v_add3_u32 v7, s13, s13, v0
	s_movk_i32 s10, 0x90
	s_movk_i32 s11, 0xa0
	;; [unrolled: 1-line block ×4, first 2 shown]
	v_ashrrev_i32_e32 v8, 31, v7
	s_movk_i32 s58, 0x1d0
	s_movk_i32 s59, 0x1e0
	s_movk_i32 s60, 0x1f0
	s_movk_i32 s61, 0x200
	v_lshlrev_b64 v[8:9], 4, v[7:8]
	v_add_nc_u32_e32 v7, s13, v7
	s_movk_i32 s62, 0x210
	s_movk_i32 s63, 0x220
	;; [unrolled: 1-line block ×6, first 2 shown]
	s_waitcnt lgkmcnt(0)
	s_add_u32 s6, s4, s6
	s_addc_u32 s7, s5, s7
	v_add_co_u32 v5, s4, s6, v109
	v_add_co_ci_u32_e64 v6, null, s7, 0, s4
	s_mov_b32 s4, s13
	s_ashr_i32 s5, s13, 31
	s_movk_i32 s68, 0x270
	flat_load_dwordx4 v[1:4], v[5:6]
	s_lshl_b64 s[4:5], s[4:5], 4
	s_cmpk_lg_i32 s9, 0x84
	v_add_co_u32 v59, vcc_lo, v5, s4
	v_add_co_ci_u32_e64 v60, null, s5, v6, vcc_lo
	v_add_co_u32 v57, vcc_lo, s6, v8
	v_add_co_ci_u32_e64 v58, null, s7, v9, vcc_lo
	v_ashrrev_i32_e32 v8, 31, v7
	s_movk_i32 s4, 0x50
	s_movk_i32 s5, 0x60
	;; [unrolled: 1-line block ×4, first 2 shown]
	v_lshlrev_b64 v[8:9], 4, v[7:8]
	v_add_nc_u32_e32 v7, s13, v7
	s_movk_i32 s71, 0x2a0
	s_movk_i32 s72, 0x2b0
	;; [unrolled: 1-line block ×4, first 2 shown]
	v_add_co_u32 v55, vcc_lo, s6, v8
	v_add_co_ci_u32_e64 v56, null, s7, v9, vcc_lo
	v_ashrrev_i32_e32 v8, 31, v7
	s_movk_i32 s75, 0x2e0
	s_movk_i32 s76, 0x2f0
	;; [unrolled: 1-line block ×3, first 2 shown]
	s_cselect_b32 s56, -1, 0
	v_lshlrev_b64 v[8:9], 4, v[7:8]
	v_add_nc_u32_e32 v7, s13, v7
	s_cmpk_eq_i32 s9, 0x84
	s_waitcnt vmcnt(0) lgkmcnt(0)
	buffer_store_dword v4, off, s[0:3], 0 offset:12
	buffer_store_dword v3, off, s[0:3], 0 offset:8
	;; [unrolled: 1-line block ×3, first 2 shown]
	buffer_store_dword v1, off, s[0:3], 0
	flat_load_dwordx4 v[1:4], v[59:60]
	v_add_co_u32 v53, vcc_lo, s6, v8
	v_add_co_ci_u32_e64 v54, null, s7, v9, vcc_lo
	v_ashrrev_i32_e32 v8, 31, v7
	s_waitcnt vmcnt(0) lgkmcnt(0)
	buffer_store_dword v4, off, s[0:3], 0 offset:28
	buffer_store_dword v3, off, s[0:3], 0 offset:24
	buffer_store_dword v2, off, s[0:3], 0 offset:20
	buffer_store_dword v1, off, s[0:3], 0 offset:16
	flat_load_dwordx4 v[1:4], v[57:58]
	v_lshlrev_b64 v[8:9], 4, v[7:8]
	v_add_nc_u32_e32 v7, s13, v7
	s_waitcnt vmcnt(0) lgkmcnt(0)
	buffer_store_dword v4, off, s[0:3], 0 offset:44
	buffer_store_dword v3, off, s[0:3], 0 offset:40
	buffer_store_dword v2, off, s[0:3], 0 offset:36
	buffer_store_dword v1, off, s[0:3], 0 offset:32
	flat_load_dwordx4 v[1:4], v[55:56]
	v_add_co_u32 v49, vcc_lo, s6, v8
	v_add_co_ci_u32_e64 v50, null, s7, v9, vcc_lo
	v_ashrrev_i32_e32 v8, 31, v7
	s_waitcnt vmcnt(0) lgkmcnt(0)
	buffer_store_dword v4, off, s[0:3], 0 offset:60
	buffer_store_dword v3, off, s[0:3], 0 offset:56
	buffer_store_dword v2, off, s[0:3], 0 offset:52
	buffer_store_dword v1, off, s[0:3], 0 offset:48
	flat_load_dwordx4 v[1:4], v[53:54]
	v_lshlrev_b64 v[8:9], 4, v[7:8]
	v_add_nc_u32_e32 v7, s13, v7
	s_waitcnt vmcnt(0) lgkmcnt(0)
	buffer_store_dword v4, off, s[0:3], 0 offset:76
	buffer_store_dword v3, off, s[0:3], 0 offset:72
	buffer_store_dword v2, off, s[0:3], 0 offset:68
	buffer_store_dword v1, off, s[0:3], 0 offset:64
	;; [unrolled: 17-line block ×3, first 2 shown]
	v_add_co_u32 v45, vcc_lo, s6, v8
	v_add_co_ci_u32_e64 v46, null, s7, v9, vcc_lo
	v_ashrrev_i32_e32 v8, 31, v7
	flat_load_dwordx4 v[1:4], v[45:46]
	s_waitcnt vmcnt(0) lgkmcnt(0)
	buffer_store_dword v4, off, s[0:3], 0 offset:124
	buffer_store_dword v3, off, s[0:3], 0 offset:120
	buffer_store_dword v2, off, s[0:3], 0 offset:116
	buffer_store_dword v1, off, s[0:3], 0 offset:112
	v_lshlrev_b64 v[8:9], 4, v[7:8]
	v_add_nc_u32_e32 v7, s13, v7
	v_add_co_u32 v43, vcc_lo, s6, v8
	v_add_co_ci_u32_e64 v44, null, s7, v9, vcc_lo
	v_ashrrev_i32_e32 v8, 31, v7
	flat_load_dwordx4 v[1:4], v[43:44]
	s_waitcnt vmcnt(0) lgkmcnt(0)
	buffer_store_dword v4, off, s[0:3], 0 offset:140
	buffer_store_dword v3, off, s[0:3], 0 offset:136
	buffer_store_dword v2, off, s[0:3], 0 offset:132
	buffer_store_dword v1, off, s[0:3], 0 offset:128
	v_lshlrev_b64 v[8:9], 4, v[7:8]
	v_add_nc_u32_e32 v7, s13, v7
	;; [unrolled: 11-line block ×16, first 2 shown]
	v_add_co_u32 v11, vcc_lo, s6, v8
	v_add_co_ci_u32_e64 v12, null, s7, v9, vcc_lo
	v_ashrrev_i32_e32 v8, 31, v7
	v_add_nc_u32_e32 v33, s13, v7
	flat_load_dwordx4 v[1:4], v[11:12]
	s_waitcnt vmcnt(0) lgkmcnt(0)
	buffer_store_dword v4, off, s[0:3], 0 offset:380
	buffer_store_dword v3, off, s[0:3], 0 offset:376
	;; [unrolled: 1-line block ×4, first 2 shown]
	v_lshlrev_b64 v[9:10], 4, v[7:8]
	v_ashrrev_i32_e32 v34, 31, v33
	v_add_nc_u32_e32 v51, s13, v33
	v_add_co_u32 v9, vcc_lo, s6, v9
	v_add_co_ci_u32_e64 v10, null, s7, v10, vcc_lo
	v_lshlrev_b64 v[7:8], 4, v[33:34]
	v_ashrrev_i32_e32 v52, 31, v51
	v_add_nc_u32_e32 v61, s13, v51
	flat_load_dwordx4 v[1:4], v[9:10]
	s_waitcnt vmcnt(0) lgkmcnt(0)
	buffer_store_dword v4, off, s[0:3], 0 offset:396
	buffer_store_dword v3, off, s[0:3], 0 offset:392
	buffer_store_dword v2, off, s[0:3], 0 offset:388
	buffer_store_dword v1, off, s[0:3], 0 offset:384
	v_add_co_u32 v7, vcc_lo, s6, v7
	v_add_co_ci_u32_e64 v8, null, s7, v8, vcc_lo
	v_lshlrev_b64 v[33:34], 4, v[51:52]
	v_ashrrev_i32_e32 v62, 31, v61
	v_add_nc_u32_e32 v63, s13, v61
	flat_load_dwordx4 v[1:4], v[7:8]
	s_waitcnt vmcnt(0) lgkmcnt(0)
	buffer_store_dword v4, off, s[0:3], 0 offset:412
	buffer_store_dword v3, off, s[0:3], 0 offset:408
	buffer_store_dword v2, off, s[0:3], 0 offset:404
	buffer_store_dword v1, off, s[0:3], 0 offset:400
	;; [unrolled: 11-line block ×21, first 2 shown]
	v_add_co_u32 v95, vcc_lo, s6, v95
	v_add_co_ci_u32_e64 v96, null, s7, v96, vcc_lo
	v_lshlrev_b64 v[97:98], 4, v[99:100]
	v_ashrrev_i32_e32 v102, 31, v101
	flat_load_dwordx4 v[1:4], v[95:96]
	s_waitcnt vmcnt(0) lgkmcnt(0)
	buffer_store_dword v4, off, s[0:3], 0 offset:732
	buffer_store_dword v3, off, s[0:3], 0 offset:728
	;; [unrolled: 1-line block ×4, first 2 shown]
	v_add_co_u32 v97, vcc_lo, s6, v97
	v_add_co_ci_u32_e64 v98, null, s7, v98, vcc_lo
	v_lshlrev_b64 v[99:100], 4, v[101:102]
	v_add_nc_u32_e32 v101, s13, v101
	s_movk_i32 s13, 0xc0
	flat_load_dwordx4 v[1:4], v[97:98]
	s_waitcnt vmcnt(0) lgkmcnt(0)
	buffer_store_dword v4, off, s[0:3], 0 offset:748
	buffer_store_dword v3, off, s[0:3], 0 offset:744
	;; [unrolled: 1-line block ×4, first 2 shown]
	v_add_co_u32 v99, vcc_lo, s6, v99
	v_add_co_ci_u32_e64 v100, null, s7, v100, vcc_lo
	v_ashrrev_i32_e32 v102, 31, v101
	flat_load_dwordx4 v[1:4], v[99:100]
	s_waitcnt vmcnt(0) lgkmcnt(0)
	buffer_store_dword v4, off, s[0:3], 0 offset:764
	buffer_store_dword v3, off, s[0:3], 0 offset:760
	;; [unrolled: 1-line block ×4, first 2 shown]
	v_lshlrev_b64 v[101:102], 4, v[101:102]
	v_add_co_u32 v101, vcc_lo, s6, v101
	v_add_co_ci_u32_e64 v102, null, s7, v102, vcc_lo
	s_movk_i32 s6, 0x70
	s_movk_i32 s7, 0x80
	flat_load_dwordx4 v[1:4], v[101:102]
	s_waitcnt vmcnt(0) lgkmcnt(0)
	buffer_store_dword v4, off, s[0:3], 0 offset:780
	buffer_store_dword v3, off, s[0:3], 0 offset:776
	;; [unrolled: 1-line block ×4, first 2 shown]
	s_cbranch_scc1 .LBB112_7
; %bb.2:
	v_lshl_add_u32 v110, v0, 4, 0
                                        ; implicit-def: $vgpr105_vgpr106
                                        ; implicit-def: $vgpr3_vgpr4
	s_clause 0x3
	buffer_load_dword v103, v110, s[0:3], 0 offen
	buffer_load_dword v104, v110, s[0:3], 0 offen offset:4
	buffer_load_dword v107, v110, s[0:3], 0 offen offset:8
	;; [unrolled: 1-line block ×3, first 2 shown]
	s_waitcnt vmcnt(0)
	v_cmp_ngt_f64_e64 s9, |v[103:104]|, |v[107:108]|
	s_and_saveexec_b32 s29, s9
	s_xor_b32 s9, exec_lo, s29
	s_cbranch_execz .LBB112_4
; %bb.3:
	v_div_scale_f64 v[1:2], null, v[107:108], v[107:108], v[103:104]
	v_div_scale_f64 v[111:112], vcc_lo, v[103:104], v[107:108], v[103:104]
	v_rcp_f64_e32 v[3:4], v[1:2]
	v_fma_f64 v[105:106], -v[1:2], v[3:4], 1.0
	v_fma_f64 v[3:4], v[3:4], v[105:106], v[3:4]
	v_fma_f64 v[105:106], -v[1:2], v[3:4], 1.0
	v_fma_f64 v[3:4], v[3:4], v[105:106], v[3:4]
	v_mul_f64 v[105:106], v[111:112], v[3:4]
	v_fma_f64 v[1:2], -v[1:2], v[105:106], v[111:112]
	v_div_fmas_f64 v[1:2], v[1:2], v[3:4], v[105:106]
	v_div_fixup_f64 v[1:2], v[1:2], v[107:108], v[103:104]
	v_fma_f64 v[3:4], v[103:104], v[1:2], v[107:108]
	v_div_scale_f64 v[103:104], null, v[3:4], v[3:4], 1.0
	v_div_scale_f64 v[111:112], vcc_lo, 1.0, v[3:4], 1.0
	v_rcp_f64_e32 v[105:106], v[103:104]
	v_fma_f64 v[107:108], -v[103:104], v[105:106], 1.0
	v_fma_f64 v[105:106], v[105:106], v[107:108], v[105:106]
	v_fma_f64 v[107:108], -v[103:104], v[105:106], 1.0
	v_fma_f64 v[105:106], v[105:106], v[107:108], v[105:106]
	v_mul_f64 v[107:108], v[111:112], v[105:106]
	v_fma_f64 v[103:104], -v[103:104], v[107:108], v[111:112]
	v_div_fmas_f64 v[103:104], v[103:104], v[105:106], v[107:108]
                                        ; implicit-def: $vgpr107_vgpr108
	v_div_fixup_f64 v[3:4], v[103:104], v[3:4], 1.0
                                        ; implicit-def: $vgpr103_vgpr104
	v_mul_f64 v[105:106], v[1:2], v[3:4]
	v_xor_b32_e32 v4, 0x80000000, v4
	v_xor_b32_e32 v2, 0x80000000, v106
	v_mov_b32_e32 v1, v105
.LBB112_4:
	s_andn2_saveexec_b32 s9, s9
	s_cbranch_execz .LBB112_6
; %bb.5:
	v_div_scale_f64 v[1:2], null, v[103:104], v[103:104], v[107:108]
	v_div_scale_f64 v[111:112], vcc_lo, v[107:108], v[103:104], v[107:108]
	v_rcp_f64_e32 v[3:4], v[1:2]
	v_fma_f64 v[105:106], -v[1:2], v[3:4], 1.0
	v_fma_f64 v[3:4], v[3:4], v[105:106], v[3:4]
	v_fma_f64 v[105:106], -v[1:2], v[3:4], 1.0
	v_fma_f64 v[3:4], v[3:4], v[105:106], v[3:4]
	v_mul_f64 v[105:106], v[111:112], v[3:4]
	v_fma_f64 v[1:2], -v[1:2], v[105:106], v[111:112]
	v_div_fmas_f64 v[1:2], v[1:2], v[3:4], v[105:106]
	v_div_fixup_f64 v[1:2], v[1:2], v[103:104], v[107:108]
	v_fma_f64 v[3:4], v[107:108], v[1:2], v[103:104]
	v_div_scale_f64 v[103:104], null, v[3:4], v[3:4], 1.0
	v_rcp_f64_e32 v[105:106], v[103:104]
	v_fma_f64 v[107:108], -v[103:104], v[105:106], 1.0
	v_fma_f64 v[105:106], v[105:106], v[107:108], v[105:106]
	v_fma_f64 v[107:108], -v[103:104], v[105:106], 1.0
	v_fma_f64 v[105:106], v[105:106], v[107:108], v[105:106]
	v_div_scale_f64 v[107:108], vcc_lo, 1.0, v[3:4], 1.0
	v_mul_f64 v[111:112], v[107:108], v[105:106]
	v_fma_f64 v[103:104], -v[103:104], v[111:112], v[107:108]
	v_div_fmas_f64 v[103:104], v[103:104], v[105:106], v[111:112]
	v_div_fixup_f64 v[105:106], v[103:104], v[3:4], 1.0
	v_mul_f64 v[3:4], v[1:2], -v[105:106]
	v_xor_b32_e32 v2, 0x80000000, v106
	v_mov_b32_e32 v1, v105
.LBB112_6:
	s_or_b32 exec_lo, exec_lo, s9
	buffer_store_dword v4, v110, s[0:3], 0 offen offset:12
	v_xor_b32_e32 v4, 0x80000000, v4
	buffer_store_dword v106, v110, s[0:3], 0 offen offset:4
	buffer_store_dword v105, v110, s[0:3], 0 offen
	buffer_store_dword v3, v110, s[0:3], 0 offen offset:8
	s_branch .LBB112_8
.LBB112_7:
	v_mov_b32_e32 v1, 0
	v_mov_b32_e32 v3, 0
	;; [unrolled: 1-line block ×4, first 2 shown]
.LBB112_8:
	v_add_nc_u32_e32 v104, 0x310, v109
	v_mov_b32_e32 v103, v109
	s_mov_b32 s55, 16
	s_mov_b32 s54, 32
	;; [unrolled: 1-line block ×47, first 2 shown]
	s_cmpk_eq_i32 s8, 0x79
	ds_write_b128 v109, v[1:4]
	s_cbranch_scc1 .LBB112_388
; %bb.9:
	v_mov_b32_e32 v4, s7
	v_cmp_eq_u32_e64 s4, 48, v0
	s_clause 0x3
	buffer_load_dword v1, v4, s[0:3], 0 offen
	buffer_load_dword v2, v4, s[0:3], 0 offen offset:4
	buffer_load_dword v3, v4, s[0:3], 0 offen offset:8
	;; [unrolled: 1-line block ×3, first 2 shown]
	s_waitcnt vmcnt(0)
	ds_write_b128 v104, v[1:4]
	s_waitcnt lgkmcnt(0)
	s_waitcnt_vscnt null, 0x0
	s_barrier
	buffer_gl0_inv
	s_and_saveexec_b32 s5, s4
	s_cbranch_execz .LBB112_13
; %bb.10:
	ds_read_b128 v[1:4], v104
	s_andn2_b32 vcc_lo, exec_lo, s56
	s_cbranch_vccnz .LBB112_12
; %bb.11:
	s_clause 0x3
	buffer_load_dword v105, v103, s[0:3], 0 offen offset:8
	buffer_load_dword v106, v103, s[0:3], 0 offen offset:12
	buffer_load_dword v107, v103, s[0:3], 0 offen
	buffer_load_dword v108, v103, s[0:3], 0 offen offset:4
	s_waitcnt vmcnt(2) lgkmcnt(0)
	v_mul_f64 v[110:111], v[3:4], v[105:106]
	v_mul_f64 v[105:106], v[1:2], v[105:106]
	s_waitcnt vmcnt(0)
	v_fma_f64 v[1:2], v[1:2], v[107:108], -v[110:111]
	v_fma_f64 v[3:4], v[3:4], v[107:108], v[105:106]
.LBB112_12:
	v_mov_b32_e32 v105, 0
	ds_read_b128 v[105:108], v105 offset:752
	s_waitcnt lgkmcnt(0)
	v_mul_f64 v[110:111], v[3:4], v[107:108]
	v_mul_f64 v[107:108], v[1:2], v[107:108]
	v_fma_f64 v[1:2], v[1:2], v[105:106], -v[110:111]
	v_fma_f64 v[3:4], v[3:4], v[105:106], v[107:108]
	buffer_store_dword v2, off, s[0:3], 0 offset:756
	buffer_store_dword v1, off, s[0:3], 0 offset:752
	;; [unrolled: 1-line block ×4, first 2 shown]
.LBB112_13:
	s_or_b32 exec_lo, exec_lo, s5
	v_mov_b32_e32 v4, s9
	v_cmp_lt_u32_e64 s5, 46, v0
	s_clause 0x3
	buffer_load_dword v1, v4, s[0:3], 0 offen
	buffer_load_dword v2, v4, s[0:3], 0 offen offset:4
	buffer_load_dword v3, v4, s[0:3], 0 offen offset:8
	;; [unrolled: 1-line block ×3, first 2 shown]
	s_waitcnt vmcnt(0)
	ds_write_b128 v104, v[1:4]
	s_waitcnt lgkmcnt(0)
	s_waitcnt_vscnt null, 0x0
	s_barrier
	buffer_gl0_inv
	s_and_saveexec_b32 s8, s5
	s_cbranch_execz .LBB112_19
; %bb.14:
	ds_read_b128 v[1:4], v104
	s_andn2_b32 vcc_lo, exec_lo, s56
	s_cbranch_vccnz .LBB112_16
; %bb.15:
	s_clause 0x3
	buffer_load_dword v105, v103, s[0:3], 0 offen offset:8
	buffer_load_dword v106, v103, s[0:3], 0 offen offset:12
	buffer_load_dword v107, v103, s[0:3], 0 offen
	buffer_load_dword v108, v103, s[0:3], 0 offen offset:4
	s_waitcnt vmcnt(2) lgkmcnt(0)
	v_mul_f64 v[110:111], v[3:4], v[105:106]
	v_mul_f64 v[105:106], v[1:2], v[105:106]
	s_waitcnt vmcnt(0)
	v_fma_f64 v[1:2], v[1:2], v[107:108], -v[110:111]
	v_fma_f64 v[3:4], v[3:4], v[107:108], v[105:106]
.LBB112_16:
	s_and_saveexec_b32 s57, s4
	s_cbranch_execz .LBB112_18
; %bb.17:
	s_clause 0x3
	buffer_load_dword v110, off, s[0:3], 0 offset:760
	buffer_load_dword v111, off, s[0:3], 0 offset:764
	;; [unrolled: 1-line block ×4, first 2 shown]
	v_mov_b32_e32 v105, 0
	ds_read_b128 v[105:108], v105 offset:1536
	s_waitcnt vmcnt(2) lgkmcnt(0)
	v_mul_f64 v[114:115], v[105:106], v[110:111]
	v_mul_f64 v[110:111], v[107:108], v[110:111]
	s_waitcnt vmcnt(0)
	v_fma_f64 v[107:108], v[107:108], v[112:113], v[114:115]
	v_fma_f64 v[105:106], v[105:106], v[112:113], -v[110:111]
	v_add_f64 v[3:4], v[3:4], v[107:108]
	v_add_f64 v[1:2], v[1:2], v[105:106]
.LBB112_18:
	s_or_b32 exec_lo, exec_lo, s57
	v_mov_b32_e32 v105, 0
	ds_read_b128 v[105:108], v105 offset:736
	s_waitcnt lgkmcnt(0)
	v_mul_f64 v[110:111], v[3:4], v[107:108]
	v_mul_f64 v[107:108], v[1:2], v[107:108]
	v_fma_f64 v[1:2], v[1:2], v[105:106], -v[110:111]
	v_fma_f64 v[3:4], v[3:4], v[105:106], v[107:108]
	buffer_store_dword v2, off, s[0:3], 0 offset:740
	buffer_store_dword v1, off, s[0:3], 0 offset:736
	;; [unrolled: 1-line block ×4, first 2 shown]
.LBB112_19:
	s_or_b32 exec_lo, exec_lo, s8
	v_mov_b32_e32 v4, s10
	v_cmp_lt_u32_e64 s4, 45, v0
	s_clause 0x3
	buffer_load_dword v1, v4, s[0:3], 0 offen
	buffer_load_dword v2, v4, s[0:3], 0 offen offset:4
	buffer_load_dword v3, v4, s[0:3], 0 offen offset:8
	;; [unrolled: 1-line block ×3, first 2 shown]
	s_waitcnt vmcnt(0)
	ds_write_b128 v104, v[1:4]
	s_waitcnt lgkmcnt(0)
	s_waitcnt_vscnt null, 0x0
	s_barrier
	buffer_gl0_inv
	s_and_saveexec_b32 s8, s4
	s_cbranch_execz .LBB112_27
; %bb.20:
	ds_read_b128 v[1:4], v104
	s_andn2_b32 vcc_lo, exec_lo, s56
	s_cbranch_vccnz .LBB112_22
; %bb.21:
	s_clause 0x3
	buffer_load_dword v105, v103, s[0:3], 0 offen offset:8
	buffer_load_dword v106, v103, s[0:3], 0 offen offset:12
	buffer_load_dword v107, v103, s[0:3], 0 offen
	buffer_load_dword v108, v103, s[0:3], 0 offen offset:4
	s_waitcnt vmcnt(2) lgkmcnt(0)
	v_mul_f64 v[110:111], v[3:4], v[105:106]
	v_mul_f64 v[105:106], v[1:2], v[105:106]
	s_waitcnt vmcnt(0)
	v_fma_f64 v[1:2], v[1:2], v[107:108], -v[110:111]
	v_fma_f64 v[3:4], v[3:4], v[107:108], v[105:106]
.LBB112_22:
	s_and_saveexec_b32 s57, s5
	s_cbranch_execz .LBB112_26
; %bb.23:
	v_subrev_nc_u32_e32 v105, 46, v0
	s_movk_i32 s58, 0x5f0
	s_mov_b32 s5, 0
	s_mov_b32 s59, s9
	.p2align	6
.LBB112_24:                             ; =>This Inner Loop Header: Depth=1
	v_mov_b32_e32 v108, s59
	v_add_nc_u32_e32 v105, -1, v105
	s_add_i32 s59, s59, 16
	s_clause 0x3
	buffer_load_dword v106, v108, s[0:3], 0 offen offset:8
	buffer_load_dword v107, v108, s[0:3], 0 offen offset:12
	buffer_load_dword v114, v108, s[0:3], 0 offen
	buffer_load_dword v115, v108, s[0:3], 0 offen offset:4
	v_mov_b32_e32 v108, s58
	v_cmp_eq_u32_e32 vcc_lo, 0, v105
	s_add_i32 s58, s58, 16
	ds_read_b128 v[110:113], v108
	s_or_b32 s5, vcc_lo, s5
	s_waitcnt vmcnt(2) lgkmcnt(0)
	v_mul_f64 v[116:117], v[112:113], v[106:107]
	v_mul_f64 v[106:107], v[110:111], v[106:107]
	s_waitcnt vmcnt(0)
	v_fma_f64 v[110:111], v[110:111], v[114:115], -v[116:117]
	v_fma_f64 v[106:107], v[112:113], v[114:115], v[106:107]
	v_add_f64 v[1:2], v[1:2], v[110:111]
	v_add_f64 v[3:4], v[3:4], v[106:107]
	s_andn2_b32 exec_lo, exec_lo, s5
	s_cbranch_execnz .LBB112_24
; %bb.25:
	s_or_b32 exec_lo, exec_lo, s5
.LBB112_26:
	s_or_b32 exec_lo, exec_lo, s57
	v_mov_b32_e32 v105, 0
	ds_read_b128 v[105:108], v105 offset:720
	s_waitcnt lgkmcnt(0)
	v_mul_f64 v[110:111], v[3:4], v[107:108]
	v_mul_f64 v[107:108], v[1:2], v[107:108]
	v_fma_f64 v[1:2], v[1:2], v[105:106], -v[110:111]
	v_fma_f64 v[3:4], v[3:4], v[105:106], v[107:108]
	buffer_store_dword v2, off, s[0:3], 0 offset:724
	buffer_store_dword v1, off, s[0:3], 0 offset:720
	;; [unrolled: 1-line block ×4, first 2 shown]
.LBB112_27:
	s_or_b32 exec_lo, exec_lo, s8
	v_mov_b32_e32 v4, s11
	v_cmp_lt_u32_e64 s5, 44, v0
	s_clause 0x3
	buffer_load_dword v1, v4, s[0:3], 0 offen
	buffer_load_dword v2, v4, s[0:3], 0 offen offset:4
	buffer_load_dword v3, v4, s[0:3], 0 offen offset:8
	buffer_load_dword v4, v4, s[0:3], 0 offen offset:12
	s_waitcnt vmcnt(0)
	ds_write_b128 v104, v[1:4]
	s_waitcnt lgkmcnt(0)
	s_waitcnt_vscnt null, 0x0
	s_barrier
	buffer_gl0_inv
	s_and_saveexec_b32 s8, s5
	s_cbranch_execz .LBB112_35
; %bb.28:
	ds_read_b128 v[1:4], v104
	s_andn2_b32 vcc_lo, exec_lo, s56
	s_cbranch_vccnz .LBB112_30
; %bb.29:
	s_clause 0x3
	buffer_load_dword v105, v103, s[0:3], 0 offen offset:8
	buffer_load_dword v106, v103, s[0:3], 0 offen offset:12
	buffer_load_dword v107, v103, s[0:3], 0 offen
	buffer_load_dword v108, v103, s[0:3], 0 offen offset:4
	s_waitcnt vmcnt(2) lgkmcnt(0)
	v_mul_f64 v[110:111], v[3:4], v[105:106]
	v_mul_f64 v[105:106], v[1:2], v[105:106]
	s_waitcnt vmcnt(0)
	v_fma_f64 v[1:2], v[1:2], v[107:108], -v[110:111]
	v_fma_f64 v[3:4], v[3:4], v[107:108], v[105:106]
.LBB112_30:
	s_and_saveexec_b32 s57, s4
	s_cbranch_execz .LBB112_34
; %bb.31:
	v_subrev_nc_u32_e32 v105, 45, v0
	s_movk_i32 s58, 0x5e0
	s_mov_b32 s4, 0
	s_mov_b32 s59, s10
	.p2align	6
.LBB112_32:                             ; =>This Inner Loop Header: Depth=1
	v_mov_b32_e32 v108, s59
	v_add_nc_u32_e32 v105, -1, v105
	s_add_i32 s59, s59, 16
	s_clause 0x3
	buffer_load_dword v106, v108, s[0:3], 0 offen offset:8
	buffer_load_dword v107, v108, s[0:3], 0 offen offset:12
	buffer_load_dword v114, v108, s[0:3], 0 offen
	buffer_load_dword v115, v108, s[0:3], 0 offen offset:4
	v_mov_b32_e32 v108, s58
	v_cmp_eq_u32_e32 vcc_lo, 0, v105
	s_add_i32 s58, s58, 16
	ds_read_b128 v[110:113], v108
	s_or_b32 s4, vcc_lo, s4
	s_waitcnt vmcnt(2) lgkmcnt(0)
	v_mul_f64 v[116:117], v[112:113], v[106:107]
	v_mul_f64 v[106:107], v[110:111], v[106:107]
	s_waitcnt vmcnt(0)
	v_fma_f64 v[110:111], v[110:111], v[114:115], -v[116:117]
	v_fma_f64 v[106:107], v[112:113], v[114:115], v[106:107]
	v_add_f64 v[1:2], v[1:2], v[110:111]
	v_add_f64 v[3:4], v[3:4], v[106:107]
	s_andn2_b32 exec_lo, exec_lo, s4
	s_cbranch_execnz .LBB112_32
; %bb.33:
	s_or_b32 exec_lo, exec_lo, s4
.LBB112_34:
	s_or_b32 exec_lo, exec_lo, s57
	v_mov_b32_e32 v105, 0
	ds_read_b128 v[105:108], v105 offset:704
	s_waitcnt lgkmcnt(0)
	v_mul_f64 v[110:111], v[3:4], v[107:108]
	v_mul_f64 v[107:108], v[1:2], v[107:108]
	v_fma_f64 v[1:2], v[1:2], v[105:106], -v[110:111]
	v_fma_f64 v[3:4], v[3:4], v[105:106], v[107:108]
	buffer_store_dword v2, off, s[0:3], 0 offset:708
	buffer_store_dword v1, off, s[0:3], 0 offset:704
	;; [unrolled: 1-line block ×4, first 2 shown]
.LBB112_35:
	s_or_b32 exec_lo, exec_lo, s8
	v_mov_b32_e32 v4, s12
	v_cmp_lt_u32_e64 s4, 43, v0
	s_clause 0x3
	buffer_load_dword v1, v4, s[0:3], 0 offen
	buffer_load_dword v2, v4, s[0:3], 0 offen offset:4
	buffer_load_dword v3, v4, s[0:3], 0 offen offset:8
	;; [unrolled: 1-line block ×3, first 2 shown]
	s_waitcnt vmcnt(0)
	ds_write_b128 v104, v[1:4]
	s_waitcnt lgkmcnt(0)
	s_waitcnt_vscnt null, 0x0
	s_barrier
	buffer_gl0_inv
	s_and_saveexec_b32 s8, s4
	s_cbranch_execz .LBB112_43
; %bb.36:
	ds_read_b128 v[1:4], v104
	s_andn2_b32 vcc_lo, exec_lo, s56
	s_cbranch_vccnz .LBB112_38
; %bb.37:
	s_clause 0x3
	buffer_load_dword v105, v103, s[0:3], 0 offen offset:8
	buffer_load_dword v106, v103, s[0:3], 0 offen offset:12
	buffer_load_dword v107, v103, s[0:3], 0 offen
	buffer_load_dword v108, v103, s[0:3], 0 offen offset:4
	s_waitcnt vmcnt(2) lgkmcnt(0)
	v_mul_f64 v[110:111], v[3:4], v[105:106]
	v_mul_f64 v[105:106], v[1:2], v[105:106]
	s_waitcnt vmcnt(0)
	v_fma_f64 v[1:2], v[1:2], v[107:108], -v[110:111]
	v_fma_f64 v[3:4], v[3:4], v[107:108], v[105:106]
.LBB112_38:
	s_and_saveexec_b32 s57, s5
	s_cbranch_execz .LBB112_42
; %bb.39:
	v_subrev_nc_u32_e32 v105, 44, v0
	s_movk_i32 s58, 0x5d0
	s_mov_b32 s5, 0
	s_mov_b32 s59, s11
	.p2align	6
.LBB112_40:                             ; =>This Inner Loop Header: Depth=1
	v_mov_b32_e32 v108, s59
	v_add_nc_u32_e32 v105, -1, v105
	s_add_i32 s59, s59, 16
	s_clause 0x3
	buffer_load_dword v106, v108, s[0:3], 0 offen offset:8
	buffer_load_dword v107, v108, s[0:3], 0 offen offset:12
	buffer_load_dword v114, v108, s[0:3], 0 offen
	buffer_load_dword v115, v108, s[0:3], 0 offen offset:4
	v_mov_b32_e32 v108, s58
	v_cmp_eq_u32_e32 vcc_lo, 0, v105
	s_add_i32 s58, s58, 16
	ds_read_b128 v[110:113], v108
	s_or_b32 s5, vcc_lo, s5
	s_waitcnt vmcnt(2) lgkmcnt(0)
	v_mul_f64 v[116:117], v[112:113], v[106:107]
	v_mul_f64 v[106:107], v[110:111], v[106:107]
	s_waitcnt vmcnt(0)
	v_fma_f64 v[110:111], v[110:111], v[114:115], -v[116:117]
	v_fma_f64 v[106:107], v[112:113], v[114:115], v[106:107]
	v_add_f64 v[1:2], v[1:2], v[110:111]
	v_add_f64 v[3:4], v[3:4], v[106:107]
	s_andn2_b32 exec_lo, exec_lo, s5
	s_cbranch_execnz .LBB112_40
; %bb.41:
	s_or_b32 exec_lo, exec_lo, s5
.LBB112_42:
	s_or_b32 exec_lo, exec_lo, s57
	v_mov_b32_e32 v105, 0
	ds_read_b128 v[105:108], v105 offset:688
	s_waitcnt lgkmcnt(0)
	v_mul_f64 v[110:111], v[3:4], v[107:108]
	v_mul_f64 v[107:108], v[1:2], v[107:108]
	v_fma_f64 v[1:2], v[1:2], v[105:106], -v[110:111]
	v_fma_f64 v[3:4], v[3:4], v[105:106], v[107:108]
	buffer_store_dword v2, off, s[0:3], 0 offset:692
	buffer_store_dword v1, off, s[0:3], 0 offset:688
	;; [unrolled: 1-line block ×4, first 2 shown]
.LBB112_43:
	s_or_b32 exec_lo, exec_lo, s8
	v_mov_b32_e32 v4, s13
	v_cmp_lt_u32_e64 s5, 42, v0
	s_clause 0x3
	buffer_load_dword v1, v4, s[0:3], 0 offen
	buffer_load_dword v2, v4, s[0:3], 0 offen offset:4
	buffer_load_dword v3, v4, s[0:3], 0 offen offset:8
	;; [unrolled: 1-line block ×3, first 2 shown]
	s_waitcnt vmcnt(0)
	ds_write_b128 v104, v[1:4]
	s_waitcnt lgkmcnt(0)
	s_waitcnt_vscnt null, 0x0
	s_barrier
	buffer_gl0_inv
	s_and_saveexec_b32 s8, s5
	s_cbranch_execz .LBB112_51
; %bb.44:
	ds_read_b128 v[1:4], v104
	s_andn2_b32 vcc_lo, exec_lo, s56
	s_cbranch_vccnz .LBB112_46
; %bb.45:
	s_clause 0x3
	buffer_load_dword v105, v103, s[0:3], 0 offen offset:8
	buffer_load_dword v106, v103, s[0:3], 0 offen offset:12
	buffer_load_dword v107, v103, s[0:3], 0 offen
	buffer_load_dword v108, v103, s[0:3], 0 offen offset:4
	s_waitcnt vmcnt(2) lgkmcnt(0)
	v_mul_f64 v[110:111], v[3:4], v[105:106]
	v_mul_f64 v[105:106], v[1:2], v[105:106]
	s_waitcnt vmcnt(0)
	v_fma_f64 v[1:2], v[1:2], v[107:108], -v[110:111]
	v_fma_f64 v[3:4], v[3:4], v[107:108], v[105:106]
.LBB112_46:
	s_and_saveexec_b32 s57, s4
	s_cbranch_execz .LBB112_50
; %bb.47:
	v_subrev_nc_u32_e32 v105, 43, v0
	s_movk_i32 s58, 0x5c0
	s_mov_b32 s4, 0
	s_mov_b32 s59, s12
	.p2align	6
.LBB112_48:                             ; =>This Inner Loop Header: Depth=1
	v_mov_b32_e32 v108, s59
	v_add_nc_u32_e32 v105, -1, v105
	s_add_i32 s59, s59, 16
	s_clause 0x3
	buffer_load_dword v106, v108, s[0:3], 0 offen offset:8
	buffer_load_dword v107, v108, s[0:3], 0 offen offset:12
	buffer_load_dword v114, v108, s[0:3], 0 offen
	buffer_load_dword v115, v108, s[0:3], 0 offen offset:4
	v_mov_b32_e32 v108, s58
	v_cmp_eq_u32_e32 vcc_lo, 0, v105
	s_add_i32 s58, s58, 16
	ds_read_b128 v[110:113], v108
	s_or_b32 s4, vcc_lo, s4
	s_waitcnt vmcnt(2) lgkmcnt(0)
	v_mul_f64 v[116:117], v[112:113], v[106:107]
	v_mul_f64 v[106:107], v[110:111], v[106:107]
	s_waitcnt vmcnt(0)
	v_fma_f64 v[110:111], v[110:111], v[114:115], -v[116:117]
	v_fma_f64 v[106:107], v[112:113], v[114:115], v[106:107]
	v_add_f64 v[1:2], v[1:2], v[110:111]
	v_add_f64 v[3:4], v[3:4], v[106:107]
	s_andn2_b32 exec_lo, exec_lo, s4
	s_cbranch_execnz .LBB112_48
; %bb.49:
	s_or_b32 exec_lo, exec_lo, s4
.LBB112_50:
	s_or_b32 exec_lo, exec_lo, s57
	v_mov_b32_e32 v105, 0
	ds_read_b128 v[105:108], v105 offset:672
	s_waitcnt lgkmcnt(0)
	v_mul_f64 v[110:111], v[3:4], v[107:108]
	v_mul_f64 v[107:108], v[1:2], v[107:108]
	v_fma_f64 v[1:2], v[1:2], v[105:106], -v[110:111]
	v_fma_f64 v[3:4], v[3:4], v[105:106], v[107:108]
	buffer_store_dword v2, off, s[0:3], 0 offset:676
	buffer_store_dword v1, off, s[0:3], 0 offset:672
	;; [unrolled: 1-line block ×4, first 2 shown]
.LBB112_51:
	s_or_b32 exec_lo, exec_lo, s8
	v_mov_b32_e32 v4, s14
	v_cmp_lt_u32_e64 s4, 41, v0
	s_clause 0x3
	buffer_load_dword v1, v4, s[0:3], 0 offen
	buffer_load_dword v2, v4, s[0:3], 0 offen offset:4
	buffer_load_dword v3, v4, s[0:3], 0 offen offset:8
	buffer_load_dword v4, v4, s[0:3], 0 offen offset:12
	s_waitcnt vmcnt(0)
	ds_write_b128 v104, v[1:4]
	s_waitcnt lgkmcnt(0)
	s_waitcnt_vscnt null, 0x0
	s_barrier
	buffer_gl0_inv
	s_and_saveexec_b32 s8, s4
	s_cbranch_execz .LBB112_59
; %bb.52:
	ds_read_b128 v[1:4], v104
	s_andn2_b32 vcc_lo, exec_lo, s56
	s_cbranch_vccnz .LBB112_54
; %bb.53:
	s_clause 0x3
	buffer_load_dword v105, v103, s[0:3], 0 offen offset:8
	buffer_load_dword v106, v103, s[0:3], 0 offen offset:12
	buffer_load_dword v107, v103, s[0:3], 0 offen
	buffer_load_dword v108, v103, s[0:3], 0 offen offset:4
	s_waitcnt vmcnt(2) lgkmcnt(0)
	v_mul_f64 v[110:111], v[3:4], v[105:106]
	v_mul_f64 v[105:106], v[1:2], v[105:106]
	s_waitcnt vmcnt(0)
	v_fma_f64 v[1:2], v[1:2], v[107:108], -v[110:111]
	v_fma_f64 v[3:4], v[3:4], v[107:108], v[105:106]
.LBB112_54:
	s_and_saveexec_b32 s57, s5
	s_cbranch_execz .LBB112_58
; %bb.55:
	v_subrev_nc_u32_e32 v105, 42, v0
	s_movk_i32 s58, 0x5b0
	s_mov_b32 s5, 0
	s_mov_b32 s59, s13
	.p2align	6
.LBB112_56:                             ; =>This Inner Loop Header: Depth=1
	v_mov_b32_e32 v108, s59
	v_add_nc_u32_e32 v105, -1, v105
	s_add_i32 s59, s59, 16
	s_clause 0x3
	buffer_load_dword v106, v108, s[0:3], 0 offen offset:8
	buffer_load_dword v107, v108, s[0:3], 0 offen offset:12
	buffer_load_dword v114, v108, s[0:3], 0 offen
	buffer_load_dword v115, v108, s[0:3], 0 offen offset:4
	v_mov_b32_e32 v108, s58
	v_cmp_eq_u32_e32 vcc_lo, 0, v105
	s_add_i32 s58, s58, 16
	ds_read_b128 v[110:113], v108
	s_or_b32 s5, vcc_lo, s5
	s_waitcnt vmcnt(2) lgkmcnt(0)
	v_mul_f64 v[116:117], v[112:113], v[106:107]
	v_mul_f64 v[106:107], v[110:111], v[106:107]
	s_waitcnt vmcnt(0)
	v_fma_f64 v[110:111], v[110:111], v[114:115], -v[116:117]
	v_fma_f64 v[106:107], v[112:113], v[114:115], v[106:107]
	v_add_f64 v[1:2], v[1:2], v[110:111]
	v_add_f64 v[3:4], v[3:4], v[106:107]
	s_andn2_b32 exec_lo, exec_lo, s5
	s_cbranch_execnz .LBB112_56
; %bb.57:
	s_or_b32 exec_lo, exec_lo, s5
.LBB112_58:
	s_or_b32 exec_lo, exec_lo, s57
	v_mov_b32_e32 v105, 0
	ds_read_b128 v[105:108], v105 offset:656
	s_waitcnt lgkmcnt(0)
	v_mul_f64 v[110:111], v[3:4], v[107:108]
	v_mul_f64 v[107:108], v[1:2], v[107:108]
	v_fma_f64 v[1:2], v[1:2], v[105:106], -v[110:111]
	v_fma_f64 v[3:4], v[3:4], v[105:106], v[107:108]
	buffer_store_dword v2, off, s[0:3], 0 offset:660
	buffer_store_dword v1, off, s[0:3], 0 offset:656
	;; [unrolled: 1-line block ×4, first 2 shown]
.LBB112_59:
	s_or_b32 exec_lo, exec_lo, s8
	v_mov_b32_e32 v4, s15
	v_cmp_lt_u32_e64 s5, 40, v0
	s_clause 0x3
	buffer_load_dword v1, v4, s[0:3], 0 offen
	buffer_load_dword v2, v4, s[0:3], 0 offen offset:4
	buffer_load_dword v3, v4, s[0:3], 0 offen offset:8
	;; [unrolled: 1-line block ×3, first 2 shown]
	s_waitcnt vmcnt(0)
	ds_write_b128 v104, v[1:4]
	s_waitcnt lgkmcnt(0)
	s_waitcnt_vscnt null, 0x0
	s_barrier
	buffer_gl0_inv
	s_and_saveexec_b32 s8, s5
	s_cbranch_execz .LBB112_67
; %bb.60:
	ds_read_b128 v[1:4], v104
	s_andn2_b32 vcc_lo, exec_lo, s56
	s_cbranch_vccnz .LBB112_62
; %bb.61:
	s_clause 0x3
	buffer_load_dword v105, v103, s[0:3], 0 offen offset:8
	buffer_load_dword v106, v103, s[0:3], 0 offen offset:12
	buffer_load_dword v107, v103, s[0:3], 0 offen
	buffer_load_dword v108, v103, s[0:3], 0 offen offset:4
	s_waitcnt vmcnt(2) lgkmcnt(0)
	v_mul_f64 v[110:111], v[3:4], v[105:106]
	v_mul_f64 v[105:106], v[1:2], v[105:106]
	s_waitcnt vmcnt(0)
	v_fma_f64 v[1:2], v[1:2], v[107:108], -v[110:111]
	v_fma_f64 v[3:4], v[3:4], v[107:108], v[105:106]
.LBB112_62:
	s_and_saveexec_b32 s57, s4
	s_cbranch_execz .LBB112_66
; %bb.63:
	v_subrev_nc_u32_e32 v105, 41, v0
	s_movk_i32 s58, 0x5a0
	s_mov_b32 s4, 0
	s_mov_b32 s59, s14
	.p2align	6
.LBB112_64:                             ; =>This Inner Loop Header: Depth=1
	v_mov_b32_e32 v108, s59
	v_add_nc_u32_e32 v105, -1, v105
	s_add_i32 s59, s59, 16
	s_clause 0x3
	buffer_load_dword v106, v108, s[0:3], 0 offen offset:8
	buffer_load_dword v107, v108, s[0:3], 0 offen offset:12
	buffer_load_dword v114, v108, s[0:3], 0 offen
	buffer_load_dword v115, v108, s[0:3], 0 offen offset:4
	v_mov_b32_e32 v108, s58
	v_cmp_eq_u32_e32 vcc_lo, 0, v105
	s_add_i32 s58, s58, 16
	ds_read_b128 v[110:113], v108
	s_or_b32 s4, vcc_lo, s4
	s_waitcnt vmcnt(2) lgkmcnt(0)
	v_mul_f64 v[116:117], v[112:113], v[106:107]
	v_mul_f64 v[106:107], v[110:111], v[106:107]
	s_waitcnt vmcnt(0)
	v_fma_f64 v[110:111], v[110:111], v[114:115], -v[116:117]
	v_fma_f64 v[106:107], v[112:113], v[114:115], v[106:107]
	v_add_f64 v[1:2], v[1:2], v[110:111]
	v_add_f64 v[3:4], v[3:4], v[106:107]
	s_andn2_b32 exec_lo, exec_lo, s4
	s_cbranch_execnz .LBB112_64
; %bb.65:
	s_or_b32 exec_lo, exec_lo, s4
.LBB112_66:
	s_or_b32 exec_lo, exec_lo, s57
	v_mov_b32_e32 v105, 0
	ds_read_b128 v[105:108], v105 offset:640
	s_waitcnt lgkmcnt(0)
	v_mul_f64 v[110:111], v[3:4], v[107:108]
	v_mul_f64 v[107:108], v[1:2], v[107:108]
	v_fma_f64 v[1:2], v[1:2], v[105:106], -v[110:111]
	v_fma_f64 v[3:4], v[3:4], v[105:106], v[107:108]
	buffer_store_dword v2, off, s[0:3], 0 offset:644
	buffer_store_dword v1, off, s[0:3], 0 offset:640
	;; [unrolled: 1-line block ×4, first 2 shown]
.LBB112_67:
	s_or_b32 exec_lo, exec_lo, s8
	v_mov_b32_e32 v4, s16
	v_cmp_lt_u32_e64 s4, 39, v0
	s_clause 0x3
	buffer_load_dword v1, v4, s[0:3], 0 offen
	buffer_load_dword v2, v4, s[0:3], 0 offen offset:4
	buffer_load_dword v3, v4, s[0:3], 0 offen offset:8
	;; [unrolled: 1-line block ×3, first 2 shown]
	s_waitcnt vmcnt(0)
	ds_write_b128 v104, v[1:4]
	s_waitcnt lgkmcnt(0)
	s_waitcnt_vscnt null, 0x0
	s_barrier
	buffer_gl0_inv
	s_and_saveexec_b32 s8, s4
	s_cbranch_execz .LBB112_75
; %bb.68:
	ds_read_b128 v[1:4], v104
	s_andn2_b32 vcc_lo, exec_lo, s56
	s_cbranch_vccnz .LBB112_70
; %bb.69:
	s_clause 0x3
	buffer_load_dword v105, v103, s[0:3], 0 offen offset:8
	buffer_load_dword v106, v103, s[0:3], 0 offen offset:12
	buffer_load_dword v107, v103, s[0:3], 0 offen
	buffer_load_dword v108, v103, s[0:3], 0 offen offset:4
	s_waitcnt vmcnt(2) lgkmcnt(0)
	v_mul_f64 v[110:111], v[3:4], v[105:106]
	v_mul_f64 v[105:106], v[1:2], v[105:106]
	s_waitcnt vmcnt(0)
	v_fma_f64 v[1:2], v[1:2], v[107:108], -v[110:111]
	v_fma_f64 v[3:4], v[3:4], v[107:108], v[105:106]
.LBB112_70:
	s_and_saveexec_b32 s57, s5
	s_cbranch_execz .LBB112_74
; %bb.71:
	v_subrev_nc_u32_e32 v105, 40, v0
	s_movk_i32 s58, 0x590
	s_mov_b32 s5, 0
	s_mov_b32 s59, s15
	.p2align	6
.LBB112_72:                             ; =>This Inner Loop Header: Depth=1
	v_mov_b32_e32 v108, s59
	v_add_nc_u32_e32 v105, -1, v105
	s_add_i32 s59, s59, 16
	s_clause 0x3
	buffer_load_dword v106, v108, s[0:3], 0 offen offset:8
	buffer_load_dword v107, v108, s[0:3], 0 offen offset:12
	buffer_load_dword v114, v108, s[0:3], 0 offen
	buffer_load_dword v115, v108, s[0:3], 0 offen offset:4
	v_mov_b32_e32 v108, s58
	v_cmp_eq_u32_e32 vcc_lo, 0, v105
	s_add_i32 s58, s58, 16
	ds_read_b128 v[110:113], v108
	s_or_b32 s5, vcc_lo, s5
	s_waitcnt vmcnt(2) lgkmcnt(0)
	v_mul_f64 v[116:117], v[112:113], v[106:107]
	v_mul_f64 v[106:107], v[110:111], v[106:107]
	s_waitcnt vmcnt(0)
	v_fma_f64 v[110:111], v[110:111], v[114:115], -v[116:117]
	v_fma_f64 v[106:107], v[112:113], v[114:115], v[106:107]
	v_add_f64 v[1:2], v[1:2], v[110:111]
	v_add_f64 v[3:4], v[3:4], v[106:107]
	s_andn2_b32 exec_lo, exec_lo, s5
	s_cbranch_execnz .LBB112_72
; %bb.73:
	s_or_b32 exec_lo, exec_lo, s5
.LBB112_74:
	s_or_b32 exec_lo, exec_lo, s57
	v_mov_b32_e32 v105, 0
	ds_read_b128 v[105:108], v105 offset:624
	s_waitcnt lgkmcnt(0)
	v_mul_f64 v[110:111], v[3:4], v[107:108]
	v_mul_f64 v[107:108], v[1:2], v[107:108]
	v_fma_f64 v[1:2], v[1:2], v[105:106], -v[110:111]
	v_fma_f64 v[3:4], v[3:4], v[105:106], v[107:108]
	buffer_store_dword v2, off, s[0:3], 0 offset:628
	buffer_store_dword v1, off, s[0:3], 0 offset:624
	;; [unrolled: 1-line block ×4, first 2 shown]
.LBB112_75:
	s_or_b32 exec_lo, exec_lo, s8
	v_mov_b32_e32 v4, s17
	v_cmp_lt_u32_e64 s5, 38, v0
	s_clause 0x3
	buffer_load_dword v1, v4, s[0:3], 0 offen
	buffer_load_dword v2, v4, s[0:3], 0 offen offset:4
	buffer_load_dword v3, v4, s[0:3], 0 offen offset:8
	;; [unrolled: 1-line block ×3, first 2 shown]
	s_waitcnt vmcnt(0)
	ds_write_b128 v104, v[1:4]
	s_waitcnt lgkmcnt(0)
	s_waitcnt_vscnt null, 0x0
	s_barrier
	buffer_gl0_inv
	s_and_saveexec_b32 s8, s5
	s_cbranch_execz .LBB112_83
; %bb.76:
	ds_read_b128 v[1:4], v104
	s_andn2_b32 vcc_lo, exec_lo, s56
	s_cbranch_vccnz .LBB112_78
; %bb.77:
	s_clause 0x3
	buffer_load_dword v105, v103, s[0:3], 0 offen offset:8
	buffer_load_dword v106, v103, s[0:3], 0 offen offset:12
	buffer_load_dword v107, v103, s[0:3], 0 offen
	buffer_load_dword v108, v103, s[0:3], 0 offen offset:4
	s_waitcnt vmcnt(2) lgkmcnt(0)
	v_mul_f64 v[110:111], v[3:4], v[105:106]
	v_mul_f64 v[105:106], v[1:2], v[105:106]
	s_waitcnt vmcnt(0)
	v_fma_f64 v[1:2], v[1:2], v[107:108], -v[110:111]
	v_fma_f64 v[3:4], v[3:4], v[107:108], v[105:106]
.LBB112_78:
	s_and_saveexec_b32 s57, s4
	s_cbranch_execz .LBB112_82
; %bb.79:
	v_subrev_nc_u32_e32 v105, 39, v0
	s_movk_i32 s58, 0x580
	s_mov_b32 s4, 0
	s_mov_b32 s59, s16
	.p2align	6
.LBB112_80:                             ; =>This Inner Loop Header: Depth=1
	v_mov_b32_e32 v108, s59
	v_add_nc_u32_e32 v105, -1, v105
	s_add_i32 s59, s59, 16
	s_clause 0x3
	buffer_load_dword v106, v108, s[0:3], 0 offen offset:8
	buffer_load_dword v107, v108, s[0:3], 0 offen offset:12
	buffer_load_dword v114, v108, s[0:3], 0 offen
	buffer_load_dword v115, v108, s[0:3], 0 offen offset:4
	v_mov_b32_e32 v108, s58
	v_cmp_eq_u32_e32 vcc_lo, 0, v105
	s_add_i32 s58, s58, 16
	ds_read_b128 v[110:113], v108
	s_or_b32 s4, vcc_lo, s4
	s_waitcnt vmcnt(2) lgkmcnt(0)
	v_mul_f64 v[116:117], v[112:113], v[106:107]
	v_mul_f64 v[106:107], v[110:111], v[106:107]
	s_waitcnt vmcnt(0)
	v_fma_f64 v[110:111], v[110:111], v[114:115], -v[116:117]
	v_fma_f64 v[106:107], v[112:113], v[114:115], v[106:107]
	v_add_f64 v[1:2], v[1:2], v[110:111]
	v_add_f64 v[3:4], v[3:4], v[106:107]
	s_andn2_b32 exec_lo, exec_lo, s4
	s_cbranch_execnz .LBB112_80
; %bb.81:
	s_or_b32 exec_lo, exec_lo, s4
.LBB112_82:
	s_or_b32 exec_lo, exec_lo, s57
	v_mov_b32_e32 v105, 0
	ds_read_b128 v[105:108], v105 offset:608
	s_waitcnt lgkmcnt(0)
	v_mul_f64 v[110:111], v[3:4], v[107:108]
	v_mul_f64 v[107:108], v[1:2], v[107:108]
	v_fma_f64 v[1:2], v[1:2], v[105:106], -v[110:111]
	v_fma_f64 v[3:4], v[3:4], v[105:106], v[107:108]
	buffer_store_dword v2, off, s[0:3], 0 offset:612
	buffer_store_dword v1, off, s[0:3], 0 offset:608
	buffer_store_dword v4, off, s[0:3], 0 offset:620
	buffer_store_dword v3, off, s[0:3], 0 offset:616
.LBB112_83:
	s_or_b32 exec_lo, exec_lo, s8
	v_mov_b32_e32 v4, s18
	v_cmp_lt_u32_e64 s4, 37, v0
	s_clause 0x3
	buffer_load_dword v1, v4, s[0:3], 0 offen
	buffer_load_dword v2, v4, s[0:3], 0 offen offset:4
	buffer_load_dword v3, v4, s[0:3], 0 offen offset:8
	;; [unrolled: 1-line block ×3, first 2 shown]
	s_waitcnt vmcnt(0)
	ds_write_b128 v104, v[1:4]
	s_waitcnt lgkmcnt(0)
	s_waitcnt_vscnt null, 0x0
	s_barrier
	buffer_gl0_inv
	s_and_saveexec_b32 s8, s4
	s_cbranch_execz .LBB112_91
; %bb.84:
	ds_read_b128 v[1:4], v104
	s_andn2_b32 vcc_lo, exec_lo, s56
	s_cbranch_vccnz .LBB112_86
; %bb.85:
	s_clause 0x3
	buffer_load_dword v105, v103, s[0:3], 0 offen offset:8
	buffer_load_dword v106, v103, s[0:3], 0 offen offset:12
	buffer_load_dword v107, v103, s[0:3], 0 offen
	buffer_load_dword v108, v103, s[0:3], 0 offen offset:4
	s_waitcnt vmcnt(2) lgkmcnt(0)
	v_mul_f64 v[110:111], v[3:4], v[105:106]
	v_mul_f64 v[105:106], v[1:2], v[105:106]
	s_waitcnt vmcnt(0)
	v_fma_f64 v[1:2], v[1:2], v[107:108], -v[110:111]
	v_fma_f64 v[3:4], v[3:4], v[107:108], v[105:106]
.LBB112_86:
	s_and_saveexec_b32 s57, s5
	s_cbranch_execz .LBB112_90
; %bb.87:
	v_subrev_nc_u32_e32 v105, 38, v0
	s_movk_i32 s58, 0x570
	s_mov_b32 s5, 0
	s_mov_b32 s59, s17
	.p2align	6
.LBB112_88:                             ; =>This Inner Loop Header: Depth=1
	v_mov_b32_e32 v108, s59
	v_add_nc_u32_e32 v105, -1, v105
	s_add_i32 s59, s59, 16
	s_clause 0x3
	buffer_load_dword v106, v108, s[0:3], 0 offen offset:8
	buffer_load_dword v107, v108, s[0:3], 0 offen offset:12
	buffer_load_dword v114, v108, s[0:3], 0 offen
	buffer_load_dword v115, v108, s[0:3], 0 offen offset:4
	v_mov_b32_e32 v108, s58
	v_cmp_eq_u32_e32 vcc_lo, 0, v105
	s_add_i32 s58, s58, 16
	ds_read_b128 v[110:113], v108
	s_or_b32 s5, vcc_lo, s5
	s_waitcnt vmcnt(2) lgkmcnt(0)
	v_mul_f64 v[116:117], v[112:113], v[106:107]
	v_mul_f64 v[106:107], v[110:111], v[106:107]
	s_waitcnt vmcnt(0)
	v_fma_f64 v[110:111], v[110:111], v[114:115], -v[116:117]
	v_fma_f64 v[106:107], v[112:113], v[114:115], v[106:107]
	v_add_f64 v[1:2], v[1:2], v[110:111]
	v_add_f64 v[3:4], v[3:4], v[106:107]
	s_andn2_b32 exec_lo, exec_lo, s5
	s_cbranch_execnz .LBB112_88
; %bb.89:
	s_or_b32 exec_lo, exec_lo, s5
.LBB112_90:
	s_or_b32 exec_lo, exec_lo, s57
	v_mov_b32_e32 v105, 0
	ds_read_b128 v[105:108], v105 offset:592
	s_waitcnt lgkmcnt(0)
	v_mul_f64 v[110:111], v[3:4], v[107:108]
	v_mul_f64 v[107:108], v[1:2], v[107:108]
	v_fma_f64 v[1:2], v[1:2], v[105:106], -v[110:111]
	v_fma_f64 v[3:4], v[3:4], v[105:106], v[107:108]
	buffer_store_dword v2, off, s[0:3], 0 offset:596
	buffer_store_dword v1, off, s[0:3], 0 offset:592
	;; [unrolled: 1-line block ×4, first 2 shown]
.LBB112_91:
	s_or_b32 exec_lo, exec_lo, s8
	v_mov_b32_e32 v4, s19
	v_cmp_lt_u32_e64 s5, 36, v0
	s_clause 0x3
	buffer_load_dword v1, v4, s[0:3], 0 offen
	buffer_load_dword v2, v4, s[0:3], 0 offen offset:4
	buffer_load_dword v3, v4, s[0:3], 0 offen offset:8
	;; [unrolled: 1-line block ×3, first 2 shown]
	s_waitcnt vmcnt(0)
	ds_write_b128 v104, v[1:4]
	s_waitcnt lgkmcnt(0)
	s_waitcnt_vscnt null, 0x0
	s_barrier
	buffer_gl0_inv
	s_and_saveexec_b32 s8, s5
	s_cbranch_execz .LBB112_99
; %bb.92:
	ds_read_b128 v[1:4], v104
	s_andn2_b32 vcc_lo, exec_lo, s56
	s_cbranch_vccnz .LBB112_94
; %bb.93:
	s_clause 0x3
	buffer_load_dword v105, v103, s[0:3], 0 offen offset:8
	buffer_load_dword v106, v103, s[0:3], 0 offen offset:12
	buffer_load_dword v107, v103, s[0:3], 0 offen
	buffer_load_dword v108, v103, s[0:3], 0 offen offset:4
	s_waitcnt vmcnt(2) lgkmcnt(0)
	v_mul_f64 v[110:111], v[3:4], v[105:106]
	v_mul_f64 v[105:106], v[1:2], v[105:106]
	s_waitcnt vmcnt(0)
	v_fma_f64 v[1:2], v[1:2], v[107:108], -v[110:111]
	v_fma_f64 v[3:4], v[3:4], v[107:108], v[105:106]
.LBB112_94:
	s_and_saveexec_b32 s57, s4
	s_cbranch_execz .LBB112_98
; %bb.95:
	v_subrev_nc_u32_e32 v105, 37, v0
	s_movk_i32 s58, 0x560
	s_mov_b32 s4, 0
	s_mov_b32 s59, s18
	.p2align	6
.LBB112_96:                             ; =>This Inner Loop Header: Depth=1
	v_mov_b32_e32 v108, s59
	v_add_nc_u32_e32 v105, -1, v105
	s_add_i32 s59, s59, 16
	s_clause 0x3
	buffer_load_dword v106, v108, s[0:3], 0 offen offset:8
	buffer_load_dword v107, v108, s[0:3], 0 offen offset:12
	buffer_load_dword v114, v108, s[0:3], 0 offen
	buffer_load_dword v115, v108, s[0:3], 0 offen offset:4
	v_mov_b32_e32 v108, s58
	v_cmp_eq_u32_e32 vcc_lo, 0, v105
	s_add_i32 s58, s58, 16
	ds_read_b128 v[110:113], v108
	s_or_b32 s4, vcc_lo, s4
	s_waitcnt vmcnt(2) lgkmcnt(0)
	v_mul_f64 v[116:117], v[112:113], v[106:107]
	v_mul_f64 v[106:107], v[110:111], v[106:107]
	s_waitcnt vmcnt(0)
	v_fma_f64 v[110:111], v[110:111], v[114:115], -v[116:117]
	v_fma_f64 v[106:107], v[112:113], v[114:115], v[106:107]
	v_add_f64 v[1:2], v[1:2], v[110:111]
	v_add_f64 v[3:4], v[3:4], v[106:107]
	s_andn2_b32 exec_lo, exec_lo, s4
	s_cbranch_execnz .LBB112_96
; %bb.97:
	s_or_b32 exec_lo, exec_lo, s4
.LBB112_98:
	s_or_b32 exec_lo, exec_lo, s57
	v_mov_b32_e32 v105, 0
	ds_read_b128 v[105:108], v105 offset:576
	s_waitcnt lgkmcnt(0)
	v_mul_f64 v[110:111], v[3:4], v[107:108]
	v_mul_f64 v[107:108], v[1:2], v[107:108]
	v_fma_f64 v[1:2], v[1:2], v[105:106], -v[110:111]
	v_fma_f64 v[3:4], v[3:4], v[105:106], v[107:108]
	buffer_store_dword v2, off, s[0:3], 0 offset:580
	buffer_store_dword v1, off, s[0:3], 0 offset:576
	buffer_store_dword v4, off, s[0:3], 0 offset:588
	buffer_store_dword v3, off, s[0:3], 0 offset:584
.LBB112_99:
	s_or_b32 exec_lo, exec_lo, s8
	v_mov_b32_e32 v4, s20
	v_cmp_lt_u32_e64 s4, 35, v0
	s_clause 0x3
	buffer_load_dword v1, v4, s[0:3], 0 offen
	buffer_load_dword v2, v4, s[0:3], 0 offen offset:4
	buffer_load_dword v3, v4, s[0:3], 0 offen offset:8
	;; [unrolled: 1-line block ×3, first 2 shown]
	s_waitcnt vmcnt(0)
	ds_write_b128 v104, v[1:4]
	s_waitcnt lgkmcnt(0)
	s_waitcnt_vscnt null, 0x0
	s_barrier
	buffer_gl0_inv
	s_and_saveexec_b32 s8, s4
	s_cbranch_execz .LBB112_107
; %bb.100:
	ds_read_b128 v[1:4], v104
	s_andn2_b32 vcc_lo, exec_lo, s56
	s_cbranch_vccnz .LBB112_102
; %bb.101:
	s_clause 0x3
	buffer_load_dword v105, v103, s[0:3], 0 offen offset:8
	buffer_load_dword v106, v103, s[0:3], 0 offen offset:12
	buffer_load_dword v107, v103, s[0:3], 0 offen
	buffer_load_dword v108, v103, s[0:3], 0 offen offset:4
	s_waitcnt vmcnt(2) lgkmcnt(0)
	v_mul_f64 v[110:111], v[3:4], v[105:106]
	v_mul_f64 v[105:106], v[1:2], v[105:106]
	s_waitcnt vmcnt(0)
	v_fma_f64 v[1:2], v[1:2], v[107:108], -v[110:111]
	v_fma_f64 v[3:4], v[3:4], v[107:108], v[105:106]
.LBB112_102:
	s_and_saveexec_b32 s57, s5
	s_cbranch_execz .LBB112_106
; %bb.103:
	v_subrev_nc_u32_e32 v105, 36, v0
	s_movk_i32 s58, 0x550
	s_mov_b32 s5, 0
	s_mov_b32 s59, s19
	.p2align	6
.LBB112_104:                            ; =>This Inner Loop Header: Depth=1
	v_mov_b32_e32 v108, s59
	v_add_nc_u32_e32 v105, -1, v105
	s_add_i32 s59, s59, 16
	s_clause 0x3
	buffer_load_dword v106, v108, s[0:3], 0 offen offset:8
	buffer_load_dword v107, v108, s[0:3], 0 offen offset:12
	buffer_load_dword v114, v108, s[0:3], 0 offen
	buffer_load_dword v115, v108, s[0:3], 0 offen offset:4
	v_mov_b32_e32 v108, s58
	v_cmp_eq_u32_e32 vcc_lo, 0, v105
	s_add_i32 s58, s58, 16
	ds_read_b128 v[110:113], v108
	s_or_b32 s5, vcc_lo, s5
	s_waitcnt vmcnt(2) lgkmcnt(0)
	v_mul_f64 v[116:117], v[112:113], v[106:107]
	v_mul_f64 v[106:107], v[110:111], v[106:107]
	s_waitcnt vmcnt(0)
	v_fma_f64 v[110:111], v[110:111], v[114:115], -v[116:117]
	v_fma_f64 v[106:107], v[112:113], v[114:115], v[106:107]
	v_add_f64 v[1:2], v[1:2], v[110:111]
	v_add_f64 v[3:4], v[3:4], v[106:107]
	s_andn2_b32 exec_lo, exec_lo, s5
	s_cbranch_execnz .LBB112_104
; %bb.105:
	s_or_b32 exec_lo, exec_lo, s5
.LBB112_106:
	s_or_b32 exec_lo, exec_lo, s57
	v_mov_b32_e32 v105, 0
	ds_read_b128 v[105:108], v105 offset:560
	s_waitcnt lgkmcnt(0)
	v_mul_f64 v[110:111], v[3:4], v[107:108]
	v_mul_f64 v[107:108], v[1:2], v[107:108]
	v_fma_f64 v[1:2], v[1:2], v[105:106], -v[110:111]
	v_fma_f64 v[3:4], v[3:4], v[105:106], v[107:108]
	buffer_store_dword v2, off, s[0:3], 0 offset:564
	buffer_store_dword v1, off, s[0:3], 0 offset:560
	;; [unrolled: 1-line block ×4, first 2 shown]
.LBB112_107:
	s_or_b32 exec_lo, exec_lo, s8
	v_mov_b32_e32 v4, s21
	v_cmp_lt_u32_e64 s5, 34, v0
	s_clause 0x3
	buffer_load_dword v1, v4, s[0:3], 0 offen
	buffer_load_dword v2, v4, s[0:3], 0 offen offset:4
	buffer_load_dword v3, v4, s[0:3], 0 offen offset:8
	;; [unrolled: 1-line block ×3, first 2 shown]
	s_waitcnt vmcnt(0)
	ds_write_b128 v104, v[1:4]
	s_waitcnt lgkmcnt(0)
	s_waitcnt_vscnt null, 0x0
	s_barrier
	buffer_gl0_inv
	s_and_saveexec_b32 s8, s5
	s_cbranch_execz .LBB112_115
; %bb.108:
	ds_read_b128 v[1:4], v104
	s_andn2_b32 vcc_lo, exec_lo, s56
	s_cbranch_vccnz .LBB112_110
; %bb.109:
	s_clause 0x3
	buffer_load_dword v105, v103, s[0:3], 0 offen offset:8
	buffer_load_dword v106, v103, s[0:3], 0 offen offset:12
	buffer_load_dword v107, v103, s[0:3], 0 offen
	buffer_load_dword v108, v103, s[0:3], 0 offen offset:4
	s_waitcnt vmcnt(2) lgkmcnt(0)
	v_mul_f64 v[110:111], v[3:4], v[105:106]
	v_mul_f64 v[105:106], v[1:2], v[105:106]
	s_waitcnt vmcnt(0)
	v_fma_f64 v[1:2], v[1:2], v[107:108], -v[110:111]
	v_fma_f64 v[3:4], v[3:4], v[107:108], v[105:106]
.LBB112_110:
	s_and_saveexec_b32 s57, s4
	s_cbranch_execz .LBB112_114
; %bb.111:
	v_subrev_nc_u32_e32 v105, 35, v0
	s_movk_i32 s58, 0x540
	s_mov_b32 s4, 0
	s_mov_b32 s59, s20
	.p2align	6
.LBB112_112:                            ; =>This Inner Loop Header: Depth=1
	v_mov_b32_e32 v108, s59
	v_add_nc_u32_e32 v105, -1, v105
	s_add_i32 s59, s59, 16
	s_clause 0x3
	buffer_load_dword v106, v108, s[0:3], 0 offen offset:8
	buffer_load_dword v107, v108, s[0:3], 0 offen offset:12
	buffer_load_dword v114, v108, s[0:3], 0 offen
	buffer_load_dword v115, v108, s[0:3], 0 offen offset:4
	v_mov_b32_e32 v108, s58
	v_cmp_eq_u32_e32 vcc_lo, 0, v105
	s_add_i32 s58, s58, 16
	ds_read_b128 v[110:113], v108
	s_or_b32 s4, vcc_lo, s4
	s_waitcnt vmcnt(2) lgkmcnt(0)
	v_mul_f64 v[116:117], v[112:113], v[106:107]
	v_mul_f64 v[106:107], v[110:111], v[106:107]
	s_waitcnt vmcnt(0)
	v_fma_f64 v[110:111], v[110:111], v[114:115], -v[116:117]
	v_fma_f64 v[106:107], v[112:113], v[114:115], v[106:107]
	v_add_f64 v[1:2], v[1:2], v[110:111]
	v_add_f64 v[3:4], v[3:4], v[106:107]
	s_andn2_b32 exec_lo, exec_lo, s4
	s_cbranch_execnz .LBB112_112
; %bb.113:
	s_or_b32 exec_lo, exec_lo, s4
.LBB112_114:
	s_or_b32 exec_lo, exec_lo, s57
	v_mov_b32_e32 v105, 0
	ds_read_b128 v[105:108], v105 offset:544
	s_waitcnt lgkmcnt(0)
	v_mul_f64 v[110:111], v[3:4], v[107:108]
	v_mul_f64 v[107:108], v[1:2], v[107:108]
	v_fma_f64 v[1:2], v[1:2], v[105:106], -v[110:111]
	v_fma_f64 v[3:4], v[3:4], v[105:106], v[107:108]
	buffer_store_dword v2, off, s[0:3], 0 offset:548
	buffer_store_dword v1, off, s[0:3], 0 offset:544
	;; [unrolled: 1-line block ×4, first 2 shown]
.LBB112_115:
	s_or_b32 exec_lo, exec_lo, s8
	v_mov_b32_e32 v4, s22
	v_cmp_lt_u32_e64 s4, 33, v0
	s_clause 0x3
	buffer_load_dword v1, v4, s[0:3], 0 offen
	buffer_load_dword v2, v4, s[0:3], 0 offen offset:4
	buffer_load_dword v3, v4, s[0:3], 0 offen offset:8
	;; [unrolled: 1-line block ×3, first 2 shown]
	s_waitcnt vmcnt(0)
	ds_write_b128 v104, v[1:4]
	s_waitcnt lgkmcnt(0)
	s_waitcnt_vscnt null, 0x0
	s_barrier
	buffer_gl0_inv
	s_and_saveexec_b32 s8, s4
	s_cbranch_execz .LBB112_123
; %bb.116:
	ds_read_b128 v[1:4], v104
	s_andn2_b32 vcc_lo, exec_lo, s56
	s_cbranch_vccnz .LBB112_118
; %bb.117:
	s_clause 0x3
	buffer_load_dword v105, v103, s[0:3], 0 offen offset:8
	buffer_load_dword v106, v103, s[0:3], 0 offen offset:12
	buffer_load_dword v107, v103, s[0:3], 0 offen
	buffer_load_dword v108, v103, s[0:3], 0 offen offset:4
	s_waitcnt vmcnt(2) lgkmcnt(0)
	v_mul_f64 v[110:111], v[3:4], v[105:106]
	v_mul_f64 v[105:106], v[1:2], v[105:106]
	s_waitcnt vmcnt(0)
	v_fma_f64 v[1:2], v[1:2], v[107:108], -v[110:111]
	v_fma_f64 v[3:4], v[3:4], v[107:108], v[105:106]
.LBB112_118:
	s_and_saveexec_b32 s57, s5
	s_cbranch_execz .LBB112_122
; %bb.119:
	v_subrev_nc_u32_e32 v105, 34, v0
	s_movk_i32 s58, 0x530
	s_mov_b32 s5, 0
	s_mov_b32 s59, s21
	.p2align	6
.LBB112_120:                            ; =>This Inner Loop Header: Depth=1
	v_mov_b32_e32 v108, s59
	v_add_nc_u32_e32 v105, -1, v105
	s_add_i32 s59, s59, 16
	s_clause 0x3
	buffer_load_dword v106, v108, s[0:3], 0 offen offset:8
	buffer_load_dword v107, v108, s[0:3], 0 offen offset:12
	buffer_load_dword v114, v108, s[0:3], 0 offen
	buffer_load_dword v115, v108, s[0:3], 0 offen offset:4
	v_mov_b32_e32 v108, s58
	v_cmp_eq_u32_e32 vcc_lo, 0, v105
	s_add_i32 s58, s58, 16
	ds_read_b128 v[110:113], v108
	s_or_b32 s5, vcc_lo, s5
	s_waitcnt vmcnt(2) lgkmcnt(0)
	v_mul_f64 v[116:117], v[112:113], v[106:107]
	v_mul_f64 v[106:107], v[110:111], v[106:107]
	s_waitcnt vmcnt(0)
	v_fma_f64 v[110:111], v[110:111], v[114:115], -v[116:117]
	v_fma_f64 v[106:107], v[112:113], v[114:115], v[106:107]
	v_add_f64 v[1:2], v[1:2], v[110:111]
	v_add_f64 v[3:4], v[3:4], v[106:107]
	s_andn2_b32 exec_lo, exec_lo, s5
	s_cbranch_execnz .LBB112_120
; %bb.121:
	s_or_b32 exec_lo, exec_lo, s5
.LBB112_122:
	s_or_b32 exec_lo, exec_lo, s57
	v_mov_b32_e32 v105, 0
	ds_read_b128 v[105:108], v105 offset:528
	s_waitcnt lgkmcnt(0)
	v_mul_f64 v[110:111], v[3:4], v[107:108]
	v_mul_f64 v[107:108], v[1:2], v[107:108]
	v_fma_f64 v[1:2], v[1:2], v[105:106], -v[110:111]
	v_fma_f64 v[3:4], v[3:4], v[105:106], v[107:108]
	buffer_store_dword v2, off, s[0:3], 0 offset:532
	buffer_store_dword v1, off, s[0:3], 0 offset:528
	;; [unrolled: 1-line block ×4, first 2 shown]
.LBB112_123:
	s_or_b32 exec_lo, exec_lo, s8
	v_mov_b32_e32 v4, s23
	v_cmp_lt_u32_e64 s5, 32, v0
	s_clause 0x3
	buffer_load_dword v1, v4, s[0:3], 0 offen
	buffer_load_dword v2, v4, s[0:3], 0 offen offset:4
	buffer_load_dword v3, v4, s[0:3], 0 offen offset:8
	;; [unrolled: 1-line block ×3, first 2 shown]
	s_waitcnt vmcnt(0)
	ds_write_b128 v104, v[1:4]
	s_waitcnt lgkmcnt(0)
	s_waitcnt_vscnt null, 0x0
	s_barrier
	buffer_gl0_inv
	s_and_saveexec_b32 s8, s5
	s_cbranch_execz .LBB112_131
; %bb.124:
	ds_read_b128 v[1:4], v104
	s_andn2_b32 vcc_lo, exec_lo, s56
	s_cbranch_vccnz .LBB112_126
; %bb.125:
	s_clause 0x3
	buffer_load_dword v105, v103, s[0:3], 0 offen offset:8
	buffer_load_dword v106, v103, s[0:3], 0 offen offset:12
	buffer_load_dword v107, v103, s[0:3], 0 offen
	buffer_load_dword v108, v103, s[0:3], 0 offen offset:4
	s_waitcnt vmcnt(2) lgkmcnt(0)
	v_mul_f64 v[110:111], v[3:4], v[105:106]
	v_mul_f64 v[105:106], v[1:2], v[105:106]
	s_waitcnt vmcnt(0)
	v_fma_f64 v[1:2], v[1:2], v[107:108], -v[110:111]
	v_fma_f64 v[3:4], v[3:4], v[107:108], v[105:106]
.LBB112_126:
	s_and_saveexec_b32 s57, s4
	s_cbranch_execz .LBB112_130
; %bb.127:
	v_subrev_nc_u32_e32 v105, 33, v0
	s_movk_i32 s58, 0x520
	s_mov_b32 s4, 0
	s_mov_b32 s59, s22
	.p2align	6
.LBB112_128:                            ; =>This Inner Loop Header: Depth=1
	v_mov_b32_e32 v108, s59
	v_add_nc_u32_e32 v105, -1, v105
	s_add_i32 s59, s59, 16
	s_clause 0x3
	buffer_load_dword v106, v108, s[0:3], 0 offen offset:8
	buffer_load_dword v107, v108, s[0:3], 0 offen offset:12
	buffer_load_dword v114, v108, s[0:3], 0 offen
	buffer_load_dword v115, v108, s[0:3], 0 offen offset:4
	v_mov_b32_e32 v108, s58
	v_cmp_eq_u32_e32 vcc_lo, 0, v105
	s_add_i32 s58, s58, 16
	ds_read_b128 v[110:113], v108
	s_or_b32 s4, vcc_lo, s4
	s_waitcnt vmcnt(2) lgkmcnt(0)
	v_mul_f64 v[116:117], v[112:113], v[106:107]
	v_mul_f64 v[106:107], v[110:111], v[106:107]
	s_waitcnt vmcnt(0)
	v_fma_f64 v[110:111], v[110:111], v[114:115], -v[116:117]
	v_fma_f64 v[106:107], v[112:113], v[114:115], v[106:107]
	v_add_f64 v[1:2], v[1:2], v[110:111]
	v_add_f64 v[3:4], v[3:4], v[106:107]
	s_andn2_b32 exec_lo, exec_lo, s4
	s_cbranch_execnz .LBB112_128
; %bb.129:
	s_or_b32 exec_lo, exec_lo, s4
.LBB112_130:
	s_or_b32 exec_lo, exec_lo, s57
	v_mov_b32_e32 v105, 0
	ds_read_b128 v[105:108], v105 offset:512
	s_waitcnt lgkmcnt(0)
	v_mul_f64 v[110:111], v[3:4], v[107:108]
	v_mul_f64 v[107:108], v[1:2], v[107:108]
	v_fma_f64 v[1:2], v[1:2], v[105:106], -v[110:111]
	v_fma_f64 v[3:4], v[3:4], v[105:106], v[107:108]
	buffer_store_dword v2, off, s[0:3], 0 offset:516
	buffer_store_dword v1, off, s[0:3], 0 offset:512
	;; [unrolled: 1-line block ×4, first 2 shown]
.LBB112_131:
	s_or_b32 exec_lo, exec_lo, s8
	v_mov_b32_e32 v4, s24
	v_cmp_lt_u32_e64 s4, 31, v0
	s_clause 0x3
	buffer_load_dword v1, v4, s[0:3], 0 offen
	buffer_load_dword v2, v4, s[0:3], 0 offen offset:4
	buffer_load_dword v3, v4, s[0:3], 0 offen offset:8
	;; [unrolled: 1-line block ×3, first 2 shown]
	s_waitcnt vmcnt(0)
	ds_write_b128 v104, v[1:4]
	s_waitcnt lgkmcnt(0)
	s_waitcnt_vscnt null, 0x0
	s_barrier
	buffer_gl0_inv
	s_and_saveexec_b32 s8, s4
	s_cbranch_execz .LBB112_139
; %bb.132:
	ds_read_b128 v[1:4], v104
	s_andn2_b32 vcc_lo, exec_lo, s56
	s_cbranch_vccnz .LBB112_134
; %bb.133:
	s_clause 0x3
	buffer_load_dword v105, v103, s[0:3], 0 offen offset:8
	buffer_load_dword v106, v103, s[0:3], 0 offen offset:12
	buffer_load_dword v107, v103, s[0:3], 0 offen
	buffer_load_dword v108, v103, s[0:3], 0 offen offset:4
	s_waitcnt vmcnt(2) lgkmcnt(0)
	v_mul_f64 v[110:111], v[3:4], v[105:106]
	v_mul_f64 v[105:106], v[1:2], v[105:106]
	s_waitcnt vmcnt(0)
	v_fma_f64 v[1:2], v[1:2], v[107:108], -v[110:111]
	v_fma_f64 v[3:4], v[3:4], v[107:108], v[105:106]
.LBB112_134:
	s_and_saveexec_b32 s57, s5
	s_cbranch_execz .LBB112_138
; %bb.135:
	v_subrev_nc_u32_e32 v105, 32, v0
	s_movk_i32 s58, 0x510
	s_mov_b32 s5, 0
	s_mov_b32 s59, s23
	.p2align	6
.LBB112_136:                            ; =>This Inner Loop Header: Depth=1
	v_mov_b32_e32 v108, s59
	v_add_nc_u32_e32 v105, -1, v105
	s_add_i32 s59, s59, 16
	s_clause 0x3
	buffer_load_dword v106, v108, s[0:3], 0 offen offset:8
	buffer_load_dword v107, v108, s[0:3], 0 offen offset:12
	buffer_load_dword v114, v108, s[0:3], 0 offen
	buffer_load_dword v115, v108, s[0:3], 0 offen offset:4
	v_mov_b32_e32 v108, s58
	v_cmp_eq_u32_e32 vcc_lo, 0, v105
	s_add_i32 s58, s58, 16
	ds_read_b128 v[110:113], v108
	s_or_b32 s5, vcc_lo, s5
	s_waitcnt vmcnt(2) lgkmcnt(0)
	v_mul_f64 v[116:117], v[112:113], v[106:107]
	v_mul_f64 v[106:107], v[110:111], v[106:107]
	s_waitcnt vmcnt(0)
	v_fma_f64 v[110:111], v[110:111], v[114:115], -v[116:117]
	v_fma_f64 v[106:107], v[112:113], v[114:115], v[106:107]
	v_add_f64 v[1:2], v[1:2], v[110:111]
	v_add_f64 v[3:4], v[3:4], v[106:107]
	s_andn2_b32 exec_lo, exec_lo, s5
	s_cbranch_execnz .LBB112_136
; %bb.137:
	s_or_b32 exec_lo, exec_lo, s5
.LBB112_138:
	s_or_b32 exec_lo, exec_lo, s57
	v_mov_b32_e32 v105, 0
	ds_read_b128 v[105:108], v105 offset:496
	s_waitcnt lgkmcnt(0)
	v_mul_f64 v[110:111], v[3:4], v[107:108]
	v_mul_f64 v[107:108], v[1:2], v[107:108]
	v_fma_f64 v[1:2], v[1:2], v[105:106], -v[110:111]
	v_fma_f64 v[3:4], v[3:4], v[105:106], v[107:108]
	buffer_store_dword v2, off, s[0:3], 0 offset:500
	buffer_store_dword v1, off, s[0:3], 0 offset:496
	;; [unrolled: 1-line block ×4, first 2 shown]
.LBB112_139:
	s_or_b32 exec_lo, exec_lo, s8
	v_mov_b32_e32 v4, s25
	v_cmp_lt_u32_e64 s5, 30, v0
	s_clause 0x3
	buffer_load_dword v1, v4, s[0:3], 0 offen
	buffer_load_dword v2, v4, s[0:3], 0 offen offset:4
	buffer_load_dword v3, v4, s[0:3], 0 offen offset:8
	;; [unrolled: 1-line block ×3, first 2 shown]
	s_waitcnt vmcnt(0)
	ds_write_b128 v104, v[1:4]
	s_waitcnt lgkmcnt(0)
	s_waitcnt_vscnt null, 0x0
	s_barrier
	buffer_gl0_inv
	s_and_saveexec_b32 s8, s5
	s_cbranch_execz .LBB112_147
; %bb.140:
	ds_read_b128 v[1:4], v104
	s_andn2_b32 vcc_lo, exec_lo, s56
	s_cbranch_vccnz .LBB112_142
; %bb.141:
	s_clause 0x3
	buffer_load_dword v105, v103, s[0:3], 0 offen offset:8
	buffer_load_dword v106, v103, s[0:3], 0 offen offset:12
	buffer_load_dword v107, v103, s[0:3], 0 offen
	buffer_load_dword v108, v103, s[0:3], 0 offen offset:4
	s_waitcnt vmcnt(2) lgkmcnt(0)
	v_mul_f64 v[110:111], v[3:4], v[105:106]
	v_mul_f64 v[105:106], v[1:2], v[105:106]
	s_waitcnt vmcnt(0)
	v_fma_f64 v[1:2], v[1:2], v[107:108], -v[110:111]
	v_fma_f64 v[3:4], v[3:4], v[107:108], v[105:106]
.LBB112_142:
	s_and_saveexec_b32 s57, s4
	s_cbranch_execz .LBB112_146
; %bb.143:
	v_subrev_nc_u32_e32 v105, 31, v0
	s_movk_i32 s58, 0x500
	s_mov_b32 s4, 0
	s_mov_b32 s59, s24
	.p2align	6
.LBB112_144:                            ; =>This Inner Loop Header: Depth=1
	v_mov_b32_e32 v108, s59
	v_add_nc_u32_e32 v105, -1, v105
	s_add_i32 s59, s59, 16
	s_clause 0x3
	buffer_load_dword v106, v108, s[0:3], 0 offen offset:8
	buffer_load_dword v107, v108, s[0:3], 0 offen offset:12
	buffer_load_dword v114, v108, s[0:3], 0 offen
	buffer_load_dword v115, v108, s[0:3], 0 offen offset:4
	v_mov_b32_e32 v108, s58
	v_cmp_eq_u32_e32 vcc_lo, 0, v105
	s_add_i32 s58, s58, 16
	ds_read_b128 v[110:113], v108
	s_or_b32 s4, vcc_lo, s4
	s_waitcnt vmcnt(2) lgkmcnt(0)
	v_mul_f64 v[116:117], v[112:113], v[106:107]
	v_mul_f64 v[106:107], v[110:111], v[106:107]
	s_waitcnt vmcnt(0)
	v_fma_f64 v[110:111], v[110:111], v[114:115], -v[116:117]
	v_fma_f64 v[106:107], v[112:113], v[114:115], v[106:107]
	v_add_f64 v[1:2], v[1:2], v[110:111]
	v_add_f64 v[3:4], v[3:4], v[106:107]
	s_andn2_b32 exec_lo, exec_lo, s4
	s_cbranch_execnz .LBB112_144
; %bb.145:
	s_or_b32 exec_lo, exec_lo, s4
.LBB112_146:
	s_or_b32 exec_lo, exec_lo, s57
	v_mov_b32_e32 v105, 0
	ds_read_b128 v[105:108], v105 offset:480
	s_waitcnt lgkmcnt(0)
	v_mul_f64 v[110:111], v[3:4], v[107:108]
	v_mul_f64 v[107:108], v[1:2], v[107:108]
	v_fma_f64 v[1:2], v[1:2], v[105:106], -v[110:111]
	v_fma_f64 v[3:4], v[3:4], v[105:106], v[107:108]
	buffer_store_dword v2, off, s[0:3], 0 offset:484
	buffer_store_dword v1, off, s[0:3], 0 offset:480
	;; [unrolled: 1-line block ×4, first 2 shown]
.LBB112_147:
	s_or_b32 exec_lo, exec_lo, s8
	v_mov_b32_e32 v4, s26
	v_cmp_lt_u32_e64 s4, 29, v0
	s_clause 0x3
	buffer_load_dword v1, v4, s[0:3], 0 offen
	buffer_load_dword v2, v4, s[0:3], 0 offen offset:4
	buffer_load_dword v3, v4, s[0:3], 0 offen offset:8
	;; [unrolled: 1-line block ×3, first 2 shown]
	s_waitcnt vmcnt(0)
	ds_write_b128 v104, v[1:4]
	s_waitcnt lgkmcnt(0)
	s_waitcnt_vscnt null, 0x0
	s_barrier
	buffer_gl0_inv
	s_and_saveexec_b32 s8, s4
	s_cbranch_execz .LBB112_155
; %bb.148:
	ds_read_b128 v[1:4], v104
	s_andn2_b32 vcc_lo, exec_lo, s56
	s_cbranch_vccnz .LBB112_150
; %bb.149:
	s_clause 0x3
	buffer_load_dword v105, v103, s[0:3], 0 offen offset:8
	buffer_load_dword v106, v103, s[0:3], 0 offen offset:12
	buffer_load_dword v107, v103, s[0:3], 0 offen
	buffer_load_dword v108, v103, s[0:3], 0 offen offset:4
	s_waitcnt vmcnt(2) lgkmcnt(0)
	v_mul_f64 v[110:111], v[3:4], v[105:106]
	v_mul_f64 v[105:106], v[1:2], v[105:106]
	s_waitcnt vmcnt(0)
	v_fma_f64 v[1:2], v[1:2], v[107:108], -v[110:111]
	v_fma_f64 v[3:4], v[3:4], v[107:108], v[105:106]
.LBB112_150:
	s_and_saveexec_b32 s57, s5
	s_cbranch_execz .LBB112_154
; %bb.151:
	v_subrev_nc_u32_e32 v105, 30, v0
	s_movk_i32 s58, 0x4f0
	s_mov_b32 s5, 0
	s_mov_b32 s59, s25
	.p2align	6
.LBB112_152:                            ; =>This Inner Loop Header: Depth=1
	v_mov_b32_e32 v108, s59
	v_add_nc_u32_e32 v105, -1, v105
	s_add_i32 s59, s59, 16
	s_clause 0x3
	buffer_load_dword v106, v108, s[0:3], 0 offen offset:8
	buffer_load_dword v107, v108, s[0:3], 0 offen offset:12
	buffer_load_dword v114, v108, s[0:3], 0 offen
	buffer_load_dword v115, v108, s[0:3], 0 offen offset:4
	v_mov_b32_e32 v108, s58
	v_cmp_eq_u32_e32 vcc_lo, 0, v105
	s_add_i32 s58, s58, 16
	ds_read_b128 v[110:113], v108
	s_or_b32 s5, vcc_lo, s5
	s_waitcnt vmcnt(2) lgkmcnt(0)
	v_mul_f64 v[116:117], v[112:113], v[106:107]
	v_mul_f64 v[106:107], v[110:111], v[106:107]
	s_waitcnt vmcnt(0)
	v_fma_f64 v[110:111], v[110:111], v[114:115], -v[116:117]
	v_fma_f64 v[106:107], v[112:113], v[114:115], v[106:107]
	v_add_f64 v[1:2], v[1:2], v[110:111]
	v_add_f64 v[3:4], v[3:4], v[106:107]
	s_andn2_b32 exec_lo, exec_lo, s5
	s_cbranch_execnz .LBB112_152
; %bb.153:
	s_or_b32 exec_lo, exec_lo, s5
.LBB112_154:
	s_or_b32 exec_lo, exec_lo, s57
	v_mov_b32_e32 v105, 0
	ds_read_b128 v[105:108], v105 offset:464
	s_waitcnt lgkmcnt(0)
	v_mul_f64 v[110:111], v[3:4], v[107:108]
	v_mul_f64 v[107:108], v[1:2], v[107:108]
	v_fma_f64 v[1:2], v[1:2], v[105:106], -v[110:111]
	v_fma_f64 v[3:4], v[3:4], v[105:106], v[107:108]
	buffer_store_dword v2, off, s[0:3], 0 offset:468
	buffer_store_dword v1, off, s[0:3], 0 offset:464
	;; [unrolled: 1-line block ×4, first 2 shown]
.LBB112_155:
	s_or_b32 exec_lo, exec_lo, s8
	v_mov_b32_e32 v4, s27
	v_cmp_lt_u32_e64 s5, 28, v0
	s_clause 0x3
	buffer_load_dword v1, v4, s[0:3], 0 offen
	buffer_load_dword v2, v4, s[0:3], 0 offen offset:4
	buffer_load_dword v3, v4, s[0:3], 0 offen offset:8
	;; [unrolled: 1-line block ×3, first 2 shown]
	s_waitcnt vmcnt(0)
	ds_write_b128 v104, v[1:4]
	s_waitcnt lgkmcnt(0)
	s_waitcnt_vscnt null, 0x0
	s_barrier
	buffer_gl0_inv
	s_and_saveexec_b32 s8, s5
	s_cbranch_execz .LBB112_163
; %bb.156:
	ds_read_b128 v[1:4], v104
	s_andn2_b32 vcc_lo, exec_lo, s56
	s_cbranch_vccnz .LBB112_158
; %bb.157:
	s_clause 0x3
	buffer_load_dword v105, v103, s[0:3], 0 offen offset:8
	buffer_load_dword v106, v103, s[0:3], 0 offen offset:12
	buffer_load_dword v107, v103, s[0:3], 0 offen
	buffer_load_dword v108, v103, s[0:3], 0 offen offset:4
	s_waitcnt vmcnt(2) lgkmcnt(0)
	v_mul_f64 v[110:111], v[3:4], v[105:106]
	v_mul_f64 v[105:106], v[1:2], v[105:106]
	s_waitcnt vmcnt(0)
	v_fma_f64 v[1:2], v[1:2], v[107:108], -v[110:111]
	v_fma_f64 v[3:4], v[3:4], v[107:108], v[105:106]
.LBB112_158:
	s_and_saveexec_b32 s57, s4
	s_cbranch_execz .LBB112_162
; %bb.159:
	v_subrev_nc_u32_e32 v105, 29, v0
	s_movk_i32 s58, 0x4e0
	s_mov_b32 s4, 0
	s_mov_b32 s59, s26
	.p2align	6
.LBB112_160:                            ; =>This Inner Loop Header: Depth=1
	v_mov_b32_e32 v108, s59
	v_add_nc_u32_e32 v105, -1, v105
	s_add_i32 s59, s59, 16
	s_clause 0x3
	buffer_load_dword v106, v108, s[0:3], 0 offen offset:8
	buffer_load_dword v107, v108, s[0:3], 0 offen offset:12
	buffer_load_dword v114, v108, s[0:3], 0 offen
	buffer_load_dword v115, v108, s[0:3], 0 offen offset:4
	v_mov_b32_e32 v108, s58
	v_cmp_eq_u32_e32 vcc_lo, 0, v105
	s_add_i32 s58, s58, 16
	ds_read_b128 v[110:113], v108
	s_or_b32 s4, vcc_lo, s4
	s_waitcnt vmcnt(2) lgkmcnt(0)
	v_mul_f64 v[116:117], v[112:113], v[106:107]
	v_mul_f64 v[106:107], v[110:111], v[106:107]
	s_waitcnt vmcnt(0)
	v_fma_f64 v[110:111], v[110:111], v[114:115], -v[116:117]
	v_fma_f64 v[106:107], v[112:113], v[114:115], v[106:107]
	v_add_f64 v[1:2], v[1:2], v[110:111]
	v_add_f64 v[3:4], v[3:4], v[106:107]
	s_andn2_b32 exec_lo, exec_lo, s4
	s_cbranch_execnz .LBB112_160
; %bb.161:
	s_or_b32 exec_lo, exec_lo, s4
.LBB112_162:
	s_or_b32 exec_lo, exec_lo, s57
	v_mov_b32_e32 v105, 0
	ds_read_b128 v[105:108], v105 offset:448
	s_waitcnt lgkmcnt(0)
	v_mul_f64 v[110:111], v[3:4], v[107:108]
	v_mul_f64 v[107:108], v[1:2], v[107:108]
	v_fma_f64 v[1:2], v[1:2], v[105:106], -v[110:111]
	v_fma_f64 v[3:4], v[3:4], v[105:106], v[107:108]
	buffer_store_dword v2, off, s[0:3], 0 offset:452
	buffer_store_dword v1, off, s[0:3], 0 offset:448
	;; [unrolled: 1-line block ×4, first 2 shown]
.LBB112_163:
	s_or_b32 exec_lo, exec_lo, s8
	v_mov_b32_e32 v4, s28
	v_cmp_lt_u32_e64 s4, 27, v0
	s_clause 0x3
	buffer_load_dword v1, v4, s[0:3], 0 offen
	buffer_load_dword v2, v4, s[0:3], 0 offen offset:4
	buffer_load_dword v3, v4, s[0:3], 0 offen offset:8
	;; [unrolled: 1-line block ×3, first 2 shown]
	s_waitcnt vmcnt(0)
	ds_write_b128 v104, v[1:4]
	s_waitcnt lgkmcnt(0)
	s_waitcnt_vscnt null, 0x0
	s_barrier
	buffer_gl0_inv
	s_and_saveexec_b32 s8, s4
	s_cbranch_execz .LBB112_171
; %bb.164:
	ds_read_b128 v[1:4], v104
	s_andn2_b32 vcc_lo, exec_lo, s56
	s_cbranch_vccnz .LBB112_166
; %bb.165:
	s_clause 0x3
	buffer_load_dword v105, v103, s[0:3], 0 offen offset:8
	buffer_load_dword v106, v103, s[0:3], 0 offen offset:12
	buffer_load_dword v107, v103, s[0:3], 0 offen
	buffer_load_dword v108, v103, s[0:3], 0 offen offset:4
	s_waitcnt vmcnt(2) lgkmcnt(0)
	v_mul_f64 v[110:111], v[3:4], v[105:106]
	v_mul_f64 v[105:106], v[1:2], v[105:106]
	s_waitcnt vmcnt(0)
	v_fma_f64 v[1:2], v[1:2], v[107:108], -v[110:111]
	v_fma_f64 v[3:4], v[3:4], v[107:108], v[105:106]
.LBB112_166:
	s_and_saveexec_b32 s57, s5
	s_cbranch_execz .LBB112_170
; %bb.167:
	v_subrev_nc_u32_e32 v105, 28, v0
	s_movk_i32 s58, 0x4d0
	s_mov_b32 s5, 0
	s_mov_b32 s59, s27
	.p2align	6
.LBB112_168:                            ; =>This Inner Loop Header: Depth=1
	v_mov_b32_e32 v108, s59
	v_add_nc_u32_e32 v105, -1, v105
	s_add_i32 s59, s59, 16
	s_clause 0x3
	buffer_load_dword v106, v108, s[0:3], 0 offen offset:8
	buffer_load_dword v107, v108, s[0:3], 0 offen offset:12
	buffer_load_dword v114, v108, s[0:3], 0 offen
	buffer_load_dword v115, v108, s[0:3], 0 offen offset:4
	v_mov_b32_e32 v108, s58
	v_cmp_eq_u32_e32 vcc_lo, 0, v105
	s_add_i32 s58, s58, 16
	ds_read_b128 v[110:113], v108
	s_or_b32 s5, vcc_lo, s5
	s_waitcnt vmcnt(2) lgkmcnt(0)
	v_mul_f64 v[116:117], v[112:113], v[106:107]
	v_mul_f64 v[106:107], v[110:111], v[106:107]
	s_waitcnt vmcnt(0)
	v_fma_f64 v[110:111], v[110:111], v[114:115], -v[116:117]
	v_fma_f64 v[106:107], v[112:113], v[114:115], v[106:107]
	v_add_f64 v[1:2], v[1:2], v[110:111]
	v_add_f64 v[3:4], v[3:4], v[106:107]
	s_andn2_b32 exec_lo, exec_lo, s5
	s_cbranch_execnz .LBB112_168
; %bb.169:
	s_or_b32 exec_lo, exec_lo, s5
.LBB112_170:
	s_or_b32 exec_lo, exec_lo, s57
	v_mov_b32_e32 v105, 0
	ds_read_b128 v[105:108], v105 offset:432
	s_waitcnt lgkmcnt(0)
	v_mul_f64 v[110:111], v[3:4], v[107:108]
	v_mul_f64 v[107:108], v[1:2], v[107:108]
	v_fma_f64 v[1:2], v[1:2], v[105:106], -v[110:111]
	v_fma_f64 v[3:4], v[3:4], v[105:106], v[107:108]
	buffer_store_dword v2, off, s[0:3], 0 offset:436
	buffer_store_dword v1, off, s[0:3], 0 offset:432
	;; [unrolled: 1-line block ×4, first 2 shown]
.LBB112_171:
	s_or_b32 exec_lo, exec_lo, s8
	v_mov_b32_e32 v4, s29
	v_cmp_lt_u32_e64 s5, 26, v0
	s_clause 0x3
	buffer_load_dword v1, v4, s[0:3], 0 offen
	buffer_load_dword v2, v4, s[0:3], 0 offen offset:4
	buffer_load_dword v3, v4, s[0:3], 0 offen offset:8
	;; [unrolled: 1-line block ×3, first 2 shown]
	s_waitcnt vmcnt(0)
	ds_write_b128 v104, v[1:4]
	s_waitcnt lgkmcnt(0)
	s_waitcnt_vscnt null, 0x0
	s_barrier
	buffer_gl0_inv
	s_and_saveexec_b32 s8, s5
	s_cbranch_execz .LBB112_179
; %bb.172:
	ds_read_b128 v[1:4], v104
	s_andn2_b32 vcc_lo, exec_lo, s56
	s_cbranch_vccnz .LBB112_174
; %bb.173:
	s_clause 0x3
	buffer_load_dword v105, v103, s[0:3], 0 offen offset:8
	buffer_load_dword v106, v103, s[0:3], 0 offen offset:12
	buffer_load_dword v107, v103, s[0:3], 0 offen
	buffer_load_dword v108, v103, s[0:3], 0 offen offset:4
	s_waitcnt vmcnt(2) lgkmcnt(0)
	v_mul_f64 v[110:111], v[3:4], v[105:106]
	v_mul_f64 v[105:106], v[1:2], v[105:106]
	s_waitcnt vmcnt(0)
	v_fma_f64 v[1:2], v[1:2], v[107:108], -v[110:111]
	v_fma_f64 v[3:4], v[3:4], v[107:108], v[105:106]
.LBB112_174:
	s_and_saveexec_b32 s57, s4
	s_cbranch_execz .LBB112_178
; %bb.175:
	v_subrev_nc_u32_e32 v105, 27, v0
	s_movk_i32 s58, 0x4c0
	s_mov_b32 s4, 0
	s_mov_b32 s59, s28
	.p2align	6
.LBB112_176:                            ; =>This Inner Loop Header: Depth=1
	v_mov_b32_e32 v108, s59
	v_add_nc_u32_e32 v105, -1, v105
	s_add_i32 s59, s59, 16
	s_clause 0x3
	buffer_load_dword v106, v108, s[0:3], 0 offen offset:8
	buffer_load_dword v107, v108, s[0:3], 0 offen offset:12
	buffer_load_dword v114, v108, s[0:3], 0 offen
	buffer_load_dword v115, v108, s[0:3], 0 offen offset:4
	v_mov_b32_e32 v108, s58
	v_cmp_eq_u32_e32 vcc_lo, 0, v105
	s_add_i32 s58, s58, 16
	ds_read_b128 v[110:113], v108
	s_or_b32 s4, vcc_lo, s4
	s_waitcnt vmcnt(2) lgkmcnt(0)
	v_mul_f64 v[116:117], v[112:113], v[106:107]
	v_mul_f64 v[106:107], v[110:111], v[106:107]
	s_waitcnt vmcnt(0)
	v_fma_f64 v[110:111], v[110:111], v[114:115], -v[116:117]
	v_fma_f64 v[106:107], v[112:113], v[114:115], v[106:107]
	v_add_f64 v[1:2], v[1:2], v[110:111]
	v_add_f64 v[3:4], v[3:4], v[106:107]
	s_andn2_b32 exec_lo, exec_lo, s4
	s_cbranch_execnz .LBB112_176
; %bb.177:
	s_or_b32 exec_lo, exec_lo, s4
.LBB112_178:
	s_or_b32 exec_lo, exec_lo, s57
	v_mov_b32_e32 v105, 0
	ds_read_b128 v[105:108], v105 offset:416
	s_waitcnt lgkmcnt(0)
	v_mul_f64 v[110:111], v[3:4], v[107:108]
	v_mul_f64 v[107:108], v[1:2], v[107:108]
	v_fma_f64 v[1:2], v[1:2], v[105:106], -v[110:111]
	v_fma_f64 v[3:4], v[3:4], v[105:106], v[107:108]
	buffer_store_dword v2, off, s[0:3], 0 offset:420
	buffer_store_dword v1, off, s[0:3], 0 offset:416
	;; [unrolled: 1-line block ×4, first 2 shown]
.LBB112_179:
	s_or_b32 exec_lo, exec_lo, s8
	v_mov_b32_e32 v4, s30
	v_cmp_lt_u32_e64 s4, 25, v0
	s_clause 0x3
	buffer_load_dword v1, v4, s[0:3], 0 offen
	buffer_load_dword v2, v4, s[0:3], 0 offen offset:4
	buffer_load_dword v3, v4, s[0:3], 0 offen offset:8
	;; [unrolled: 1-line block ×3, first 2 shown]
	s_waitcnt vmcnt(0)
	ds_write_b128 v104, v[1:4]
	s_waitcnt lgkmcnt(0)
	s_waitcnt_vscnt null, 0x0
	s_barrier
	buffer_gl0_inv
	s_and_saveexec_b32 s8, s4
	s_cbranch_execz .LBB112_187
; %bb.180:
	ds_read_b128 v[1:4], v104
	s_andn2_b32 vcc_lo, exec_lo, s56
	s_cbranch_vccnz .LBB112_182
; %bb.181:
	s_clause 0x3
	buffer_load_dword v105, v103, s[0:3], 0 offen offset:8
	buffer_load_dword v106, v103, s[0:3], 0 offen offset:12
	buffer_load_dword v107, v103, s[0:3], 0 offen
	buffer_load_dword v108, v103, s[0:3], 0 offen offset:4
	s_waitcnt vmcnt(2) lgkmcnt(0)
	v_mul_f64 v[110:111], v[3:4], v[105:106]
	v_mul_f64 v[105:106], v[1:2], v[105:106]
	s_waitcnt vmcnt(0)
	v_fma_f64 v[1:2], v[1:2], v[107:108], -v[110:111]
	v_fma_f64 v[3:4], v[3:4], v[107:108], v[105:106]
.LBB112_182:
	s_and_saveexec_b32 s57, s5
	s_cbranch_execz .LBB112_186
; %bb.183:
	v_subrev_nc_u32_e32 v105, 26, v0
	s_movk_i32 s58, 0x4b0
	s_mov_b32 s5, 0
	s_mov_b32 s59, s29
	.p2align	6
.LBB112_184:                            ; =>This Inner Loop Header: Depth=1
	v_mov_b32_e32 v108, s59
	v_add_nc_u32_e32 v105, -1, v105
	s_add_i32 s59, s59, 16
	s_clause 0x3
	buffer_load_dword v106, v108, s[0:3], 0 offen offset:8
	buffer_load_dword v107, v108, s[0:3], 0 offen offset:12
	buffer_load_dword v114, v108, s[0:3], 0 offen
	buffer_load_dword v115, v108, s[0:3], 0 offen offset:4
	v_mov_b32_e32 v108, s58
	v_cmp_eq_u32_e32 vcc_lo, 0, v105
	s_add_i32 s58, s58, 16
	ds_read_b128 v[110:113], v108
	s_or_b32 s5, vcc_lo, s5
	s_waitcnt vmcnt(2) lgkmcnt(0)
	v_mul_f64 v[116:117], v[112:113], v[106:107]
	v_mul_f64 v[106:107], v[110:111], v[106:107]
	s_waitcnt vmcnt(0)
	v_fma_f64 v[110:111], v[110:111], v[114:115], -v[116:117]
	v_fma_f64 v[106:107], v[112:113], v[114:115], v[106:107]
	v_add_f64 v[1:2], v[1:2], v[110:111]
	v_add_f64 v[3:4], v[3:4], v[106:107]
	s_andn2_b32 exec_lo, exec_lo, s5
	s_cbranch_execnz .LBB112_184
; %bb.185:
	s_or_b32 exec_lo, exec_lo, s5
.LBB112_186:
	s_or_b32 exec_lo, exec_lo, s57
	v_mov_b32_e32 v105, 0
	ds_read_b128 v[105:108], v105 offset:400
	s_waitcnt lgkmcnt(0)
	v_mul_f64 v[110:111], v[3:4], v[107:108]
	v_mul_f64 v[107:108], v[1:2], v[107:108]
	v_fma_f64 v[1:2], v[1:2], v[105:106], -v[110:111]
	v_fma_f64 v[3:4], v[3:4], v[105:106], v[107:108]
	buffer_store_dword v2, off, s[0:3], 0 offset:404
	buffer_store_dword v1, off, s[0:3], 0 offset:400
	;; [unrolled: 1-line block ×4, first 2 shown]
.LBB112_187:
	s_or_b32 exec_lo, exec_lo, s8
	v_mov_b32_e32 v4, s31
	v_cmp_lt_u32_e64 s5, 24, v0
	s_clause 0x3
	buffer_load_dword v1, v4, s[0:3], 0 offen
	buffer_load_dword v2, v4, s[0:3], 0 offen offset:4
	buffer_load_dword v3, v4, s[0:3], 0 offen offset:8
	;; [unrolled: 1-line block ×3, first 2 shown]
	s_waitcnt vmcnt(0)
	ds_write_b128 v104, v[1:4]
	s_waitcnt lgkmcnt(0)
	s_waitcnt_vscnt null, 0x0
	s_barrier
	buffer_gl0_inv
	s_and_saveexec_b32 s8, s5
	s_cbranch_execz .LBB112_195
; %bb.188:
	ds_read_b128 v[1:4], v104
	s_andn2_b32 vcc_lo, exec_lo, s56
	s_cbranch_vccnz .LBB112_190
; %bb.189:
	s_clause 0x3
	buffer_load_dword v105, v103, s[0:3], 0 offen offset:8
	buffer_load_dword v106, v103, s[0:3], 0 offen offset:12
	buffer_load_dword v107, v103, s[0:3], 0 offen
	buffer_load_dword v108, v103, s[0:3], 0 offen offset:4
	s_waitcnt vmcnt(2) lgkmcnt(0)
	v_mul_f64 v[110:111], v[3:4], v[105:106]
	v_mul_f64 v[105:106], v[1:2], v[105:106]
	s_waitcnt vmcnt(0)
	v_fma_f64 v[1:2], v[1:2], v[107:108], -v[110:111]
	v_fma_f64 v[3:4], v[3:4], v[107:108], v[105:106]
.LBB112_190:
	s_and_saveexec_b32 s57, s4
	s_cbranch_execz .LBB112_194
; %bb.191:
	v_subrev_nc_u32_e32 v105, 25, v0
	s_movk_i32 s58, 0x4a0
	s_mov_b32 s4, 0
	s_mov_b32 s59, s30
	.p2align	6
.LBB112_192:                            ; =>This Inner Loop Header: Depth=1
	v_mov_b32_e32 v108, s59
	v_add_nc_u32_e32 v105, -1, v105
	s_add_i32 s59, s59, 16
	s_clause 0x3
	buffer_load_dword v106, v108, s[0:3], 0 offen offset:8
	buffer_load_dword v107, v108, s[0:3], 0 offen offset:12
	buffer_load_dword v114, v108, s[0:3], 0 offen
	buffer_load_dword v115, v108, s[0:3], 0 offen offset:4
	v_mov_b32_e32 v108, s58
	v_cmp_eq_u32_e32 vcc_lo, 0, v105
	s_add_i32 s58, s58, 16
	ds_read_b128 v[110:113], v108
	s_or_b32 s4, vcc_lo, s4
	s_waitcnt vmcnt(2) lgkmcnt(0)
	v_mul_f64 v[116:117], v[112:113], v[106:107]
	v_mul_f64 v[106:107], v[110:111], v[106:107]
	s_waitcnt vmcnt(0)
	v_fma_f64 v[110:111], v[110:111], v[114:115], -v[116:117]
	v_fma_f64 v[106:107], v[112:113], v[114:115], v[106:107]
	v_add_f64 v[1:2], v[1:2], v[110:111]
	v_add_f64 v[3:4], v[3:4], v[106:107]
	s_andn2_b32 exec_lo, exec_lo, s4
	s_cbranch_execnz .LBB112_192
; %bb.193:
	s_or_b32 exec_lo, exec_lo, s4
.LBB112_194:
	s_or_b32 exec_lo, exec_lo, s57
	v_mov_b32_e32 v105, 0
	ds_read_b128 v[105:108], v105 offset:384
	s_waitcnt lgkmcnt(0)
	v_mul_f64 v[110:111], v[3:4], v[107:108]
	v_mul_f64 v[107:108], v[1:2], v[107:108]
	v_fma_f64 v[1:2], v[1:2], v[105:106], -v[110:111]
	v_fma_f64 v[3:4], v[3:4], v[105:106], v[107:108]
	buffer_store_dword v2, off, s[0:3], 0 offset:388
	buffer_store_dword v1, off, s[0:3], 0 offset:384
	;; [unrolled: 1-line block ×4, first 2 shown]
.LBB112_195:
	s_or_b32 exec_lo, exec_lo, s8
	v_mov_b32_e32 v4, s33
	v_cmp_lt_u32_e64 s4, 23, v0
	s_clause 0x3
	buffer_load_dword v1, v4, s[0:3], 0 offen
	buffer_load_dword v2, v4, s[0:3], 0 offen offset:4
	buffer_load_dword v3, v4, s[0:3], 0 offen offset:8
	;; [unrolled: 1-line block ×3, first 2 shown]
	s_waitcnt vmcnt(0)
	ds_write_b128 v104, v[1:4]
	s_waitcnt lgkmcnt(0)
	s_waitcnt_vscnt null, 0x0
	s_barrier
	buffer_gl0_inv
	s_and_saveexec_b32 s8, s4
	s_cbranch_execz .LBB112_203
; %bb.196:
	ds_read_b128 v[1:4], v104
	s_andn2_b32 vcc_lo, exec_lo, s56
	s_cbranch_vccnz .LBB112_198
; %bb.197:
	s_clause 0x3
	buffer_load_dword v105, v103, s[0:3], 0 offen offset:8
	buffer_load_dword v106, v103, s[0:3], 0 offen offset:12
	buffer_load_dword v107, v103, s[0:3], 0 offen
	buffer_load_dword v108, v103, s[0:3], 0 offen offset:4
	s_waitcnt vmcnt(2) lgkmcnt(0)
	v_mul_f64 v[110:111], v[3:4], v[105:106]
	v_mul_f64 v[105:106], v[1:2], v[105:106]
	s_waitcnt vmcnt(0)
	v_fma_f64 v[1:2], v[1:2], v[107:108], -v[110:111]
	v_fma_f64 v[3:4], v[3:4], v[107:108], v[105:106]
.LBB112_198:
	s_and_saveexec_b32 s57, s5
	s_cbranch_execz .LBB112_202
; %bb.199:
	v_subrev_nc_u32_e32 v105, 24, v0
	s_movk_i32 s58, 0x490
	s_mov_b32 s5, 0
	s_mov_b32 s59, s31
	.p2align	6
.LBB112_200:                            ; =>This Inner Loop Header: Depth=1
	v_mov_b32_e32 v108, s59
	v_add_nc_u32_e32 v105, -1, v105
	s_add_i32 s59, s59, 16
	s_clause 0x3
	buffer_load_dword v106, v108, s[0:3], 0 offen offset:8
	buffer_load_dword v107, v108, s[0:3], 0 offen offset:12
	buffer_load_dword v114, v108, s[0:3], 0 offen
	buffer_load_dword v115, v108, s[0:3], 0 offen offset:4
	v_mov_b32_e32 v108, s58
	v_cmp_eq_u32_e32 vcc_lo, 0, v105
	s_add_i32 s58, s58, 16
	ds_read_b128 v[110:113], v108
	s_or_b32 s5, vcc_lo, s5
	s_waitcnt vmcnt(2) lgkmcnt(0)
	v_mul_f64 v[116:117], v[112:113], v[106:107]
	v_mul_f64 v[106:107], v[110:111], v[106:107]
	s_waitcnt vmcnt(0)
	v_fma_f64 v[110:111], v[110:111], v[114:115], -v[116:117]
	v_fma_f64 v[106:107], v[112:113], v[114:115], v[106:107]
	v_add_f64 v[1:2], v[1:2], v[110:111]
	v_add_f64 v[3:4], v[3:4], v[106:107]
	s_andn2_b32 exec_lo, exec_lo, s5
	s_cbranch_execnz .LBB112_200
; %bb.201:
	s_or_b32 exec_lo, exec_lo, s5
.LBB112_202:
	s_or_b32 exec_lo, exec_lo, s57
	v_mov_b32_e32 v105, 0
	ds_read_b128 v[105:108], v105 offset:368
	s_waitcnt lgkmcnt(0)
	v_mul_f64 v[110:111], v[3:4], v[107:108]
	v_mul_f64 v[107:108], v[1:2], v[107:108]
	v_fma_f64 v[1:2], v[1:2], v[105:106], -v[110:111]
	v_fma_f64 v[3:4], v[3:4], v[105:106], v[107:108]
	buffer_store_dword v2, off, s[0:3], 0 offset:372
	buffer_store_dword v1, off, s[0:3], 0 offset:368
	;; [unrolled: 1-line block ×4, first 2 shown]
.LBB112_203:
	s_or_b32 exec_lo, exec_lo, s8
	v_mov_b32_e32 v4, s34
	v_cmp_lt_u32_e64 s5, 22, v0
	s_clause 0x3
	buffer_load_dword v1, v4, s[0:3], 0 offen
	buffer_load_dword v2, v4, s[0:3], 0 offen offset:4
	buffer_load_dword v3, v4, s[0:3], 0 offen offset:8
	;; [unrolled: 1-line block ×3, first 2 shown]
	s_waitcnt vmcnt(0)
	ds_write_b128 v104, v[1:4]
	s_waitcnt lgkmcnt(0)
	s_waitcnt_vscnt null, 0x0
	s_barrier
	buffer_gl0_inv
	s_and_saveexec_b32 s8, s5
	s_cbranch_execz .LBB112_211
; %bb.204:
	ds_read_b128 v[1:4], v104
	s_andn2_b32 vcc_lo, exec_lo, s56
	s_cbranch_vccnz .LBB112_206
; %bb.205:
	s_clause 0x3
	buffer_load_dword v105, v103, s[0:3], 0 offen offset:8
	buffer_load_dword v106, v103, s[0:3], 0 offen offset:12
	buffer_load_dword v107, v103, s[0:3], 0 offen
	buffer_load_dword v108, v103, s[0:3], 0 offen offset:4
	s_waitcnt vmcnt(2) lgkmcnt(0)
	v_mul_f64 v[110:111], v[3:4], v[105:106]
	v_mul_f64 v[105:106], v[1:2], v[105:106]
	s_waitcnt vmcnt(0)
	v_fma_f64 v[1:2], v[1:2], v[107:108], -v[110:111]
	v_fma_f64 v[3:4], v[3:4], v[107:108], v[105:106]
.LBB112_206:
	s_and_saveexec_b32 s57, s4
	s_cbranch_execz .LBB112_210
; %bb.207:
	v_subrev_nc_u32_e32 v105, 23, v0
	s_movk_i32 s58, 0x480
	s_mov_b32 s4, 0
	s_mov_b32 s59, s33
	.p2align	6
.LBB112_208:                            ; =>This Inner Loop Header: Depth=1
	v_mov_b32_e32 v108, s59
	v_add_nc_u32_e32 v105, -1, v105
	s_add_i32 s59, s59, 16
	s_clause 0x3
	buffer_load_dword v106, v108, s[0:3], 0 offen offset:8
	buffer_load_dword v107, v108, s[0:3], 0 offen offset:12
	buffer_load_dword v114, v108, s[0:3], 0 offen
	buffer_load_dword v115, v108, s[0:3], 0 offen offset:4
	v_mov_b32_e32 v108, s58
	v_cmp_eq_u32_e32 vcc_lo, 0, v105
	s_add_i32 s58, s58, 16
	ds_read_b128 v[110:113], v108
	s_or_b32 s4, vcc_lo, s4
	s_waitcnt vmcnt(2) lgkmcnt(0)
	v_mul_f64 v[116:117], v[112:113], v[106:107]
	v_mul_f64 v[106:107], v[110:111], v[106:107]
	s_waitcnt vmcnt(0)
	v_fma_f64 v[110:111], v[110:111], v[114:115], -v[116:117]
	v_fma_f64 v[106:107], v[112:113], v[114:115], v[106:107]
	v_add_f64 v[1:2], v[1:2], v[110:111]
	v_add_f64 v[3:4], v[3:4], v[106:107]
	s_andn2_b32 exec_lo, exec_lo, s4
	s_cbranch_execnz .LBB112_208
; %bb.209:
	s_or_b32 exec_lo, exec_lo, s4
.LBB112_210:
	s_or_b32 exec_lo, exec_lo, s57
	v_mov_b32_e32 v105, 0
	ds_read_b128 v[105:108], v105 offset:352
	s_waitcnt lgkmcnt(0)
	v_mul_f64 v[110:111], v[3:4], v[107:108]
	v_mul_f64 v[107:108], v[1:2], v[107:108]
	v_fma_f64 v[1:2], v[1:2], v[105:106], -v[110:111]
	v_fma_f64 v[3:4], v[3:4], v[105:106], v[107:108]
	buffer_store_dword v2, off, s[0:3], 0 offset:356
	buffer_store_dword v1, off, s[0:3], 0 offset:352
	;; [unrolled: 1-line block ×4, first 2 shown]
.LBB112_211:
	s_or_b32 exec_lo, exec_lo, s8
	v_mov_b32_e32 v4, s35
	v_cmp_lt_u32_e64 s4, 21, v0
	s_clause 0x3
	buffer_load_dword v1, v4, s[0:3], 0 offen
	buffer_load_dword v2, v4, s[0:3], 0 offen offset:4
	buffer_load_dword v3, v4, s[0:3], 0 offen offset:8
	;; [unrolled: 1-line block ×3, first 2 shown]
	s_waitcnt vmcnt(0)
	ds_write_b128 v104, v[1:4]
	s_waitcnt lgkmcnt(0)
	s_waitcnt_vscnt null, 0x0
	s_barrier
	buffer_gl0_inv
	s_and_saveexec_b32 s8, s4
	s_cbranch_execz .LBB112_219
; %bb.212:
	ds_read_b128 v[1:4], v104
	s_andn2_b32 vcc_lo, exec_lo, s56
	s_cbranch_vccnz .LBB112_214
; %bb.213:
	s_clause 0x3
	buffer_load_dword v105, v103, s[0:3], 0 offen offset:8
	buffer_load_dword v106, v103, s[0:3], 0 offen offset:12
	buffer_load_dword v107, v103, s[0:3], 0 offen
	buffer_load_dword v108, v103, s[0:3], 0 offen offset:4
	s_waitcnt vmcnt(2) lgkmcnt(0)
	v_mul_f64 v[110:111], v[3:4], v[105:106]
	v_mul_f64 v[105:106], v[1:2], v[105:106]
	s_waitcnt vmcnt(0)
	v_fma_f64 v[1:2], v[1:2], v[107:108], -v[110:111]
	v_fma_f64 v[3:4], v[3:4], v[107:108], v[105:106]
.LBB112_214:
	s_and_saveexec_b32 s57, s5
	s_cbranch_execz .LBB112_218
; %bb.215:
	v_subrev_nc_u32_e32 v105, 22, v0
	s_movk_i32 s58, 0x470
	s_mov_b32 s5, 0
	s_mov_b32 s59, s34
	.p2align	6
.LBB112_216:                            ; =>This Inner Loop Header: Depth=1
	v_mov_b32_e32 v108, s59
	v_add_nc_u32_e32 v105, -1, v105
	s_add_i32 s59, s59, 16
	s_clause 0x3
	buffer_load_dword v106, v108, s[0:3], 0 offen offset:8
	buffer_load_dword v107, v108, s[0:3], 0 offen offset:12
	buffer_load_dword v114, v108, s[0:3], 0 offen
	buffer_load_dword v115, v108, s[0:3], 0 offen offset:4
	v_mov_b32_e32 v108, s58
	v_cmp_eq_u32_e32 vcc_lo, 0, v105
	s_add_i32 s58, s58, 16
	ds_read_b128 v[110:113], v108
	s_or_b32 s5, vcc_lo, s5
	s_waitcnt vmcnt(2) lgkmcnt(0)
	v_mul_f64 v[116:117], v[112:113], v[106:107]
	v_mul_f64 v[106:107], v[110:111], v[106:107]
	s_waitcnt vmcnt(0)
	v_fma_f64 v[110:111], v[110:111], v[114:115], -v[116:117]
	v_fma_f64 v[106:107], v[112:113], v[114:115], v[106:107]
	v_add_f64 v[1:2], v[1:2], v[110:111]
	v_add_f64 v[3:4], v[3:4], v[106:107]
	s_andn2_b32 exec_lo, exec_lo, s5
	s_cbranch_execnz .LBB112_216
; %bb.217:
	s_or_b32 exec_lo, exec_lo, s5
.LBB112_218:
	s_or_b32 exec_lo, exec_lo, s57
	v_mov_b32_e32 v105, 0
	ds_read_b128 v[105:108], v105 offset:336
	s_waitcnt lgkmcnt(0)
	v_mul_f64 v[110:111], v[3:4], v[107:108]
	v_mul_f64 v[107:108], v[1:2], v[107:108]
	v_fma_f64 v[1:2], v[1:2], v[105:106], -v[110:111]
	v_fma_f64 v[3:4], v[3:4], v[105:106], v[107:108]
	buffer_store_dword v2, off, s[0:3], 0 offset:340
	buffer_store_dword v1, off, s[0:3], 0 offset:336
	buffer_store_dword v4, off, s[0:3], 0 offset:348
	buffer_store_dword v3, off, s[0:3], 0 offset:344
.LBB112_219:
	s_or_b32 exec_lo, exec_lo, s8
	v_mov_b32_e32 v4, s36
	v_cmp_lt_u32_e64 s5, 20, v0
	s_clause 0x3
	buffer_load_dword v1, v4, s[0:3], 0 offen
	buffer_load_dword v2, v4, s[0:3], 0 offen offset:4
	buffer_load_dword v3, v4, s[0:3], 0 offen offset:8
	;; [unrolled: 1-line block ×3, first 2 shown]
	s_waitcnt vmcnt(0)
	ds_write_b128 v104, v[1:4]
	s_waitcnt lgkmcnt(0)
	s_waitcnt_vscnt null, 0x0
	s_barrier
	buffer_gl0_inv
	s_and_saveexec_b32 s8, s5
	s_cbranch_execz .LBB112_227
; %bb.220:
	ds_read_b128 v[1:4], v104
	s_andn2_b32 vcc_lo, exec_lo, s56
	s_cbranch_vccnz .LBB112_222
; %bb.221:
	s_clause 0x3
	buffer_load_dword v105, v103, s[0:3], 0 offen offset:8
	buffer_load_dword v106, v103, s[0:3], 0 offen offset:12
	buffer_load_dword v107, v103, s[0:3], 0 offen
	buffer_load_dword v108, v103, s[0:3], 0 offen offset:4
	s_waitcnt vmcnt(2) lgkmcnt(0)
	v_mul_f64 v[110:111], v[3:4], v[105:106]
	v_mul_f64 v[105:106], v[1:2], v[105:106]
	s_waitcnt vmcnt(0)
	v_fma_f64 v[1:2], v[1:2], v[107:108], -v[110:111]
	v_fma_f64 v[3:4], v[3:4], v[107:108], v[105:106]
.LBB112_222:
	s_and_saveexec_b32 s57, s4
	s_cbranch_execz .LBB112_226
; %bb.223:
	v_subrev_nc_u32_e32 v105, 21, v0
	s_movk_i32 s58, 0x460
	s_mov_b32 s4, 0
	s_mov_b32 s59, s35
	.p2align	6
.LBB112_224:                            ; =>This Inner Loop Header: Depth=1
	v_mov_b32_e32 v108, s59
	v_add_nc_u32_e32 v105, -1, v105
	s_add_i32 s59, s59, 16
	s_clause 0x3
	buffer_load_dword v106, v108, s[0:3], 0 offen offset:8
	buffer_load_dword v107, v108, s[0:3], 0 offen offset:12
	buffer_load_dword v114, v108, s[0:3], 0 offen
	buffer_load_dword v115, v108, s[0:3], 0 offen offset:4
	v_mov_b32_e32 v108, s58
	v_cmp_eq_u32_e32 vcc_lo, 0, v105
	s_add_i32 s58, s58, 16
	ds_read_b128 v[110:113], v108
	s_or_b32 s4, vcc_lo, s4
	s_waitcnt vmcnt(2) lgkmcnt(0)
	v_mul_f64 v[116:117], v[112:113], v[106:107]
	v_mul_f64 v[106:107], v[110:111], v[106:107]
	s_waitcnt vmcnt(0)
	v_fma_f64 v[110:111], v[110:111], v[114:115], -v[116:117]
	v_fma_f64 v[106:107], v[112:113], v[114:115], v[106:107]
	v_add_f64 v[1:2], v[1:2], v[110:111]
	v_add_f64 v[3:4], v[3:4], v[106:107]
	s_andn2_b32 exec_lo, exec_lo, s4
	s_cbranch_execnz .LBB112_224
; %bb.225:
	s_or_b32 exec_lo, exec_lo, s4
.LBB112_226:
	s_or_b32 exec_lo, exec_lo, s57
	v_mov_b32_e32 v105, 0
	ds_read_b128 v[105:108], v105 offset:320
	s_waitcnt lgkmcnt(0)
	v_mul_f64 v[110:111], v[3:4], v[107:108]
	v_mul_f64 v[107:108], v[1:2], v[107:108]
	v_fma_f64 v[1:2], v[1:2], v[105:106], -v[110:111]
	v_fma_f64 v[3:4], v[3:4], v[105:106], v[107:108]
	buffer_store_dword v2, off, s[0:3], 0 offset:324
	buffer_store_dword v1, off, s[0:3], 0 offset:320
	;; [unrolled: 1-line block ×4, first 2 shown]
.LBB112_227:
	s_or_b32 exec_lo, exec_lo, s8
	v_mov_b32_e32 v4, s37
	v_cmp_lt_u32_e64 s4, 19, v0
	s_clause 0x3
	buffer_load_dword v1, v4, s[0:3], 0 offen
	buffer_load_dword v2, v4, s[0:3], 0 offen offset:4
	buffer_load_dword v3, v4, s[0:3], 0 offen offset:8
	;; [unrolled: 1-line block ×3, first 2 shown]
	s_waitcnt vmcnt(0)
	ds_write_b128 v104, v[1:4]
	s_waitcnt lgkmcnt(0)
	s_waitcnt_vscnt null, 0x0
	s_barrier
	buffer_gl0_inv
	s_and_saveexec_b32 s8, s4
	s_cbranch_execz .LBB112_235
; %bb.228:
	ds_read_b128 v[1:4], v104
	s_andn2_b32 vcc_lo, exec_lo, s56
	s_cbranch_vccnz .LBB112_230
; %bb.229:
	s_clause 0x3
	buffer_load_dword v105, v103, s[0:3], 0 offen offset:8
	buffer_load_dword v106, v103, s[0:3], 0 offen offset:12
	buffer_load_dword v107, v103, s[0:3], 0 offen
	buffer_load_dword v108, v103, s[0:3], 0 offen offset:4
	s_waitcnt vmcnt(2) lgkmcnt(0)
	v_mul_f64 v[110:111], v[3:4], v[105:106]
	v_mul_f64 v[105:106], v[1:2], v[105:106]
	s_waitcnt vmcnt(0)
	v_fma_f64 v[1:2], v[1:2], v[107:108], -v[110:111]
	v_fma_f64 v[3:4], v[3:4], v[107:108], v[105:106]
.LBB112_230:
	s_and_saveexec_b32 s57, s5
	s_cbranch_execz .LBB112_234
; %bb.231:
	v_subrev_nc_u32_e32 v105, 20, v0
	s_movk_i32 s58, 0x450
	s_mov_b32 s5, 0
	s_mov_b32 s59, s36
	.p2align	6
.LBB112_232:                            ; =>This Inner Loop Header: Depth=1
	v_mov_b32_e32 v108, s59
	v_add_nc_u32_e32 v105, -1, v105
	s_add_i32 s59, s59, 16
	s_clause 0x3
	buffer_load_dword v106, v108, s[0:3], 0 offen offset:8
	buffer_load_dword v107, v108, s[0:3], 0 offen offset:12
	buffer_load_dword v114, v108, s[0:3], 0 offen
	buffer_load_dword v115, v108, s[0:3], 0 offen offset:4
	v_mov_b32_e32 v108, s58
	v_cmp_eq_u32_e32 vcc_lo, 0, v105
	s_add_i32 s58, s58, 16
	ds_read_b128 v[110:113], v108
	s_or_b32 s5, vcc_lo, s5
	s_waitcnt vmcnt(2) lgkmcnt(0)
	v_mul_f64 v[116:117], v[112:113], v[106:107]
	v_mul_f64 v[106:107], v[110:111], v[106:107]
	s_waitcnt vmcnt(0)
	v_fma_f64 v[110:111], v[110:111], v[114:115], -v[116:117]
	v_fma_f64 v[106:107], v[112:113], v[114:115], v[106:107]
	v_add_f64 v[1:2], v[1:2], v[110:111]
	v_add_f64 v[3:4], v[3:4], v[106:107]
	s_andn2_b32 exec_lo, exec_lo, s5
	s_cbranch_execnz .LBB112_232
; %bb.233:
	s_or_b32 exec_lo, exec_lo, s5
.LBB112_234:
	s_or_b32 exec_lo, exec_lo, s57
	v_mov_b32_e32 v105, 0
	ds_read_b128 v[105:108], v105 offset:304
	s_waitcnt lgkmcnt(0)
	v_mul_f64 v[110:111], v[3:4], v[107:108]
	v_mul_f64 v[107:108], v[1:2], v[107:108]
	v_fma_f64 v[1:2], v[1:2], v[105:106], -v[110:111]
	v_fma_f64 v[3:4], v[3:4], v[105:106], v[107:108]
	buffer_store_dword v2, off, s[0:3], 0 offset:308
	buffer_store_dword v1, off, s[0:3], 0 offset:304
	;; [unrolled: 1-line block ×4, first 2 shown]
.LBB112_235:
	s_or_b32 exec_lo, exec_lo, s8
	v_mov_b32_e32 v4, s38
	v_cmp_lt_u32_e64 s5, 18, v0
	s_clause 0x3
	buffer_load_dword v1, v4, s[0:3], 0 offen
	buffer_load_dword v2, v4, s[0:3], 0 offen offset:4
	buffer_load_dword v3, v4, s[0:3], 0 offen offset:8
	buffer_load_dword v4, v4, s[0:3], 0 offen offset:12
	s_waitcnt vmcnt(0)
	ds_write_b128 v104, v[1:4]
	s_waitcnt lgkmcnt(0)
	s_waitcnt_vscnt null, 0x0
	s_barrier
	buffer_gl0_inv
	s_and_saveexec_b32 s8, s5
	s_cbranch_execz .LBB112_243
; %bb.236:
	ds_read_b128 v[1:4], v104
	s_andn2_b32 vcc_lo, exec_lo, s56
	s_cbranch_vccnz .LBB112_238
; %bb.237:
	s_clause 0x3
	buffer_load_dword v105, v103, s[0:3], 0 offen offset:8
	buffer_load_dword v106, v103, s[0:3], 0 offen offset:12
	buffer_load_dword v107, v103, s[0:3], 0 offen
	buffer_load_dword v108, v103, s[0:3], 0 offen offset:4
	s_waitcnt vmcnt(2) lgkmcnt(0)
	v_mul_f64 v[110:111], v[3:4], v[105:106]
	v_mul_f64 v[105:106], v[1:2], v[105:106]
	s_waitcnt vmcnt(0)
	v_fma_f64 v[1:2], v[1:2], v[107:108], -v[110:111]
	v_fma_f64 v[3:4], v[3:4], v[107:108], v[105:106]
.LBB112_238:
	s_and_saveexec_b32 s57, s4
	s_cbranch_execz .LBB112_242
; %bb.239:
	v_subrev_nc_u32_e32 v105, 19, v0
	s_movk_i32 s58, 0x440
	s_mov_b32 s4, 0
	s_mov_b32 s59, s37
	.p2align	6
.LBB112_240:                            ; =>This Inner Loop Header: Depth=1
	v_mov_b32_e32 v108, s59
	v_add_nc_u32_e32 v105, -1, v105
	s_add_i32 s59, s59, 16
	s_clause 0x3
	buffer_load_dword v106, v108, s[0:3], 0 offen offset:8
	buffer_load_dword v107, v108, s[0:3], 0 offen offset:12
	buffer_load_dword v114, v108, s[0:3], 0 offen
	buffer_load_dword v115, v108, s[0:3], 0 offen offset:4
	v_mov_b32_e32 v108, s58
	v_cmp_eq_u32_e32 vcc_lo, 0, v105
	s_add_i32 s58, s58, 16
	ds_read_b128 v[110:113], v108
	s_or_b32 s4, vcc_lo, s4
	s_waitcnt vmcnt(2) lgkmcnt(0)
	v_mul_f64 v[116:117], v[112:113], v[106:107]
	v_mul_f64 v[106:107], v[110:111], v[106:107]
	s_waitcnt vmcnt(0)
	v_fma_f64 v[110:111], v[110:111], v[114:115], -v[116:117]
	v_fma_f64 v[106:107], v[112:113], v[114:115], v[106:107]
	v_add_f64 v[1:2], v[1:2], v[110:111]
	v_add_f64 v[3:4], v[3:4], v[106:107]
	s_andn2_b32 exec_lo, exec_lo, s4
	s_cbranch_execnz .LBB112_240
; %bb.241:
	s_or_b32 exec_lo, exec_lo, s4
.LBB112_242:
	s_or_b32 exec_lo, exec_lo, s57
	v_mov_b32_e32 v105, 0
	ds_read_b128 v[105:108], v105 offset:288
	s_waitcnt lgkmcnt(0)
	v_mul_f64 v[110:111], v[3:4], v[107:108]
	v_mul_f64 v[107:108], v[1:2], v[107:108]
	v_fma_f64 v[1:2], v[1:2], v[105:106], -v[110:111]
	v_fma_f64 v[3:4], v[3:4], v[105:106], v[107:108]
	buffer_store_dword v2, off, s[0:3], 0 offset:292
	buffer_store_dword v1, off, s[0:3], 0 offset:288
	;; [unrolled: 1-line block ×4, first 2 shown]
.LBB112_243:
	s_or_b32 exec_lo, exec_lo, s8
	v_mov_b32_e32 v4, s39
	v_cmp_lt_u32_e64 s4, 17, v0
	s_clause 0x3
	buffer_load_dword v1, v4, s[0:3], 0 offen
	buffer_load_dword v2, v4, s[0:3], 0 offen offset:4
	buffer_load_dword v3, v4, s[0:3], 0 offen offset:8
	;; [unrolled: 1-line block ×3, first 2 shown]
	s_waitcnt vmcnt(0)
	ds_write_b128 v104, v[1:4]
	s_waitcnt lgkmcnt(0)
	s_waitcnt_vscnt null, 0x0
	s_barrier
	buffer_gl0_inv
	s_and_saveexec_b32 s8, s4
	s_cbranch_execz .LBB112_251
; %bb.244:
	ds_read_b128 v[1:4], v104
	s_andn2_b32 vcc_lo, exec_lo, s56
	s_cbranch_vccnz .LBB112_246
; %bb.245:
	s_clause 0x3
	buffer_load_dword v105, v103, s[0:3], 0 offen offset:8
	buffer_load_dword v106, v103, s[0:3], 0 offen offset:12
	buffer_load_dword v107, v103, s[0:3], 0 offen
	buffer_load_dword v108, v103, s[0:3], 0 offen offset:4
	s_waitcnt vmcnt(2) lgkmcnt(0)
	v_mul_f64 v[110:111], v[3:4], v[105:106]
	v_mul_f64 v[105:106], v[1:2], v[105:106]
	s_waitcnt vmcnt(0)
	v_fma_f64 v[1:2], v[1:2], v[107:108], -v[110:111]
	v_fma_f64 v[3:4], v[3:4], v[107:108], v[105:106]
.LBB112_246:
	s_and_saveexec_b32 s57, s5
	s_cbranch_execz .LBB112_250
; %bb.247:
	v_subrev_nc_u32_e32 v105, 18, v0
	s_movk_i32 s58, 0x430
	s_mov_b32 s5, 0
	s_mov_b32 s59, s38
	.p2align	6
.LBB112_248:                            ; =>This Inner Loop Header: Depth=1
	v_mov_b32_e32 v108, s59
	v_add_nc_u32_e32 v105, -1, v105
	s_add_i32 s59, s59, 16
	s_clause 0x3
	buffer_load_dword v106, v108, s[0:3], 0 offen offset:8
	buffer_load_dword v107, v108, s[0:3], 0 offen offset:12
	buffer_load_dword v114, v108, s[0:3], 0 offen
	buffer_load_dword v115, v108, s[0:3], 0 offen offset:4
	v_mov_b32_e32 v108, s58
	v_cmp_eq_u32_e32 vcc_lo, 0, v105
	s_add_i32 s58, s58, 16
	ds_read_b128 v[110:113], v108
	s_or_b32 s5, vcc_lo, s5
	s_waitcnt vmcnt(2) lgkmcnt(0)
	v_mul_f64 v[116:117], v[112:113], v[106:107]
	v_mul_f64 v[106:107], v[110:111], v[106:107]
	s_waitcnt vmcnt(0)
	v_fma_f64 v[110:111], v[110:111], v[114:115], -v[116:117]
	v_fma_f64 v[106:107], v[112:113], v[114:115], v[106:107]
	v_add_f64 v[1:2], v[1:2], v[110:111]
	v_add_f64 v[3:4], v[3:4], v[106:107]
	s_andn2_b32 exec_lo, exec_lo, s5
	s_cbranch_execnz .LBB112_248
; %bb.249:
	s_or_b32 exec_lo, exec_lo, s5
.LBB112_250:
	s_or_b32 exec_lo, exec_lo, s57
	v_mov_b32_e32 v105, 0
	ds_read_b128 v[105:108], v105 offset:272
	s_waitcnt lgkmcnt(0)
	v_mul_f64 v[110:111], v[3:4], v[107:108]
	v_mul_f64 v[107:108], v[1:2], v[107:108]
	v_fma_f64 v[1:2], v[1:2], v[105:106], -v[110:111]
	v_fma_f64 v[3:4], v[3:4], v[105:106], v[107:108]
	buffer_store_dword v2, off, s[0:3], 0 offset:276
	buffer_store_dword v1, off, s[0:3], 0 offset:272
	;; [unrolled: 1-line block ×4, first 2 shown]
.LBB112_251:
	s_or_b32 exec_lo, exec_lo, s8
	v_mov_b32_e32 v4, s40
	v_cmp_lt_u32_e64 s5, 16, v0
	s_clause 0x3
	buffer_load_dword v1, v4, s[0:3], 0 offen
	buffer_load_dword v2, v4, s[0:3], 0 offen offset:4
	buffer_load_dword v3, v4, s[0:3], 0 offen offset:8
	;; [unrolled: 1-line block ×3, first 2 shown]
	s_waitcnt vmcnt(0)
	ds_write_b128 v104, v[1:4]
	s_waitcnt lgkmcnt(0)
	s_waitcnt_vscnt null, 0x0
	s_barrier
	buffer_gl0_inv
	s_and_saveexec_b32 s8, s5
	s_cbranch_execz .LBB112_259
; %bb.252:
	ds_read_b128 v[1:4], v104
	s_andn2_b32 vcc_lo, exec_lo, s56
	s_cbranch_vccnz .LBB112_254
; %bb.253:
	s_clause 0x3
	buffer_load_dword v105, v103, s[0:3], 0 offen offset:8
	buffer_load_dword v106, v103, s[0:3], 0 offen offset:12
	buffer_load_dword v107, v103, s[0:3], 0 offen
	buffer_load_dword v108, v103, s[0:3], 0 offen offset:4
	s_waitcnt vmcnt(2) lgkmcnt(0)
	v_mul_f64 v[110:111], v[3:4], v[105:106]
	v_mul_f64 v[105:106], v[1:2], v[105:106]
	s_waitcnt vmcnt(0)
	v_fma_f64 v[1:2], v[1:2], v[107:108], -v[110:111]
	v_fma_f64 v[3:4], v[3:4], v[107:108], v[105:106]
.LBB112_254:
	s_and_saveexec_b32 s57, s4
	s_cbranch_execz .LBB112_258
; %bb.255:
	v_subrev_nc_u32_e32 v105, 17, v0
	s_movk_i32 s58, 0x420
	s_mov_b32 s4, 0
	s_mov_b32 s59, s39
	.p2align	6
.LBB112_256:                            ; =>This Inner Loop Header: Depth=1
	v_mov_b32_e32 v108, s59
	v_add_nc_u32_e32 v105, -1, v105
	s_add_i32 s59, s59, 16
	s_clause 0x3
	buffer_load_dword v106, v108, s[0:3], 0 offen offset:8
	buffer_load_dword v107, v108, s[0:3], 0 offen offset:12
	buffer_load_dword v114, v108, s[0:3], 0 offen
	buffer_load_dword v115, v108, s[0:3], 0 offen offset:4
	v_mov_b32_e32 v108, s58
	v_cmp_eq_u32_e32 vcc_lo, 0, v105
	s_add_i32 s58, s58, 16
	ds_read_b128 v[110:113], v108
	s_or_b32 s4, vcc_lo, s4
	s_waitcnt vmcnt(2) lgkmcnt(0)
	v_mul_f64 v[116:117], v[112:113], v[106:107]
	v_mul_f64 v[106:107], v[110:111], v[106:107]
	s_waitcnt vmcnt(0)
	v_fma_f64 v[110:111], v[110:111], v[114:115], -v[116:117]
	v_fma_f64 v[106:107], v[112:113], v[114:115], v[106:107]
	v_add_f64 v[1:2], v[1:2], v[110:111]
	v_add_f64 v[3:4], v[3:4], v[106:107]
	s_andn2_b32 exec_lo, exec_lo, s4
	s_cbranch_execnz .LBB112_256
; %bb.257:
	s_or_b32 exec_lo, exec_lo, s4
.LBB112_258:
	s_or_b32 exec_lo, exec_lo, s57
	v_mov_b32_e32 v105, 0
	ds_read_b128 v[105:108], v105 offset:256
	s_waitcnt lgkmcnt(0)
	v_mul_f64 v[110:111], v[3:4], v[107:108]
	v_mul_f64 v[107:108], v[1:2], v[107:108]
	v_fma_f64 v[1:2], v[1:2], v[105:106], -v[110:111]
	v_fma_f64 v[3:4], v[3:4], v[105:106], v[107:108]
	buffer_store_dword v2, off, s[0:3], 0 offset:260
	buffer_store_dword v1, off, s[0:3], 0 offset:256
	;; [unrolled: 1-line block ×4, first 2 shown]
.LBB112_259:
	s_or_b32 exec_lo, exec_lo, s8
	v_mov_b32_e32 v4, s41
	v_cmp_lt_u32_e64 s4, 15, v0
	s_clause 0x3
	buffer_load_dword v1, v4, s[0:3], 0 offen
	buffer_load_dword v2, v4, s[0:3], 0 offen offset:4
	buffer_load_dword v3, v4, s[0:3], 0 offen offset:8
	;; [unrolled: 1-line block ×3, first 2 shown]
	s_waitcnt vmcnt(0)
	ds_write_b128 v104, v[1:4]
	s_waitcnt lgkmcnt(0)
	s_waitcnt_vscnt null, 0x0
	s_barrier
	buffer_gl0_inv
	s_and_saveexec_b32 s8, s4
	s_cbranch_execz .LBB112_267
; %bb.260:
	ds_read_b128 v[1:4], v104
	s_andn2_b32 vcc_lo, exec_lo, s56
	s_cbranch_vccnz .LBB112_262
; %bb.261:
	s_clause 0x3
	buffer_load_dword v105, v103, s[0:3], 0 offen offset:8
	buffer_load_dword v106, v103, s[0:3], 0 offen offset:12
	buffer_load_dword v107, v103, s[0:3], 0 offen
	buffer_load_dword v108, v103, s[0:3], 0 offen offset:4
	s_waitcnt vmcnt(2) lgkmcnt(0)
	v_mul_f64 v[110:111], v[3:4], v[105:106]
	v_mul_f64 v[105:106], v[1:2], v[105:106]
	s_waitcnt vmcnt(0)
	v_fma_f64 v[1:2], v[1:2], v[107:108], -v[110:111]
	v_fma_f64 v[3:4], v[3:4], v[107:108], v[105:106]
.LBB112_262:
	s_and_saveexec_b32 s57, s5
	s_cbranch_execz .LBB112_266
; %bb.263:
	v_add_nc_u32_e32 v105, -16, v0
	s_movk_i32 s58, 0x410
	s_mov_b32 s5, 0
	s_mov_b32 s59, s40
	.p2align	6
.LBB112_264:                            ; =>This Inner Loop Header: Depth=1
	v_mov_b32_e32 v108, s59
	v_add_nc_u32_e32 v105, -1, v105
	s_add_i32 s59, s59, 16
	s_clause 0x3
	buffer_load_dword v106, v108, s[0:3], 0 offen offset:8
	buffer_load_dword v107, v108, s[0:3], 0 offen offset:12
	buffer_load_dword v114, v108, s[0:3], 0 offen
	buffer_load_dword v115, v108, s[0:3], 0 offen offset:4
	v_mov_b32_e32 v108, s58
	v_cmp_eq_u32_e32 vcc_lo, 0, v105
	s_add_i32 s58, s58, 16
	ds_read_b128 v[110:113], v108
	s_or_b32 s5, vcc_lo, s5
	s_waitcnt vmcnt(2) lgkmcnt(0)
	v_mul_f64 v[116:117], v[112:113], v[106:107]
	v_mul_f64 v[106:107], v[110:111], v[106:107]
	s_waitcnt vmcnt(0)
	v_fma_f64 v[110:111], v[110:111], v[114:115], -v[116:117]
	v_fma_f64 v[106:107], v[112:113], v[114:115], v[106:107]
	v_add_f64 v[1:2], v[1:2], v[110:111]
	v_add_f64 v[3:4], v[3:4], v[106:107]
	s_andn2_b32 exec_lo, exec_lo, s5
	s_cbranch_execnz .LBB112_264
; %bb.265:
	s_or_b32 exec_lo, exec_lo, s5
.LBB112_266:
	s_or_b32 exec_lo, exec_lo, s57
	v_mov_b32_e32 v105, 0
	ds_read_b128 v[105:108], v105 offset:240
	s_waitcnt lgkmcnt(0)
	v_mul_f64 v[110:111], v[3:4], v[107:108]
	v_mul_f64 v[107:108], v[1:2], v[107:108]
	v_fma_f64 v[1:2], v[1:2], v[105:106], -v[110:111]
	v_fma_f64 v[3:4], v[3:4], v[105:106], v[107:108]
	buffer_store_dword v2, off, s[0:3], 0 offset:244
	buffer_store_dword v1, off, s[0:3], 0 offset:240
	;; [unrolled: 1-line block ×4, first 2 shown]
.LBB112_267:
	s_or_b32 exec_lo, exec_lo, s8
	v_mov_b32_e32 v4, s42
	v_cmp_lt_u32_e64 s5, 14, v0
	s_clause 0x3
	buffer_load_dword v1, v4, s[0:3], 0 offen
	buffer_load_dword v2, v4, s[0:3], 0 offen offset:4
	buffer_load_dword v3, v4, s[0:3], 0 offen offset:8
	;; [unrolled: 1-line block ×3, first 2 shown]
	s_waitcnt vmcnt(0)
	ds_write_b128 v104, v[1:4]
	s_waitcnt lgkmcnt(0)
	s_waitcnt_vscnt null, 0x0
	s_barrier
	buffer_gl0_inv
	s_and_saveexec_b32 s8, s5
	s_cbranch_execz .LBB112_275
; %bb.268:
	ds_read_b128 v[1:4], v104
	s_andn2_b32 vcc_lo, exec_lo, s56
	s_cbranch_vccnz .LBB112_270
; %bb.269:
	s_clause 0x3
	buffer_load_dword v105, v103, s[0:3], 0 offen offset:8
	buffer_load_dword v106, v103, s[0:3], 0 offen offset:12
	buffer_load_dword v107, v103, s[0:3], 0 offen
	buffer_load_dword v108, v103, s[0:3], 0 offen offset:4
	s_waitcnt vmcnt(2) lgkmcnt(0)
	v_mul_f64 v[110:111], v[3:4], v[105:106]
	v_mul_f64 v[105:106], v[1:2], v[105:106]
	s_waitcnt vmcnt(0)
	v_fma_f64 v[1:2], v[1:2], v[107:108], -v[110:111]
	v_fma_f64 v[3:4], v[3:4], v[107:108], v[105:106]
.LBB112_270:
	s_and_saveexec_b32 s57, s4
	s_cbranch_execz .LBB112_274
; %bb.271:
	v_add_nc_u32_e32 v105, -15, v0
	s_movk_i32 s58, 0x400
	s_mov_b32 s4, 0
	s_mov_b32 s59, s41
	.p2align	6
.LBB112_272:                            ; =>This Inner Loop Header: Depth=1
	v_mov_b32_e32 v108, s59
	v_add_nc_u32_e32 v105, -1, v105
	s_add_i32 s59, s59, 16
	s_clause 0x3
	buffer_load_dword v106, v108, s[0:3], 0 offen offset:8
	buffer_load_dword v107, v108, s[0:3], 0 offen offset:12
	buffer_load_dword v114, v108, s[0:3], 0 offen
	buffer_load_dword v115, v108, s[0:3], 0 offen offset:4
	v_mov_b32_e32 v108, s58
	v_cmp_eq_u32_e32 vcc_lo, 0, v105
	s_add_i32 s58, s58, 16
	ds_read_b128 v[110:113], v108
	s_or_b32 s4, vcc_lo, s4
	s_waitcnt vmcnt(2) lgkmcnt(0)
	v_mul_f64 v[116:117], v[112:113], v[106:107]
	v_mul_f64 v[106:107], v[110:111], v[106:107]
	s_waitcnt vmcnt(0)
	v_fma_f64 v[110:111], v[110:111], v[114:115], -v[116:117]
	v_fma_f64 v[106:107], v[112:113], v[114:115], v[106:107]
	v_add_f64 v[1:2], v[1:2], v[110:111]
	v_add_f64 v[3:4], v[3:4], v[106:107]
	s_andn2_b32 exec_lo, exec_lo, s4
	s_cbranch_execnz .LBB112_272
; %bb.273:
	s_or_b32 exec_lo, exec_lo, s4
.LBB112_274:
	s_or_b32 exec_lo, exec_lo, s57
	v_mov_b32_e32 v105, 0
	ds_read_b128 v[105:108], v105 offset:224
	s_waitcnt lgkmcnt(0)
	v_mul_f64 v[110:111], v[3:4], v[107:108]
	v_mul_f64 v[107:108], v[1:2], v[107:108]
	v_fma_f64 v[1:2], v[1:2], v[105:106], -v[110:111]
	v_fma_f64 v[3:4], v[3:4], v[105:106], v[107:108]
	buffer_store_dword v2, off, s[0:3], 0 offset:228
	buffer_store_dword v1, off, s[0:3], 0 offset:224
	;; [unrolled: 1-line block ×4, first 2 shown]
.LBB112_275:
	s_or_b32 exec_lo, exec_lo, s8
	v_mov_b32_e32 v4, s43
	v_cmp_lt_u32_e64 s4, 13, v0
	s_clause 0x3
	buffer_load_dword v1, v4, s[0:3], 0 offen
	buffer_load_dword v2, v4, s[0:3], 0 offen offset:4
	buffer_load_dword v3, v4, s[0:3], 0 offen offset:8
	;; [unrolled: 1-line block ×3, first 2 shown]
	s_waitcnt vmcnt(0)
	ds_write_b128 v104, v[1:4]
	s_waitcnt lgkmcnt(0)
	s_waitcnt_vscnt null, 0x0
	s_barrier
	buffer_gl0_inv
	s_and_saveexec_b32 s8, s4
	s_cbranch_execz .LBB112_283
; %bb.276:
	ds_read_b128 v[1:4], v104
	s_andn2_b32 vcc_lo, exec_lo, s56
	s_cbranch_vccnz .LBB112_278
; %bb.277:
	s_clause 0x3
	buffer_load_dword v105, v103, s[0:3], 0 offen offset:8
	buffer_load_dword v106, v103, s[0:3], 0 offen offset:12
	buffer_load_dword v107, v103, s[0:3], 0 offen
	buffer_load_dword v108, v103, s[0:3], 0 offen offset:4
	s_waitcnt vmcnt(2) lgkmcnt(0)
	v_mul_f64 v[110:111], v[3:4], v[105:106]
	v_mul_f64 v[105:106], v[1:2], v[105:106]
	s_waitcnt vmcnt(0)
	v_fma_f64 v[1:2], v[1:2], v[107:108], -v[110:111]
	v_fma_f64 v[3:4], v[3:4], v[107:108], v[105:106]
.LBB112_278:
	s_and_saveexec_b32 s57, s5
	s_cbranch_execz .LBB112_282
; %bb.279:
	v_add_nc_u32_e32 v105, -14, v0
	s_movk_i32 s58, 0x3f0
	s_mov_b32 s5, 0
	s_mov_b32 s59, s42
	.p2align	6
.LBB112_280:                            ; =>This Inner Loop Header: Depth=1
	v_mov_b32_e32 v108, s59
	v_add_nc_u32_e32 v105, -1, v105
	s_add_i32 s59, s59, 16
	s_clause 0x3
	buffer_load_dword v106, v108, s[0:3], 0 offen offset:8
	buffer_load_dword v107, v108, s[0:3], 0 offen offset:12
	buffer_load_dword v114, v108, s[0:3], 0 offen
	buffer_load_dword v115, v108, s[0:3], 0 offen offset:4
	v_mov_b32_e32 v108, s58
	v_cmp_eq_u32_e32 vcc_lo, 0, v105
	s_add_i32 s58, s58, 16
	ds_read_b128 v[110:113], v108
	s_or_b32 s5, vcc_lo, s5
	s_waitcnt vmcnt(2) lgkmcnt(0)
	v_mul_f64 v[116:117], v[112:113], v[106:107]
	v_mul_f64 v[106:107], v[110:111], v[106:107]
	s_waitcnt vmcnt(0)
	v_fma_f64 v[110:111], v[110:111], v[114:115], -v[116:117]
	v_fma_f64 v[106:107], v[112:113], v[114:115], v[106:107]
	v_add_f64 v[1:2], v[1:2], v[110:111]
	v_add_f64 v[3:4], v[3:4], v[106:107]
	s_andn2_b32 exec_lo, exec_lo, s5
	s_cbranch_execnz .LBB112_280
; %bb.281:
	s_or_b32 exec_lo, exec_lo, s5
.LBB112_282:
	s_or_b32 exec_lo, exec_lo, s57
	v_mov_b32_e32 v105, 0
	ds_read_b128 v[105:108], v105 offset:208
	s_waitcnt lgkmcnt(0)
	v_mul_f64 v[110:111], v[3:4], v[107:108]
	v_mul_f64 v[107:108], v[1:2], v[107:108]
	v_fma_f64 v[1:2], v[1:2], v[105:106], -v[110:111]
	v_fma_f64 v[3:4], v[3:4], v[105:106], v[107:108]
	buffer_store_dword v2, off, s[0:3], 0 offset:212
	buffer_store_dword v1, off, s[0:3], 0 offset:208
	;; [unrolled: 1-line block ×4, first 2 shown]
.LBB112_283:
	s_or_b32 exec_lo, exec_lo, s8
	v_mov_b32_e32 v4, s44
	v_cmp_lt_u32_e64 s5, 12, v0
	s_clause 0x3
	buffer_load_dword v1, v4, s[0:3], 0 offen
	buffer_load_dword v2, v4, s[0:3], 0 offen offset:4
	buffer_load_dword v3, v4, s[0:3], 0 offen offset:8
	;; [unrolled: 1-line block ×3, first 2 shown]
	s_waitcnt vmcnt(0)
	ds_write_b128 v104, v[1:4]
	s_waitcnt lgkmcnt(0)
	s_waitcnt_vscnt null, 0x0
	s_barrier
	buffer_gl0_inv
	s_and_saveexec_b32 s8, s5
	s_cbranch_execz .LBB112_291
; %bb.284:
	ds_read_b128 v[1:4], v104
	s_andn2_b32 vcc_lo, exec_lo, s56
	s_cbranch_vccnz .LBB112_286
; %bb.285:
	s_clause 0x3
	buffer_load_dword v105, v103, s[0:3], 0 offen offset:8
	buffer_load_dword v106, v103, s[0:3], 0 offen offset:12
	buffer_load_dword v107, v103, s[0:3], 0 offen
	buffer_load_dword v108, v103, s[0:3], 0 offen offset:4
	s_waitcnt vmcnt(2) lgkmcnt(0)
	v_mul_f64 v[110:111], v[3:4], v[105:106]
	v_mul_f64 v[105:106], v[1:2], v[105:106]
	s_waitcnt vmcnt(0)
	v_fma_f64 v[1:2], v[1:2], v[107:108], -v[110:111]
	v_fma_f64 v[3:4], v[3:4], v[107:108], v[105:106]
.LBB112_286:
	s_and_saveexec_b32 s57, s4
	s_cbranch_execz .LBB112_290
; %bb.287:
	v_add_nc_u32_e32 v105, -13, v0
	s_movk_i32 s58, 0x3e0
	s_mov_b32 s4, 0
	s_mov_b32 s59, s43
	.p2align	6
.LBB112_288:                            ; =>This Inner Loop Header: Depth=1
	v_mov_b32_e32 v108, s59
	v_add_nc_u32_e32 v105, -1, v105
	s_add_i32 s59, s59, 16
	s_clause 0x3
	buffer_load_dword v106, v108, s[0:3], 0 offen offset:8
	buffer_load_dword v107, v108, s[0:3], 0 offen offset:12
	buffer_load_dword v114, v108, s[0:3], 0 offen
	buffer_load_dword v115, v108, s[0:3], 0 offen offset:4
	v_mov_b32_e32 v108, s58
	v_cmp_eq_u32_e32 vcc_lo, 0, v105
	s_add_i32 s58, s58, 16
	ds_read_b128 v[110:113], v108
	s_or_b32 s4, vcc_lo, s4
	s_waitcnt vmcnt(2) lgkmcnt(0)
	v_mul_f64 v[116:117], v[112:113], v[106:107]
	v_mul_f64 v[106:107], v[110:111], v[106:107]
	s_waitcnt vmcnt(0)
	v_fma_f64 v[110:111], v[110:111], v[114:115], -v[116:117]
	v_fma_f64 v[106:107], v[112:113], v[114:115], v[106:107]
	v_add_f64 v[1:2], v[1:2], v[110:111]
	v_add_f64 v[3:4], v[3:4], v[106:107]
	s_andn2_b32 exec_lo, exec_lo, s4
	s_cbranch_execnz .LBB112_288
; %bb.289:
	s_or_b32 exec_lo, exec_lo, s4
.LBB112_290:
	s_or_b32 exec_lo, exec_lo, s57
	v_mov_b32_e32 v105, 0
	ds_read_b128 v[105:108], v105 offset:192
	s_waitcnt lgkmcnt(0)
	v_mul_f64 v[110:111], v[3:4], v[107:108]
	v_mul_f64 v[107:108], v[1:2], v[107:108]
	v_fma_f64 v[1:2], v[1:2], v[105:106], -v[110:111]
	v_fma_f64 v[3:4], v[3:4], v[105:106], v[107:108]
	buffer_store_dword v2, off, s[0:3], 0 offset:196
	buffer_store_dword v1, off, s[0:3], 0 offset:192
	;; [unrolled: 1-line block ×4, first 2 shown]
.LBB112_291:
	s_or_b32 exec_lo, exec_lo, s8
	v_mov_b32_e32 v4, s45
	v_cmp_lt_u32_e64 s4, 11, v0
	s_clause 0x3
	buffer_load_dword v1, v4, s[0:3], 0 offen
	buffer_load_dword v2, v4, s[0:3], 0 offen offset:4
	buffer_load_dword v3, v4, s[0:3], 0 offen offset:8
	;; [unrolled: 1-line block ×3, first 2 shown]
	s_waitcnt vmcnt(0)
	ds_write_b128 v104, v[1:4]
	s_waitcnt lgkmcnt(0)
	s_waitcnt_vscnt null, 0x0
	s_barrier
	buffer_gl0_inv
	s_and_saveexec_b32 s8, s4
	s_cbranch_execz .LBB112_299
; %bb.292:
	ds_read_b128 v[1:4], v104
	s_andn2_b32 vcc_lo, exec_lo, s56
	s_cbranch_vccnz .LBB112_294
; %bb.293:
	s_clause 0x3
	buffer_load_dword v105, v103, s[0:3], 0 offen offset:8
	buffer_load_dword v106, v103, s[0:3], 0 offen offset:12
	buffer_load_dword v107, v103, s[0:3], 0 offen
	buffer_load_dword v108, v103, s[0:3], 0 offen offset:4
	s_waitcnt vmcnt(2) lgkmcnt(0)
	v_mul_f64 v[110:111], v[3:4], v[105:106]
	v_mul_f64 v[105:106], v[1:2], v[105:106]
	s_waitcnt vmcnt(0)
	v_fma_f64 v[1:2], v[1:2], v[107:108], -v[110:111]
	v_fma_f64 v[3:4], v[3:4], v[107:108], v[105:106]
.LBB112_294:
	s_and_saveexec_b32 s57, s5
	s_cbranch_execz .LBB112_298
; %bb.295:
	v_add_nc_u32_e32 v105, -12, v0
	s_movk_i32 s58, 0x3d0
	s_mov_b32 s5, 0
	s_mov_b32 s59, s44
	.p2align	6
.LBB112_296:                            ; =>This Inner Loop Header: Depth=1
	v_mov_b32_e32 v108, s59
	v_add_nc_u32_e32 v105, -1, v105
	s_add_i32 s59, s59, 16
	s_clause 0x3
	buffer_load_dword v106, v108, s[0:3], 0 offen offset:8
	buffer_load_dword v107, v108, s[0:3], 0 offen offset:12
	buffer_load_dword v114, v108, s[0:3], 0 offen
	buffer_load_dword v115, v108, s[0:3], 0 offen offset:4
	v_mov_b32_e32 v108, s58
	v_cmp_eq_u32_e32 vcc_lo, 0, v105
	s_add_i32 s58, s58, 16
	ds_read_b128 v[110:113], v108
	s_or_b32 s5, vcc_lo, s5
	s_waitcnt vmcnt(2) lgkmcnt(0)
	v_mul_f64 v[116:117], v[112:113], v[106:107]
	v_mul_f64 v[106:107], v[110:111], v[106:107]
	s_waitcnt vmcnt(0)
	v_fma_f64 v[110:111], v[110:111], v[114:115], -v[116:117]
	v_fma_f64 v[106:107], v[112:113], v[114:115], v[106:107]
	v_add_f64 v[1:2], v[1:2], v[110:111]
	v_add_f64 v[3:4], v[3:4], v[106:107]
	s_andn2_b32 exec_lo, exec_lo, s5
	s_cbranch_execnz .LBB112_296
; %bb.297:
	s_or_b32 exec_lo, exec_lo, s5
.LBB112_298:
	s_or_b32 exec_lo, exec_lo, s57
	v_mov_b32_e32 v105, 0
	ds_read_b128 v[105:108], v105 offset:176
	s_waitcnt lgkmcnt(0)
	v_mul_f64 v[110:111], v[3:4], v[107:108]
	v_mul_f64 v[107:108], v[1:2], v[107:108]
	v_fma_f64 v[1:2], v[1:2], v[105:106], -v[110:111]
	v_fma_f64 v[3:4], v[3:4], v[105:106], v[107:108]
	buffer_store_dword v2, off, s[0:3], 0 offset:180
	buffer_store_dword v1, off, s[0:3], 0 offset:176
	;; [unrolled: 1-line block ×4, first 2 shown]
.LBB112_299:
	s_or_b32 exec_lo, exec_lo, s8
	v_mov_b32_e32 v4, s46
	v_cmp_lt_u32_e64 s5, 10, v0
	s_clause 0x3
	buffer_load_dword v1, v4, s[0:3], 0 offen
	buffer_load_dword v2, v4, s[0:3], 0 offen offset:4
	buffer_load_dword v3, v4, s[0:3], 0 offen offset:8
	;; [unrolled: 1-line block ×3, first 2 shown]
	s_waitcnt vmcnt(0)
	ds_write_b128 v104, v[1:4]
	s_waitcnt lgkmcnt(0)
	s_waitcnt_vscnt null, 0x0
	s_barrier
	buffer_gl0_inv
	s_and_saveexec_b32 s8, s5
	s_cbranch_execz .LBB112_307
; %bb.300:
	ds_read_b128 v[1:4], v104
	s_andn2_b32 vcc_lo, exec_lo, s56
	s_cbranch_vccnz .LBB112_302
; %bb.301:
	s_clause 0x3
	buffer_load_dword v105, v103, s[0:3], 0 offen offset:8
	buffer_load_dword v106, v103, s[0:3], 0 offen offset:12
	buffer_load_dword v107, v103, s[0:3], 0 offen
	buffer_load_dword v108, v103, s[0:3], 0 offen offset:4
	s_waitcnt vmcnt(2) lgkmcnt(0)
	v_mul_f64 v[110:111], v[3:4], v[105:106]
	v_mul_f64 v[105:106], v[1:2], v[105:106]
	s_waitcnt vmcnt(0)
	v_fma_f64 v[1:2], v[1:2], v[107:108], -v[110:111]
	v_fma_f64 v[3:4], v[3:4], v[107:108], v[105:106]
.LBB112_302:
	s_and_saveexec_b32 s57, s4
	s_cbranch_execz .LBB112_306
; %bb.303:
	v_add_nc_u32_e32 v105, -11, v0
	s_movk_i32 s58, 0x3c0
	s_mov_b32 s4, 0
	s_mov_b32 s59, s45
	.p2align	6
.LBB112_304:                            ; =>This Inner Loop Header: Depth=1
	v_mov_b32_e32 v108, s59
	v_add_nc_u32_e32 v105, -1, v105
	s_add_i32 s59, s59, 16
	s_clause 0x3
	buffer_load_dword v106, v108, s[0:3], 0 offen offset:8
	buffer_load_dword v107, v108, s[0:3], 0 offen offset:12
	buffer_load_dword v114, v108, s[0:3], 0 offen
	buffer_load_dword v115, v108, s[0:3], 0 offen offset:4
	v_mov_b32_e32 v108, s58
	v_cmp_eq_u32_e32 vcc_lo, 0, v105
	s_add_i32 s58, s58, 16
	ds_read_b128 v[110:113], v108
	s_or_b32 s4, vcc_lo, s4
	s_waitcnt vmcnt(2) lgkmcnt(0)
	v_mul_f64 v[116:117], v[112:113], v[106:107]
	v_mul_f64 v[106:107], v[110:111], v[106:107]
	s_waitcnt vmcnt(0)
	v_fma_f64 v[110:111], v[110:111], v[114:115], -v[116:117]
	v_fma_f64 v[106:107], v[112:113], v[114:115], v[106:107]
	v_add_f64 v[1:2], v[1:2], v[110:111]
	v_add_f64 v[3:4], v[3:4], v[106:107]
	s_andn2_b32 exec_lo, exec_lo, s4
	s_cbranch_execnz .LBB112_304
; %bb.305:
	s_or_b32 exec_lo, exec_lo, s4
.LBB112_306:
	s_or_b32 exec_lo, exec_lo, s57
	v_mov_b32_e32 v105, 0
	ds_read_b128 v[105:108], v105 offset:160
	s_waitcnt lgkmcnt(0)
	v_mul_f64 v[110:111], v[3:4], v[107:108]
	v_mul_f64 v[107:108], v[1:2], v[107:108]
	v_fma_f64 v[1:2], v[1:2], v[105:106], -v[110:111]
	v_fma_f64 v[3:4], v[3:4], v[105:106], v[107:108]
	buffer_store_dword v2, off, s[0:3], 0 offset:164
	buffer_store_dword v1, off, s[0:3], 0 offset:160
	;; [unrolled: 1-line block ×4, first 2 shown]
.LBB112_307:
	s_or_b32 exec_lo, exec_lo, s8
	v_mov_b32_e32 v4, s47
	v_cmp_lt_u32_e64 s4, 9, v0
	s_clause 0x3
	buffer_load_dword v1, v4, s[0:3], 0 offen
	buffer_load_dword v2, v4, s[0:3], 0 offen offset:4
	buffer_load_dword v3, v4, s[0:3], 0 offen offset:8
	;; [unrolled: 1-line block ×3, first 2 shown]
	s_waitcnt vmcnt(0)
	ds_write_b128 v104, v[1:4]
	s_waitcnt lgkmcnt(0)
	s_waitcnt_vscnt null, 0x0
	s_barrier
	buffer_gl0_inv
	s_and_saveexec_b32 s8, s4
	s_cbranch_execz .LBB112_315
; %bb.308:
	ds_read_b128 v[1:4], v104
	s_andn2_b32 vcc_lo, exec_lo, s56
	s_cbranch_vccnz .LBB112_310
; %bb.309:
	s_clause 0x3
	buffer_load_dword v105, v103, s[0:3], 0 offen offset:8
	buffer_load_dword v106, v103, s[0:3], 0 offen offset:12
	buffer_load_dword v107, v103, s[0:3], 0 offen
	buffer_load_dword v108, v103, s[0:3], 0 offen offset:4
	s_waitcnt vmcnt(2) lgkmcnt(0)
	v_mul_f64 v[110:111], v[3:4], v[105:106]
	v_mul_f64 v[105:106], v[1:2], v[105:106]
	s_waitcnt vmcnt(0)
	v_fma_f64 v[1:2], v[1:2], v[107:108], -v[110:111]
	v_fma_f64 v[3:4], v[3:4], v[107:108], v[105:106]
.LBB112_310:
	s_and_saveexec_b32 s57, s5
	s_cbranch_execz .LBB112_314
; %bb.311:
	v_add_nc_u32_e32 v105, -10, v0
	s_movk_i32 s58, 0x3b0
	s_mov_b32 s5, 0
	s_mov_b32 s59, s46
	.p2align	6
.LBB112_312:                            ; =>This Inner Loop Header: Depth=1
	v_mov_b32_e32 v108, s59
	v_add_nc_u32_e32 v105, -1, v105
	s_add_i32 s59, s59, 16
	s_clause 0x3
	buffer_load_dword v106, v108, s[0:3], 0 offen offset:8
	buffer_load_dword v107, v108, s[0:3], 0 offen offset:12
	buffer_load_dword v114, v108, s[0:3], 0 offen
	buffer_load_dword v115, v108, s[0:3], 0 offen offset:4
	v_mov_b32_e32 v108, s58
	v_cmp_eq_u32_e32 vcc_lo, 0, v105
	s_add_i32 s58, s58, 16
	ds_read_b128 v[110:113], v108
	s_or_b32 s5, vcc_lo, s5
	s_waitcnt vmcnt(2) lgkmcnt(0)
	v_mul_f64 v[116:117], v[112:113], v[106:107]
	v_mul_f64 v[106:107], v[110:111], v[106:107]
	s_waitcnt vmcnt(0)
	v_fma_f64 v[110:111], v[110:111], v[114:115], -v[116:117]
	v_fma_f64 v[106:107], v[112:113], v[114:115], v[106:107]
	v_add_f64 v[1:2], v[1:2], v[110:111]
	v_add_f64 v[3:4], v[3:4], v[106:107]
	s_andn2_b32 exec_lo, exec_lo, s5
	s_cbranch_execnz .LBB112_312
; %bb.313:
	s_or_b32 exec_lo, exec_lo, s5
.LBB112_314:
	s_or_b32 exec_lo, exec_lo, s57
	v_mov_b32_e32 v105, 0
	ds_read_b128 v[105:108], v105 offset:144
	s_waitcnt lgkmcnt(0)
	v_mul_f64 v[110:111], v[3:4], v[107:108]
	v_mul_f64 v[107:108], v[1:2], v[107:108]
	v_fma_f64 v[1:2], v[1:2], v[105:106], -v[110:111]
	v_fma_f64 v[3:4], v[3:4], v[105:106], v[107:108]
	buffer_store_dword v2, off, s[0:3], 0 offset:148
	buffer_store_dword v1, off, s[0:3], 0 offset:144
	;; [unrolled: 1-line block ×4, first 2 shown]
.LBB112_315:
	s_or_b32 exec_lo, exec_lo, s8
	v_mov_b32_e32 v4, s48
	v_cmp_lt_u32_e64 s5, 8, v0
	s_clause 0x3
	buffer_load_dword v1, v4, s[0:3], 0 offen
	buffer_load_dword v2, v4, s[0:3], 0 offen offset:4
	buffer_load_dword v3, v4, s[0:3], 0 offen offset:8
	;; [unrolled: 1-line block ×3, first 2 shown]
	s_waitcnt vmcnt(0)
	ds_write_b128 v104, v[1:4]
	s_waitcnt lgkmcnt(0)
	s_waitcnt_vscnt null, 0x0
	s_barrier
	buffer_gl0_inv
	s_and_saveexec_b32 s8, s5
	s_cbranch_execz .LBB112_323
; %bb.316:
	ds_read_b128 v[1:4], v104
	s_andn2_b32 vcc_lo, exec_lo, s56
	s_cbranch_vccnz .LBB112_318
; %bb.317:
	s_clause 0x3
	buffer_load_dword v105, v103, s[0:3], 0 offen offset:8
	buffer_load_dword v106, v103, s[0:3], 0 offen offset:12
	buffer_load_dword v107, v103, s[0:3], 0 offen
	buffer_load_dword v108, v103, s[0:3], 0 offen offset:4
	s_waitcnt vmcnt(2) lgkmcnt(0)
	v_mul_f64 v[110:111], v[3:4], v[105:106]
	v_mul_f64 v[105:106], v[1:2], v[105:106]
	s_waitcnt vmcnt(0)
	v_fma_f64 v[1:2], v[1:2], v[107:108], -v[110:111]
	v_fma_f64 v[3:4], v[3:4], v[107:108], v[105:106]
.LBB112_318:
	s_and_saveexec_b32 s57, s4
	s_cbranch_execz .LBB112_322
; %bb.319:
	v_add_nc_u32_e32 v105, -9, v0
	s_movk_i32 s58, 0x3a0
	s_mov_b32 s4, 0
	s_mov_b32 s59, s47
	.p2align	6
.LBB112_320:                            ; =>This Inner Loop Header: Depth=1
	v_mov_b32_e32 v108, s59
	v_add_nc_u32_e32 v105, -1, v105
	s_add_i32 s59, s59, 16
	s_clause 0x3
	buffer_load_dword v106, v108, s[0:3], 0 offen offset:8
	buffer_load_dword v107, v108, s[0:3], 0 offen offset:12
	buffer_load_dword v114, v108, s[0:3], 0 offen
	buffer_load_dword v115, v108, s[0:3], 0 offen offset:4
	v_mov_b32_e32 v108, s58
	v_cmp_eq_u32_e32 vcc_lo, 0, v105
	s_add_i32 s58, s58, 16
	ds_read_b128 v[110:113], v108
	s_or_b32 s4, vcc_lo, s4
	s_waitcnt vmcnt(2) lgkmcnt(0)
	v_mul_f64 v[116:117], v[112:113], v[106:107]
	v_mul_f64 v[106:107], v[110:111], v[106:107]
	s_waitcnt vmcnt(0)
	v_fma_f64 v[110:111], v[110:111], v[114:115], -v[116:117]
	v_fma_f64 v[106:107], v[112:113], v[114:115], v[106:107]
	v_add_f64 v[1:2], v[1:2], v[110:111]
	v_add_f64 v[3:4], v[3:4], v[106:107]
	s_andn2_b32 exec_lo, exec_lo, s4
	s_cbranch_execnz .LBB112_320
; %bb.321:
	s_or_b32 exec_lo, exec_lo, s4
.LBB112_322:
	s_or_b32 exec_lo, exec_lo, s57
	v_mov_b32_e32 v105, 0
	ds_read_b128 v[105:108], v105 offset:128
	s_waitcnt lgkmcnt(0)
	v_mul_f64 v[110:111], v[3:4], v[107:108]
	v_mul_f64 v[107:108], v[1:2], v[107:108]
	v_fma_f64 v[1:2], v[1:2], v[105:106], -v[110:111]
	v_fma_f64 v[3:4], v[3:4], v[105:106], v[107:108]
	buffer_store_dword v2, off, s[0:3], 0 offset:132
	buffer_store_dword v1, off, s[0:3], 0 offset:128
	;; [unrolled: 1-line block ×4, first 2 shown]
.LBB112_323:
	s_or_b32 exec_lo, exec_lo, s8
	v_mov_b32_e32 v4, s49
	v_cmp_lt_u32_e64 s4, 7, v0
	s_clause 0x3
	buffer_load_dword v1, v4, s[0:3], 0 offen
	buffer_load_dword v2, v4, s[0:3], 0 offen offset:4
	buffer_load_dword v3, v4, s[0:3], 0 offen offset:8
	;; [unrolled: 1-line block ×3, first 2 shown]
	s_waitcnt vmcnt(0)
	ds_write_b128 v104, v[1:4]
	s_waitcnt lgkmcnt(0)
	s_waitcnt_vscnt null, 0x0
	s_barrier
	buffer_gl0_inv
	s_and_saveexec_b32 s8, s4
	s_cbranch_execz .LBB112_331
; %bb.324:
	ds_read_b128 v[1:4], v104
	s_andn2_b32 vcc_lo, exec_lo, s56
	s_cbranch_vccnz .LBB112_326
; %bb.325:
	s_clause 0x3
	buffer_load_dword v105, v103, s[0:3], 0 offen offset:8
	buffer_load_dword v106, v103, s[0:3], 0 offen offset:12
	buffer_load_dword v107, v103, s[0:3], 0 offen
	buffer_load_dword v108, v103, s[0:3], 0 offen offset:4
	s_waitcnt vmcnt(2) lgkmcnt(0)
	v_mul_f64 v[110:111], v[3:4], v[105:106]
	v_mul_f64 v[105:106], v[1:2], v[105:106]
	s_waitcnt vmcnt(0)
	v_fma_f64 v[1:2], v[1:2], v[107:108], -v[110:111]
	v_fma_f64 v[3:4], v[3:4], v[107:108], v[105:106]
.LBB112_326:
	s_and_saveexec_b32 s57, s5
	s_cbranch_execz .LBB112_330
; %bb.327:
	v_add_nc_u32_e32 v105, -8, v0
	s_movk_i32 s58, 0x390
	s_mov_b32 s5, 0
	s_mov_b32 s59, s48
	.p2align	6
.LBB112_328:                            ; =>This Inner Loop Header: Depth=1
	v_mov_b32_e32 v108, s59
	v_add_nc_u32_e32 v105, -1, v105
	s_add_i32 s59, s59, 16
	s_clause 0x3
	buffer_load_dword v106, v108, s[0:3], 0 offen offset:8
	buffer_load_dword v107, v108, s[0:3], 0 offen offset:12
	buffer_load_dword v114, v108, s[0:3], 0 offen
	buffer_load_dword v115, v108, s[0:3], 0 offen offset:4
	v_mov_b32_e32 v108, s58
	v_cmp_eq_u32_e32 vcc_lo, 0, v105
	s_add_i32 s58, s58, 16
	ds_read_b128 v[110:113], v108
	s_or_b32 s5, vcc_lo, s5
	s_waitcnt vmcnt(2) lgkmcnt(0)
	v_mul_f64 v[116:117], v[112:113], v[106:107]
	v_mul_f64 v[106:107], v[110:111], v[106:107]
	s_waitcnt vmcnt(0)
	v_fma_f64 v[110:111], v[110:111], v[114:115], -v[116:117]
	v_fma_f64 v[106:107], v[112:113], v[114:115], v[106:107]
	v_add_f64 v[1:2], v[1:2], v[110:111]
	v_add_f64 v[3:4], v[3:4], v[106:107]
	s_andn2_b32 exec_lo, exec_lo, s5
	s_cbranch_execnz .LBB112_328
; %bb.329:
	s_or_b32 exec_lo, exec_lo, s5
.LBB112_330:
	s_or_b32 exec_lo, exec_lo, s57
	v_mov_b32_e32 v105, 0
	ds_read_b128 v[105:108], v105 offset:112
	s_waitcnt lgkmcnt(0)
	v_mul_f64 v[110:111], v[3:4], v[107:108]
	v_mul_f64 v[107:108], v[1:2], v[107:108]
	v_fma_f64 v[1:2], v[1:2], v[105:106], -v[110:111]
	v_fma_f64 v[3:4], v[3:4], v[105:106], v[107:108]
	buffer_store_dword v2, off, s[0:3], 0 offset:116
	buffer_store_dword v1, off, s[0:3], 0 offset:112
	;; [unrolled: 1-line block ×4, first 2 shown]
.LBB112_331:
	s_or_b32 exec_lo, exec_lo, s8
	v_mov_b32_e32 v4, s50
	v_cmp_lt_u32_e64 s5, 6, v0
	s_clause 0x3
	buffer_load_dword v1, v4, s[0:3], 0 offen
	buffer_load_dword v2, v4, s[0:3], 0 offen offset:4
	buffer_load_dword v3, v4, s[0:3], 0 offen offset:8
	;; [unrolled: 1-line block ×3, first 2 shown]
	s_waitcnt vmcnt(0)
	ds_write_b128 v104, v[1:4]
	s_waitcnt lgkmcnt(0)
	s_waitcnt_vscnt null, 0x0
	s_barrier
	buffer_gl0_inv
	s_and_saveexec_b32 s8, s5
	s_cbranch_execz .LBB112_339
; %bb.332:
	ds_read_b128 v[1:4], v104
	s_andn2_b32 vcc_lo, exec_lo, s56
	s_cbranch_vccnz .LBB112_334
; %bb.333:
	s_clause 0x3
	buffer_load_dword v105, v103, s[0:3], 0 offen offset:8
	buffer_load_dword v106, v103, s[0:3], 0 offen offset:12
	buffer_load_dword v107, v103, s[0:3], 0 offen
	buffer_load_dword v108, v103, s[0:3], 0 offen offset:4
	s_waitcnt vmcnt(2) lgkmcnt(0)
	v_mul_f64 v[110:111], v[3:4], v[105:106]
	v_mul_f64 v[105:106], v[1:2], v[105:106]
	s_waitcnt vmcnt(0)
	v_fma_f64 v[1:2], v[1:2], v[107:108], -v[110:111]
	v_fma_f64 v[3:4], v[3:4], v[107:108], v[105:106]
.LBB112_334:
	s_and_saveexec_b32 s57, s4
	s_cbranch_execz .LBB112_338
; %bb.335:
	v_add_nc_u32_e32 v105, -7, v0
	s_movk_i32 s58, 0x380
	s_mov_b32 s4, 0
	s_mov_b32 s59, s49
	.p2align	6
.LBB112_336:                            ; =>This Inner Loop Header: Depth=1
	v_mov_b32_e32 v108, s59
	v_add_nc_u32_e32 v105, -1, v105
	s_add_i32 s59, s59, 16
	s_clause 0x3
	buffer_load_dword v106, v108, s[0:3], 0 offen offset:8
	buffer_load_dword v107, v108, s[0:3], 0 offen offset:12
	buffer_load_dword v114, v108, s[0:3], 0 offen
	buffer_load_dword v115, v108, s[0:3], 0 offen offset:4
	v_mov_b32_e32 v108, s58
	v_cmp_eq_u32_e32 vcc_lo, 0, v105
	s_add_i32 s58, s58, 16
	ds_read_b128 v[110:113], v108
	s_or_b32 s4, vcc_lo, s4
	s_waitcnt vmcnt(2) lgkmcnt(0)
	v_mul_f64 v[116:117], v[112:113], v[106:107]
	v_mul_f64 v[106:107], v[110:111], v[106:107]
	s_waitcnt vmcnt(0)
	v_fma_f64 v[110:111], v[110:111], v[114:115], -v[116:117]
	v_fma_f64 v[106:107], v[112:113], v[114:115], v[106:107]
	v_add_f64 v[1:2], v[1:2], v[110:111]
	v_add_f64 v[3:4], v[3:4], v[106:107]
	s_andn2_b32 exec_lo, exec_lo, s4
	s_cbranch_execnz .LBB112_336
; %bb.337:
	s_or_b32 exec_lo, exec_lo, s4
.LBB112_338:
	s_or_b32 exec_lo, exec_lo, s57
	v_mov_b32_e32 v105, 0
	ds_read_b128 v[105:108], v105 offset:96
	s_waitcnt lgkmcnt(0)
	v_mul_f64 v[110:111], v[3:4], v[107:108]
	v_mul_f64 v[107:108], v[1:2], v[107:108]
	v_fma_f64 v[1:2], v[1:2], v[105:106], -v[110:111]
	v_fma_f64 v[3:4], v[3:4], v[105:106], v[107:108]
	buffer_store_dword v2, off, s[0:3], 0 offset:100
	buffer_store_dword v1, off, s[0:3], 0 offset:96
	;; [unrolled: 1-line block ×4, first 2 shown]
.LBB112_339:
	s_or_b32 exec_lo, exec_lo, s8
	v_mov_b32_e32 v4, s51
	v_cmp_lt_u32_e64 s4, 5, v0
	s_clause 0x3
	buffer_load_dword v1, v4, s[0:3], 0 offen
	buffer_load_dword v2, v4, s[0:3], 0 offen offset:4
	buffer_load_dword v3, v4, s[0:3], 0 offen offset:8
	;; [unrolled: 1-line block ×3, first 2 shown]
	s_waitcnt vmcnt(0)
	ds_write_b128 v104, v[1:4]
	s_waitcnt lgkmcnt(0)
	s_waitcnt_vscnt null, 0x0
	s_barrier
	buffer_gl0_inv
	s_and_saveexec_b32 s8, s4
	s_cbranch_execz .LBB112_347
; %bb.340:
	ds_read_b128 v[1:4], v104
	s_andn2_b32 vcc_lo, exec_lo, s56
	s_cbranch_vccnz .LBB112_342
; %bb.341:
	s_clause 0x3
	buffer_load_dword v105, v103, s[0:3], 0 offen offset:8
	buffer_load_dword v106, v103, s[0:3], 0 offen offset:12
	buffer_load_dword v107, v103, s[0:3], 0 offen
	buffer_load_dword v108, v103, s[0:3], 0 offen offset:4
	s_waitcnt vmcnt(2) lgkmcnt(0)
	v_mul_f64 v[110:111], v[3:4], v[105:106]
	v_mul_f64 v[105:106], v[1:2], v[105:106]
	s_waitcnt vmcnt(0)
	v_fma_f64 v[1:2], v[1:2], v[107:108], -v[110:111]
	v_fma_f64 v[3:4], v[3:4], v[107:108], v[105:106]
.LBB112_342:
	s_and_saveexec_b32 s57, s5
	s_cbranch_execz .LBB112_346
; %bb.343:
	v_add_nc_u32_e32 v105, -6, v0
	s_movk_i32 s58, 0x370
	s_mov_b32 s5, 0
	s_mov_b32 s59, s50
	.p2align	6
.LBB112_344:                            ; =>This Inner Loop Header: Depth=1
	v_mov_b32_e32 v108, s59
	v_add_nc_u32_e32 v105, -1, v105
	s_add_i32 s59, s59, 16
	s_clause 0x3
	buffer_load_dword v106, v108, s[0:3], 0 offen offset:8
	buffer_load_dword v107, v108, s[0:3], 0 offen offset:12
	buffer_load_dword v114, v108, s[0:3], 0 offen
	buffer_load_dword v115, v108, s[0:3], 0 offen offset:4
	v_mov_b32_e32 v108, s58
	v_cmp_eq_u32_e32 vcc_lo, 0, v105
	s_add_i32 s58, s58, 16
	ds_read_b128 v[110:113], v108
	s_or_b32 s5, vcc_lo, s5
	s_waitcnt vmcnt(2) lgkmcnt(0)
	v_mul_f64 v[116:117], v[112:113], v[106:107]
	v_mul_f64 v[106:107], v[110:111], v[106:107]
	s_waitcnt vmcnt(0)
	v_fma_f64 v[110:111], v[110:111], v[114:115], -v[116:117]
	v_fma_f64 v[106:107], v[112:113], v[114:115], v[106:107]
	v_add_f64 v[1:2], v[1:2], v[110:111]
	v_add_f64 v[3:4], v[3:4], v[106:107]
	s_andn2_b32 exec_lo, exec_lo, s5
	s_cbranch_execnz .LBB112_344
; %bb.345:
	s_or_b32 exec_lo, exec_lo, s5
.LBB112_346:
	s_or_b32 exec_lo, exec_lo, s57
	v_mov_b32_e32 v105, 0
	ds_read_b128 v[105:108], v105 offset:80
	s_waitcnt lgkmcnt(0)
	v_mul_f64 v[110:111], v[3:4], v[107:108]
	v_mul_f64 v[107:108], v[1:2], v[107:108]
	v_fma_f64 v[1:2], v[1:2], v[105:106], -v[110:111]
	v_fma_f64 v[3:4], v[3:4], v[105:106], v[107:108]
	buffer_store_dword v2, off, s[0:3], 0 offset:84
	buffer_store_dword v1, off, s[0:3], 0 offset:80
	;; [unrolled: 1-line block ×4, first 2 shown]
.LBB112_347:
	s_or_b32 exec_lo, exec_lo, s8
	v_mov_b32_e32 v4, s52
	v_cmp_lt_u32_e64 s5, 4, v0
	s_clause 0x3
	buffer_load_dword v1, v4, s[0:3], 0 offen
	buffer_load_dword v2, v4, s[0:3], 0 offen offset:4
	buffer_load_dword v3, v4, s[0:3], 0 offen offset:8
	;; [unrolled: 1-line block ×3, first 2 shown]
	s_waitcnt vmcnt(0)
	ds_write_b128 v104, v[1:4]
	s_waitcnt lgkmcnt(0)
	s_waitcnt_vscnt null, 0x0
	s_barrier
	buffer_gl0_inv
	s_and_saveexec_b32 s8, s5
	s_cbranch_execz .LBB112_355
; %bb.348:
	ds_read_b128 v[1:4], v104
	s_andn2_b32 vcc_lo, exec_lo, s56
	s_cbranch_vccnz .LBB112_350
; %bb.349:
	s_clause 0x3
	buffer_load_dword v105, v103, s[0:3], 0 offen offset:8
	buffer_load_dword v106, v103, s[0:3], 0 offen offset:12
	buffer_load_dword v107, v103, s[0:3], 0 offen
	buffer_load_dword v108, v103, s[0:3], 0 offen offset:4
	s_waitcnt vmcnt(2) lgkmcnt(0)
	v_mul_f64 v[110:111], v[3:4], v[105:106]
	v_mul_f64 v[105:106], v[1:2], v[105:106]
	s_waitcnt vmcnt(0)
	v_fma_f64 v[1:2], v[1:2], v[107:108], -v[110:111]
	v_fma_f64 v[3:4], v[3:4], v[107:108], v[105:106]
.LBB112_350:
	s_and_saveexec_b32 s57, s4
	s_cbranch_execz .LBB112_354
; %bb.351:
	v_add_nc_u32_e32 v105, -5, v0
	s_movk_i32 s58, 0x360
	s_mov_b32 s4, 0
	s_mov_b32 s59, s51
	.p2align	6
.LBB112_352:                            ; =>This Inner Loop Header: Depth=1
	v_mov_b32_e32 v108, s59
	v_add_nc_u32_e32 v105, -1, v105
	s_add_i32 s59, s59, 16
	s_clause 0x3
	buffer_load_dword v106, v108, s[0:3], 0 offen offset:8
	buffer_load_dword v107, v108, s[0:3], 0 offen offset:12
	buffer_load_dword v114, v108, s[0:3], 0 offen
	buffer_load_dword v115, v108, s[0:3], 0 offen offset:4
	v_mov_b32_e32 v108, s58
	v_cmp_eq_u32_e32 vcc_lo, 0, v105
	s_add_i32 s58, s58, 16
	ds_read_b128 v[110:113], v108
	s_or_b32 s4, vcc_lo, s4
	s_waitcnt vmcnt(2) lgkmcnt(0)
	v_mul_f64 v[116:117], v[112:113], v[106:107]
	v_mul_f64 v[106:107], v[110:111], v[106:107]
	s_waitcnt vmcnt(0)
	v_fma_f64 v[110:111], v[110:111], v[114:115], -v[116:117]
	v_fma_f64 v[106:107], v[112:113], v[114:115], v[106:107]
	v_add_f64 v[1:2], v[1:2], v[110:111]
	v_add_f64 v[3:4], v[3:4], v[106:107]
	s_andn2_b32 exec_lo, exec_lo, s4
	s_cbranch_execnz .LBB112_352
; %bb.353:
	s_or_b32 exec_lo, exec_lo, s4
.LBB112_354:
	s_or_b32 exec_lo, exec_lo, s57
	v_mov_b32_e32 v105, 0
	ds_read_b128 v[105:108], v105 offset:64
	s_waitcnt lgkmcnt(0)
	v_mul_f64 v[110:111], v[3:4], v[107:108]
	v_mul_f64 v[107:108], v[1:2], v[107:108]
	v_fma_f64 v[1:2], v[1:2], v[105:106], -v[110:111]
	v_fma_f64 v[3:4], v[3:4], v[105:106], v[107:108]
	buffer_store_dword v2, off, s[0:3], 0 offset:68
	buffer_store_dword v1, off, s[0:3], 0 offset:64
	;; [unrolled: 1-line block ×4, first 2 shown]
.LBB112_355:
	s_or_b32 exec_lo, exec_lo, s8
	v_mov_b32_e32 v4, s53
	v_cmp_lt_u32_e64 s4, 3, v0
	s_clause 0x3
	buffer_load_dword v1, v4, s[0:3], 0 offen
	buffer_load_dword v2, v4, s[0:3], 0 offen offset:4
	buffer_load_dword v3, v4, s[0:3], 0 offen offset:8
	;; [unrolled: 1-line block ×3, first 2 shown]
	s_waitcnt vmcnt(0)
	ds_write_b128 v104, v[1:4]
	s_waitcnt lgkmcnt(0)
	s_waitcnt_vscnt null, 0x0
	s_barrier
	buffer_gl0_inv
	s_and_saveexec_b32 s8, s4
	s_cbranch_execz .LBB112_363
; %bb.356:
	ds_read_b128 v[1:4], v104
	s_andn2_b32 vcc_lo, exec_lo, s56
	s_cbranch_vccnz .LBB112_358
; %bb.357:
	s_clause 0x3
	buffer_load_dword v105, v103, s[0:3], 0 offen offset:8
	buffer_load_dword v106, v103, s[0:3], 0 offen offset:12
	buffer_load_dword v107, v103, s[0:3], 0 offen
	buffer_load_dword v108, v103, s[0:3], 0 offen offset:4
	s_waitcnt vmcnt(2) lgkmcnt(0)
	v_mul_f64 v[110:111], v[3:4], v[105:106]
	v_mul_f64 v[105:106], v[1:2], v[105:106]
	s_waitcnt vmcnt(0)
	v_fma_f64 v[1:2], v[1:2], v[107:108], -v[110:111]
	v_fma_f64 v[3:4], v[3:4], v[107:108], v[105:106]
.LBB112_358:
	s_and_saveexec_b32 s57, s5
	s_cbranch_execz .LBB112_362
; %bb.359:
	v_add_nc_u32_e32 v105, -4, v0
	s_movk_i32 s58, 0x350
	s_mov_b32 s5, 0
	s_mov_b32 s59, s52
	.p2align	6
.LBB112_360:                            ; =>This Inner Loop Header: Depth=1
	v_mov_b32_e32 v108, s59
	v_add_nc_u32_e32 v105, -1, v105
	s_add_i32 s59, s59, 16
	s_clause 0x3
	buffer_load_dword v106, v108, s[0:3], 0 offen offset:8
	buffer_load_dword v107, v108, s[0:3], 0 offen offset:12
	buffer_load_dword v114, v108, s[0:3], 0 offen
	buffer_load_dword v115, v108, s[0:3], 0 offen offset:4
	v_mov_b32_e32 v108, s58
	v_cmp_eq_u32_e32 vcc_lo, 0, v105
	s_add_i32 s58, s58, 16
	ds_read_b128 v[110:113], v108
	s_or_b32 s5, vcc_lo, s5
	s_waitcnt vmcnt(2) lgkmcnt(0)
	v_mul_f64 v[116:117], v[112:113], v[106:107]
	v_mul_f64 v[106:107], v[110:111], v[106:107]
	s_waitcnt vmcnt(0)
	v_fma_f64 v[110:111], v[110:111], v[114:115], -v[116:117]
	v_fma_f64 v[106:107], v[112:113], v[114:115], v[106:107]
	v_add_f64 v[1:2], v[1:2], v[110:111]
	v_add_f64 v[3:4], v[3:4], v[106:107]
	s_andn2_b32 exec_lo, exec_lo, s5
	s_cbranch_execnz .LBB112_360
; %bb.361:
	s_or_b32 exec_lo, exec_lo, s5
.LBB112_362:
	s_or_b32 exec_lo, exec_lo, s57
	v_mov_b32_e32 v105, 0
	ds_read_b128 v[105:108], v105 offset:48
	s_waitcnt lgkmcnt(0)
	v_mul_f64 v[110:111], v[3:4], v[107:108]
	v_mul_f64 v[107:108], v[1:2], v[107:108]
	v_fma_f64 v[1:2], v[1:2], v[105:106], -v[110:111]
	v_fma_f64 v[3:4], v[3:4], v[105:106], v[107:108]
	buffer_store_dword v2, off, s[0:3], 0 offset:52
	buffer_store_dword v1, off, s[0:3], 0 offset:48
	;; [unrolled: 1-line block ×4, first 2 shown]
.LBB112_363:
	s_or_b32 exec_lo, exec_lo, s8
	v_mov_b32_e32 v4, s54
	v_cmp_lt_u32_e64 s5, 2, v0
	s_clause 0x3
	buffer_load_dword v1, v4, s[0:3], 0 offen
	buffer_load_dword v2, v4, s[0:3], 0 offen offset:4
	buffer_load_dword v3, v4, s[0:3], 0 offen offset:8
	;; [unrolled: 1-line block ×3, first 2 shown]
	s_waitcnt vmcnt(0)
	ds_write_b128 v104, v[1:4]
	s_waitcnt lgkmcnt(0)
	s_waitcnt_vscnt null, 0x0
	s_barrier
	buffer_gl0_inv
	s_and_saveexec_b32 s8, s5
	s_cbranch_execz .LBB112_371
; %bb.364:
	ds_read_b128 v[1:4], v104
	s_andn2_b32 vcc_lo, exec_lo, s56
	s_cbranch_vccnz .LBB112_366
; %bb.365:
	s_clause 0x3
	buffer_load_dword v105, v103, s[0:3], 0 offen offset:8
	buffer_load_dword v106, v103, s[0:3], 0 offen offset:12
	buffer_load_dword v107, v103, s[0:3], 0 offen
	buffer_load_dword v108, v103, s[0:3], 0 offen offset:4
	s_waitcnt vmcnt(2) lgkmcnt(0)
	v_mul_f64 v[110:111], v[3:4], v[105:106]
	v_mul_f64 v[105:106], v[1:2], v[105:106]
	s_waitcnt vmcnt(0)
	v_fma_f64 v[1:2], v[1:2], v[107:108], -v[110:111]
	v_fma_f64 v[3:4], v[3:4], v[107:108], v[105:106]
.LBB112_366:
	s_and_saveexec_b32 s57, s4
	s_cbranch_execz .LBB112_370
; %bb.367:
	v_add_nc_u32_e32 v105, -3, v0
	s_movk_i32 s58, 0x340
	s_mov_b32 s4, 0
	s_mov_b32 s59, s53
	.p2align	6
.LBB112_368:                            ; =>This Inner Loop Header: Depth=1
	v_mov_b32_e32 v108, s59
	v_add_nc_u32_e32 v105, -1, v105
	s_add_i32 s59, s59, 16
	s_clause 0x3
	buffer_load_dword v106, v108, s[0:3], 0 offen offset:8
	buffer_load_dword v107, v108, s[0:3], 0 offen offset:12
	buffer_load_dword v114, v108, s[0:3], 0 offen
	buffer_load_dword v115, v108, s[0:3], 0 offen offset:4
	v_mov_b32_e32 v108, s58
	v_cmp_eq_u32_e32 vcc_lo, 0, v105
	s_add_i32 s58, s58, 16
	ds_read_b128 v[110:113], v108
	s_or_b32 s4, vcc_lo, s4
	s_waitcnt vmcnt(2) lgkmcnt(0)
	v_mul_f64 v[116:117], v[112:113], v[106:107]
	v_mul_f64 v[106:107], v[110:111], v[106:107]
	s_waitcnt vmcnt(0)
	v_fma_f64 v[110:111], v[110:111], v[114:115], -v[116:117]
	v_fma_f64 v[106:107], v[112:113], v[114:115], v[106:107]
	v_add_f64 v[1:2], v[1:2], v[110:111]
	v_add_f64 v[3:4], v[3:4], v[106:107]
	s_andn2_b32 exec_lo, exec_lo, s4
	s_cbranch_execnz .LBB112_368
; %bb.369:
	s_or_b32 exec_lo, exec_lo, s4
.LBB112_370:
	s_or_b32 exec_lo, exec_lo, s57
	v_mov_b32_e32 v105, 0
	ds_read_b128 v[105:108], v105 offset:32
	s_waitcnt lgkmcnt(0)
	v_mul_f64 v[110:111], v[3:4], v[107:108]
	v_mul_f64 v[107:108], v[1:2], v[107:108]
	v_fma_f64 v[1:2], v[1:2], v[105:106], -v[110:111]
	v_fma_f64 v[3:4], v[3:4], v[105:106], v[107:108]
	buffer_store_dword v2, off, s[0:3], 0 offset:36
	buffer_store_dword v1, off, s[0:3], 0 offset:32
	;; [unrolled: 1-line block ×4, first 2 shown]
.LBB112_371:
	s_or_b32 exec_lo, exec_lo, s8
	v_mov_b32_e32 v4, s55
	v_cmp_lt_u32_e64 s4, 1, v0
	s_clause 0x3
	buffer_load_dword v1, v4, s[0:3], 0 offen
	buffer_load_dword v2, v4, s[0:3], 0 offen offset:4
	buffer_load_dword v3, v4, s[0:3], 0 offen offset:8
	buffer_load_dword v4, v4, s[0:3], 0 offen offset:12
	s_waitcnt vmcnt(0)
	ds_write_b128 v104, v[1:4]
	s_waitcnt lgkmcnt(0)
	s_waitcnt_vscnt null, 0x0
	s_barrier
	buffer_gl0_inv
	s_and_saveexec_b32 s8, s4
	s_cbranch_execz .LBB112_379
; %bb.372:
	ds_read_b128 v[1:4], v104
	s_andn2_b32 vcc_lo, exec_lo, s56
	s_cbranch_vccnz .LBB112_374
; %bb.373:
	s_clause 0x3
	buffer_load_dword v105, v103, s[0:3], 0 offen offset:8
	buffer_load_dword v106, v103, s[0:3], 0 offen offset:12
	buffer_load_dword v107, v103, s[0:3], 0 offen
	buffer_load_dword v108, v103, s[0:3], 0 offen offset:4
	s_waitcnt vmcnt(2) lgkmcnt(0)
	v_mul_f64 v[110:111], v[3:4], v[105:106]
	v_mul_f64 v[105:106], v[1:2], v[105:106]
	s_waitcnt vmcnt(0)
	v_fma_f64 v[1:2], v[1:2], v[107:108], -v[110:111]
	v_fma_f64 v[3:4], v[3:4], v[107:108], v[105:106]
.LBB112_374:
	s_and_saveexec_b32 s57, s5
	s_cbranch_execz .LBB112_378
; %bb.375:
	v_add_nc_u32_e32 v105, -2, v0
	s_movk_i32 s58, 0x330
	s_mov_b32 s5, 0
	s_mov_b32 s59, s54
	.p2align	6
.LBB112_376:                            ; =>This Inner Loop Header: Depth=1
	v_mov_b32_e32 v108, s59
	v_add_nc_u32_e32 v105, -1, v105
	s_add_i32 s59, s59, 16
	s_clause 0x3
	buffer_load_dword v106, v108, s[0:3], 0 offen offset:8
	buffer_load_dword v107, v108, s[0:3], 0 offen offset:12
	buffer_load_dword v114, v108, s[0:3], 0 offen
	buffer_load_dword v115, v108, s[0:3], 0 offen offset:4
	v_mov_b32_e32 v108, s58
	v_cmp_eq_u32_e32 vcc_lo, 0, v105
	s_add_i32 s58, s58, 16
	ds_read_b128 v[110:113], v108
	s_or_b32 s5, vcc_lo, s5
	s_waitcnt vmcnt(2) lgkmcnt(0)
	v_mul_f64 v[116:117], v[112:113], v[106:107]
	v_mul_f64 v[106:107], v[110:111], v[106:107]
	s_waitcnt vmcnt(0)
	v_fma_f64 v[110:111], v[110:111], v[114:115], -v[116:117]
	v_fma_f64 v[106:107], v[112:113], v[114:115], v[106:107]
	v_add_f64 v[1:2], v[1:2], v[110:111]
	v_add_f64 v[3:4], v[3:4], v[106:107]
	s_andn2_b32 exec_lo, exec_lo, s5
	s_cbranch_execnz .LBB112_376
; %bb.377:
	s_or_b32 exec_lo, exec_lo, s5
.LBB112_378:
	s_or_b32 exec_lo, exec_lo, s57
	v_mov_b32_e32 v105, 0
	ds_read_b128 v[105:108], v105 offset:16
	s_waitcnt lgkmcnt(0)
	v_mul_f64 v[110:111], v[3:4], v[107:108]
	v_mul_f64 v[107:108], v[1:2], v[107:108]
	v_fma_f64 v[1:2], v[1:2], v[105:106], -v[110:111]
	v_fma_f64 v[3:4], v[3:4], v[105:106], v[107:108]
	buffer_store_dword v2, off, s[0:3], 0 offset:20
	buffer_store_dword v1, off, s[0:3], 0 offset:16
	;; [unrolled: 1-line block ×4, first 2 shown]
.LBB112_379:
	s_or_b32 exec_lo, exec_lo, s8
	s_clause 0x3
	buffer_load_dword v1, off, s[0:3], 0
	buffer_load_dword v2, off, s[0:3], 0 offset:4
	buffer_load_dword v3, off, s[0:3], 0 offset:8
	;; [unrolled: 1-line block ×3, first 2 shown]
	s_mov_b32 s8, 0
	s_mov_b32 s5, 0
	s_mov_b32 s57, exec_lo
                                        ; implicit-def: $sgpr58
	s_waitcnt vmcnt(0)
	ds_write_b128 v104, v[1:4]
	s_waitcnt lgkmcnt(0)
	s_waitcnt_vscnt null, 0x0
	s_barrier
	buffer_gl0_inv
                                        ; implicit-def: $vgpr1_vgpr2
	v_cmpx_ne_u32_e32 0, v0
	s_cbranch_execz .LBB112_387
; %bb.380:
	ds_read_b128 v[1:4], v104
	s_andn2_b32 vcc_lo, exec_lo, s56
	s_cbranch_vccnz .LBB112_382
; %bb.381:
	s_clause 0x3
	buffer_load_dword v105, v103, s[0:3], 0 offen offset:8
	buffer_load_dword v106, v103, s[0:3], 0 offen offset:12
	buffer_load_dword v107, v103, s[0:3], 0 offen
	buffer_load_dword v108, v103, s[0:3], 0 offen offset:4
	s_waitcnt vmcnt(2) lgkmcnt(0)
	v_mul_f64 v[110:111], v[3:4], v[105:106]
	v_mul_f64 v[105:106], v[1:2], v[105:106]
	s_waitcnt vmcnt(0)
	v_fma_f64 v[1:2], v[1:2], v[107:108], -v[110:111]
	v_fma_f64 v[3:4], v[3:4], v[107:108], v[105:106]
.LBB112_382:
	s_and_saveexec_b32 s5, s4
	s_cbranch_execz .LBB112_386
; %bb.383:
	v_add_nc_u32_e32 v105, -1, v0
	s_movk_i32 s58, 0x320
	s_mov_b32 s4, 0
	s_mov_b32 s59, s55
	.p2align	6
.LBB112_384:                            ; =>This Inner Loop Header: Depth=1
	v_mov_b32_e32 v108, s59
	v_add_nc_u32_e32 v105, -1, v105
	s_add_i32 s59, s59, 16
	s_clause 0x3
	buffer_load_dword v106, v108, s[0:3], 0 offen offset:8
	buffer_load_dword v107, v108, s[0:3], 0 offen offset:12
	buffer_load_dword v114, v108, s[0:3], 0 offen
	buffer_load_dword v115, v108, s[0:3], 0 offen offset:4
	v_mov_b32_e32 v108, s58
	v_cmp_eq_u32_e32 vcc_lo, 0, v105
	s_add_i32 s58, s58, 16
	ds_read_b128 v[110:113], v108
	s_or_b32 s4, vcc_lo, s4
	s_waitcnt vmcnt(2) lgkmcnt(0)
	v_mul_f64 v[116:117], v[112:113], v[106:107]
	v_mul_f64 v[106:107], v[110:111], v[106:107]
	s_waitcnt vmcnt(0)
	v_fma_f64 v[110:111], v[110:111], v[114:115], -v[116:117]
	v_fma_f64 v[106:107], v[112:113], v[114:115], v[106:107]
	v_add_f64 v[1:2], v[1:2], v[110:111]
	v_add_f64 v[3:4], v[3:4], v[106:107]
	s_andn2_b32 exec_lo, exec_lo, s4
	s_cbranch_execnz .LBB112_384
; %bb.385:
	s_or_b32 exec_lo, exec_lo, s4
.LBB112_386:
	s_or_b32 exec_lo, exec_lo, s5
	v_mov_b32_e32 v105, 0
	s_mov_b32 s5, exec_lo
	s_or_b32 s58, 0, 8
	ds_read_b128 v[105:108], v105
	s_waitcnt lgkmcnt(0)
	v_mul_f64 v[110:111], v[3:4], v[107:108]
	v_mul_f64 v[107:108], v[1:2], v[107:108]
	v_fma_f64 v[110:111], v[1:2], v[105:106], -v[110:111]
	v_fma_f64 v[1:2], v[3:4], v[105:106], v[107:108]
	buffer_store_dword v111, off, s[0:3], 0 offset:4
	buffer_store_dword v110, off, s[0:3], 0
.LBB112_387:
	s_or_b32 exec_lo, exec_lo, s57
	s_and_b32 vcc_lo, exec_lo, s8
	s_cbranch_vccnz .LBB112_389
	s_branch .LBB112_768
.LBB112_388:
	s_mov_b32 s5, 0
                                        ; implicit-def: $vgpr1_vgpr2
                                        ; implicit-def: $sgpr58
	s_cbranch_execz .LBB112_768
.LBB112_389:
	v_mov_b32_e32 v4, s55
	v_cmp_eq_u32_e64 s4, 0, v0
	v_cndmask_b32_e64 v105, 0, 1, s56
	s_clause 0x3
	buffer_load_dword v1, v4, s[0:3], 0 offen
	buffer_load_dword v2, v4, s[0:3], 0 offen offset:4
	buffer_load_dword v3, v4, s[0:3], 0 offen offset:8
	;; [unrolled: 1-line block ×3, first 2 shown]
	s_waitcnt vmcnt(0)
	ds_write_b128 v104, v[1:4]
	s_waitcnt lgkmcnt(0)
	s_waitcnt_vscnt null, 0x0
	s_barrier
	buffer_gl0_inv
	s_and_saveexec_b32 s8, s4
	s_cbranch_execz .LBB112_393
; %bb.390:
	ds_read_b128 v[1:4], v104
	s_andn2_b32 vcc_lo, exec_lo, s56
	s_cbranch_vccnz .LBB112_392
; %bb.391:
	s_clause 0x3
	buffer_load_dword v106, v103, s[0:3], 0 offen offset:8
	buffer_load_dword v107, v103, s[0:3], 0 offen offset:12
	buffer_load_dword v110, v103, s[0:3], 0 offen
	buffer_load_dword v111, v103, s[0:3], 0 offen offset:4
	s_waitcnt vmcnt(2) lgkmcnt(0)
	v_mul_f64 v[112:113], v[3:4], v[106:107]
	v_mul_f64 v[106:107], v[1:2], v[106:107]
	s_waitcnt vmcnt(0)
	v_fma_f64 v[1:2], v[1:2], v[110:111], -v[112:113]
	v_fma_f64 v[3:4], v[3:4], v[110:111], v[106:107]
.LBB112_392:
	v_mov_b32_e32 v106, 0
	ds_read_b128 v[110:113], v106 offset:16
	s_waitcnt lgkmcnt(0)
	v_mul_f64 v[106:107], v[3:4], v[112:113]
	v_mul_f64 v[112:113], v[1:2], v[112:113]
	v_fma_f64 v[1:2], v[1:2], v[110:111], -v[106:107]
	v_fma_f64 v[3:4], v[3:4], v[110:111], v[112:113]
	buffer_store_dword v2, off, s[0:3], 0 offset:20
	buffer_store_dword v1, off, s[0:3], 0 offset:16
	;; [unrolled: 1-line block ×4, first 2 shown]
.LBB112_393:
	s_or_b32 exec_lo, exec_lo, s8
	v_mov_b32_e32 v4, s54
	s_mov_b32 s8, exec_lo
	s_clause 0x3
	buffer_load_dword v1, v4, s[0:3], 0 offen
	buffer_load_dword v2, v4, s[0:3], 0 offen offset:4
	buffer_load_dword v3, v4, s[0:3], 0 offen offset:8
	;; [unrolled: 1-line block ×3, first 2 shown]
	s_waitcnt vmcnt(0)
	ds_write_b128 v104, v[1:4]
	s_waitcnt lgkmcnt(0)
	s_waitcnt_vscnt null, 0x0
	s_barrier
	buffer_gl0_inv
	v_cmpx_gt_u32_e32 2, v0
	s_cbranch_execz .LBB112_399
; %bb.394:
	ds_read_b128 v[1:4], v104
	v_cmp_ne_u32_e32 vcc_lo, 1, v105
	s_cbranch_vccnz .LBB112_396
; %bb.395:
	s_clause 0x3
	buffer_load_dword v106, v103, s[0:3], 0 offen offset:8
	buffer_load_dword v107, v103, s[0:3], 0 offen offset:12
	buffer_load_dword v110, v103, s[0:3], 0 offen
	buffer_load_dword v111, v103, s[0:3], 0 offen offset:4
	s_waitcnt vmcnt(2) lgkmcnt(0)
	v_mul_f64 v[112:113], v[3:4], v[106:107]
	v_mul_f64 v[106:107], v[1:2], v[106:107]
	s_waitcnt vmcnt(0)
	v_fma_f64 v[1:2], v[1:2], v[110:111], -v[112:113]
	v_fma_f64 v[3:4], v[3:4], v[110:111], v[106:107]
.LBB112_396:
	s_and_saveexec_b32 s56, s4
	s_cbranch_execz .LBB112_398
; %bb.397:
	s_clause 0x3
	buffer_load_dword v106, off, s[0:3], 0 offset:24
	buffer_load_dword v107, off, s[0:3], 0 offset:28
	;; [unrolled: 1-line block ×4, first 2 shown]
	v_mov_b32_e32 v108, 0
	ds_read_b128 v[110:113], v108 offset:800
	s_waitcnt vmcnt(2) lgkmcnt(0)
	v_mul_f64 v[116:117], v[112:113], v[106:107]
	v_mul_f64 v[106:107], v[110:111], v[106:107]
	s_waitcnt vmcnt(0)
	v_fma_f64 v[110:111], v[110:111], v[114:115], -v[116:117]
	v_fma_f64 v[106:107], v[112:113], v[114:115], v[106:107]
	v_add_f64 v[1:2], v[1:2], v[110:111]
	v_add_f64 v[3:4], v[3:4], v[106:107]
.LBB112_398:
	s_or_b32 exec_lo, exec_lo, s56
	v_mov_b32_e32 v106, 0
	ds_read_b128 v[110:113], v106 offset:32
	s_waitcnt lgkmcnt(0)
	v_mul_f64 v[106:107], v[3:4], v[112:113]
	v_mul_f64 v[112:113], v[1:2], v[112:113]
	v_fma_f64 v[1:2], v[1:2], v[110:111], -v[106:107]
	v_fma_f64 v[3:4], v[3:4], v[110:111], v[112:113]
	buffer_store_dword v2, off, s[0:3], 0 offset:36
	buffer_store_dword v1, off, s[0:3], 0 offset:32
	;; [unrolled: 1-line block ×4, first 2 shown]
.LBB112_399:
	s_or_b32 exec_lo, exec_lo, s8
	v_mov_b32_e32 v4, s53
	s_mov_b32 s8, exec_lo
	s_clause 0x3
	buffer_load_dword v1, v4, s[0:3], 0 offen
	buffer_load_dword v2, v4, s[0:3], 0 offen offset:4
	buffer_load_dword v3, v4, s[0:3], 0 offen offset:8
	;; [unrolled: 1-line block ×3, first 2 shown]
	s_waitcnt vmcnt(0)
	ds_write_b128 v104, v[1:4]
	s_waitcnt lgkmcnt(0)
	s_waitcnt_vscnt null, 0x0
	s_barrier
	buffer_gl0_inv
	v_cmpx_gt_u32_e32 3, v0
	s_cbranch_execz .LBB112_407
; %bb.400:
	ds_read_b128 v[1:4], v104
	v_cmp_ne_u32_e32 vcc_lo, 1, v105
	s_cbranch_vccnz .LBB112_402
; %bb.401:
	s_clause 0x3
	buffer_load_dword v106, v103, s[0:3], 0 offen offset:8
	buffer_load_dword v107, v103, s[0:3], 0 offen offset:12
	buffer_load_dword v110, v103, s[0:3], 0 offen
	buffer_load_dword v111, v103, s[0:3], 0 offen offset:4
	s_waitcnt vmcnt(2) lgkmcnt(0)
	v_mul_f64 v[112:113], v[3:4], v[106:107]
	v_mul_f64 v[106:107], v[1:2], v[106:107]
	s_waitcnt vmcnt(0)
	v_fma_f64 v[1:2], v[1:2], v[110:111], -v[112:113]
	v_fma_f64 v[3:4], v[3:4], v[110:111], v[106:107]
.LBB112_402:
	s_mov_b32 s56, exec_lo
	v_cmpx_ne_u32_e32 2, v0
	s_cbranch_execz .LBB112_406
; %bb.403:
	s_clause 0x3
	buffer_load_dword v106, v103, s[0:3], 0 offen offset:24
	buffer_load_dword v107, v103, s[0:3], 0 offen offset:28
	;; [unrolled: 1-line block ×4, first 2 shown]
	ds_read_b128 v[110:113], v104 offset:16
	s_waitcnt vmcnt(2) lgkmcnt(0)
	v_mul_f64 v[116:117], v[112:113], v[106:107]
	v_mul_f64 v[106:107], v[110:111], v[106:107]
	s_waitcnt vmcnt(0)
	v_fma_f64 v[110:111], v[110:111], v[114:115], -v[116:117]
	v_fma_f64 v[106:107], v[112:113], v[114:115], v[106:107]
	v_add_f64 v[1:2], v[1:2], v[110:111]
	v_add_f64 v[3:4], v[3:4], v[106:107]
	s_and_saveexec_b32 s57, s4
	s_cbranch_execz .LBB112_405
; %bb.404:
	s_clause 0x3
	buffer_load_dword v106, off, s[0:3], 0 offset:40
	buffer_load_dword v107, off, s[0:3], 0 offset:44
	;; [unrolled: 1-line block ×4, first 2 shown]
	v_mov_b32_e32 v108, 0
	ds_read_b128 v[110:113], v108 offset:816
	s_waitcnt vmcnt(2) lgkmcnt(0)
	v_mul_f64 v[116:117], v[110:111], v[106:107]
	v_mul_f64 v[106:107], v[112:113], v[106:107]
	s_waitcnt vmcnt(0)
	v_fma_f64 v[112:113], v[112:113], v[114:115], v[116:117]
	v_fma_f64 v[106:107], v[110:111], v[114:115], -v[106:107]
	v_add_f64 v[3:4], v[3:4], v[112:113]
	v_add_f64 v[1:2], v[1:2], v[106:107]
.LBB112_405:
	s_or_b32 exec_lo, exec_lo, s57
.LBB112_406:
	s_or_b32 exec_lo, exec_lo, s56
	v_mov_b32_e32 v106, 0
	ds_read_b128 v[110:113], v106 offset:48
	s_waitcnt lgkmcnt(0)
	v_mul_f64 v[106:107], v[3:4], v[112:113]
	v_mul_f64 v[112:113], v[1:2], v[112:113]
	v_fma_f64 v[1:2], v[1:2], v[110:111], -v[106:107]
	v_fma_f64 v[3:4], v[3:4], v[110:111], v[112:113]
	buffer_store_dword v2, off, s[0:3], 0 offset:52
	buffer_store_dword v1, off, s[0:3], 0 offset:48
	;; [unrolled: 1-line block ×4, first 2 shown]
.LBB112_407:
	s_or_b32 exec_lo, exec_lo, s8
	v_mov_b32_e32 v4, s52
	s_mov_b32 s4, exec_lo
	s_clause 0x3
	buffer_load_dword v1, v4, s[0:3], 0 offen
	buffer_load_dword v2, v4, s[0:3], 0 offen offset:4
	buffer_load_dword v3, v4, s[0:3], 0 offen offset:8
	;; [unrolled: 1-line block ×3, first 2 shown]
	s_waitcnt vmcnt(0)
	ds_write_b128 v104, v[1:4]
	s_waitcnt lgkmcnt(0)
	s_waitcnt_vscnt null, 0x0
	s_barrier
	buffer_gl0_inv
	v_cmpx_gt_u32_e32 4, v0
	s_cbranch_execz .LBB112_415
; %bb.408:
	ds_read_b128 v[1:4], v104
	v_cmp_ne_u32_e32 vcc_lo, 1, v105
	s_cbranch_vccnz .LBB112_410
; %bb.409:
	s_clause 0x3
	buffer_load_dword v106, v103, s[0:3], 0 offen offset:8
	buffer_load_dword v107, v103, s[0:3], 0 offen offset:12
	buffer_load_dword v110, v103, s[0:3], 0 offen
	buffer_load_dword v111, v103, s[0:3], 0 offen offset:4
	s_waitcnt vmcnt(2) lgkmcnt(0)
	v_mul_f64 v[112:113], v[3:4], v[106:107]
	v_mul_f64 v[106:107], v[1:2], v[106:107]
	s_waitcnt vmcnt(0)
	v_fma_f64 v[1:2], v[1:2], v[110:111], -v[112:113]
	v_fma_f64 v[3:4], v[3:4], v[110:111], v[106:107]
.LBB112_410:
	s_mov_b32 s8, exec_lo
	v_cmpx_ne_u32_e32 3, v0
	s_cbranch_execz .LBB112_414
; %bb.411:
	v_add_nc_u32_e32 v106, 0x320, v109
	v_add3_u32 v107, 0, v109, 16
	v_mov_b32_e32 v108, v0
	s_mov_b32 s56, 0
	.p2align	6
.LBB112_412:                            ; =>This Inner Loop Header: Depth=1
	s_clause 0x3
	buffer_load_dword v114, v107, s[0:3], 0 offen offset:8
	buffer_load_dword v115, v107, s[0:3], 0 offen offset:12
	buffer_load_dword v116, v107, s[0:3], 0 offen
	buffer_load_dword v117, v107, s[0:3], 0 offen offset:4
	ds_read_b128 v[110:113], v106
	v_add_nc_u32_e32 v108, 1, v108
	v_add_nc_u32_e32 v106, 16, v106
	;; [unrolled: 1-line block ×3, first 2 shown]
	v_cmp_lt_u32_e32 vcc_lo, 2, v108
	s_or_b32 s56, vcc_lo, s56
	s_waitcnt vmcnt(2) lgkmcnt(0)
	v_mul_f64 v[118:119], v[112:113], v[114:115]
	v_mul_f64 v[114:115], v[110:111], v[114:115]
	s_waitcnt vmcnt(0)
	v_fma_f64 v[110:111], v[110:111], v[116:117], -v[118:119]
	v_fma_f64 v[112:113], v[112:113], v[116:117], v[114:115]
	v_add_f64 v[1:2], v[1:2], v[110:111]
	v_add_f64 v[3:4], v[3:4], v[112:113]
	s_andn2_b32 exec_lo, exec_lo, s56
	s_cbranch_execnz .LBB112_412
; %bb.413:
	s_or_b32 exec_lo, exec_lo, s56
.LBB112_414:
	s_or_b32 exec_lo, exec_lo, s8
	v_mov_b32_e32 v106, 0
	ds_read_b128 v[110:113], v106 offset:64
	s_waitcnt lgkmcnt(0)
	v_mul_f64 v[106:107], v[3:4], v[112:113]
	v_mul_f64 v[112:113], v[1:2], v[112:113]
	v_fma_f64 v[1:2], v[1:2], v[110:111], -v[106:107]
	v_fma_f64 v[3:4], v[3:4], v[110:111], v[112:113]
	buffer_store_dword v2, off, s[0:3], 0 offset:68
	buffer_store_dword v1, off, s[0:3], 0 offset:64
	;; [unrolled: 1-line block ×4, first 2 shown]
.LBB112_415:
	s_or_b32 exec_lo, exec_lo, s4
	v_mov_b32_e32 v4, s51
	s_mov_b32 s4, exec_lo
	s_clause 0x3
	buffer_load_dword v1, v4, s[0:3], 0 offen
	buffer_load_dword v2, v4, s[0:3], 0 offen offset:4
	buffer_load_dword v3, v4, s[0:3], 0 offen offset:8
	buffer_load_dword v4, v4, s[0:3], 0 offen offset:12
	s_waitcnt vmcnt(0)
	ds_write_b128 v104, v[1:4]
	s_waitcnt lgkmcnt(0)
	s_waitcnt_vscnt null, 0x0
	s_barrier
	buffer_gl0_inv
	v_cmpx_gt_u32_e32 5, v0
	s_cbranch_execz .LBB112_423
; %bb.416:
	ds_read_b128 v[1:4], v104
	v_cmp_ne_u32_e32 vcc_lo, 1, v105
	s_cbranch_vccnz .LBB112_418
; %bb.417:
	s_clause 0x3
	buffer_load_dword v106, v103, s[0:3], 0 offen offset:8
	buffer_load_dword v107, v103, s[0:3], 0 offen offset:12
	buffer_load_dword v110, v103, s[0:3], 0 offen
	buffer_load_dword v111, v103, s[0:3], 0 offen offset:4
	s_waitcnt vmcnt(2) lgkmcnt(0)
	v_mul_f64 v[112:113], v[3:4], v[106:107]
	v_mul_f64 v[106:107], v[1:2], v[106:107]
	s_waitcnt vmcnt(0)
	v_fma_f64 v[1:2], v[1:2], v[110:111], -v[112:113]
	v_fma_f64 v[3:4], v[3:4], v[110:111], v[106:107]
.LBB112_418:
	s_mov_b32 s8, exec_lo
	v_cmpx_ne_u32_e32 4, v0
	s_cbranch_execz .LBB112_422
; %bb.419:
	v_add_nc_u32_e32 v106, 0x320, v109
	v_add3_u32 v107, 0, v109, 16
	v_mov_b32_e32 v108, v0
	s_mov_b32 s56, 0
	.p2align	6
.LBB112_420:                            ; =>This Inner Loop Header: Depth=1
	s_clause 0x3
	buffer_load_dword v114, v107, s[0:3], 0 offen offset:8
	buffer_load_dword v115, v107, s[0:3], 0 offen offset:12
	buffer_load_dword v116, v107, s[0:3], 0 offen
	buffer_load_dword v117, v107, s[0:3], 0 offen offset:4
	ds_read_b128 v[110:113], v106
	v_add_nc_u32_e32 v108, 1, v108
	v_add_nc_u32_e32 v106, 16, v106
	;; [unrolled: 1-line block ×3, first 2 shown]
	v_cmp_lt_u32_e32 vcc_lo, 3, v108
	s_or_b32 s56, vcc_lo, s56
	s_waitcnt vmcnt(2) lgkmcnt(0)
	v_mul_f64 v[118:119], v[112:113], v[114:115]
	v_mul_f64 v[114:115], v[110:111], v[114:115]
	s_waitcnt vmcnt(0)
	v_fma_f64 v[110:111], v[110:111], v[116:117], -v[118:119]
	v_fma_f64 v[112:113], v[112:113], v[116:117], v[114:115]
	v_add_f64 v[1:2], v[1:2], v[110:111]
	v_add_f64 v[3:4], v[3:4], v[112:113]
	s_andn2_b32 exec_lo, exec_lo, s56
	s_cbranch_execnz .LBB112_420
; %bb.421:
	s_or_b32 exec_lo, exec_lo, s56
.LBB112_422:
	s_or_b32 exec_lo, exec_lo, s8
	v_mov_b32_e32 v106, 0
	ds_read_b128 v[110:113], v106 offset:80
	s_waitcnt lgkmcnt(0)
	v_mul_f64 v[106:107], v[3:4], v[112:113]
	v_mul_f64 v[112:113], v[1:2], v[112:113]
	v_fma_f64 v[1:2], v[1:2], v[110:111], -v[106:107]
	v_fma_f64 v[3:4], v[3:4], v[110:111], v[112:113]
	buffer_store_dword v2, off, s[0:3], 0 offset:84
	buffer_store_dword v1, off, s[0:3], 0 offset:80
	;; [unrolled: 1-line block ×4, first 2 shown]
.LBB112_423:
	s_or_b32 exec_lo, exec_lo, s4
	v_mov_b32_e32 v4, s50
	s_mov_b32 s4, exec_lo
	s_clause 0x3
	buffer_load_dword v1, v4, s[0:3], 0 offen
	buffer_load_dword v2, v4, s[0:3], 0 offen offset:4
	buffer_load_dword v3, v4, s[0:3], 0 offen offset:8
	;; [unrolled: 1-line block ×3, first 2 shown]
	s_waitcnt vmcnt(0)
	ds_write_b128 v104, v[1:4]
	s_waitcnt lgkmcnt(0)
	s_waitcnt_vscnt null, 0x0
	s_barrier
	buffer_gl0_inv
	v_cmpx_gt_u32_e32 6, v0
	s_cbranch_execz .LBB112_431
; %bb.424:
	ds_read_b128 v[1:4], v104
	v_cmp_ne_u32_e32 vcc_lo, 1, v105
	s_cbranch_vccnz .LBB112_426
; %bb.425:
	s_clause 0x3
	buffer_load_dword v106, v103, s[0:3], 0 offen offset:8
	buffer_load_dword v107, v103, s[0:3], 0 offen offset:12
	buffer_load_dword v110, v103, s[0:3], 0 offen
	buffer_load_dword v111, v103, s[0:3], 0 offen offset:4
	s_waitcnt vmcnt(2) lgkmcnt(0)
	v_mul_f64 v[112:113], v[3:4], v[106:107]
	v_mul_f64 v[106:107], v[1:2], v[106:107]
	s_waitcnt vmcnt(0)
	v_fma_f64 v[1:2], v[1:2], v[110:111], -v[112:113]
	v_fma_f64 v[3:4], v[3:4], v[110:111], v[106:107]
.LBB112_426:
	s_mov_b32 s8, exec_lo
	v_cmpx_ne_u32_e32 5, v0
	s_cbranch_execz .LBB112_430
; %bb.427:
	v_add_nc_u32_e32 v106, 0x320, v109
	v_add3_u32 v107, 0, v109, 16
	v_mov_b32_e32 v108, v0
	s_mov_b32 s56, 0
	.p2align	6
.LBB112_428:                            ; =>This Inner Loop Header: Depth=1
	s_clause 0x3
	buffer_load_dword v114, v107, s[0:3], 0 offen offset:8
	buffer_load_dword v115, v107, s[0:3], 0 offen offset:12
	buffer_load_dword v116, v107, s[0:3], 0 offen
	buffer_load_dword v117, v107, s[0:3], 0 offen offset:4
	ds_read_b128 v[110:113], v106
	v_add_nc_u32_e32 v108, 1, v108
	v_add_nc_u32_e32 v106, 16, v106
	;; [unrolled: 1-line block ×3, first 2 shown]
	v_cmp_lt_u32_e32 vcc_lo, 4, v108
	s_or_b32 s56, vcc_lo, s56
	s_waitcnt vmcnt(2) lgkmcnt(0)
	v_mul_f64 v[118:119], v[112:113], v[114:115]
	v_mul_f64 v[114:115], v[110:111], v[114:115]
	s_waitcnt vmcnt(0)
	v_fma_f64 v[110:111], v[110:111], v[116:117], -v[118:119]
	v_fma_f64 v[112:113], v[112:113], v[116:117], v[114:115]
	v_add_f64 v[1:2], v[1:2], v[110:111]
	v_add_f64 v[3:4], v[3:4], v[112:113]
	s_andn2_b32 exec_lo, exec_lo, s56
	s_cbranch_execnz .LBB112_428
; %bb.429:
	s_or_b32 exec_lo, exec_lo, s56
.LBB112_430:
	s_or_b32 exec_lo, exec_lo, s8
	v_mov_b32_e32 v106, 0
	ds_read_b128 v[110:113], v106 offset:96
	s_waitcnt lgkmcnt(0)
	v_mul_f64 v[106:107], v[3:4], v[112:113]
	v_mul_f64 v[112:113], v[1:2], v[112:113]
	v_fma_f64 v[1:2], v[1:2], v[110:111], -v[106:107]
	v_fma_f64 v[3:4], v[3:4], v[110:111], v[112:113]
	buffer_store_dword v2, off, s[0:3], 0 offset:100
	buffer_store_dword v1, off, s[0:3], 0 offset:96
	;; [unrolled: 1-line block ×4, first 2 shown]
.LBB112_431:
	s_or_b32 exec_lo, exec_lo, s4
	v_mov_b32_e32 v4, s49
	s_mov_b32 s4, exec_lo
	s_clause 0x3
	buffer_load_dword v1, v4, s[0:3], 0 offen
	buffer_load_dword v2, v4, s[0:3], 0 offen offset:4
	buffer_load_dword v3, v4, s[0:3], 0 offen offset:8
	;; [unrolled: 1-line block ×3, first 2 shown]
	s_waitcnt vmcnt(0)
	ds_write_b128 v104, v[1:4]
	s_waitcnt lgkmcnt(0)
	s_waitcnt_vscnt null, 0x0
	s_barrier
	buffer_gl0_inv
	v_cmpx_gt_u32_e32 7, v0
	s_cbranch_execz .LBB112_439
; %bb.432:
	ds_read_b128 v[1:4], v104
	v_cmp_ne_u32_e32 vcc_lo, 1, v105
	s_cbranch_vccnz .LBB112_434
; %bb.433:
	s_clause 0x3
	buffer_load_dword v106, v103, s[0:3], 0 offen offset:8
	buffer_load_dword v107, v103, s[0:3], 0 offen offset:12
	buffer_load_dword v110, v103, s[0:3], 0 offen
	buffer_load_dword v111, v103, s[0:3], 0 offen offset:4
	s_waitcnt vmcnt(2) lgkmcnt(0)
	v_mul_f64 v[112:113], v[3:4], v[106:107]
	v_mul_f64 v[106:107], v[1:2], v[106:107]
	s_waitcnt vmcnt(0)
	v_fma_f64 v[1:2], v[1:2], v[110:111], -v[112:113]
	v_fma_f64 v[3:4], v[3:4], v[110:111], v[106:107]
.LBB112_434:
	s_mov_b32 s8, exec_lo
	v_cmpx_ne_u32_e32 6, v0
	s_cbranch_execz .LBB112_438
; %bb.435:
	v_add_nc_u32_e32 v106, 0x320, v109
	v_add3_u32 v107, 0, v109, 16
	v_mov_b32_e32 v108, v0
	s_mov_b32 s56, 0
	.p2align	6
.LBB112_436:                            ; =>This Inner Loop Header: Depth=1
	s_clause 0x3
	buffer_load_dword v114, v107, s[0:3], 0 offen offset:8
	buffer_load_dword v115, v107, s[0:3], 0 offen offset:12
	buffer_load_dword v116, v107, s[0:3], 0 offen
	buffer_load_dword v117, v107, s[0:3], 0 offen offset:4
	ds_read_b128 v[110:113], v106
	v_add_nc_u32_e32 v108, 1, v108
	v_add_nc_u32_e32 v106, 16, v106
	;; [unrolled: 1-line block ×3, first 2 shown]
	v_cmp_lt_u32_e32 vcc_lo, 5, v108
	s_or_b32 s56, vcc_lo, s56
	s_waitcnt vmcnt(2) lgkmcnt(0)
	v_mul_f64 v[118:119], v[112:113], v[114:115]
	v_mul_f64 v[114:115], v[110:111], v[114:115]
	s_waitcnt vmcnt(0)
	v_fma_f64 v[110:111], v[110:111], v[116:117], -v[118:119]
	v_fma_f64 v[112:113], v[112:113], v[116:117], v[114:115]
	v_add_f64 v[1:2], v[1:2], v[110:111]
	v_add_f64 v[3:4], v[3:4], v[112:113]
	s_andn2_b32 exec_lo, exec_lo, s56
	s_cbranch_execnz .LBB112_436
; %bb.437:
	s_or_b32 exec_lo, exec_lo, s56
.LBB112_438:
	s_or_b32 exec_lo, exec_lo, s8
	v_mov_b32_e32 v106, 0
	ds_read_b128 v[110:113], v106 offset:112
	s_waitcnt lgkmcnt(0)
	v_mul_f64 v[106:107], v[3:4], v[112:113]
	v_mul_f64 v[112:113], v[1:2], v[112:113]
	v_fma_f64 v[1:2], v[1:2], v[110:111], -v[106:107]
	v_fma_f64 v[3:4], v[3:4], v[110:111], v[112:113]
	buffer_store_dword v2, off, s[0:3], 0 offset:116
	buffer_store_dword v1, off, s[0:3], 0 offset:112
	;; [unrolled: 1-line block ×4, first 2 shown]
.LBB112_439:
	s_or_b32 exec_lo, exec_lo, s4
	v_mov_b32_e32 v4, s48
	s_mov_b32 s4, exec_lo
	s_clause 0x3
	buffer_load_dword v1, v4, s[0:3], 0 offen
	buffer_load_dword v2, v4, s[0:3], 0 offen offset:4
	buffer_load_dword v3, v4, s[0:3], 0 offen offset:8
	;; [unrolled: 1-line block ×3, first 2 shown]
	s_waitcnt vmcnt(0)
	ds_write_b128 v104, v[1:4]
	s_waitcnt lgkmcnt(0)
	s_waitcnt_vscnt null, 0x0
	s_barrier
	buffer_gl0_inv
	v_cmpx_gt_u32_e32 8, v0
	s_cbranch_execz .LBB112_447
; %bb.440:
	ds_read_b128 v[1:4], v104
	v_cmp_ne_u32_e32 vcc_lo, 1, v105
	s_cbranch_vccnz .LBB112_442
; %bb.441:
	s_clause 0x3
	buffer_load_dword v106, v103, s[0:3], 0 offen offset:8
	buffer_load_dword v107, v103, s[0:3], 0 offen offset:12
	buffer_load_dword v110, v103, s[0:3], 0 offen
	buffer_load_dword v111, v103, s[0:3], 0 offen offset:4
	s_waitcnt vmcnt(2) lgkmcnt(0)
	v_mul_f64 v[112:113], v[3:4], v[106:107]
	v_mul_f64 v[106:107], v[1:2], v[106:107]
	s_waitcnt vmcnt(0)
	v_fma_f64 v[1:2], v[1:2], v[110:111], -v[112:113]
	v_fma_f64 v[3:4], v[3:4], v[110:111], v[106:107]
.LBB112_442:
	s_mov_b32 s8, exec_lo
	v_cmpx_ne_u32_e32 7, v0
	s_cbranch_execz .LBB112_446
; %bb.443:
	v_add_nc_u32_e32 v106, 0x320, v109
	v_add3_u32 v107, 0, v109, 16
	v_mov_b32_e32 v108, v0
	s_mov_b32 s56, 0
	.p2align	6
.LBB112_444:                            ; =>This Inner Loop Header: Depth=1
	s_clause 0x3
	buffer_load_dword v114, v107, s[0:3], 0 offen offset:8
	buffer_load_dword v115, v107, s[0:3], 0 offen offset:12
	buffer_load_dword v116, v107, s[0:3], 0 offen
	buffer_load_dword v117, v107, s[0:3], 0 offen offset:4
	ds_read_b128 v[110:113], v106
	v_add_nc_u32_e32 v108, 1, v108
	v_add_nc_u32_e32 v106, 16, v106
	;; [unrolled: 1-line block ×3, first 2 shown]
	v_cmp_lt_u32_e32 vcc_lo, 6, v108
	s_or_b32 s56, vcc_lo, s56
	s_waitcnt vmcnt(2) lgkmcnt(0)
	v_mul_f64 v[118:119], v[112:113], v[114:115]
	v_mul_f64 v[114:115], v[110:111], v[114:115]
	s_waitcnt vmcnt(0)
	v_fma_f64 v[110:111], v[110:111], v[116:117], -v[118:119]
	v_fma_f64 v[112:113], v[112:113], v[116:117], v[114:115]
	v_add_f64 v[1:2], v[1:2], v[110:111]
	v_add_f64 v[3:4], v[3:4], v[112:113]
	s_andn2_b32 exec_lo, exec_lo, s56
	s_cbranch_execnz .LBB112_444
; %bb.445:
	s_or_b32 exec_lo, exec_lo, s56
.LBB112_446:
	s_or_b32 exec_lo, exec_lo, s8
	v_mov_b32_e32 v106, 0
	ds_read_b128 v[110:113], v106 offset:128
	s_waitcnt lgkmcnt(0)
	v_mul_f64 v[106:107], v[3:4], v[112:113]
	v_mul_f64 v[112:113], v[1:2], v[112:113]
	v_fma_f64 v[1:2], v[1:2], v[110:111], -v[106:107]
	v_fma_f64 v[3:4], v[3:4], v[110:111], v[112:113]
	buffer_store_dword v2, off, s[0:3], 0 offset:132
	buffer_store_dword v1, off, s[0:3], 0 offset:128
	;; [unrolled: 1-line block ×4, first 2 shown]
.LBB112_447:
	s_or_b32 exec_lo, exec_lo, s4
	v_mov_b32_e32 v4, s47
	s_mov_b32 s4, exec_lo
	s_clause 0x3
	buffer_load_dword v1, v4, s[0:3], 0 offen
	buffer_load_dword v2, v4, s[0:3], 0 offen offset:4
	buffer_load_dword v3, v4, s[0:3], 0 offen offset:8
	buffer_load_dword v4, v4, s[0:3], 0 offen offset:12
	s_waitcnt vmcnt(0)
	ds_write_b128 v104, v[1:4]
	s_waitcnt lgkmcnt(0)
	s_waitcnt_vscnt null, 0x0
	s_barrier
	buffer_gl0_inv
	v_cmpx_gt_u32_e32 9, v0
	s_cbranch_execz .LBB112_455
; %bb.448:
	ds_read_b128 v[1:4], v104
	v_cmp_ne_u32_e32 vcc_lo, 1, v105
	s_cbranch_vccnz .LBB112_450
; %bb.449:
	s_clause 0x3
	buffer_load_dword v106, v103, s[0:3], 0 offen offset:8
	buffer_load_dword v107, v103, s[0:3], 0 offen offset:12
	buffer_load_dword v110, v103, s[0:3], 0 offen
	buffer_load_dword v111, v103, s[0:3], 0 offen offset:4
	s_waitcnt vmcnt(2) lgkmcnt(0)
	v_mul_f64 v[112:113], v[3:4], v[106:107]
	v_mul_f64 v[106:107], v[1:2], v[106:107]
	s_waitcnt vmcnt(0)
	v_fma_f64 v[1:2], v[1:2], v[110:111], -v[112:113]
	v_fma_f64 v[3:4], v[3:4], v[110:111], v[106:107]
.LBB112_450:
	s_mov_b32 s8, exec_lo
	v_cmpx_ne_u32_e32 8, v0
	s_cbranch_execz .LBB112_454
; %bb.451:
	v_add_nc_u32_e32 v106, 0x320, v109
	v_add3_u32 v107, 0, v109, 16
	v_mov_b32_e32 v108, v0
	s_mov_b32 s56, 0
	.p2align	6
.LBB112_452:                            ; =>This Inner Loop Header: Depth=1
	s_clause 0x3
	buffer_load_dword v114, v107, s[0:3], 0 offen offset:8
	buffer_load_dword v115, v107, s[0:3], 0 offen offset:12
	buffer_load_dword v116, v107, s[0:3], 0 offen
	buffer_load_dword v117, v107, s[0:3], 0 offen offset:4
	ds_read_b128 v[110:113], v106
	v_add_nc_u32_e32 v108, 1, v108
	v_add_nc_u32_e32 v106, 16, v106
	;; [unrolled: 1-line block ×3, first 2 shown]
	v_cmp_lt_u32_e32 vcc_lo, 7, v108
	s_or_b32 s56, vcc_lo, s56
	s_waitcnt vmcnt(2) lgkmcnt(0)
	v_mul_f64 v[118:119], v[112:113], v[114:115]
	v_mul_f64 v[114:115], v[110:111], v[114:115]
	s_waitcnt vmcnt(0)
	v_fma_f64 v[110:111], v[110:111], v[116:117], -v[118:119]
	v_fma_f64 v[112:113], v[112:113], v[116:117], v[114:115]
	v_add_f64 v[1:2], v[1:2], v[110:111]
	v_add_f64 v[3:4], v[3:4], v[112:113]
	s_andn2_b32 exec_lo, exec_lo, s56
	s_cbranch_execnz .LBB112_452
; %bb.453:
	s_or_b32 exec_lo, exec_lo, s56
.LBB112_454:
	s_or_b32 exec_lo, exec_lo, s8
	v_mov_b32_e32 v106, 0
	ds_read_b128 v[110:113], v106 offset:144
	s_waitcnt lgkmcnt(0)
	v_mul_f64 v[106:107], v[3:4], v[112:113]
	v_mul_f64 v[112:113], v[1:2], v[112:113]
	v_fma_f64 v[1:2], v[1:2], v[110:111], -v[106:107]
	v_fma_f64 v[3:4], v[3:4], v[110:111], v[112:113]
	buffer_store_dword v2, off, s[0:3], 0 offset:148
	buffer_store_dword v1, off, s[0:3], 0 offset:144
	;; [unrolled: 1-line block ×4, first 2 shown]
.LBB112_455:
	s_or_b32 exec_lo, exec_lo, s4
	v_mov_b32_e32 v4, s46
	s_mov_b32 s4, exec_lo
	s_clause 0x3
	buffer_load_dword v1, v4, s[0:3], 0 offen
	buffer_load_dword v2, v4, s[0:3], 0 offen offset:4
	buffer_load_dword v3, v4, s[0:3], 0 offen offset:8
	buffer_load_dword v4, v4, s[0:3], 0 offen offset:12
	s_waitcnt vmcnt(0)
	ds_write_b128 v104, v[1:4]
	s_waitcnt lgkmcnt(0)
	s_waitcnt_vscnt null, 0x0
	s_barrier
	buffer_gl0_inv
	v_cmpx_gt_u32_e32 10, v0
	s_cbranch_execz .LBB112_463
; %bb.456:
	ds_read_b128 v[1:4], v104
	v_cmp_ne_u32_e32 vcc_lo, 1, v105
	s_cbranch_vccnz .LBB112_458
; %bb.457:
	s_clause 0x3
	buffer_load_dword v106, v103, s[0:3], 0 offen offset:8
	buffer_load_dword v107, v103, s[0:3], 0 offen offset:12
	buffer_load_dword v110, v103, s[0:3], 0 offen
	buffer_load_dword v111, v103, s[0:3], 0 offen offset:4
	s_waitcnt vmcnt(2) lgkmcnt(0)
	v_mul_f64 v[112:113], v[3:4], v[106:107]
	v_mul_f64 v[106:107], v[1:2], v[106:107]
	s_waitcnt vmcnt(0)
	v_fma_f64 v[1:2], v[1:2], v[110:111], -v[112:113]
	v_fma_f64 v[3:4], v[3:4], v[110:111], v[106:107]
.LBB112_458:
	s_mov_b32 s8, exec_lo
	v_cmpx_ne_u32_e32 9, v0
	s_cbranch_execz .LBB112_462
; %bb.459:
	v_add_nc_u32_e32 v106, 0x320, v109
	v_add3_u32 v107, 0, v109, 16
	v_mov_b32_e32 v108, v0
	s_mov_b32 s56, 0
	.p2align	6
.LBB112_460:                            ; =>This Inner Loop Header: Depth=1
	s_clause 0x3
	buffer_load_dword v114, v107, s[0:3], 0 offen offset:8
	buffer_load_dword v115, v107, s[0:3], 0 offen offset:12
	buffer_load_dword v116, v107, s[0:3], 0 offen
	buffer_load_dword v117, v107, s[0:3], 0 offen offset:4
	ds_read_b128 v[110:113], v106
	v_add_nc_u32_e32 v108, 1, v108
	v_add_nc_u32_e32 v106, 16, v106
	;; [unrolled: 1-line block ×3, first 2 shown]
	v_cmp_lt_u32_e32 vcc_lo, 8, v108
	s_or_b32 s56, vcc_lo, s56
	s_waitcnt vmcnt(2) lgkmcnt(0)
	v_mul_f64 v[118:119], v[112:113], v[114:115]
	v_mul_f64 v[114:115], v[110:111], v[114:115]
	s_waitcnt vmcnt(0)
	v_fma_f64 v[110:111], v[110:111], v[116:117], -v[118:119]
	v_fma_f64 v[112:113], v[112:113], v[116:117], v[114:115]
	v_add_f64 v[1:2], v[1:2], v[110:111]
	v_add_f64 v[3:4], v[3:4], v[112:113]
	s_andn2_b32 exec_lo, exec_lo, s56
	s_cbranch_execnz .LBB112_460
; %bb.461:
	s_or_b32 exec_lo, exec_lo, s56
.LBB112_462:
	s_or_b32 exec_lo, exec_lo, s8
	v_mov_b32_e32 v106, 0
	ds_read_b128 v[110:113], v106 offset:160
	s_waitcnt lgkmcnt(0)
	v_mul_f64 v[106:107], v[3:4], v[112:113]
	v_mul_f64 v[112:113], v[1:2], v[112:113]
	v_fma_f64 v[1:2], v[1:2], v[110:111], -v[106:107]
	v_fma_f64 v[3:4], v[3:4], v[110:111], v[112:113]
	buffer_store_dword v2, off, s[0:3], 0 offset:164
	buffer_store_dword v1, off, s[0:3], 0 offset:160
	;; [unrolled: 1-line block ×4, first 2 shown]
.LBB112_463:
	s_or_b32 exec_lo, exec_lo, s4
	v_mov_b32_e32 v4, s45
	s_mov_b32 s4, exec_lo
	s_clause 0x3
	buffer_load_dword v1, v4, s[0:3], 0 offen
	buffer_load_dword v2, v4, s[0:3], 0 offen offset:4
	buffer_load_dword v3, v4, s[0:3], 0 offen offset:8
	;; [unrolled: 1-line block ×3, first 2 shown]
	s_waitcnt vmcnt(0)
	ds_write_b128 v104, v[1:4]
	s_waitcnt lgkmcnt(0)
	s_waitcnt_vscnt null, 0x0
	s_barrier
	buffer_gl0_inv
	v_cmpx_gt_u32_e32 11, v0
	s_cbranch_execz .LBB112_471
; %bb.464:
	ds_read_b128 v[1:4], v104
	v_cmp_ne_u32_e32 vcc_lo, 1, v105
	s_cbranch_vccnz .LBB112_466
; %bb.465:
	s_clause 0x3
	buffer_load_dword v106, v103, s[0:3], 0 offen offset:8
	buffer_load_dword v107, v103, s[0:3], 0 offen offset:12
	buffer_load_dword v110, v103, s[0:3], 0 offen
	buffer_load_dword v111, v103, s[0:3], 0 offen offset:4
	s_waitcnt vmcnt(2) lgkmcnt(0)
	v_mul_f64 v[112:113], v[3:4], v[106:107]
	v_mul_f64 v[106:107], v[1:2], v[106:107]
	s_waitcnt vmcnt(0)
	v_fma_f64 v[1:2], v[1:2], v[110:111], -v[112:113]
	v_fma_f64 v[3:4], v[3:4], v[110:111], v[106:107]
.LBB112_466:
	s_mov_b32 s8, exec_lo
	v_cmpx_ne_u32_e32 10, v0
	s_cbranch_execz .LBB112_470
; %bb.467:
	v_add_nc_u32_e32 v106, 0x320, v109
	v_add3_u32 v107, 0, v109, 16
	v_mov_b32_e32 v108, v0
	s_mov_b32 s56, 0
	.p2align	6
.LBB112_468:                            ; =>This Inner Loop Header: Depth=1
	s_clause 0x3
	buffer_load_dword v114, v107, s[0:3], 0 offen offset:8
	buffer_load_dword v115, v107, s[0:3], 0 offen offset:12
	buffer_load_dword v116, v107, s[0:3], 0 offen
	buffer_load_dword v117, v107, s[0:3], 0 offen offset:4
	ds_read_b128 v[110:113], v106
	v_add_nc_u32_e32 v108, 1, v108
	v_add_nc_u32_e32 v106, 16, v106
	;; [unrolled: 1-line block ×3, first 2 shown]
	v_cmp_lt_u32_e32 vcc_lo, 9, v108
	s_or_b32 s56, vcc_lo, s56
	s_waitcnt vmcnt(2) lgkmcnt(0)
	v_mul_f64 v[118:119], v[112:113], v[114:115]
	v_mul_f64 v[114:115], v[110:111], v[114:115]
	s_waitcnt vmcnt(0)
	v_fma_f64 v[110:111], v[110:111], v[116:117], -v[118:119]
	v_fma_f64 v[112:113], v[112:113], v[116:117], v[114:115]
	v_add_f64 v[1:2], v[1:2], v[110:111]
	v_add_f64 v[3:4], v[3:4], v[112:113]
	s_andn2_b32 exec_lo, exec_lo, s56
	s_cbranch_execnz .LBB112_468
; %bb.469:
	s_or_b32 exec_lo, exec_lo, s56
.LBB112_470:
	s_or_b32 exec_lo, exec_lo, s8
	v_mov_b32_e32 v106, 0
	ds_read_b128 v[110:113], v106 offset:176
	s_waitcnt lgkmcnt(0)
	v_mul_f64 v[106:107], v[3:4], v[112:113]
	v_mul_f64 v[112:113], v[1:2], v[112:113]
	v_fma_f64 v[1:2], v[1:2], v[110:111], -v[106:107]
	v_fma_f64 v[3:4], v[3:4], v[110:111], v[112:113]
	buffer_store_dword v2, off, s[0:3], 0 offset:180
	buffer_store_dword v1, off, s[0:3], 0 offset:176
	;; [unrolled: 1-line block ×4, first 2 shown]
.LBB112_471:
	s_or_b32 exec_lo, exec_lo, s4
	v_mov_b32_e32 v4, s44
	s_mov_b32 s4, exec_lo
	s_clause 0x3
	buffer_load_dword v1, v4, s[0:3], 0 offen
	buffer_load_dword v2, v4, s[0:3], 0 offen offset:4
	buffer_load_dword v3, v4, s[0:3], 0 offen offset:8
	;; [unrolled: 1-line block ×3, first 2 shown]
	s_waitcnt vmcnt(0)
	ds_write_b128 v104, v[1:4]
	s_waitcnt lgkmcnt(0)
	s_waitcnt_vscnt null, 0x0
	s_barrier
	buffer_gl0_inv
	v_cmpx_gt_u32_e32 12, v0
	s_cbranch_execz .LBB112_479
; %bb.472:
	ds_read_b128 v[1:4], v104
	v_cmp_ne_u32_e32 vcc_lo, 1, v105
	s_cbranch_vccnz .LBB112_474
; %bb.473:
	s_clause 0x3
	buffer_load_dword v106, v103, s[0:3], 0 offen offset:8
	buffer_load_dword v107, v103, s[0:3], 0 offen offset:12
	buffer_load_dword v110, v103, s[0:3], 0 offen
	buffer_load_dword v111, v103, s[0:3], 0 offen offset:4
	s_waitcnt vmcnt(2) lgkmcnt(0)
	v_mul_f64 v[112:113], v[3:4], v[106:107]
	v_mul_f64 v[106:107], v[1:2], v[106:107]
	s_waitcnt vmcnt(0)
	v_fma_f64 v[1:2], v[1:2], v[110:111], -v[112:113]
	v_fma_f64 v[3:4], v[3:4], v[110:111], v[106:107]
.LBB112_474:
	s_mov_b32 s8, exec_lo
	v_cmpx_ne_u32_e32 11, v0
	s_cbranch_execz .LBB112_478
; %bb.475:
	v_add_nc_u32_e32 v106, 0x320, v109
	v_add3_u32 v107, 0, v109, 16
	v_mov_b32_e32 v108, v0
	s_mov_b32 s56, 0
	.p2align	6
.LBB112_476:                            ; =>This Inner Loop Header: Depth=1
	s_clause 0x3
	buffer_load_dword v114, v107, s[0:3], 0 offen offset:8
	buffer_load_dword v115, v107, s[0:3], 0 offen offset:12
	buffer_load_dword v116, v107, s[0:3], 0 offen
	buffer_load_dword v117, v107, s[0:3], 0 offen offset:4
	ds_read_b128 v[110:113], v106
	v_add_nc_u32_e32 v108, 1, v108
	v_add_nc_u32_e32 v106, 16, v106
	;; [unrolled: 1-line block ×3, first 2 shown]
	v_cmp_lt_u32_e32 vcc_lo, 10, v108
	s_or_b32 s56, vcc_lo, s56
	s_waitcnt vmcnt(2) lgkmcnt(0)
	v_mul_f64 v[118:119], v[112:113], v[114:115]
	v_mul_f64 v[114:115], v[110:111], v[114:115]
	s_waitcnt vmcnt(0)
	v_fma_f64 v[110:111], v[110:111], v[116:117], -v[118:119]
	v_fma_f64 v[112:113], v[112:113], v[116:117], v[114:115]
	v_add_f64 v[1:2], v[1:2], v[110:111]
	v_add_f64 v[3:4], v[3:4], v[112:113]
	s_andn2_b32 exec_lo, exec_lo, s56
	s_cbranch_execnz .LBB112_476
; %bb.477:
	s_or_b32 exec_lo, exec_lo, s56
.LBB112_478:
	s_or_b32 exec_lo, exec_lo, s8
	v_mov_b32_e32 v106, 0
	ds_read_b128 v[110:113], v106 offset:192
	s_waitcnt lgkmcnt(0)
	v_mul_f64 v[106:107], v[3:4], v[112:113]
	v_mul_f64 v[112:113], v[1:2], v[112:113]
	v_fma_f64 v[1:2], v[1:2], v[110:111], -v[106:107]
	v_fma_f64 v[3:4], v[3:4], v[110:111], v[112:113]
	buffer_store_dword v2, off, s[0:3], 0 offset:196
	buffer_store_dword v1, off, s[0:3], 0 offset:192
	;; [unrolled: 1-line block ×4, first 2 shown]
.LBB112_479:
	s_or_b32 exec_lo, exec_lo, s4
	v_mov_b32_e32 v4, s43
	s_mov_b32 s4, exec_lo
	s_clause 0x3
	buffer_load_dword v1, v4, s[0:3], 0 offen
	buffer_load_dword v2, v4, s[0:3], 0 offen offset:4
	buffer_load_dword v3, v4, s[0:3], 0 offen offset:8
	;; [unrolled: 1-line block ×3, first 2 shown]
	s_waitcnt vmcnt(0)
	ds_write_b128 v104, v[1:4]
	s_waitcnt lgkmcnt(0)
	s_waitcnt_vscnt null, 0x0
	s_barrier
	buffer_gl0_inv
	v_cmpx_gt_u32_e32 13, v0
	s_cbranch_execz .LBB112_487
; %bb.480:
	ds_read_b128 v[1:4], v104
	v_cmp_ne_u32_e32 vcc_lo, 1, v105
	s_cbranch_vccnz .LBB112_482
; %bb.481:
	s_clause 0x3
	buffer_load_dword v106, v103, s[0:3], 0 offen offset:8
	buffer_load_dword v107, v103, s[0:3], 0 offen offset:12
	buffer_load_dword v110, v103, s[0:3], 0 offen
	buffer_load_dword v111, v103, s[0:3], 0 offen offset:4
	s_waitcnt vmcnt(2) lgkmcnt(0)
	v_mul_f64 v[112:113], v[3:4], v[106:107]
	v_mul_f64 v[106:107], v[1:2], v[106:107]
	s_waitcnt vmcnt(0)
	v_fma_f64 v[1:2], v[1:2], v[110:111], -v[112:113]
	v_fma_f64 v[3:4], v[3:4], v[110:111], v[106:107]
.LBB112_482:
	s_mov_b32 s8, exec_lo
	v_cmpx_ne_u32_e32 12, v0
	s_cbranch_execz .LBB112_486
; %bb.483:
	v_add_nc_u32_e32 v106, 0x320, v109
	v_add3_u32 v107, 0, v109, 16
	v_mov_b32_e32 v108, v0
	s_mov_b32 s56, 0
	.p2align	6
.LBB112_484:                            ; =>This Inner Loop Header: Depth=1
	s_clause 0x3
	buffer_load_dword v114, v107, s[0:3], 0 offen offset:8
	buffer_load_dword v115, v107, s[0:3], 0 offen offset:12
	buffer_load_dword v116, v107, s[0:3], 0 offen
	buffer_load_dword v117, v107, s[0:3], 0 offen offset:4
	ds_read_b128 v[110:113], v106
	v_add_nc_u32_e32 v108, 1, v108
	v_add_nc_u32_e32 v106, 16, v106
	;; [unrolled: 1-line block ×3, first 2 shown]
	v_cmp_lt_u32_e32 vcc_lo, 11, v108
	s_or_b32 s56, vcc_lo, s56
	s_waitcnt vmcnt(2) lgkmcnt(0)
	v_mul_f64 v[118:119], v[112:113], v[114:115]
	v_mul_f64 v[114:115], v[110:111], v[114:115]
	s_waitcnt vmcnt(0)
	v_fma_f64 v[110:111], v[110:111], v[116:117], -v[118:119]
	v_fma_f64 v[112:113], v[112:113], v[116:117], v[114:115]
	v_add_f64 v[1:2], v[1:2], v[110:111]
	v_add_f64 v[3:4], v[3:4], v[112:113]
	s_andn2_b32 exec_lo, exec_lo, s56
	s_cbranch_execnz .LBB112_484
; %bb.485:
	s_or_b32 exec_lo, exec_lo, s56
.LBB112_486:
	s_or_b32 exec_lo, exec_lo, s8
	v_mov_b32_e32 v106, 0
	ds_read_b128 v[110:113], v106 offset:208
	s_waitcnt lgkmcnt(0)
	v_mul_f64 v[106:107], v[3:4], v[112:113]
	v_mul_f64 v[112:113], v[1:2], v[112:113]
	v_fma_f64 v[1:2], v[1:2], v[110:111], -v[106:107]
	v_fma_f64 v[3:4], v[3:4], v[110:111], v[112:113]
	buffer_store_dword v2, off, s[0:3], 0 offset:212
	buffer_store_dword v1, off, s[0:3], 0 offset:208
	;; [unrolled: 1-line block ×4, first 2 shown]
.LBB112_487:
	s_or_b32 exec_lo, exec_lo, s4
	v_mov_b32_e32 v4, s42
	s_mov_b32 s4, exec_lo
	s_clause 0x3
	buffer_load_dword v1, v4, s[0:3], 0 offen
	buffer_load_dword v2, v4, s[0:3], 0 offen offset:4
	buffer_load_dword v3, v4, s[0:3], 0 offen offset:8
	buffer_load_dword v4, v4, s[0:3], 0 offen offset:12
	s_waitcnt vmcnt(0)
	ds_write_b128 v104, v[1:4]
	s_waitcnt lgkmcnt(0)
	s_waitcnt_vscnt null, 0x0
	s_barrier
	buffer_gl0_inv
	v_cmpx_gt_u32_e32 14, v0
	s_cbranch_execz .LBB112_495
; %bb.488:
	ds_read_b128 v[1:4], v104
	v_cmp_ne_u32_e32 vcc_lo, 1, v105
	s_cbranch_vccnz .LBB112_490
; %bb.489:
	s_clause 0x3
	buffer_load_dword v106, v103, s[0:3], 0 offen offset:8
	buffer_load_dword v107, v103, s[0:3], 0 offen offset:12
	buffer_load_dword v110, v103, s[0:3], 0 offen
	buffer_load_dword v111, v103, s[0:3], 0 offen offset:4
	s_waitcnt vmcnt(2) lgkmcnt(0)
	v_mul_f64 v[112:113], v[3:4], v[106:107]
	v_mul_f64 v[106:107], v[1:2], v[106:107]
	s_waitcnt vmcnt(0)
	v_fma_f64 v[1:2], v[1:2], v[110:111], -v[112:113]
	v_fma_f64 v[3:4], v[3:4], v[110:111], v[106:107]
.LBB112_490:
	s_mov_b32 s8, exec_lo
	v_cmpx_ne_u32_e32 13, v0
	s_cbranch_execz .LBB112_494
; %bb.491:
	v_add_nc_u32_e32 v106, 0x320, v109
	v_add3_u32 v107, 0, v109, 16
	v_mov_b32_e32 v108, v0
	s_mov_b32 s56, 0
	.p2align	6
.LBB112_492:                            ; =>This Inner Loop Header: Depth=1
	s_clause 0x3
	buffer_load_dword v114, v107, s[0:3], 0 offen offset:8
	buffer_load_dword v115, v107, s[0:3], 0 offen offset:12
	buffer_load_dword v116, v107, s[0:3], 0 offen
	buffer_load_dword v117, v107, s[0:3], 0 offen offset:4
	ds_read_b128 v[110:113], v106
	v_add_nc_u32_e32 v108, 1, v108
	v_add_nc_u32_e32 v106, 16, v106
	;; [unrolled: 1-line block ×3, first 2 shown]
	v_cmp_lt_u32_e32 vcc_lo, 12, v108
	s_or_b32 s56, vcc_lo, s56
	s_waitcnt vmcnt(2) lgkmcnt(0)
	v_mul_f64 v[118:119], v[112:113], v[114:115]
	v_mul_f64 v[114:115], v[110:111], v[114:115]
	s_waitcnt vmcnt(0)
	v_fma_f64 v[110:111], v[110:111], v[116:117], -v[118:119]
	v_fma_f64 v[112:113], v[112:113], v[116:117], v[114:115]
	v_add_f64 v[1:2], v[1:2], v[110:111]
	v_add_f64 v[3:4], v[3:4], v[112:113]
	s_andn2_b32 exec_lo, exec_lo, s56
	s_cbranch_execnz .LBB112_492
; %bb.493:
	s_or_b32 exec_lo, exec_lo, s56
.LBB112_494:
	s_or_b32 exec_lo, exec_lo, s8
	v_mov_b32_e32 v106, 0
	ds_read_b128 v[110:113], v106 offset:224
	s_waitcnt lgkmcnt(0)
	v_mul_f64 v[106:107], v[3:4], v[112:113]
	v_mul_f64 v[112:113], v[1:2], v[112:113]
	v_fma_f64 v[1:2], v[1:2], v[110:111], -v[106:107]
	v_fma_f64 v[3:4], v[3:4], v[110:111], v[112:113]
	buffer_store_dword v2, off, s[0:3], 0 offset:228
	buffer_store_dword v1, off, s[0:3], 0 offset:224
	;; [unrolled: 1-line block ×4, first 2 shown]
.LBB112_495:
	s_or_b32 exec_lo, exec_lo, s4
	v_mov_b32_e32 v4, s41
	s_mov_b32 s4, exec_lo
	s_clause 0x3
	buffer_load_dword v1, v4, s[0:3], 0 offen
	buffer_load_dword v2, v4, s[0:3], 0 offen offset:4
	buffer_load_dword v3, v4, s[0:3], 0 offen offset:8
	buffer_load_dword v4, v4, s[0:3], 0 offen offset:12
	s_waitcnt vmcnt(0)
	ds_write_b128 v104, v[1:4]
	s_waitcnt lgkmcnt(0)
	s_waitcnt_vscnt null, 0x0
	s_barrier
	buffer_gl0_inv
	v_cmpx_gt_u32_e32 15, v0
	s_cbranch_execz .LBB112_503
; %bb.496:
	ds_read_b128 v[1:4], v104
	v_cmp_ne_u32_e32 vcc_lo, 1, v105
	s_cbranch_vccnz .LBB112_498
; %bb.497:
	s_clause 0x3
	buffer_load_dword v106, v103, s[0:3], 0 offen offset:8
	buffer_load_dword v107, v103, s[0:3], 0 offen offset:12
	buffer_load_dword v110, v103, s[0:3], 0 offen
	buffer_load_dword v111, v103, s[0:3], 0 offen offset:4
	s_waitcnt vmcnt(2) lgkmcnt(0)
	v_mul_f64 v[112:113], v[3:4], v[106:107]
	v_mul_f64 v[106:107], v[1:2], v[106:107]
	s_waitcnt vmcnt(0)
	v_fma_f64 v[1:2], v[1:2], v[110:111], -v[112:113]
	v_fma_f64 v[3:4], v[3:4], v[110:111], v[106:107]
.LBB112_498:
	s_mov_b32 s8, exec_lo
	v_cmpx_ne_u32_e32 14, v0
	s_cbranch_execz .LBB112_502
; %bb.499:
	v_add_nc_u32_e32 v106, 0x320, v109
	v_add3_u32 v107, 0, v109, 16
	v_mov_b32_e32 v108, v0
	s_mov_b32 s56, 0
	.p2align	6
.LBB112_500:                            ; =>This Inner Loop Header: Depth=1
	s_clause 0x3
	buffer_load_dword v114, v107, s[0:3], 0 offen offset:8
	buffer_load_dword v115, v107, s[0:3], 0 offen offset:12
	buffer_load_dword v116, v107, s[0:3], 0 offen
	buffer_load_dword v117, v107, s[0:3], 0 offen offset:4
	ds_read_b128 v[110:113], v106
	v_add_nc_u32_e32 v108, 1, v108
	v_add_nc_u32_e32 v106, 16, v106
	;; [unrolled: 1-line block ×3, first 2 shown]
	v_cmp_lt_u32_e32 vcc_lo, 13, v108
	s_or_b32 s56, vcc_lo, s56
	s_waitcnt vmcnt(2) lgkmcnt(0)
	v_mul_f64 v[118:119], v[112:113], v[114:115]
	v_mul_f64 v[114:115], v[110:111], v[114:115]
	s_waitcnt vmcnt(0)
	v_fma_f64 v[110:111], v[110:111], v[116:117], -v[118:119]
	v_fma_f64 v[112:113], v[112:113], v[116:117], v[114:115]
	v_add_f64 v[1:2], v[1:2], v[110:111]
	v_add_f64 v[3:4], v[3:4], v[112:113]
	s_andn2_b32 exec_lo, exec_lo, s56
	s_cbranch_execnz .LBB112_500
; %bb.501:
	s_or_b32 exec_lo, exec_lo, s56
.LBB112_502:
	s_or_b32 exec_lo, exec_lo, s8
	v_mov_b32_e32 v106, 0
	ds_read_b128 v[110:113], v106 offset:240
	s_waitcnt lgkmcnt(0)
	v_mul_f64 v[106:107], v[3:4], v[112:113]
	v_mul_f64 v[112:113], v[1:2], v[112:113]
	v_fma_f64 v[1:2], v[1:2], v[110:111], -v[106:107]
	v_fma_f64 v[3:4], v[3:4], v[110:111], v[112:113]
	buffer_store_dword v2, off, s[0:3], 0 offset:244
	buffer_store_dword v1, off, s[0:3], 0 offset:240
	;; [unrolled: 1-line block ×4, first 2 shown]
.LBB112_503:
	s_or_b32 exec_lo, exec_lo, s4
	v_mov_b32_e32 v4, s40
	s_mov_b32 s4, exec_lo
	s_clause 0x3
	buffer_load_dword v1, v4, s[0:3], 0 offen
	buffer_load_dword v2, v4, s[0:3], 0 offen offset:4
	buffer_load_dword v3, v4, s[0:3], 0 offen offset:8
	;; [unrolled: 1-line block ×3, first 2 shown]
	s_waitcnt vmcnt(0)
	ds_write_b128 v104, v[1:4]
	s_waitcnt lgkmcnt(0)
	s_waitcnt_vscnt null, 0x0
	s_barrier
	buffer_gl0_inv
	v_cmpx_gt_u32_e32 16, v0
	s_cbranch_execz .LBB112_511
; %bb.504:
	ds_read_b128 v[1:4], v104
	v_cmp_ne_u32_e32 vcc_lo, 1, v105
	s_cbranch_vccnz .LBB112_506
; %bb.505:
	s_clause 0x3
	buffer_load_dword v106, v103, s[0:3], 0 offen offset:8
	buffer_load_dword v107, v103, s[0:3], 0 offen offset:12
	buffer_load_dword v110, v103, s[0:3], 0 offen
	buffer_load_dword v111, v103, s[0:3], 0 offen offset:4
	s_waitcnt vmcnt(2) lgkmcnt(0)
	v_mul_f64 v[112:113], v[3:4], v[106:107]
	v_mul_f64 v[106:107], v[1:2], v[106:107]
	s_waitcnt vmcnt(0)
	v_fma_f64 v[1:2], v[1:2], v[110:111], -v[112:113]
	v_fma_f64 v[3:4], v[3:4], v[110:111], v[106:107]
.LBB112_506:
	s_mov_b32 s8, exec_lo
	v_cmpx_ne_u32_e32 15, v0
	s_cbranch_execz .LBB112_510
; %bb.507:
	v_add_nc_u32_e32 v106, 0x320, v109
	v_add3_u32 v107, 0, v109, 16
	v_mov_b32_e32 v108, v0
	s_mov_b32 s56, 0
	.p2align	6
.LBB112_508:                            ; =>This Inner Loop Header: Depth=1
	s_clause 0x3
	buffer_load_dword v114, v107, s[0:3], 0 offen offset:8
	buffer_load_dword v115, v107, s[0:3], 0 offen offset:12
	buffer_load_dword v116, v107, s[0:3], 0 offen
	buffer_load_dword v117, v107, s[0:3], 0 offen offset:4
	ds_read_b128 v[110:113], v106
	v_add_nc_u32_e32 v108, 1, v108
	v_add_nc_u32_e32 v106, 16, v106
	;; [unrolled: 1-line block ×3, first 2 shown]
	v_cmp_lt_u32_e32 vcc_lo, 14, v108
	s_or_b32 s56, vcc_lo, s56
	s_waitcnt vmcnt(2) lgkmcnt(0)
	v_mul_f64 v[118:119], v[112:113], v[114:115]
	v_mul_f64 v[114:115], v[110:111], v[114:115]
	s_waitcnt vmcnt(0)
	v_fma_f64 v[110:111], v[110:111], v[116:117], -v[118:119]
	v_fma_f64 v[112:113], v[112:113], v[116:117], v[114:115]
	v_add_f64 v[1:2], v[1:2], v[110:111]
	v_add_f64 v[3:4], v[3:4], v[112:113]
	s_andn2_b32 exec_lo, exec_lo, s56
	s_cbranch_execnz .LBB112_508
; %bb.509:
	s_or_b32 exec_lo, exec_lo, s56
.LBB112_510:
	s_or_b32 exec_lo, exec_lo, s8
	v_mov_b32_e32 v106, 0
	ds_read_b128 v[110:113], v106 offset:256
	s_waitcnt lgkmcnt(0)
	v_mul_f64 v[106:107], v[3:4], v[112:113]
	v_mul_f64 v[112:113], v[1:2], v[112:113]
	v_fma_f64 v[1:2], v[1:2], v[110:111], -v[106:107]
	v_fma_f64 v[3:4], v[3:4], v[110:111], v[112:113]
	buffer_store_dword v2, off, s[0:3], 0 offset:260
	buffer_store_dword v1, off, s[0:3], 0 offset:256
	;; [unrolled: 1-line block ×4, first 2 shown]
.LBB112_511:
	s_or_b32 exec_lo, exec_lo, s4
	v_mov_b32_e32 v4, s39
	s_mov_b32 s4, exec_lo
	s_clause 0x3
	buffer_load_dword v1, v4, s[0:3], 0 offen
	buffer_load_dword v2, v4, s[0:3], 0 offen offset:4
	buffer_load_dword v3, v4, s[0:3], 0 offen offset:8
	;; [unrolled: 1-line block ×3, first 2 shown]
	s_waitcnt vmcnt(0)
	ds_write_b128 v104, v[1:4]
	s_waitcnt lgkmcnt(0)
	s_waitcnt_vscnt null, 0x0
	s_barrier
	buffer_gl0_inv
	v_cmpx_gt_u32_e32 17, v0
	s_cbranch_execz .LBB112_519
; %bb.512:
	ds_read_b128 v[1:4], v104
	v_cmp_ne_u32_e32 vcc_lo, 1, v105
	s_cbranch_vccnz .LBB112_514
; %bb.513:
	s_clause 0x3
	buffer_load_dword v106, v103, s[0:3], 0 offen offset:8
	buffer_load_dword v107, v103, s[0:3], 0 offen offset:12
	buffer_load_dword v110, v103, s[0:3], 0 offen
	buffer_load_dword v111, v103, s[0:3], 0 offen offset:4
	s_waitcnt vmcnt(2) lgkmcnt(0)
	v_mul_f64 v[112:113], v[3:4], v[106:107]
	v_mul_f64 v[106:107], v[1:2], v[106:107]
	s_waitcnt vmcnt(0)
	v_fma_f64 v[1:2], v[1:2], v[110:111], -v[112:113]
	v_fma_f64 v[3:4], v[3:4], v[110:111], v[106:107]
.LBB112_514:
	s_mov_b32 s8, exec_lo
	v_cmpx_ne_u32_e32 16, v0
	s_cbranch_execz .LBB112_518
; %bb.515:
	v_add_nc_u32_e32 v106, 0x320, v109
	v_add3_u32 v107, 0, v109, 16
	v_mov_b32_e32 v108, v0
	s_mov_b32 s56, 0
	.p2align	6
.LBB112_516:                            ; =>This Inner Loop Header: Depth=1
	s_clause 0x3
	buffer_load_dword v114, v107, s[0:3], 0 offen offset:8
	buffer_load_dword v115, v107, s[0:3], 0 offen offset:12
	buffer_load_dword v116, v107, s[0:3], 0 offen
	buffer_load_dword v117, v107, s[0:3], 0 offen offset:4
	ds_read_b128 v[110:113], v106
	v_add_nc_u32_e32 v108, 1, v108
	v_add_nc_u32_e32 v106, 16, v106
	;; [unrolled: 1-line block ×3, first 2 shown]
	v_cmp_lt_u32_e32 vcc_lo, 15, v108
	s_or_b32 s56, vcc_lo, s56
	s_waitcnt vmcnt(2) lgkmcnt(0)
	v_mul_f64 v[118:119], v[112:113], v[114:115]
	v_mul_f64 v[114:115], v[110:111], v[114:115]
	s_waitcnt vmcnt(0)
	v_fma_f64 v[110:111], v[110:111], v[116:117], -v[118:119]
	v_fma_f64 v[112:113], v[112:113], v[116:117], v[114:115]
	v_add_f64 v[1:2], v[1:2], v[110:111]
	v_add_f64 v[3:4], v[3:4], v[112:113]
	s_andn2_b32 exec_lo, exec_lo, s56
	s_cbranch_execnz .LBB112_516
; %bb.517:
	s_or_b32 exec_lo, exec_lo, s56
.LBB112_518:
	s_or_b32 exec_lo, exec_lo, s8
	v_mov_b32_e32 v106, 0
	ds_read_b128 v[110:113], v106 offset:272
	s_waitcnt lgkmcnt(0)
	v_mul_f64 v[106:107], v[3:4], v[112:113]
	v_mul_f64 v[112:113], v[1:2], v[112:113]
	v_fma_f64 v[1:2], v[1:2], v[110:111], -v[106:107]
	v_fma_f64 v[3:4], v[3:4], v[110:111], v[112:113]
	buffer_store_dword v2, off, s[0:3], 0 offset:276
	buffer_store_dword v1, off, s[0:3], 0 offset:272
	;; [unrolled: 1-line block ×4, first 2 shown]
.LBB112_519:
	s_or_b32 exec_lo, exec_lo, s4
	v_mov_b32_e32 v4, s38
	s_mov_b32 s4, exec_lo
	s_clause 0x3
	buffer_load_dword v1, v4, s[0:3], 0 offen
	buffer_load_dword v2, v4, s[0:3], 0 offen offset:4
	buffer_load_dword v3, v4, s[0:3], 0 offen offset:8
	;; [unrolled: 1-line block ×3, first 2 shown]
	s_waitcnt vmcnt(0)
	ds_write_b128 v104, v[1:4]
	s_waitcnt lgkmcnt(0)
	s_waitcnt_vscnt null, 0x0
	s_barrier
	buffer_gl0_inv
	v_cmpx_gt_u32_e32 18, v0
	s_cbranch_execz .LBB112_527
; %bb.520:
	ds_read_b128 v[1:4], v104
	v_cmp_ne_u32_e32 vcc_lo, 1, v105
	s_cbranch_vccnz .LBB112_522
; %bb.521:
	s_clause 0x3
	buffer_load_dword v106, v103, s[0:3], 0 offen offset:8
	buffer_load_dword v107, v103, s[0:3], 0 offen offset:12
	buffer_load_dword v110, v103, s[0:3], 0 offen
	buffer_load_dword v111, v103, s[0:3], 0 offen offset:4
	s_waitcnt vmcnt(2) lgkmcnt(0)
	v_mul_f64 v[112:113], v[3:4], v[106:107]
	v_mul_f64 v[106:107], v[1:2], v[106:107]
	s_waitcnt vmcnt(0)
	v_fma_f64 v[1:2], v[1:2], v[110:111], -v[112:113]
	v_fma_f64 v[3:4], v[3:4], v[110:111], v[106:107]
.LBB112_522:
	s_mov_b32 s8, exec_lo
	v_cmpx_ne_u32_e32 17, v0
	s_cbranch_execz .LBB112_526
; %bb.523:
	v_add_nc_u32_e32 v106, 0x320, v109
	v_add3_u32 v107, 0, v109, 16
	v_mov_b32_e32 v108, v0
	s_mov_b32 s56, 0
	.p2align	6
.LBB112_524:                            ; =>This Inner Loop Header: Depth=1
	s_clause 0x3
	buffer_load_dword v114, v107, s[0:3], 0 offen offset:8
	buffer_load_dword v115, v107, s[0:3], 0 offen offset:12
	buffer_load_dword v116, v107, s[0:3], 0 offen
	buffer_load_dword v117, v107, s[0:3], 0 offen offset:4
	ds_read_b128 v[110:113], v106
	v_add_nc_u32_e32 v108, 1, v108
	v_add_nc_u32_e32 v106, 16, v106
	;; [unrolled: 1-line block ×3, first 2 shown]
	v_cmp_lt_u32_e32 vcc_lo, 16, v108
	s_or_b32 s56, vcc_lo, s56
	s_waitcnt vmcnt(2) lgkmcnt(0)
	v_mul_f64 v[118:119], v[112:113], v[114:115]
	v_mul_f64 v[114:115], v[110:111], v[114:115]
	s_waitcnt vmcnt(0)
	v_fma_f64 v[110:111], v[110:111], v[116:117], -v[118:119]
	v_fma_f64 v[112:113], v[112:113], v[116:117], v[114:115]
	v_add_f64 v[1:2], v[1:2], v[110:111]
	v_add_f64 v[3:4], v[3:4], v[112:113]
	s_andn2_b32 exec_lo, exec_lo, s56
	s_cbranch_execnz .LBB112_524
; %bb.525:
	s_or_b32 exec_lo, exec_lo, s56
.LBB112_526:
	s_or_b32 exec_lo, exec_lo, s8
	v_mov_b32_e32 v106, 0
	ds_read_b128 v[110:113], v106 offset:288
	s_waitcnt lgkmcnt(0)
	v_mul_f64 v[106:107], v[3:4], v[112:113]
	v_mul_f64 v[112:113], v[1:2], v[112:113]
	v_fma_f64 v[1:2], v[1:2], v[110:111], -v[106:107]
	v_fma_f64 v[3:4], v[3:4], v[110:111], v[112:113]
	buffer_store_dword v2, off, s[0:3], 0 offset:292
	buffer_store_dword v1, off, s[0:3], 0 offset:288
	;; [unrolled: 1-line block ×4, first 2 shown]
.LBB112_527:
	s_or_b32 exec_lo, exec_lo, s4
	v_mov_b32_e32 v4, s37
	s_mov_b32 s4, exec_lo
	s_clause 0x3
	buffer_load_dword v1, v4, s[0:3], 0 offen
	buffer_load_dword v2, v4, s[0:3], 0 offen offset:4
	buffer_load_dword v3, v4, s[0:3], 0 offen offset:8
	buffer_load_dword v4, v4, s[0:3], 0 offen offset:12
	s_waitcnt vmcnt(0)
	ds_write_b128 v104, v[1:4]
	s_waitcnt lgkmcnt(0)
	s_waitcnt_vscnt null, 0x0
	s_barrier
	buffer_gl0_inv
	v_cmpx_gt_u32_e32 19, v0
	s_cbranch_execz .LBB112_535
; %bb.528:
	ds_read_b128 v[1:4], v104
	v_cmp_ne_u32_e32 vcc_lo, 1, v105
	s_cbranch_vccnz .LBB112_530
; %bb.529:
	s_clause 0x3
	buffer_load_dword v106, v103, s[0:3], 0 offen offset:8
	buffer_load_dword v107, v103, s[0:3], 0 offen offset:12
	buffer_load_dword v110, v103, s[0:3], 0 offen
	buffer_load_dword v111, v103, s[0:3], 0 offen offset:4
	s_waitcnt vmcnt(2) lgkmcnt(0)
	v_mul_f64 v[112:113], v[3:4], v[106:107]
	v_mul_f64 v[106:107], v[1:2], v[106:107]
	s_waitcnt vmcnt(0)
	v_fma_f64 v[1:2], v[1:2], v[110:111], -v[112:113]
	v_fma_f64 v[3:4], v[3:4], v[110:111], v[106:107]
.LBB112_530:
	s_mov_b32 s8, exec_lo
	v_cmpx_ne_u32_e32 18, v0
	s_cbranch_execz .LBB112_534
; %bb.531:
	v_add_nc_u32_e32 v106, 0x320, v109
	v_add3_u32 v107, 0, v109, 16
	v_mov_b32_e32 v108, v0
	s_mov_b32 s56, 0
	.p2align	6
.LBB112_532:                            ; =>This Inner Loop Header: Depth=1
	s_clause 0x3
	buffer_load_dword v114, v107, s[0:3], 0 offen offset:8
	buffer_load_dword v115, v107, s[0:3], 0 offen offset:12
	buffer_load_dword v116, v107, s[0:3], 0 offen
	buffer_load_dword v117, v107, s[0:3], 0 offen offset:4
	ds_read_b128 v[110:113], v106
	v_add_nc_u32_e32 v108, 1, v108
	v_add_nc_u32_e32 v106, 16, v106
	;; [unrolled: 1-line block ×3, first 2 shown]
	v_cmp_lt_u32_e32 vcc_lo, 17, v108
	s_or_b32 s56, vcc_lo, s56
	s_waitcnt vmcnt(2) lgkmcnt(0)
	v_mul_f64 v[118:119], v[112:113], v[114:115]
	v_mul_f64 v[114:115], v[110:111], v[114:115]
	s_waitcnt vmcnt(0)
	v_fma_f64 v[110:111], v[110:111], v[116:117], -v[118:119]
	v_fma_f64 v[112:113], v[112:113], v[116:117], v[114:115]
	v_add_f64 v[1:2], v[1:2], v[110:111]
	v_add_f64 v[3:4], v[3:4], v[112:113]
	s_andn2_b32 exec_lo, exec_lo, s56
	s_cbranch_execnz .LBB112_532
; %bb.533:
	s_or_b32 exec_lo, exec_lo, s56
.LBB112_534:
	s_or_b32 exec_lo, exec_lo, s8
	v_mov_b32_e32 v106, 0
	ds_read_b128 v[110:113], v106 offset:304
	s_waitcnt lgkmcnt(0)
	v_mul_f64 v[106:107], v[3:4], v[112:113]
	v_mul_f64 v[112:113], v[1:2], v[112:113]
	v_fma_f64 v[1:2], v[1:2], v[110:111], -v[106:107]
	v_fma_f64 v[3:4], v[3:4], v[110:111], v[112:113]
	buffer_store_dword v2, off, s[0:3], 0 offset:308
	buffer_store_dword v1, off, s[0:3], 0 offset:304
	;; [unrolled: 1-line block ×4, first 2 shown]
.LBB112_535:
	s_or_b32 exec_lo, exec_lo, s4
	v_mov_b32_e32 v4, s36
	s_mov_b32 s4, exec_lo
	s_clause 0x3
	buffer_load_dword v1, v4, s[0:3], 0 offen
	buffer_load_dword v2, v4, s[0:3], 0 offen offset:4
	buffer_load_dword v3, v4, s[0:3], 0 offen offset:8
	buffer_load_dword v4, v4, s[0:3], 0 offen offset:12
	s_waitcnt vmcnt(0)
	ds_write_b128 v104, v[1:4]
	s_waitcnt lgkmcnt(0)
	s_waitcnt_vscnt null, 0x0
	s_barrier
	buffer_gl0_inv
	v_cmpx_gt_u32_e32 20, v0
	s_cbranch_execz .LBB112_543
; %bb.536:
	ds_read_b128 v[1:4], v104
	v_cmp_ne_u32_e32 vcc_lo, 1, v105
	s_cbranch_vccnz .LBB112_538
; %bb.537:
	s_clause 0x3
	buffer_load_dword v106, v103, s[0:3], 0 offen offset:8
	buffer_load_dword v107, v103, s[0:3], 0 offen offset:12
	buffer_load_dword v110, v103, s[0:3], 0 offen
	buffer_load_dword v111, v103, s[0:3], 0 offen offset:4
	s_waitcnt vmcnt(2) lgkmcnt(0)
	v_mul_f64 v[112:113], v[3:4], v[106:107]
	v_mul_f64 v[106:107], v[1:2], v[106:107]
	s_waitcnt vmcnt(0)
	v_fma_f64 v[1:2], v[1:2], v[110:111], -v[112:113]
	v_fma_f64 v[3:4], v[3:4], v[110:111], v[106:107]
.LBB112_538:
	s_mov_b32 s8, exec_lo
	v_cmpx_ne_u32_e32 19, v0
	s_cbranch_execz .LBB112_542
; %bb.539:
	v_add_nc_u32_e32 v106, 0x320, v109
	v_add3_u32 v107, 0, v109, 16
	v_mov_b32_e32 v108, v0
	s_mov_b32 s56, 0
	.p2align	6
.LBB112_540:                            ; =>This Inner Loop Header: Depth=1
	s_clause 0x3
	buffer_load_dword v114, v107, s[0:3], 0 offen offset:8
	buffer_load_dword v115, v107, s[0:3], 0 offen offset:12
	buffer_load_dword v116, v107, s[0:3], 0 offen
	buffer_load_dword v117, v107, s[0:3], 0 offen offset:4
	ds_read_b128 v[110:113], v106
	v_add_nc_u32_e32 v108, 1, v108
	v_add_nc_u32_e32 v106, 16, v106
	;; [unrolled: 1-line block ×3, first 2 shown]
	v_cmp_lt_u32_e32 vcc_lo, 18, v108
	s_or_b32 s56, vcc_lo, s56
	s_waitcnt vmcnt(2) lgkmcnt(0)
	v_mul_f64 v[118:119], v[112:113], v[114:115]
	v_mul_f64 v[114:115], v[110:111], v[114:115]
	s_waitcnt vmcnt(0)
	v_fma_f64 v[110:111], v[110:111], v[116:117], -v[118:119]
	v_fma_f64 v[112:113], v[112:113], v[116:117], v[114:115]
	v_add_f64 v[1:2], v[1:2], v[110:111]
	v_add_f64 v[3:4], v[3:4], v[112:113]
	s_andn2_b32 exec_lo, exec_lo, s56
	s_cbranch_execnz .LBB112_540
; %bb.541:
	s_or_b32 exec_lo, exec_lo, s56
.LBB112_542:
	s_or_b32 exec_lo, exec_lo, s8
	v_mov_b32_e32 v106, 0
	ds_read_b128 v[110:113], v106 offset:320
	s_waitcnt lgkmcnt(0)
	v_mul_f64 v[106:107], v[3:4], v[112:113]
	v_mul_f64 v[112:113], v[1:2], v[112:113]
	v_fma_f64 v[1:2], v[1:2], v[110:111], -v[106:107]
	v_fma_f64 v[3:4], v[3:4], v[110:111], v[112:113]
	buffer_store_dword v2, off, s[0:3], 0 offset:324
	buffer_store_dword v1, off, s[0:3], 0 offset:320
	;; [unrolled: 1-line block ×4, first 2 shown]
.LBB112_543:
	s_or_b32 exec_lo, exec_lo, s4
	v_mov_b32_e32 v4, s35
	s_mov_b32 s4, exec_lo
	s_clause 0x3
	buffer_load_dword v1, v4, s[0:3], 0 offen
	buffer_load_dword v2, v4, s[0:3], 0 offen offset:4
	buffer_load_dword v3, v4, s[0:3], 0 offen offset:8
	;; [unrolled: 1-line block ×3, first 2 shown]
	s_waitcnt vmcnt(0)
	ds_write_b128 v104, v[1:4]
	s_waitcnt lgkmcnt(0)
	s_waitcnt_vscnt null, 0x0
	s_barrier
	buffer_gl0_inv
	v_cmpx_gt_u32_e32 21, v0
	s_cbranch_execz .LBB112_551
; %bb.544:
	ds_read_b128 v[1:4], v104
	v_cmp_ne_u32_e32 vcc_lo, 1, v105
	s_cbranch_vccnz .LBB112_546
; %bb.545:
	s_clause 0x3
	buffer_load_dword v106, v103, s[0:3], 0 offen offset:8
	buffer_load_dword v107, v103, s[0:3], 0 offen offset:12
	buffer_load_dword v110, v103, s[0:3], 0 offen
	buffer_load_dword v111, v103, s[0:3], 0 offen offset:4
	s_waitcnt vmcnt(2) lgkmcnt(0)
	v_mul_f64 v[112:113], v[3:4], v[106:107]
	v_mul_f64 v[106:107], v[1:2], v[106:107]
	s_waitcnt vmcnt(0)
	v_fma_f64 v[1:2], v[1:2], v[110:111], -v[112:113]
	v_fma_f64 v[3:4], v[3:4], v[110:111], v[106:107]
.LBB112_546:
	s_mov_b32 s8, exec_lo
	v_cmpx_ne_u32_e32 20, v0
	s_cbranch_execz .LBB112_550
; %bb.547:
	v_add_nc_u32_e32 v106, 0x320, v109
	v_add3_u32 v107, 0, v109, 16
	v_mov_b32_e32 v108, v0
	s_mov_b32 s56, 0
	.p2align	6
.LBB112_548:                            ; =>This Inner Loop Header: Depth=1
	s_clause 0x3
	buffer_load_dword v114, v107, s[0:3], 0 offen offset:8
	buffer_load_dword v115, v107, s[0:3], 0 offen offset:12
	buffer_load_dword v116, v107, s[0:3], 0 offen
	buffer_load_dword v117, v107, s[0:3], 0 offen offset:4
	ds_read_b128 v[110:113], v106
	v_add_nc_u32_e32 v108, 1, v108
	v_add_nc_u32_e32 v106, 16, v106
	;; [unrolled: 1-line block ×3, first 2 shown]
	v_cmp_lt_u32_e32 vcc_lo, 19, v108
	s_or_b32 s56, vcc_lo, s56
	s_waitcnt vmcnt(2) lgkmcnt(0)
	v_mul_f64 v[118:119], v[112:113], v[114:115]
	v_mul_f64 v[114:115], v[110:111], v[114:115]
	s_waitcnt vmcnt(0)
	v_fma_f64 v[110:111], v[110:111], v[116:117], -v[118:119]
	v_fma_f64 v[112:113], v[112:113], v[116:117], v[114:115]
	v_add_f64 v[1:2], v[1:2], v[110:111]
	v_add_f64 v[3:4], v[3:4], v[112:113]
	s_andn2_b32 exec_lo, exec_lo, s56
	s_cbranch_execnz .LBB112_548
; %bb.549:
	s_or_b32 exec_lo, exec_lo, s56
.LBB112_550:
	s_or_b32 exec_lo, exec_lo, s8
	v_mov_b32_e32 v106, 0
	ds_read_b128 v[110:113], v106 offset:336
	s_waitcnt lgkmcnt(0)
	v_mul_f64 v[106:107], v[3:4], v[112:113]
	v_mul_f64 v[112:113], v[1:2], v[112:113]
	v_fma_f64 v[1:2], v[1:2], v[110:111], -v[106:107]
	v_fma_f64 v[3:4], v[3:4], v[110:111], v[112:113]
	buffer_store_dword v2, off, s[0:3], 0 offset:340
	buffer_store_dword v1, off, s[0:3], 0 offset:336
	;; [unrolled: 1-line block ×4, first 2 shown]
.LBB112_551:
	s_or_b32 exec_lo, exec_lo, s4
	v_mov_b32_e32 v4, s34
	s_mov_b32 s4, exec_lo
	s_clause 0x3
	buffer_load_dword v1, v4, s[0:3], 0 offen
	buffer_load_dword v2, v4, s[0:3], 0 offen offset:4
	buffer_load_dword v3, v4, s[0:3], 0 offen offset:8
	;; [unrolled: 1-line block ×3, first 2 shown]
	s_waitcnt vmcnt(0)
	ds_write_b128 v104, v[1:4]
	s_waitcnt lgkmcnt(0)
	s_waitcnt_vscnt null, 0x0
	s_barrier
	buffer_gl0_inv
	v_cmpx_gt_u32_e32 22, v0
	s_cbranch_execz .LBB112_559
; %bb.552:
	ds_read_b128 v[1:4], v104
	v_cmp_ne_u32_e32 vcc_lo, 1, v105
	s_cbranch_vccnz .LBB112_554
; %bb.553:
	s_clause 0x3
	buffer_load_dword v106, v103, s[0:3], 0 offen offset:8
	buffer_load_dword v107, v103, s[0:3], 0 offen offset:12
	buffer_load_dword v110, v103, s[0:3], 0 offen
	buffer_load_dword v111, v103, s[0:3], 0 offen offset:4
	s_waitcnt vmcnt(2) lgkmcnt(0)
	v_mul_f64 v[112:113], v[3:4], v[106:107]
	v_mul_f64 v[106:107], v[1:2], v[106:107]
	s_waitcnt vmcnt(0)
	v_fma_f64 v[1:2], v[1:2], v[110:111], -v[112:113]
	v_fma_f64 v[3:4], v[3:4], v[110:111], v[106:107]
.LBB112_554:
	s_mov_b32 s8, exec_lo
	v_cmpx_ne_u32_e32 21, v0
	s_cbranch_execz .LBB112_558
; %bb.555:
	v_add_nc_u32_e32 v106, 0x320, v109
	v_add3_u32 v107, 0, v109, 16
	v_mov_b32_e32 v108, v0
	s_mov_b32 s56, 0
	.p2align	6
.LBB112_556:                            ; =>This Inner Loop Header: Depth=1
	s_clause 0x3
	buffer_load_dword v114, v107, s[0:3], 0 offen offset:8
	buffer_load_dword v115, v107, s[0:3], 0 offen offset:12
	buffer_load_dword v116, v107, s[0:3], 0 offen
	buffer_load_dword v117, v107, s[0:3], 0 offen offset:4
	ds_read_b128 v[110:113], v106
	v_add_nc_u32_e32 v108, 1, v108
	v_add_nc_u32_e32 v106, 16, v106
	;; [unrolled: 1-line block ×3, first 2 shown]
	v_cmp_lt_u32_e32 vcc_lo, 20, v108
	s_or_b32 s56, vcc_lo, s56
	s_waitcnt vmcnt(2) lgkmcnt(0)
	v_mul_f64 v[118:119], v[112:113], v[114:115]
	v_mul_f64 v[114:115], v[110:111], v[114:115]
	s_waitcnt vmcnt(0)
	v_fma_f64 v[110:111], v[110:111], v[116:117], -v[118:119]
	v_fma_f64 v[112:113], v[112:113], v[116:117], v[114:115]
	v_add_f64 v[1:2], v[1:2], v[110:111]
	v_add_f64 v[3:4], v[3:4], v[112:113]
	s_andn2_b32 exec_lo, exec_lo, s56
	s_cbranch_execnz .LBB112_556
; %bb.557:
	s_or_b32 exec_lo, exec_lo, s56
.LBB112_558:
	s_or_b32 exec_lo, exec_lo, s8
	v_mov_b32_e32 v106, 0
	ds_read_b128 v[110:113], v106 offset:352
	s_waitcnt lgkmcnt(0)
	v_mul_f64 v[106:107], v[3:4], v[112:113]
	v_mul_f64 v[112:113], v[1:2], v[112:113]
	v_fma_f64 v[1:2], v[1:2], v[110:111], -v[106:107]
	v_fma_f64 v[3:4], v[3:4], v[110:111], v[112:113]
	buffer_store_dword v2, off, s[0:3], 0 offset:356
	buffer_store_dword v1, off, s[0:3], 0 offset:352
	;; [unrolled: 1-line block ×4, first 2 shown]
.LBB112_559:
	s_or_b32 exec_lo, exec_lo, s4
	v_mov_b32_e32 v4, s33
	s_mov_b32 s4, exec_lo
	s_clause 0x3
	buffer_load_dword v1, v4, s[0:3], 0 offen
	buffer_load_dword v2, v4, s[0:3], 0 offen offset:4
	buffer_load_dword v3, v4, s[0:3], 0 offen offset:8
	;; [unrolled: 1-line block ×3, first 2 shown]
	s_waitcnt vmcnt(0)
	ds_write_b128 v104, v[1:4]
	s_waitcnt lgkmcnt(0)
	s_waitcnt_vscnt null, 0x0
	s_barrier
	buffer_gl0_inv
	v_cmpx_gt_u32_e32 23, v0
	s_cbranch_execz .LBB112_567
; %bb.560:
	ds_read_b128 v[1:4], v104
	v_cmp_ne_u32_e32 vcc_lo, 1, v105
	s_cbranch_vccnz .LBB112_562
; %bb.561:
	s_clause 0x3
	buffer_load_dword v106, v103, s[0:3], 0 offen offset:8
	buffer_load_dword v107, v103, s[0:3], 0 offen offset:12
	buffer_load_dword v110, v103, s[0:3], 0 offen
	buffer_load_dword v111, v103, s[0:3], 0 offen offset:4
	s_waitcnt vmcnt(2) lgkmcnt(0)
	v_mul_f64 v[112:113], v[3:4], v[106:107]
	v_mul_f64 v[106:107], v[1:2], v[106:107]
	s_waitcnt vmcnt(0)
	v_fma_f64 v[1:2], v[1:2], v[110:111], -v[112:113]
	v_fma_f64 v[3:4], v[3:4], v[110:111], v[106:107]
.LBB112_562:
	s_mov_b32 s8, exec_lo
	v_cmpx_ne_u32_e32 22, v0
	s_cbranch_execz .LBB112_566
; %bb.563:
	v_add_nc_u32_e32 v106, 0x320, v109
	v_add3_u32 v107, 0, v109, 16
	v_mov_b32_e32 v108, v0
	s_mov_b32 s56, 0
	.p2align	6
.LBB112_564:                            ; =>This Inner Loop Header: Depth=1
	s_clause 0x3
	buffer_load_dword v114, v107, s[0:3], 0 offen offset:8
	buffer_load_dword v115, v107, s[0:3], 0 offen offset:12
	buffer_load_dword v116, v107, s[0:3], 0 offen
	buffer_load_dword v117, v107, s[0:3], 0 offen offset:4
	ds_read_b128 v[110:113], v106
	v_add_nc_u32_e32 v108, 1, v108
	v_add_nc_u32_e32 v106, 16, v106
	;; [unrolled: 1-line block ×3, first 2 shown]
	v_cmp_lt_u32_e32 vcc_lo, 21, v108
	s_or_b32 s56, vcc_lo, s56
	s_waitcnt vmcnt(2) lgkmcnt(0)
	v_mul_f64 v[118:119], v[112:113], v[114:115]
	v_mul_f64 v[114:115], v[110:111], v[114:115]
	s_waitcnt vmcnt(0)
	v_fma_f64 v[110:111], v[110:111], v[116:117], -v[118:119]
	v_fma_f64 v[112:113], v[112:113], v[116:117], v[114:115]
	v_add_f64 v[1:2], v[1:2], v[110:111]
	v_add_f64 v[3:4], v[3:4], v[112:113]
	s_andn2_b32 exec_lo, exec_lo, s56
	s_cbranch_execnz .LBB112_564
; %bb.565:
	s_or_b32 exec_lo, exec_lo, s56
.LBB112_566:
	s_or_b32 exec_lo, exec_lo, s8
	v_mov_b32_e32 v106, 0
	ds_read_b128 v[110:113], v106 offset:368
	s_waitcnt lgkmcnt(0)
	v_mul_f64 v[106:107], v[3:4], v[112:113]
	v_mul_f64 v[112:113], v[1:2], v[112:113]
	v_fma_f64 v[1:2], v[1:2], v[110:111], -v[106:107]
	v_fma_f64 v[3:4], v[3:4], v[110:111], v[112:113]
	buffer_store_dword v2, off, s[0:3], 0 offset:372
	buffer_store_dword v1, off, s[0:3], 0 offset:368
	;; [unrolled: 1-line block ×4, first 2 shown]
.LBB112_567:
	s_or_b32 exec_lo, exec_lo, s4
	v_mov_b32_e32 v4, s31
	s_mov_b32 s4, exec_lo
	s_clause 0x3
	buffer_load_dword v1, v4, s[0:3], 0 offen
	buffer_load_dword v2, v4, s[0:3], 0 offen offset:4
	buffer_load_dword v3, v4, s[0:3], 0 offen offset:8
	;; [unrolled: 1-line block ×3, first 2 shown]
	s_waitcnt vmcnt(0)
	ds_write_b128 v104, v[1:4]
	s_waitcnt lgkmcnt(0)
	s_waitcnt_vscnt null, 0x0
	s_barrier
	buffer_gl0_inv
	v_cmpx_gt_u32_e32 24, v0
	s_cbranch_execz .LBB112_575
; %bb.568:
	ds_read_b128 v[1:4], v104
	v_cmp_ne_u32_e32 vcc_lo, 1, v105
	s_cbranch_vccnz .LBB112_570
; %bb.569:
	s_clause 0x3
	buffer_load_dword v106, v103, s[0:3], 0 offen offset:8
	buffer_load_dword v107, v103, s[0:3], 0 offen offset:12
	buffer_load_dword v110, v103, s[0:3], 0 offen
	buffer_load_dword v111, v103, s[0:3], 0 offen offset:4
	s_waitcnt vmcnt(2) lgkmcnt(0)
	v_mul_f64 v[112:113], v[3:4], v[106:107]
	v_mul_f64 v[106:107], v[1:2], v[106:107]
	s_waitcnt vmcnt(0)
	v_fma_f64 v[1:2], v[1:2], v[110:111], -v[112:113]
	v_fma_f64 v[3:4], v[3:4], v[110:111], v[106:107]
.LBB112_570:
	s_mov_b32 s8, exec_lo
	v_cmpx_ne_u32_e32 23, v0
	s_cbranch_execz .LBB112_574
; %bb.571:
	v_add_nc_u32_e32 v106, 0x320, v109
	v_add3_u32 v107, 0, v109, 16
	v_mov_b32_e32 v108, v0
	s_mov_b32 s56, 0
	.p2align	6
.LBB112_572:                            ; =>This Inner Loop Header: Depth=1
	s_clause 0x3
	buffer_load_dword v114, v107, s[0:3], 0 offen offset:8
	buffer_load_dword v115, v107, s[0:3], 0 offen offset:12
	buffer_load_dword v116, v107, s[0:3], 0 offen
	buffer_load_dword v117, v107, s[0:3], 0 offen offset:4
	ds_read_b128 v[110:113], v106
	v_add_nc_u32_e32 v108, 1, v108
	v_add_nc_u32_e32 v106, 16, v106
	;; [unrolled: 1-line block ×3, first 2 shown]
	v_cmp_lt_u32_e32 vcc_lo, 22, v108
	s_or_b32 s56, vcc_lo, s56
	s_waitcnt vmcnt(2) lgkmcnt(0)
	v_mul_f64 v[118:119], v[112:113], v[114:115]
	v_mul_f64 v[114:115], v[110:111], v[114:115]
	s_waitcnt vmcnt(0)
	v_fma_f64 v[110:111], v[110:111], v[116:117], -v[118:119]
	v_fma_f64 v[112:113], v[112:113], v[116:117], v[114:115]
	v_add_f64 v[1:2], v[1:2], v[110:111]
	v_add_f64 v[3:4], v[3:4], v[112:113]
	s_andn2_b32 exec_lo, exec_lo, s56
	s_cbranch_execnz .LBB112_572
; %bb.573:
	s_or_b32 exec_lo, exec_lo, s56
.LBB112_574:
	s_or_b32 exec_lo, exec_lo, s8
	v_mov_b32_e32 v106, 0
	ds_read_b128 v[110:113], v106 offset:384
	s_waitcnt lgkmcnt(0)
	v_mul_f64 v[106:107], v[3:4], v[112:113]
	v_mul_f64 v[112:113], v[1:2], v[112:113]
	v_fma_f64 v[1:2], v[1:2], v[110:111], -v[106:107]
	v_fma_f64 v[3:4], v[3:4], v[110:111], v[112:113]
	buffer_store_dword v2, off, s[0:3], 0 offset:388
	buffer_store_dword v1, off, s[0:3], 0 offset:384
	;; [unrolled: 1-line block ×4, first 2 shown]
.LBB112_575:
	s_or_b32 exec_lo, exec_lo, s4
	v_mov_b32_e32 v4, s30
	s_mov_b32 s4, exec_lo
	s_clause 0x3
	buffer_load_dword v1, v4, s[0:3], 0 offen
	buffer_load_dword v2, v4, s[0:3], 0 offen offset:4
	buffer_load_dword v3, v4, s[0:3], 0 offen offset:8
	;; [unrolled: 1-line block ×3, first 2 shown]
	s_waitcnt vmcnt(0)
	ds_write_b128 v104, v[1:4]
	s_waitcnt lgkmcnt(0)
	s_waitcnt_vscnt null, 0x0
	s_barrier
	buffer_gl0_inv
	v_cmpx_gt_u32_e32 25, v0
	s_cbranch_execz .LBB112_583
; %bb.576:
	ds_read_b128 v[1:4], v104
	v_cmp_ne_u32_e32 vcc_lo, 1, v105
	s_cbranch_vccnz .LBB112_578
; %bb.577:
	s_clause 0x3
	buffer_load_dword v106, v103, s[0:3], 0 offen offset:8
	buffer_load_dword v107, v103, s[0:3], 0 offen offset:12
	buffer_load_dword v110, v103, s[0:3], 0 offen
	buffer_load_dword v111, v103, s[0:3], 0 offen offset:4
	s_waitcnt vmcnt(2) lgkmcnt(0)
	v_mul_f64 v[112:113], v[3:4], v[106:107]
	v_mul_f64 v[106:107], v[1:2], v[106:107]
	s_waitcnt vmcnt(0)
	v_fma_f64 v[1:2], v[1:2], v[110:111], -v[112:113]
	v_fma_f64 v[3:4], v[3:4], v[110:111], v[106:107]
.LBB112_578:
	s_mov_b32 s8, exec_lo
	v_cmpx_ne_u32_e32 24, v0
	s_cbranch_execz .LBB112_582
; %bb.579:
	v_add_nc_u32_e32 v106, 0x320, v109
	v_add3_u32 v107, 0, v109, 16
	v_mov_b32_e32 v108, v0
	s_mov_b32 s56, 0
	.p2align	6
.LBB112_580:                            ; =>This Inner Loop Header: Depth=1
	s_clause 0x3
	buffer_load_dword v114, v107, s[0:3], 0 offen offset:8
	buffer_load_dword v115, v107, s[0:3], 0 offen offset:12
	buffer_load_dword v116, v107, s[0:3], 0 offen
	buffer_load_dword v117, v107, s[0:3], 0 offen offset:4
	ds_read_b128 v[110:113], v106
	v_add_nc_u32_e32 v108, 1, v108
	v_add_nc_u32_e32 v106, 16, v106
	;; [unrolled: 1-line block ×3, first 2 shown]
	v_cmp_lt_u32_e32 vcc_lo, 23, v108
	s_or_b32 s56, vcc_lo, s56
	s_waitcnt vmcnt(2) lgkmcnt(0)
	v_mul_f64 v[118:119], v[112:113], v[114:115]
	v_mul_f64 v[114:115], v[110:111], v[114:115]
	s_waitcnt vmcnt(0)
	v_fma_f64 v[110:111], v[110:111], v[116:117], -v[118:119]
	v_fma_f64 v[112:113], v[112:113], v[116:117], v[114:115]
	v_add_f64 v[1:2], v[1:2], v[110:111]
	v_add_f64 v[3:4], v[3:4], v[112:113]
	s_andn2_b32 exec_lo, exec_lo, s56
	s_cbranch_execnz .LBB112_580
; %bb.581:
	s_or_b32 exec_lo, exec_lo, s56
.LBB112_582:
	s_or_b32 exec_lo, exec_lo, s8
	v_mov_b32_e32 v106, 0
	ds_read_b128 v[110:113], v106 offset:400
	s_waitcnt lgkmcnt(0)
	v_mul_f64 v[106:107], v[3:4], v[112:113]
	v_mul_f64 v[112:113], v[1:2], v[112:113]
	v_fma_f64 v[1:2], v[1:2], v[110:111], -v[106:107]
	v_fma_f64 v[3:4], v[3:4], v[110:111], v[112:113]
	buffer_store_dword v2, off, s[0:3], 0 offset:404
	buffer_store_dword v1, off, s[0:3], 0 offset:400
	;; [unrolled: 1-line block ×4, first 2 shown]
.LBB112_583:
	s_or_b32 exec_lo, exec_lo, s4
	v_mov_b32_e32 v4, s29
	s_mov_b32 s4, exec_lo
	s_clause 0x3
	buffer_load_dword v1, v4, s[0:3], 0 offen
	buffer_load_dword v2, v4, s[0:3], 0 offen offset:4
	buffer_load_dword v3, v4, s[0:3], 0 offen offset:8
	;; [unrolled: 1-line block ×3, first 2 shown]
	s_waitcnt vmcnt(0)
	ds_write_b128 v104, v[1:4]
	s_waitcnt lgkmcnt(0)
	s_waitcnt_vscnt null, 0x0
	s_barrier
	buffer_gl0_inv
	v_cmpx_gt_u32_e32 26, v0
	s_cbranch_execz .LBB112_591
; %bb.584:
	ds_read_b128 v[1:4], v104
	v_cmp_ne_u32_e32 vcc_lo, 1, v105
	s_cbranch_vccnz .LBB112_586
; %bb.585:
	s_clause 0x3
	buffer_load_dword v106, v103, s[0:3], 0 offen offset:8
	buffer_load_dword v107, v103, s[0:3], 0 offen offset:12
	buffer_load_dword v110, v103, s[0:3], 0 offen
	buffer_load_dword v111, v103, s[0:3], 0 offen offset:4
	s_waitcnt vmcnt(2) lgkmcnt(0)
	v_mul_f64 v[112:113], v[3:4], v[106:107]
	v_mul_f64 v[106:107], v[1:2], v[106:107]
	s_waitcnt vmcnt(0)
	v_fma_f64 v[1:2], v[1:2], v[110:111], -v[112:113]
	v_fma_f64 v[3:4], v[3:4], v[110:111], v[106:107]
.LBB112_586:
	s_mov_b32 s8, exec_lo
	v_cmpx_ne_u32_e32 25, v0
	s_cbranch_execz .LBB112_590
; %bb.587:
	v_add_nc_u32_e32 v106, 0x320, v109
	v_add3_u32 v107, 0, v109, 16
	v_mov_b32_e32 v108, v0
	s_mov_b32 s56, 0
	.p2align	6
.LBB112_588:                            ; =>This Inner Loop Header: Depth=1
	s_clause 0x3
	buffer_load_dword v114, v107, s[0:3], 0 offen offset:8
	buffer_load_dword v115, v107, s[0:3], 0 offen offset:12
	buffer_load_dword v116, v107, s[0:3], 0 offen
	buffer_load_dword v117, v107, s[0:3], 0 offen offset:4
	ds_read_b128 v[110:113], v106
	v_add_nc_u32_e32 v108, 1, v108
	v_add_nc_u32_e32 v106, 16, v106
	;; [unrolled: 1-line block ×3, first 2 shown]
	v_cmp_lt_u32_e32 vcc_lo, 24, v108
	s_or_b32 s56, vcc_lo, s56
	s_waitcnt vmcnt(2) lgkmcnt(0)
	v_mul_f64 v[118:119], v[112:113], v[114:115]
	v_mul_f64 v[114:115], v[110:111], v[114:115]
	s_waitcnt vmcnt(0)
	v_fma_f64 v[110:111], v[110:111], v[116:117], -v[118:119]
	v_fma_f64 v[112:113], v[112:113], v[116:117], v[114:115]
	v_add_f64 v[1:2], v[1:2], v[110:111]
	v_add_f64 v[3:4], v[3:4], v[112:113]
	s_andn2_b32 exec_lo, exec_lo, s56
	s_cbranch_execnz .LBB112_588
; %bb.589:
	s_or_b32 exec_lo, exec_lo, s56
.LBB112_590:
	s_or_b32 exec_lo, exec_lo, s8
	v_mov_b32_e32 v106, 0
	ds_read_b128 v[110:113], v106 offset:416
	s_waitcnt lgkmcnt(0)
	v_mul_f64 v[106:107], v[3:4], v[112:113]
	v_mul_f64 v[112:113], v[1:2], v[112:113]
	v_fma_f64 v[1:2], v[1:2], v[110:111], -v[106:107]
	v_fma_f64 v[3:4], v[3:4], v[110:111], v[112:113]
	buffer_store_dword v2, off, s[0:3], 0 offset:420
	buffer_store_dword v1, off, s[0:3], 0 offset:416
	;; [unrolled: 1-line block ×4, first 2 shown]
.LBB112_591:
	s_or_b32 exec_lo, exec_lo, s4
	v_mov_b32_e32 v4, s28
	s_mov_b32 s4, exec_lo
	s_clause 0x3
	buffer_load_dword v1, v4, s[0:3], 0 offen
	buffer_load_dword v2, v4, s[0:3], 0 offen offset:4
	buffer_load_dword v3, v4, s[0:3], 0 offen offset:8
	;; [unrolled: 1-line block ×3, first 2 shown]
	s_waitcnt vmcnt(0)
	ds_write_b128 v104, v[1:4]
	s_waitcnt lgkmcnt(0)
	s_waitcnt_vscnt null, 0x0
	s_barrier
	buffer_gl0_inv
	v_cmpx_gt_u32_e32 27, v0
	s_cbranch_execz .LBB112_599
; %bb.592:
	ds_read_b128 v[1:4], v104
	v_cmp_ne_u32_e32 vcc_lo, 1, v105
	s_cbranch_vccnz .LBB112_594
; %bb.593:
	s_clause 0x3
	buffer_load_dword v106, v103, s[0:3], 0 offen offset:8
	buffer_load_dword v107, v103, s[0:3], 0 offen offset:12
	buffer_load_dword v110, v103, s[0:3], 0 offen
	buffer_load_dword v111, v103, s[0:3], 0 offen offset:4
	s_waitcnt vmcnt(2) lgkmcnt(0)
	v_mul_f64 v[112:113], v[3:4], v[106:107]
	v_mul_f64 v[106:107], v[1:2], v[106:107]
	s_waitcnt vmcnt(0)
	v_fma_f64 v[1:2], v[1:2], v[110:111], -v[112:113]
	v_fma_f64 v[3:4], v[3:4], v[110:111], v[106:107]
.LBB112_594:
	s_mov_b32 s8, exec_lo
	v_cmpx_ne_u32_e32 26, v0
	s_cbranch_execz .LBB112_598
; %bb.595:
	v_add_nc_u32_e32 v106, 0x320, v109
	v_add3_u32 v107, 0, v109, 16
	v_mov_b32_e32 v108, v0
	s_mov_b32 s56, 0
	.p2align	6
.LBB112_596:                            ; =>This Inner Loop Header: Depth=1
	s_clause 0x3
	buffer_load_dword v114, v107, s[0:3], 0 offen offset:8
	buffer_load_dword v115, v107, s[0:3], 0 offen offset:12
	buffer_load_dword v116, v107, s[0:3], 0 offen
	buffer_load_dword v117, v107, s[0:3], 0 offen offset:4
	ds_read_b128 v[110:113], v106
	v_add_nc_u32_e32 v108, 1, v108
	v_add_nc_u32_e32 v106, 16, v106
	;; [unrolled: 1-line block ×3, first 2 shown]
	v_cmp_lt_u32_e32 vcc_lo, 25, v108
	s_or_b32 s56, vcc_lo, s56
	s_waitcnt vmcnt(2) lgkmcnt(0)
	v_mul_f64 v[118:119], v[112:113], v[114:115]
	v_mul_f64 v[114:115], v[110:111], v[114:115]
	s_waitcnt vmcnt(0)
	v_fma_f64 v[110:111], v[110:111], v[116:117], -v[118:119]
	v_fma_f64 v[112:113], v[112:113], v[116:117], v[114:115]
	v_add_f64 v[1:2], v[1:2], v[110:111]
	v_add_f64 v[3:4], v[3:4], v[112:113]
	s_andn2_b32 exec_lo, exec_lo, s56
	s_cbranch_execnz .LBB112_596
; %bb.597:
	s_or_b32 exec_lo, exec_lo, s56
.LBB112_598:
	s_or_b32 exec_lo, exec_lo, s8
	v_mov_b32_e32 v106, 0
	ds_read_b128 v[110:113], v106 offset:432
	s_waitcnt lgkmcnt(0)
	v_mul_f64 v[106:107], v[3:4], v[112:113]
	v_mul_f64 v[112:113], v[1:2], v[112:113]
	v_fma_f64 v[1:2], v[1:2], v[110:111], -v[106:107]
	v_fma_f64 v[3:4], v[3:4], v[110:111], v[112:113]
	buffer_store_dword v2, off, s[0:3], 0 offset:436
	buffer_store_dword v1, off, s[0:3], 0 offset:432
	;; [unrolled: 1-line block ×4, first 2 shown]
.LBB112_599:
	s_or_b32 exec_lo, exec_lo, s4
	v_mov_b32_e32 v4, s27
	s_mov_b32 s4, exec_lo
	s_clause 0x3
	buffer_load_dword v1, v4, s[0:3], 0 offen
	buffer_load_dword v2, v4, s[0:3], 0 offen offset:4
	buffer_load_dword v3, v4, s[0:3], 0 offen offset:8
	;; [unrolled: 1-line block ×3, first 2 shown]
	s_waitcnt vmcnt(0)
	ds_write_b128 v104, v[1:4]
	s_waitcnt lgkmcnt(0)
	s_waitcnt_vscnt null, 0x0
	s_barrier
	buffer_gl0_inv
	v_cmpx_gt_u32_e32 28, v0
	s_cbranch_execz .LBB112_607
; %bb.600:
	ds_read_b128 v[1:4], v104
	v_cmp_ne_u32_e32 vcc_lo, 1, v105
	s_cbranch_vccnz .LBB112_602
; %bb.601:
	s_clause 0x3
	buffer_load_dword v106, v103, s[0:3], 0 offen offset:8
	buffer_load_dword v107, v103, s[0:3], 0 offen offset:12
	buffer_load_dword v110, v103, s[0:3], 0 offen
	buffer_load_dword v111, v103, s[0:3], 0 offen offset:4
	s_waitcnt vmcnt(2) lgkmcnt(0)
	v_mul_f64 v[112:113], v[3:4], v[106:107]
	v_mul_f64 v[106:107], v[1:2], v[106:107]
	s_waitcnt vmcnt(0)
	v_fma_f64 v[1:2], v[1:2], v[110:111], -v[112:113]
	v_fma_f64 v[3:4], v[3:4], v[110:111], v[106:107]
.LBB112_602:
	s_mov_b32 s8, exec_lo
	v_cmpx_ne_u32_e32 27, v0
	s_cbranch_execz .LBB112_606
; %bb.603:
	v_add_nc_u32_e32 v106, 0x320, v109
	v_add3_u32 v107, 0, v109, 16
	v_mov_b32_e32 v108, v0
	s_mov_b32 s56, 0
	.p2align	6
.LBB112_604:                            ; =>This Inner Loop Header: Depth=1
	s_clause 0x3
	buffer_load_dword v114, v107, s[0:3], 0 offen offset:8
	buffer_load_dword v115, v107, s[0:3], 0 offen offset:12
	buffer_load_dword v116, v107, s[0:3], 0 offen
	buffer_load_dword v117, v107, s[0:3], 0 offen offset:4
	ds_read_b128 v[110:113], v106
	v_add_nc_u32_e32 v108, 1, v108
	v_add_nc_u32_e32 v106, 16, v106
	;; [unrolled: 1-line block ×3, first 2 shown]
	v_cmp_lt_u32_e32 vcc_lo, 26, v108
	s_or_b32 s56, vcc_lo, s56
	s_waitcnt vmcnt(2) lgkmcnt(0)
	v_mul_f64 v[118:119], v[112:113], v[114:115]
	v_mul_f64 v[114:115], v[110:111], v[114:115]
	s_waitcnt vmcnt(0)
	v_fma_f64 v[110:111], v[110:111], v[116:117], -v[118:119]
	v_fma_f64 v[112:113], v[112:113], v[116:117], v[114:115]
	v_add_f64 v[1:2], v[1:2], v[110:111]
	v_add_f64 v[3:4], v[3:4], v[112:113]
	s_andn2_b32 exec_lo, exec_lo, s56
	s_cbranch_execnz .LBB112_604
; %bb.605:
	s_or_b32 exec_lo, exec_lo, s56
.LBB112_606:
	s_or_b32 exec_lo, exec_lo, s8
	v_mov_b32_e32 v106, 0
	ds_read_b128 v[110:113], v106 offset:448
	s_waitcnt lgkmcnt(0)
	v_mul_f64 v[106:107], v[3:4], v[112:113]
	v_mul_f64 v[112:113], v[1:2], v[112:113]
	v_fma_f64 v[1:2], v[1:2], v[110:111], -v[106:107]
	v_fma_f64 v[3:4], v[3:4], v[110:111], v[112:113]
	buffer_store_dword v2, off, s[0:3], 0 offset:452
	buffer_store_dword v1, off, s[0:3], 0 offset:448
	;; [unrolled: 1-line block ×4, first 2 shown]
.LBB112_607:
	s_or_b32 exec_lo, exec_lo, s4
	v_mov_b32_e32 v4, s26
	s_mov_b32 s4, exec_lo
	s_clause 0x3
	buffer_load_dword v1, v4, s[0:3], 0 offen
	buffer_load_dword v2, v4, s[0:3], 0 offen offset:4
	buffer_load_dword v3, v4, s[0:3], 0 offen offset:8
	;; [unrolled: 1-line block ×3, first 2 shown]
	s_waitcnt vmcnt(0)
	ds_write_b128 v104, v[1:4]
	s_waitcnt lgkmcnt(0)
	s_waitcnt_vscnt null, 0x0
	s_barrier
	buffer_gl0_inv
	v_cmpx_gt_u32_e32 29, v0
	s_cbranch_execz .LBB112_615
; %bb.608:
	ds_read_b128 v[1:4], v104
	v_cmp_ne_u32_e32 vcc_lo, 1, v105
	s_cbranch_vccnz .LBB112_610
; %bb.609:
	s_clause 0x3
	buffer_load_dword v106, v103, s[0:3], 0 offen offset:8
	buffer_load_dword v107, v103, s[0:3], 0 offen offset:12
	buffer_load_dword v110, v103, s[0:3], 0 offen
	buffer_load_dword v111, v103, s[0:3], 0 offen offset:4
	s_waitcnt vmcnt(2) lgkmcnt(0)
	v_mul_f64 v[112:113], v[3:4], v[106:107]
	v_mul_f64 v[106:107], v[1:2], v[106:107]
	s_waitcnt vmcnt(0)
	v_fma_f64 v[1:2], v[1:2], v[110:111], -v[112:113]
	v_fma_f64 v[3:4], v[3:4], v[110:111], v[106:107]
.LBB112_610:
	s_mov_b32 s8, exec_lo
	v_cmpx_ne_u32_e32 28, v0
	s_cbranch_execz .LBB112_614
; %bb.611:
	v_add_nc_u32_e32 v106, 0x320, v109
	v_add3_u32 v107, 0, v109, 16
	v_mov_b32_e32 v108, v0
	s_mov_b32 s56, 0
	.p2align	6
.LBB112_612:                            ; =>This Inner Loop Header: Depth=1
	s_clause 0x3
	buffer_load_dword v114, v107, s[0:3], 0 offen offset:8
	buffer_load_dword v115, v107, s[0:3], 0 offen offset:12
	buffer_load_dword v116, v107, s[0:3], 0 offen
	buffer_load_dword v117, v107, s[0:3], 0 offen offset:4
	ds_read_b128 v[110:113], v106
	v_add_nc_u32_e32 v108, 1, v108
	v_add_nc_u32_e32 v106, 16, v106
	;; [unrolled: 1-line block ×3, first 2 shown]
	v_cmp_lt_u32_e32 vcc_lo, 27, v108
	s_or_b32 s56, vcc_lo, s56
	s_waitcnt vmcnt(2) lgkmcnt(0)
	v_mul_f64 v[118:119], v[112:113], v[114:115]
	v_mul_f64 v[114:115], v[110:111], v[114:115]
	s_waitcnt vmcnt(0)
	v_fma_f64 v[110:111], v[110:111], v[116:117], -v[118:119]
	v_fma_f64 v[112:113], v[112:113], v[116:117], v[114:115]
	v_add_f64 v[1:2], v[1:2], v[110:111]
	v_add_f64 v[3:4], v[3:4], v[112:113]
	s_andn2_b32 exec_lo, exec_lo, s56
	s_cbranch_execnz .LBB112_612
; %bb.613:
	s_or_b32 exec_lo, exec_lo, s56
.LBB112_614:
	s_or_b32 exec_lo, exec_lo, s8
	v_mov_b32_e32 v106, 0
	ds_read_b128 v[110:113], v106 offset:464
	s_waitcnt lgkmcnt(0)
	v_mul_f64 v[106:107], v[3:4], v[112:113]
	v_mul_f64 v[112:113], v[1:2], v[112:113]
	v_fma_f64 v[1:2], v[1:2], v[110:111], -v[106:107]
	v_fma_f64 v[3:4], v[3:4], v[110:111], v[112:113]
	buffer_store_dword v2, off, s[0:3], 0 offset:468
	buffer_store_dword v1, off, s[0:3], 0 offset:464
	;; [unrolled: 1-line block ×4, first 2 shown]
.LBB112_615:
	s_or_b32 exec_lo, exec_lo, s4
	v_mov_b32_e32 v4, s25
	s_mov_b32 s4, exec_lo
	s_clause 0x3
	buffer_load_dword v1, v4, s[0:3], 0 offen
	buffer_load_dword v2, v4, s[0:3], 0 offen offset:4
	buffer_load_dword v3, v4, s[0:3], 0 offen offset:8
	;; [unrolled: 1-line block ×3, first 2 shown]
	s_waitcnt vmcnt(0)
	ds_write_b128 v104, v[1:4]
	s_waitcnt lgkmcnt(0)
	s_waitcnt_vscnt null, 0x0
	s_barrier
	buffer_gl0_inv
	v_cmpx_gt_u32_e32 30, v0
	s_cbranch_execz .LBB112_623
; %bb.616:
	ds_read_b128 v[1:4], v104
	v_cmp_ne_u32_e32 vcc_lo, 1, v105
	s_cbranch_vccnz .LBB112_618
; %bb.617:
	s_clause 0x3
	buffer_load_dword v106, v103, s[0:3], 0 offen offset:8
	buffer_load_dword v107, v103, s[0:3], 0 offen offset:12
	buffer_load_dword v110, v103, s[0:3], 0 offen
	buffer_load_dword v111, v103, s[0:3], 0 offen offset:4
	s_waitcnt vmcnt(2) lgkmcnt(0)
	v_mul_f64 v[112:113], v[3:4], v[106:107]
	v_mul_f64 v[106:107], v[1:2], v[106:107]
	s_waitcnt vmcnt(0)
	v_fma_f64 v[1:2], v[1:2], v[110:111], -v[112:113]
	v_fma_f64 v[3:4], v[3:4], v[110:111], v[106:107]
.LBB112_618:
	s_mov_b32 s8, exec_lo
	v_cmpx_ne_u32_e32 29, v0
	s_cbranch_execz .LBB112_622
; %bb.619:
	v_add_nc_u32_e32 v106, 0x320, v109
	v_add3_u32 v107, 0, v109, 16
	v_mov_b32_e32 v108, v0
	s_mov_b32 s56, 0
	.p2align	6
.LBB112_620:                            ; =>This Inner Loop Header: Depth=1
	s_clause 0x3
	buffer_load_dword v114, v107, s[0:3], 0 offen offset:8
	buffer_load_dword v115, v107, s[0:3], 0 offen offset:12
	buffer_load_dword v116, v107, s[0:3], 0 offen
	buffer_load_dword v117, v107, s[0:3], 0 offen offset:4
	ds_read_b128 v[110:113], v106
	v_add_nc_u32_e32 v108, 1, v108
	v_add_nc_u32_e32 v106, 16, v106
	;; [unrolled: 1-line block ×3, first 2 shown]
	v_cmp_lt_u32_e32 vcc_lo, 28, v108
	s_or_b32 s56, vcc_lo, s56
	s_waitcnt vmcnt(2) lgkmcnt(0)
	v_mul_f64 v[118:119], v[112:113], v[114:115]
	v_mul_f64 v[114:115], v[110:111], v[114:115]
	s_waitcnt vmcnt(0)
	v_fma_f64 v[110:111], v[110:111], v[116:117], -v[118:119]
	v_fma_f64 v[112:113], v[112:113], v[116:117], v[114:115]
	v_add_f64 v[1:2], v[1:2], v[110:111]
	v_add_f64 v[3:4], v[3:4], v[112:113]
	s_andn2_b32 exec_lo, exec_lo, s56
	s_cbranch_execnz .LBB112_620
; %bb.621:
	s_or_b32 exec_lo, exec_lo, s56
.LBB112_622:
	s_or_b32 exec_lo, exec_lo, s8
	v_mov_b32_e32 v106, 0
	ds_read_b128 v[110:113], v106 offset:480
	s_waitcnt lgkmcnt(0)
	v_mul_f64 v[106:107], v[3:4], v[112:113]
	v_mul_f64 v[112:113], v[1:2], v[112:113]
	v_fma_f64 v[1:2], v[1:2], v[110:111], -v[106:107]
	v_fma_f64 v[3:4], v[3:4], v[110:111], v[112:113]
	buffer_store_dword v2, off, s[0:3], 0 offset:484
	buffer_store_dword v1, off, s[0:3], 0 offset:480
	;; [unrolled: 1-line block ×4, first 2 shown]
.LBB112_623:
	s_or_b32 exec_lo, exec_lo, s4
	v_mov_b32_e32 v4, s24
	s_mov_b32 s4, exec_lo
	s_clause 0x3
	buffer_load_dword v1, v4, s[0:3], 0 offen
	buffer_load_dword v2, v4, s[0:3], 0 offen offset:4
	buffer_load_dword v3, v4, s[0:3], 0 offen offset:8
	buffer_load_dword v4, v4, s[0:3], 0 offen offset:12
	s_waitcnt vmcnt(0)
	ds_write_b128 v104, v[1:4]
	s_waitcnt lgkmcnt(0)
	s_waitcnt_vscnt null, 0x0
	s_barrier
	buffer_gl0_inv
	v_cmpx_gt_u32_e32 31, v0
	s_cbranch_execz .LBB112_631
; %bb.624:
	ds_read_b128 v[1:4], v104
	v_cmp_ne_u32_e32 vcc_lo, 1, v105
	s_cbranch_vccnz .LBB112_626
; %bb.625:
	s_clause 0x3
	buffer_load_dword v106, v103, s[0:3], 0 offen offset:8
	buffer_load_dword v107, v103, s[0:3], 0 offen offset:12
	buffer_load_dword v110, v103, s[0:3], 0 offen
	buffer_load_dword v111, v103, s[0:3], 0 offen offset:4
	s_waitcnt vmcnt(2) lgkmcnt(0)
	v_mul_f64 v[112:113], v[3:4], v[106:107]
	v_mul_f64 v[106:107], v[1:2], v[106:107]
	s_waitcnt vmcnt(0)
	v_fma_f64 v[1:2], v[1:2], v[110:111], -v[112:113]
	v_fma_f64 v[3:4], v[3:4], v[110:111], v[106:107]
.LBB112_626:
	s_mov_b32 s8, exec_lo
	v_cmpx_ne_u32_e32 30, v0
	s_cbranch_execz .LBB112_630
; %bb.627:
	v_add_nc_u32_e32 v106, 0x320, v109
	v_add3_u32 v107, 0, v109, 16
	v_mov_b32_e32 v108, v0
	s_mov_b32 s56, 0
	.p2align	6
.LBB112_628:                            ; =>This Inner Loop Header: Depth=1
	s_clause 0x3
	buffer_load_dword v114, v107, s[0:3], 0 offen offset:8
	buffer_load_dword v115, v107, s[0:3], 0 offen offset:12
	buffer_load_dword v116, v107, s[0:3], 0 offen
	buffer_load_dword v117, v107, s[0:3], 0 offen offset:4
	ds_read_b128 v[110:113], v106
	v_add_nc_u32_e32 v108, 1, v108
	v_add_nc_u32_e32 v106, 16, v106
	;; [unrolled: 1-line block ×3, first 2 shown]
	v_cmp_lt_u32_e32 vcc_lo, 29, v108
	s_or_b32 s56, vcc_lo, s56
	s_waitcnt vmcnt(2) lgkmcnt(0)
	v_mul_f64 v[118:119], v[112:113], v[114:115]
	v_mul_f64 v[114:115], v[110:111], v[114:115]
	s_waitcnt vmcnt(0)
	v_fma_f64 v[110:111], v[110:111], v[116:117], -v[118:119]
	v_fma_f64 v[112:113], v[112:113], v[116:117], v[114:115]
	v_add_f64 v[1:2], v[1:2], v[110:111]
	v_add_f64 v[3:4], v[3:4], v[112:113]
	s_andn2_b32 exec_lo, exec_lo, s56
	s_cbranch_execnz .LBB112_628
; %bb.629:
	s_or_b32 exec_lo, exec_lo, s56
.LBB112_630:
	s_or_b32 exec_lo, exec_lo, s8
	v_mov_b32_e32 v106, 0
	ds_read_b128 v[110:113], v106 offset:496
	s_waitcnt lgkmcnt(0)
	v_mul_f64 v[106:107], v[3:4], v[112:113]
	v_mul_f64 v[112:113], v[1:2], v[112:113]
	v_fma_f64 v[1:2], v[1:2], v[110:111], -v[106:107]
	v_fma_f64 v[3:4], v[3:4], v[110:111], v[112:113]
	buffer_store_dword v2, off, s[0:3], 0 offset:500
	buffer_store_dword v1, off, s[0:3], 0 offset:496
	;; [unrolled: 1-line block ×4, first 2 shown]
.LBB112_631:
	s_or_b32 exec_lo, exec_lo, s4
	v_mov_b32_e32 v4, s23
	s_mov_b32 s4, exec_lo
	s_clause 0x3
	buffer_load_dword v1, v4, s[0:3], 0 offen
	buffer_load_dword v2, v4, s[0:3], 0 offen offset:4
	buffer_load_dword v3, v4, s[0:3], 0 offen offset:8
	;; [unrolled: 1-line block ×3, first 2 shown]
	s_waitcnt vmcnt(0)
	ds_write_b128 v104, v[1:4]
	s_waitcnt lgkmcnt(0)
	s_waitcnt_vscnt null, 0x0
	s_barrier
	buffer_gl0_inv
	v_cmpx_gt_u32_e32 32, v0
	s_cbranch_execz .LBB112_639
; %bb.632:
	ds_read_b128 v[1:4], v104
	v_cmp_ne_u32_e32 vcc_lo, 1, v105
	s_cbranch_vccnz .LBB112_634
; %bb.633:
	s_clause 0x3
	buffer_load_dword v106, v103, s[0:3], 0 offen offset:8
	buffer_load_dword v107, v103, s[0:3], 0 offen offset:12
	buffer_load_dword v110, v103, s[0:3], 0 offen
	buffer_load_dword v111, v103, s[0:3], 0 offen offset:4
	s_waitcnt vmcnt(2) lgkmcnt(0)
	v_mul_f64 v[112:113], v[3:4], v[106:107]
	v_mul_f64 v[106:107], v[1:2], v[106:107]
	s_waitcnt vmcnt(0)
	v_fma_f64 v[1:2], v[1:2], v[110:111], -v[112:113]
	v_fma_f64 v[3:4], v[3:4], v[110:111], v[106:107]
.LBB112_634:
	s_mov_b32 s8, exec_lo
	v_cmpx_ne_u32_e32 31, v0
	s_cbranch_execz .LBB112_638
; %bb.635:
	v_add_nc_u32_e32 v106, 0x320, v109
	v_add3_u32 v107, 0, v109, 16
	v_mov_b32_e32 v108, v0
	s_mov_b32 s56, 0
	.p2align	6
.LBB112_636:                            ; =>This Inner Loop Header: Depth=1
	s_clause 0x3
	buffer_load_dword v114, v107, s[0:3], 0 offen offset:8
	buffer_load_dword v115, v107, s[0:3], 0 offen offset:12
	buffer_load_dword v116, v107, s[0:3], 0 offen
	buffer_load_dword v117, v107, s[0:3], 0 offen offset:4
	ds_read_b128 v[110:113], v106
	v_add_nc_u32_e32 v108, 1, v108
	v_add_nc_u32_e32 v106, 16, v106
	;; [unrolled: 1-line block ×3, first 2 shown]
	v_cmp_lt_u32_e32 vcc_lo, 30, v108
	s_or_b32 s56, vcc_lo, s56
	s_waitcnt vmcnt(2) lgkmcnt(0)
	v_mul_f64 v[118:119], v[112:113], v[114:115]
	v_mul_f64 v[114:115], v[110:111], v[114:115]
	s_waitcnt vmcnt(0)
	v_fma_f64 v[110:111], v[110:111], v[116:117], -v[118:119]
	v_fma_f64 v[112:113], v[112:113], v[116:117], v[114:115]
	v_add_f64 v[1:2], v[1:2], v[110:111]
	v_add_f64 v[3:4], v[3:4], v[112:113]
	s_andn2_b32 exec_lo, exec_lo, s56
	s_cbranch_execnz .LBB112_636
; %bb.637:
	s_or_b32 exec_lo, exec_lo, s56
.LBB112_638:
	s_or_b32 exec_lo, exec_lo, s8
	v_mov_b32_e32 v106, 0
	ds_read_b128 v[110:113], v106 offset:512
	s_waitcnt lgkmcnt(0)
	v_mul_f64 v[106:107], v[3:4], v[112:113]
	v_mul_f64 v[112:113], v[1:2], v[112:113]
	v_fma_f64 v[1:2], v[1:2], v[110:111], -v[106:107]
	v_fma_f64 v[3:4], v[3:4], v[110:111], v[112:113]
	buffer_store_dword v2, off, s[0:3], 0 offset:516
	buffer_store_dword v1, off, s[0:3], 0 offset:512
	;; [unrolled: 1-line block ×4, first 2 shown]
.LBB112_639:
	s_or_b32 exec_lo, exec_lo, s4
	v_mov_b32_e32 v4, s22
	s_mov_b32 s4, exec_lo
	s_clause 0x3
	buffer_load_dword v1, v4, s[0:3], 0 offen
	buffer_load_dword v2, v4, s[0:3], 0 offen offset:4
	buffer_load_dword v3, v4, s[0:3], 0 offen offset:8
	;; [unrolled: 1-line block ×3, first 2 shown]
	s_waitcnt vmcnt(0)
	ds_write_b128 v104, v[1:4]
	s_waitcnt lgkmcnt(0)
	s_waitcnt_vscnt null, 0x0
	s_barrier
	buffer_gl0_inv
	v_cmpx_gt_u32_e32 33, v0
	s_cbranch_execz .LBB112_647
; %bb.640:
	ds_read_b128 v[1:4], v104
	v_cmp_ne_u32_e32 vcc_lo, 1, v105
	s_cbranch_vccnz .LBB112_642
; %bb.641:
	s_clause 0x3
	buffer_load_dword v106, v103, s[0:3], 0 offen offset:8
	buffer_load_dword v107, v103, s[0:3], 0 offen offset:12
	buffer_load_dword v110, v103, s[0:3], 0 offen
	buffer_load_dword v111, v103, s[0:3], 0 offen offset:4
	s_waitcnt vmcnt(2) lgkmcnt(0)
	v_mul_f64 v[112:113], v[3:4], v[106:107]
	v_mul_f64 v[106:107], v[1:2], v[106:107]
	s_waitcnt vmcnt(0)
	v_fma_f64 v[1:2], v[1:2], v[110:111], -v[112:113]
	v_fma_f64 v[3:4], v[3:4], v[110:111], v[106:107]
.LBB112_642:
	s_mov_b32 s8, exec_lo
	v_cmpx_ne_u32_e32 32, v0
	s_cbranch_execz .LBB112_646
; %bb.643:
	v_add_nc_u32_e32 v106, 0x320, v109
	v_add3_u32 v107, 0, v109, 16
	v_mov_b32_e32 v108, v0
	s_mov_b32 s56, 0
	.p2align	6
.LBB112_644:                            ; =>This Inner Loop Header: Depth=1
	s_clause 0x3
	buffer_load_dword v114, v107, s[0:3], 0 offen offset:8
	buffer_load_dword v115, v107, s[0:3], 0 offen offset:12
	buffer_load_dword v116, v107, s[0:3], 0 offen
	buffer_load_dword v117, v107, s[0:3], 0 offen offset:4
	ds_read_b128 v[110:113], v106
	v_add_nc_u32_e32 v108, 1, v108
	v_add_nc_u32_e32 v106, 16, v106
	;; [unrolled: 1-line block ×3, first 2 shown]
	v_cmp_lt_u32_e32 vcc_lo, 31, v108
	s_or_b32 s56, vcc_lo, s56
	s_waitcnt vmcnt(2) lgkmcnt(0)
	v_mul_f64 v[118:119], v[112:113], v[114:115]
	v_mul_f64 v[114:115], v[110:111], v[114:115]
	s_waitcnt vmcnt(0)
	v_fma_f64 v[110:111], v[110:111], v[116:117], -v[118:119]
	v_fma_f64 v[112:113], v[112:113], v[116:117], v[114:115]
	v_add_f64 v[1:2], v[1:2], v[110:111]
	v_add_f64 v[3:4], v[3:4], v[112:113]
	s_andn2_b32 exec_lo, exec_lo, s56
	s_cbranch_execnz .LBB112_644
; %bb.645:
	s_or_b32 exec_lo, exec_lo, s56
.LBB112_646:
	s_or_b32 exec_lo, exec_lo, s8
	v_mov_b32_e32 v106, 0
	ds_read_b128 v[110:113], v106 offset:528
	s_waitcnt lgkmcnt(0)
	v_mul_f64 v[106:107], v[3:4], v[112:113]
	v_mul_f64 v[112:113], v[1:2], v[112:113]
	v_fma_f64 v[1:2], v[1:2], v[110:111], -v[106:107]
	v_fma_f64 v[3:4], v[3:4], v[110:111], v[112:113]
	buffer_store_dword v2, off, s[0:3], 0 offset:532
	buffer_store_dword v1, off, s[0:3], 0 offset:528
	;; [unrolled: 1-line block ×4, first 2 shown]
.LBB112_647:
	s_or_b32 exec_lo, exec_lo, s4
	v_mov_b32_e32 v4, s21
	s_mov_b32 s4, exec_lo
	s_clause 0x3
	buffer_load_dword v1, v4, s[0:3], 0 offen
	buffer_load_dword v2, v4, s[0:3], 0 offen offset:4
	buffer_load_dword v3, v4, s[0:3], 0 offen offset:8
	;; [unrolled: 1-line block ×3, first 2 shown]
	s_waitcnt vmcnt(0)
	ds_write_b128 v104, v[1:4]
	s_waitcnt lgkmcnt(0)
	s_waitcnt_vscnt null, 0x0
	s_barrier
	buffer_gl0_inv
	v_cmpx_gt_u32_e32 34, v0
	s_cbranch_execz .LBB112_655
; %bb.648:
	ds_read_b128 v[1:4], v104
	v_cmp_ne_u32_e32 vcc_lo, 1, v105
	s_cbranch_vccnz .LBB112_650
; %bb.649:
	s_clause 0x3
	buffer_load_dword v106, v103, s[0:3], 0 offen offset:8
	buffer_load_dword v107, v103, s[0:3], 0 offen offset:12
	buffer_load_dword v110, v103, s[0:3], 0 offen
	buffer_load_dword v111, v103, s[0:3], 0 offen offset:4
	s_waitcnt vmcnt(2) lgkmcnt(0)
	v_mul_f64 v[112:113], v[3:4], v[106:107]
	v_mul_f64 v[106:107], v[1:2], v[106:107]
	s_waitcnt vmcnt(0)
	v_fma_f64 v[1:2], v[1:2], v[110:111], -v[112:113]
	v_fma_f64 v[3:4], v[3:4], v[110:111], v[106:107]
.LBB112_650:
	s_mov_b32 s8, exec_lo
	v_cmpx_ne_u32_e32 33, v0
	s_cbranch_execz .LBB112_654
; %bb.651:
	v_add_nc_u32_e32 v106, 0x320, v109
	v_add3_u32 v107, 0, v109, 16
	v_mov_b32_e32 v108, v0
	s_mov_b32 s56, 0
	.p2align	6
.LBB112_652:                            ; =>This Inner Loop Header: Depth=1
	s_clause 0x3
	buffer_load_dword v114, v107, s[0:3], 0 offen offset:8
	buffer_load_dword v115, v107, s[0:3], 0 offen offset:12
	buffer_load_dword v116, v107, s[0:3], 0 offen
	buffer_load_dword v117, v107, s[0:3], 0 offen offset:4
	ds_read_b128 v[110:113], v106
	v_add_nc_u32_e32 v108, 1, v108
	v_add_nc_u32_e32 v106, 16, v106
	;; [unrolled: 1-line block ×3, first 2 shown]
	v_cmp_lt_u32_e32 vcc_lo, 32, v108
	s_or_b32 s56, vcc_lo, s56
	s_waitcnt vmcnt(2) lgkmcnt(0)
	v_mul_f64 v[118:119], v[112:113], v[114:115]
	v_mul_f64 v[114:115], v[110:111], v[114:115]
	s_waitcnt vmcnt(0)
	v_fma_f64 v[110:111], v[110:111], v[116:117], -v[118:119]
	v_fma_f64 v[112:113], v[112:113], v[116:117], v[114:115]
	v_add_f64 v[1:2], v[1:2], v[110:111]
	v_add_f64 v[3:4], v[3:4], v[112:113]
	s_andn2_b32 exec_lo, exec_lo, s56
	s_cbranch_execnz .LBB112_652
; %bb.653:
	s_or_b32 exec_lo, exec_lo, s56
.LBB112_654:
	s_or_b32 exec_lo, exec_lo, s8
	v_mov_b32_e32 v106, 0
	ds_read_b128 v[110:113], v106 offset:544
	s_waitcnt lgkmcnt(0)
	v_mul_f64 v[106:107], v[3:4], v[112:113]
	v_mul_f64 v[112:113], v[1:2], v[112:113]
	v_fma_f64 v[1:2], v[1:2], v[110:111], -v[106:107]
	v_fma_f64 v[3:4], v[3:4], v[110:111], v[112:113]
	buffer_store_dword v2, off, s[0:3], 0 offset:548
	buffer_store_dword v1, off, s[0:3], 0 offset:544
	;; [unrolled: 1-line block ×4, first 2 shown]
.LBB112_655:
	s_or_b32 exec_lo, exec_lo, s4
	v_mov_b32_e32 v4, s20
	s_mov_b32 s4, exec_lo
	s_clause 0x3
	buffer_load_dword v1, v4, s[0:3], 0 offen
	buffer_load_dword v2, v4, s[0:3], 0 offen offset:4
	buffer_load_dword v3, v4, s[0:3], 0 offen offset:8
	;; [unrolled: 1-line block ×3, first 2 shown]
	s_waitcnt vmcnt(0)
	ds_write_b128 v104, v[1:4]
	s_waitcnt lgkmcnt(0)
	s_waitcnt_vscnt null, 0x0
	s_barrier
	buffer_gl0_inv
	v_cmpx_gt_u32_e32 35, v0
	s_cbranch_execz .LBB112_663
; %bb.656:
	ds_read_b128 v[1:4], v104
	v_cmp_ne_u32_e32 vcc_lo, 1, v105
	s_cbranch_vccnz .LBB112_658
; %bb.657:
	s_clause 0x3
	buffer_load_dword v106, v103, s[0:3], 0 offen offset:8
	buffer_load_dword v107, v103, s[0:3], 0 offen offset:12
	buffer_load_dword v110, v103, s[0:3], 0 offen
	buffer_load_dword v111, v103, s[0:3], 0 offen offset:4
	s_waitcnt vmcnt(2) lgkmcnt(0)
	v_mul_f64 v[112:113], v[3:4], v[106:107]
	v_mul_f64 v[106:107], v[1:2], v[106:107]
	s_waitcnt vmcnt(0)
	v_fma_f64 v[1:2], v[1:2], v[110:111], -v[112:113]
	v_fma_f64 v[3:4], v[3:4], v[110:111], v[106:107]
.LBB112_658:
	s_mov_b32 s8, exec_lo
	v_cmpx_ne_u32_e32 34, v0
	s_cbranch_execz .LBB112_662
; %bb.659:
	v_add_nc_u32_e32 v106, 0x320, v109
	v_add3_u32 v107, 0, v109, 16
	v_mov_b32_e32 v108, v0
	s_mov_b32 s56, 0
	.p2align	6
.LBB112_660:                            ; =>This Inner Loop Header: Depth=1
	s_clause 0x3
	buffer_load_dword v114, v107, s[0:3], 0 offen offset:8
	buffer_load_dword v115, v107, s[0:3], 0 offen offset:12
	buffer_load_dword v116, v107, s[0:3], 0 offen
	buffer_load_dword v117, v107, s[0:3], 0 offen offset:4
	ds_read_b128 v[110:113], v106
	v_add_nc_u32_e32 v108, 1, v108
	v_add_nc_u32_e32 v106, 16, v106
	;; [unrolled: 1-line block ×3, first 2 shown]
	v_cmp_lt_u32_e32 vcc_lo, 33, v108
	s_or_b32 s56, vcc_lo, s56
	s_waitcnt vmcnt(2) lgkmcnt(0)
	v_mul_f64 v[118:119], v[112:113], v[114:115]
	v_mul_f64 v[114:115], v[110:111], v[114:115]
	s_waitcnt vmcnt(0)
	v_fma_f64 v[110:111], v[110:111], v[116:117], -v[118:119]
	v_fma_f64 v[112:113], v[112:113], v[116:117], v[114:115]
	v_add_f64 v[1:2], v[1:2], v[110:111]
	v_add_f64 v[3:4], v[3:4], v[112:113]
	s_andn2_b32 exec_lo, exec_lo, s56
	s_cbranch_execnz .LBB112_660
; %bb.661:
	s_or_b32 exec_lo, exec_lo, s56
.LBB112_662:
	s_or_b32 exec_lo, exec_lo, s8
	v_mov_b32_e32 v106, 0
	ds_read_b128 v[110:113], v106 offset:560
	s_waitcnt lgkmcnt(0)
	v_mul_f64 v[106:107], v[3:4], v[112:113]
	v_mul_f64 v[112:113], v[1:2], v[112:113]
	v_fma_f64 v[1:2], v[1:2], v[110:111], -v[106:107]
	v_fma_f64 v[3:4], v[3:4], v[110:111], v[112:113]
	buffer_store_dword v2, off, s[0:3], 0 offset:564
	buffer_store_dword v1, off, s[0:3], 0 offset:560
	;; [unrolled: 1-line block ×4, first 2 shown]
.LBB112_663:
	s_or_b32 exec_lo, exec_lo, s4
	v_mov_b32_e32 v4, s19
	s_mov_b32 s4, exec_lo
	s_clause 0x3
	buffer_load_dword v1, v4, s[0:3], 0 offen
	buffer_load_dword v2, v4, s[0:3], 0 offen offset:4
	buffer_load_dword v3, v4, s[0:3], 0 offen offset:8
	;; [unrolled: 1-line block ×3, first 2 shown]
	s_waitcnt vmcnt(0)
	ds_write_b128 v104, v[1:4]
	s_waitcnt lgkmcnt(0)
	s_waitcnt_vscnt null, 0x0
	s_barrier
	buffer_gl0_inv
	v_cmpx_gt_u32_e32 36, v0
	s_cbranch_execz .LBB112_671
; %bb.664:
	ds_read_b128 v[1:4], v104
	v_cmp_ne_u32_e32 vcc_lo, 1, v105
	s_cbranch_vccnz .LBB112_666
; %bb.665:
	s_clause 0x3
	buffer_load_dword v106, v103, s[0:3], 0 offen offset:8
	buffer_load_dword v107, v103, s[0:3], 0 offen offset:12
	buffer_load_dword v110, v103, s[0:3], 0 offen
	buffer_load_dword v111, v103, s[0:3], 0 offen offset:4
	s_waitcnt vmcnt(2) lgkmcnt(0)
	v_mul_f64 v[112:113], v[3:4], v[106:107]
	v_mul_f64 v[106:107], v[1:2], v[106:107]
	s_waitcnt vmcnt(0)
	v_fma_f64 v[1:2], v[1:2], v[110:111], -v[112:113]
	v_fma_f64 v[3:4], v[3:4], v[110:111], v[106:107]
.LBB112_666:
	s_mov_b32 s8, exec_lo
	v_cmpx_ne_u32_e32 35, v0
	s_cbranch_execz .LBB112_670
; %bb.667:
	v_add_nc_u32_e32 v106, 0x320, v109
	v_add3_u32 v107, 0, v109, 16
	v_mov_b32_e32 v108, v0
	s_mov_b32 s56, 0
	.p2align	6
.LBB112_668:                            ; =>This Inner Loop Header: Depth=1
	s_clause 0x3
	buffer_load_dword v114, v107, s[0:3], 0 offen offset:8
	buffer_load_dword v115, v107, s[0:3], 0 offen offset:12
	buffer_load_dword v116, v107, s[0:3], 0 offen
	buffer_load_dword v117, v107, s[0:3], 0 offen offset:4
	ds_read_b128 v[110:113], v106
	v_add_nc_u32_e32 v108, 1, v108
	v_add_nc_u32_e32 v106, 16, v106
	;; [unrolled: 1-line block ×3, first 2 shown]
	v_cmp_lt_u32_e32 vcc_lo, 34, v108
	s_or_b32 s56, vcc_lo, s56
	s_waitcnt vmcnt(2) lgkmcnt(0)
	v_mul_f64 v[118:119], v[112:113], v[114:115]
	v_mul_f64 v[114:115], v[110:111], v[114:115]
	s_waitcnt vmcnt(0)
	v_fma_f64 v[110:111], v[110:111], v[116:117], -v[118:119]
	v_fma_f64 v[112:113], v[112:113], v[116:117], v[114:115]
	v_add_f64 v[1:2], v[1:2], v[110:111]
	v_add_f64 v[3:4], v[3:4], v[112:113]
	s_andn2_b32 exec_lo, exec_lo, s56
	s_cbranch_execnz .LBB112_668
; %bb.669:
	s_or_b32 exec_lo, exec_lo, s56
.LBB112_670:
	s_or_b32 exec_lo, exec_lo, s8
	v_mov_b32_e32 v106, 0
	ds_read_b128 v[110:113], v106 offset:576
	s_waitcnt lgkmcnt(0)
	v_mul_f64 v[106:107], v[3:4], v[112:113]
	v_mul_f64 v[112:113], v[1:2], v[112:113]
	v_fma_f64 v[1:2], v[1:2], v[110:111], -v[106:107]
	v_fma_f64 v[3:4], v[3:4], v[110:111], v[112:113]
	buffer_store_dword v2, off, s[0:3], 0 offset:580
	buffer_store_dword v1, off, s[0:3], 0 offset:576
	;; [unrolled: 1-line block ×4, first 2 shown]
.LBB112_671:
	s_or_b32 exec_lo, exec_lo, s4
	v_mov_b32_e32 v4, s18
	s_mov_b32 s4, exec_lo
	s_clause 0x3
	buffer_load_dword v1, v4, s[0:3], 0 offen
	buffer_load_dword v2, v4, s[0:3], 0 offen offset:4
	buffer_load_dword v3, v4, s[0:3], 0 offen offset:8
	;; [unrolled: 1-line block ×3, first 2 shown]
	s_waitcnt vmcnt(0)
	ds_write_b128 v104, v[1:4]
	s_waitcnt lgkmcnt(0)
	s_waitcnt_vscnt null, 0x0
	s_barrier
	buffer_gl0_inv
	v_cmpx_gt_u32_e32 37, v0
	s_cbranch_execz .LBB112_679
; %bb.672:
	ds_read_b128 v[1:4], v104
	v_cmp_ne_u32_e32 vcc_lo, 1, v105
	s_cbranch_vccnz .LBB112_674
; %bb.673:
	s_clause 0x3
	buffer_load_dword v106, v103, s[0:3], 0 offen offset:8
	buffer_load_dword v107, v103, s[0:3], 0 offen offset:12
	buffer_load_dword v110, v103, s[0:3], 0 offen
	buffer_load_dword v111, v103, s[0:3], 0 offen offset:4
	s_waitcnt vmcnt(2) lgkmcnt(0)
	v_mul_f64 v[112:113], v[3:4], v[106:107]
	v_mul_f64 v[106:107], v[1:2], v[106:107]
	s_waitcnt vmcnt(0)
	v_fma_f64 v[1:2], v[1:2], v[110:111], -v[112:113]
	v_fma_f64 v[3:4], v[3:4], v[110:111], v[106:107]
.LBB112_674:
	s_mov_b32 s8, exec_lo
	v_cmpx_ne_u32_e32 36, v0
	s_cbranch_execz .LBB112_678
; %bb.675:
	v_add_nc_u32_e32 v106, 0x320, v109
	v_add3_u32 v107, 0, v109, 16
	v_mov_b32_e32 v108, v0
	s_mov_b32 s56, 0
	.p2align	6
.LBB112_676:                            ; =>This Inner Loop Header: Depth=1
	s_clause 0x3
	buffer_load_dword v114, v107, s[0:3], 0 offen offset:8
	buffer_load_dword v115, v107, s[0:3], 0 offen offset:12
	buffer_load_dword v116, v107, s[0:3], 0 offen
	buffer_load_dword v117, v107, s[0:3], 0 offen offset:4
	ds_read_b128 v[110:113], v106
	v_add_nc_u32_e32 v108, 1, v108
	v_add_nc_u32_e32 v106, 16, v106
	;; [unrolled: 1-line block ×3, first 2 shown]
	v_cmp_lt_u32_e32 vcc_lo, 35, v108
	s_or_b32 s56, vcc_lo, s56
	s_waitcnt vmcnt(2) lgkmcnt(0)
	v_mul_f64 v[118:119], v[112:113], v[114:115]
	v_mul_f64 v[114:115], v[110:111], v[114:115]
	s_waitcnt vmcnt(0)
	v_fma_f64 v[110:111], v[110:111], v[116:117], -v[118:119]
	v_fma_f64 v[112:113], v[112:113], v[116:117], v[114:115]
	v_add_f64 v[1:2], v[1:2], v[110:111]
	v_add_f64 v[3:4], v[3:4], v[112:113]
	s_andn2_b32 exec_lo, exec_lo, s56
	s_cbranch_execnz .LBB112_676
; %bb.677:
	s_or_b32 exec_lo, exec_lo, s56
.LBB112_678:
	s_or_b32 exec_lo, exec_lo, s8
	v_mov_b32_e32 v106, 0
	ds_read_b128 v[110:113], v106 offset:592
	s_waitcnt lgkmcnt(0)
	v_mul_f64 v[106:107], v[3:4], v[112:113]
	v_mul_f64 v[112:113], v[1:2], v[112:113]
	v_fma_f64 v[1:2], v[1:2], v[110:111], -v[106:107]
	v_fma_f64 v[3:4], v[3:4], v[110:111], v[112:113]
	buffer_store_dword v2, off, s[0:3], 0 offset:596
	buffer_store_dword v1, off, s[0:3], 0 offset:592
	;; [unrolled: 1-line block ×4, first 2 shown]
.LBB112_679:
	s_or_b32 exec_lo, exec_lo, s4
	v_mov_b32_e32 v4, s17
	s_mov_b32 s4, exec_lo
	s_clause 0x3
	buffer_load_dword v1, v4, s[0:3], 0 offen
	buffer_load_dword v2, v4, s[0:3], 0 offen offset:4
	buffer_load_dword v3, v4, s[0:3], 0 offen offset:8
	;; [unrolled: 1-line block ×3, first 2 shown]
	s_waitcnt vmcnt(0)
	ds_write_b128 v104, v[1:4]
	s_waitcnt lgkmcnt(0)
	s_waitcnt_vscnt null, 0x0
	s_barrier
	buffer_gl0_inv
	v_cmpx_gt_u32_e32 38, v0
	s_cbranch_execz .LBB112_687
; %bb.680:
	ds_read_b128 v[1:4], v104
	v_cmp_ne_u32_e32 vcc_lo, 1, v105
	s_cbranch_vccnz .LBB112_682
; %bb.681:
	s_clause 0x3
	buffer_load_dword v106, v103, s[0:3], 0 offen offset:8
	buffer_load_dword v107, v103, s[0:3], 0 offen offset:12
	buffer_load_dword v110, v103, s[0:3], 0 offen
	buffer_load_dword v111, v103, s[0:3], 0 offen offset:4
	s_waitcnt vmcnt(2) lgkmcnt(0)
	v_mul_f64 v[112:113], v[3:4], v[106:107]
	v_mul_f64 v[106:107], v[1:2], v[106:107]
	s_waitcnt vmcnt(0)
	v_fma_f64 v[1:2], v[1:2], v[110:111], -v[112:113]
	v_fma_f64 v[3:4], v[3:4], v[110:111], v[106:107]
.LBB112_682:
	s_mov_b32 s8, exec_lo
	v_cmpx_ne_u32_e32 37, v0
	s_cbranch_execz .LBB112_686
; %bb.683:
	v_add_nc_u32_e32 v106, 0x320, v109
	v_add3_u32 v107, 0, v109, 16
	v_mov_b32_e32 v108, v0
	s_mov_b32 s56, 0
	.p2align	6
.LBB112_684:                            ; =>This Inner Loop Header: Depth=1
	s_clause 0x3
	buffer_load_dword v114, v107, s[0:3], 0 offen offset:8
	buffer_load_dword v115, v107, s[0:3], 0 offen offset:12
	buffer_load_dword v116, v107, s[0:3], 0 offen
	buffer_load_dword v117, v107, s[0:3], 0 offen offset:4
	ds_read_b128 v[110:113], v106
	v_add_nc_u32_e32 v108, 1, v108
	v_add_nc_u32_e32 v106, 16, v106
	v_add_nc_u32_e32 v107, 16, v107
	v_cmp_lt_u32_e32 vcc_lo, 36, v108
	s_or_b32 s56, vcc_lo, s56
	s_waitcnt vmcnt(2) lgkmcnt(0)
	v_mul_f64 v[118:119], v[112:113], v[114:115]
	v_mul_f64 v[114:115], v[110:111], v[114:115]
	s_waitcnt vmcnt(0)
	v_fma_f64 v[110:111], v[110:111], v[116:117], -v[118:119]
	v_fma_f64 v[112:113], v[112:113], v[116:117], v[114:115]
	v_add_f64 v[1:2], v[1:2], v[110:111]
	v_add_f64 v[3:4], v[3:4], v[112:113]
	s_andn2_b32 exec_lo, exec_lo, s56
	s_cbranch_execnz .LBB112_684
; %bb.685:
	s_or_b32 exec_lo, exec_lo, s56
.LBB112_686:
	s_or_b32 exec_lo, exec_lo, s8
	v_mov_b32_e32 v106, 0
	ds_read_b128 v[110:113], v106 offset:608
	s_waitcnt lgkmcnt(0)
	v_mul_f64 v[106:107], v[3:4], v[112:113]
	v_mul_f64 v[112:113], v[1:2], v[112:113]
	v_fma_f64 v[1:2], v[1:2], v[110:111], -v[106:107]
	v_fma_f64 v[3:4], v[3:4], v[110:111], v[112:113]
	buffer_store_dword v2, off, s[0:3], 0 offset:612
	buffer_store_dword v1, off, s[0:3], 0 offset:608
	;; [unrolled: 1-line block ×4, first 2 shown]
.LBB112_687:
	s_or_b32 exec_lo, exec_lo, s4
	v_mov_b32_e32 v4, s16
	s_mov_b32 s4, exec_lo
	s_clause 0x3
	buffer_load_dword v1, v4, s[0:3], 0 offen
	buffer_load_dword v2, v4, s[0:3], 0 offen offset:4
	buffer_load_dword v3, v4, s[0:3], 0 offen offset:8
	;; [unrolled: 1-line block ×3, first 2 shown]
	s_waitcnt vmcnt(0)
	ds_write_b128 v104, v[1:4]
	s_waitcnt lgkmcnt(0)
	s_waitcnt_vscnt null, 0x0
	s_barrier
	buffer_gl0_inv
	v_cmpx_gt_u32_e32 39, v0
	s_cbranch_execz .LBB112_695
; %bb.688:
	ds_read_b128 v[1:4], v104
	v_cmp_ne_u32_e32 vcc_lo, 1, v105
	s_cbranch_vccnz .LBB112_690
; %bb.689:
	s_clause 0x3
	buffer_load_dword v106, v103, s[0:3], 0 offen offset:8
	buffer_load_dword v107, v103, s[0:3], 0 offen offset:12
	buffer_load_dword v110, v103, s[0:3], 0 offen
	buffer_load_dword v111, v103, s[0:3], 0 offen offset:4
	s_waitcnt vmcnt(2) lgkmcnt(0)
	v_mul_f64 v[112:113], v[3:4], v[106:107]
	v_mul_f64 v[106:107], v[1:2], v[106:107]
	s_waitcnt vmcnt(0)
	v_fma_f64 v[1:2], v[1:2], v[110:111], -v[112:113]
	v_fma_f64 v[3:4], v[3:4], v[110:111], v[106:107]
.LBB112_690:
	s_mov_b32 s8, exec_lo
	v_cmpx_ne_u32_e32 38, v0
	s_cbranch_execz .LBB112_694
; %bb.691:
	v_add_nc_u32_e32 v106, 0x320, v109
	v_add3_u32 v107, 0, v109, 16
	v_mov_b32_e32 v108, v0
	s_mov_b32 s56, 0
	.p2align	6
.LBB112_692:                            ; =>This Inner Loop Header: Depth=1
	s_clause 0x3
	buffer_load_dword v114, v107, s[0:3], 0 offen offset:8
	buffer_load_dword v115, v107, s[0:3], 0 offen offset:12
	buffer_load_dword v116, v107, s[0:3], 0 offen
	buffer_load_dword v117, v107, s[0:3], 0 offen offset:4
	ds_read_b128 v[110:113], v106
	v_add_nc_u32_e32 v108, 1, v108
	v_add_nc_u32_e32 v106, 16, v106
	;; [unrolled: 1-line block ×3, first 2 shown]
	v_cmp_lt_u32_e32 vcc_lo, 37, v108
	s_or_b32 s56, vcc_lo, s56
	s_waitcnt vmcnt(2) lgkmcnt(0)
	v_mul_f64 v[118:119], v[112:113], v[114:115]
	v_mul_f64 v[114:115], v[110:111], v[114:115]
	s_waitcnt vmcnt(0)
	v_fma_f64 v[110:111], v[110:111], v[116:117], -v[118:119]
	v_fma_f64 v[112:113], v[112:113], v[116:117], v[114:115]
	v_add_f64 v[1:2], v[1:2], v[110:111]
	v_add_f64 v[3:4], v[3:4], v[112:113]
	s_andn2_b32 exec_lo, exec_lo, s56
	s_cbranch_execnz .LBB112_692
; %bb.693:
	s_or_b32 exec_lo, exec_lo, s56
.LBB112_694:
	s_or_b32 exec_lo, exec_lo, s8
	v_mov_b32_e32 v106, 0
	ds_read_b128 v[110:113], v106 offset:624
	s_waitcnt lgkmcnt(0)
	v_mul_f64 v[106:107], v[3:4], v[112:113]
	v_mul_f64 v[112:113], v[1:2], v[112:113]
	v_fma_f64 v[1:2], v[1:2], v[110:111], -v[106:107]
	v_fma_f64 v[3:4], v[3:4], v[110:111], v[112:113]
	buffer_store_dword v2, off, s[0:3], 0 offset:628
	buffer_store_dword v1, off, s[0:3], 0 offset:624
	;; [unrolled: 1-line block ×4, first 2 shown]
.LBB112_695:
	s_or_b32 exec_lo, exec_lo, s4
	v_mov_b32_e32 v4, s15
	s_mov_b32 s4, exec_lo
	s_clause 0x3
	buffer_load_dword v1, v4, s[0:3], 0 offen
	buffer_load_dword v2, v4, s[0:3], 0 offen offset:4
	buffer_load_dword v3, v4, s[0:3], 0 offen offset:8
	;; [unrolled: 1-line block ×3, first 2 shown]
	s_waitcnt vmcnt(0)
	ds_write_b128 v104, v[1:4]
	s_waitcnt lgkmcnt(0)
	s_waitcnt_vscnt null, 0x0
	s_barrier
	buffer_gl0_inv
	v_cmpx_gt_u32_e32 40, v0
	s_cbranch_execz .LBB112_703
; %bb.696:
	ds_read_b128 v[1:4], v104
	v_cmp_ne_u32_e32 vcc_lo, 1, v105
	s_cbranch_vccnz .LBB112_698
; %bb.697:
	s_clause 0x3
	buffer_load_dword v106, v103, s[0:3], 0 offen offset:8
	buffer_load_dword v107, v103, s[0:3], 0 offen offset:12
	buffer_load_dword v110, v103, s[0:3], 0 offen
	buffer_load_dword v111, v103, s[0:3], 0 offen offset:4
	s_waitcnt vmcnt(2) lgkmcnt(0)
	v_mul_f64 v[112:113], v[3:4], v[106:107]
	v_mul_f64 v[106:107], v[1:2], v[106:107]
	s_waitcnt vmcnt(0)
	v_fma_f64 v[1:2], v[1:2], v[110:111], -v[112:113]
	v_fma_f64 v[3:4], v[3:4], v[110:111], v[106:107]
.LBB112_698:
	s_mov_b32 s8, exec_lo
	v_cmpx_ne_u32_e32 39, v0
	s_cbranch_execz .LBB112_702
; %bb.699:
	v_add_nc_u32_e32 v106, 0x320, v109
	v_add3_u32 v107, 0, v109, 16
	v_mov_b32_e32 v108, v0
	s_mov_b32 s56, 0
	.p2align	6
.LBB112_700:                            ; =>This Inner Loop Header: Depth=1
	s_clause 0x3
	buffer_load_dword v114, v107, s[0:3], 0 offen offset:8
	buffer_load_dword v115, v107, s[0:3], 0 offen offset:12
	buffer_load_dword v116, v107, s[0:3], 0 offen
	buffer_load_dword v117, v107, s[0:3], 0 offen offset:4
	ds_read_b128 v[110:113], v106
	v_add_nc_u32_e32 v108, 1, v108
	v_add_nc_u32_e32 v106, 16, v106
	;; [unrolled: 1-line block ×3, first 2 shown]
	v_cmp_lt_u32_e32 vcc_lo, 38, v108
	s_or_b32 s56, vcc_lo, s56
	s_waitcnt vmcnt(2) lgkmcnt(0)
	v_mul_f64 v[118:119], v[112:113], v[114:115]
	v_mul_f64 v[114:115], v[110:111], v[114:115]
	s_waitcnt vmcnt(0)
	v_fma_f64 v[110:111], v[110:111], v[116:117], -v[118:119]
	v_fma_f64 v[112:113], v[112:113], v[116:117], v[114:115]
	v_add_f64 v[1:2], v[1:2], v[110:111]
	v_add_f64 v[3:4], v[3:4], v[112:113]
	s_andn2_b32 exec_lo, exec_lo, s56
	s_cbranch_execnz .LBB112_700
; %bb.701:
	s_or_b32 exec_lo, exec_lo, s56
.LBB112_702:
	s_or_b32 exec_lo, exec_lo, s8
	v_mov_b32_e32 v106, 0
	ds_read_b128 v[110:113], v106 offset:640
	s_waitcnt lgkmcnt(0)
	v_mul_f64 v[106:107], v[3:4], v[112:113]
	v_mul_f64 v[112:113], v[1:2], v[112:113]
	v_fma_f64 v[1:2], v[1:2], v[110:111], -v[106:107]
	v_fma_f64 v[3:4], v[3:4], v[110:111], v[112:113]
	buffer_store_dword v2, off, s[0:3], 0 offset:644
	buffer_store_dword v1, off, s[0:3], 0 offset:640
	;; [unrolled: 1-line block ×4, first 2 shown]
.LBB112_703:
	s_or_b32 exec_lo, exec_lo, s4
	v_mov_b32_e32 v4, s14
	s_mov_b32 s4, exec_lo
	s_clause 0x3
	buffer_load_dword v1, v4, s[0:3], 0 offen
	buffer_load_dword v2, v4, s[0:3], 0 offen offset:4
	buffer_load_dword v3, v4, s[0:3], 0 offen offset:8
	;; [unrolled: 1-line block ×3, first 2 shown]
	s_waitcnt vmcnt(0)
	ds_write_b128 v104, v[1:4]
	s_waitcnt lgkmcnt(0)
	s_waitcnt_vscnt null, 0x0
	s_barrier
	buffer_gl0_inv
	v_cmpx_gt_u32_e32 41, v0
	s_cbranch_execz .LBB112_711
; %bb.704:
	ds_read_b128 v[1:4], v104
	v_cmp_ne_u32_e32 vcc_lo, 1, v105
	s_cbranch_vccnz .LBB112_706
; %bb.705:
	s_clause 0x3
	buffer_load_dword v106, v103, s[0:3], 0 offen offset:8
	buffer_load_dword v107, v103, s[0:3], 0 offen offset:12
	buffer_load_dword v110, v103, s[0:3], 0 offen
	buffer_load_dword v111, v103, s[0:3], 0 offen offset:4
	s_waitcnt vmcnt(2) lgkmcnt(0)
	v_mul_f64 v[112:113], v[3:4], v[106:107]
	v_mul_f64 v[106:107], v[1:2], v[106:107]
	s_waitcnt vmcnt(0)
	v_fma_f64 v[1:2], v[1:2], v[110:111], -v[112:113]
	v_fma_f64 v[3:4], v[3:4], v[110:111], v[106:107]
.LBB112_706:
	s_mov_b32 s8, exec_lo
	v_cmpx_ne_u32_e32 40, v0
	s_cbranch_execz .LBB112_710
; %bb.707:
	v_add_nc_u32_e32 v106, 0x320, v109
	v_add3_u32 v107, 0, v109, 16
	v_mov_b32_e32 v108, v0
	s_mov_b32 s56, 0
	.p2align	6
.LBB112_708:                            ; =>This Inner Loop Header: Depth=1
	s_clause 0x3
	buffer_load_dword v114, v107, s[0:3], 0 offen offset:8
	buffer_load_dword v115, v107, s[0:3], 0 offen offset:12
	buffer_load_dword v116, v107, s[0:3], 0 offen
	buffer_load_dword v117, v107, s[0:3], 0 offen offset:4
	ds_read_b128 v[110:113], v106
	v_add_nc_u32_e32 v108, 1, v108
	v_add_nc_u32_e32 v106, 16, v106
	;; [unrolled: 1-line block ×3, first 2 shown]
	v_cmp_lt_u32_e32 vcc_lo, 39, v108
	s_or_b32 s56, vcc_lo, s56
	s_waitcnt vmcnt(2) lgkmcnt(0)
	v_mul_f64 v[118:119], v[112:113], v[114:115]
	v_mul_f64 v[114:115], v[110:111], v[114:115]
	s_waitcnt vmcnt(0)
	v_fma_f64 v[110:111], v[110:111], v[116:117], -v[118:119]
	v_fma_f64 v[112:113], v[112:113], v[116:117], v[114:115]
	v_add_f64 v[1:2], v[1:2], v[110:111]
	v_add_f64 v[3:4], v[3:4], v[112:113]
	s_andn2_b32 exec_lo, exec_lo, s56
	s_cbranch_execnz .LBB112_708
; %bb.709:
	s_or_b32 exec_lo, exec_lo, s56
.LBB112_710:
	s_or_b32 exec_lo, exec_lo, s8
	v_mov_b32_e32 v106, 0
	ds_read_b128 v[110:113], v106 offset:656
	s_waitcnt lgkmcnt(0)
	v_mul_f64 v[106:107], v[3:4], v[112:113]
	v_mul_f64 v[112:113], v[1:2], v[112:113]
	v_fma_f64 v[1:2], v[1:2], v[110:111], -v[106:107]
	v_fma_f64 v[3:4], v[3:4], v[110:111], v[112:113]
	buffer_store_dword v2, off, s[0:3], 0 offset:660
	buffer_store_dword v1, off, s[0:3], 0 offset:656
	;; [unrolled: 1-line block ×4, first 2 shown]
.LBB112_711:
	s_or_b32 exec_lo, exec_lo, s4
	v_mov_b32_e32 v4, s13
	s_mov_b32 s4, exec_lo
	s_clause 0x3
	buffer_load_dword v1, v4, s[0:3], 0 offen
	buffer_load_dword v2, v4, s[0:3], 0 offen offset:4
	buffer_load_dword v3, v4, s[0:3], 0 offen offset:8
	;; [unrolled: 1-line block ×3, first 2 shown]
	s_waitcnt vmcnt(0)
	ds_write_b128 v104, v[1:4]
	s_waitcnt lgkmcnt(0)
	s_waitcnt_vscnt null, 0x0
	s_barrier
	buffer_gl0_inv
	v_cmpx_gt_u32_e32 42, v0
	s_cbranch_execz .LBB112_719
; %bb.712:
	ds_read_b128 v[1:4], v104
	v_cmp_ne_u32_e32 vcc_lo, 1, v105
	s_cbranch_vccnz .LBB112_714
; %bb.713:
	s_clause 0x3
	buffer_load_dword v106, v103, s[0:3], 0 offen offset:8
	buffer_load_dword v107, v103, s[0:3], 0 offen offset:12
	buffer_load_dword v110, v103, s[0:3], 0 offen
	buffer_load_dword v111, v103, s[0:3], 0 offen offset:4
	s_waitcnt vmcnt(2) lgkmcnt(0)
	v_mul_f64 v[112:113], v[3:4], v[106:107]
	v_mul_f64 v[106:107], v[1:2], v[106:107]
	s_waitcnt vmcnt(0)
	v_fma_f64 v[1:2], v[1:2], v[110:111], -v[112:113]
	v_fma_f64 v[3:4], v[3:4], v[110:111], v[106:107]
.LBB112_714:
	s_mov_b32 s8, exec_lo
	v_cmpx_ne_u32_e32 41, v0
	s_cbranch_execz .LBB112_718
; %bb.715:
	v_add_nc_u32_e32 v106, 0x320, v109
	v_add3_u32 v107, 0, v109, 16
	v_mov_b32_e32 v108, v0
	s_mov_b32 s56, 0
	.p2align	6
.LBB112_716:                            ; =>This Inner Loop Header: Depth=1
	s_clause 0x3
	buffer_load_dword v114, v107, s[0:3], 0 offen offset:8
	buffer_load_dword v115, v107, s[0:3], 0 offen offset:12
	buffer_load_dword v116, v107, s[0:3], 0 offen
	buffer_load_dword v117, v107, s[0:3], 0 offen offset:4
	ds_read_b128 v[110:113], v106
	v_add_nc_u32_e32 v108, 1, v108
	v_add_nc_u32_e32 v106, 16, v106
	;; [unrolled: 1-line block ×3, first 2 shown]
	v_cmp_lt_u32_e32 vcc_lo, 40, v108
	s_or_b32 s56, vcc_lo, s56
	s_waitcnt vmcnt(2) lgkmcnt(0)
	v_mul_f64 v[118:119], v[112:113], v[114:115]
	v_mul_f64 v[114:115], v[110:111], v[114:115]
	s_waitcnt vmcnt(0)
	v_fma_f64 v[110:111], v[110:111], v[116:117], -v[118:119]
	v_fma_f64 v[112:113], v[112:113], v[116:117], v[114:115]
	v_add_f64 v[1:2], v[1:2], v[110:111]
	v_add_f64 v[3:4], v[3:4], v[112:113]
	s_andn2_b32 exec_lo, exec_lo, s56
	s_cbranch_execnz .LBB112_716
; %bb.717:
	s_or_b32 exec_lo, exec_lo, s56
.LBB112_718:
	s_or_b32 exec_lo, exec_lo, s8
	v_mov_b32_e32 v106, 0
	ds_read_b128 v[110:113], v106 offset:672
	s_waitcnt lgkmcnt(0)
	v_mul_f64 v[106:107], v[3:4], v[112:113]
	v_mul_f64 v[112:113], v[1:2], v[112:113]
	v_fma_f64 v[1:2], v[1:2], v[110:111], -v[106:107]
	v_fma_f64 v[3:4], v[3:4], v[110:111], v[112:113]
	buffer_store_dword v2, off, s[0:3], 0 offset:676
	buffer_store_dword v1, off, s[0:3], 0 offset:672
	;; [unrolled: 1-line block ×4, first 2 shown]
.LBB112_719:
	s_or_b32 exec_lo, exec_lo, s4
	v_mov_b32_e32 v4, s12
	s_mov_b32 s4, exec_lo
	s_clause 0x3
	buffer_load_dword v1, v4, s[0:3], 0 offen
	buffer_load_dword v2, v4, s[0:3], 0 offen offset:4
	buffer_load_dword v3, v4, s[0:3], 0 offen offset:8
	;; [unrolled: 1-line block ×3, first 2 shown]
	s_waitcnt vmcnt(0)
	ds_write_b128 v104, v[1:4]
	s_waitcnt lgkmcnt(0)
	s_waitcnt_vscnt null, 0x0
	s_barrier
	buffer_gl0_inv
	v_cmpx_gt_u32_e32 43, v0
	s_cbranch_execz .LBB112_727
; %bb.720:
	ds_read_b128 v[1:4], v104
	v_cmp_ne_u32_e32 vcc_lo, 1, v105
	s_cbranch_vccnz .LBB112_722
; %bb.721:
	s_clause 0x3
	buffer_load_dword v106, v103, s[0:3], 0 offen offset:8
	buffer_load_dword v107, v103, s[0:3], 0 offen offset:12
	buffer_load_dword v110, v103, s[0:3], 0 offen
	buffer_load_dword v111, v103, s[0:3], 0 offen offset:4
	s_waitcnt vmcnt(2) lgkmcnt(0)
	v_mul_f64 v[112:113], v[3:4], v[106:107]
	v_mul_f64 v[106:107], v[1:2], v[106:107]
	s_waitcnt vmcnt(0)
	v_fma_f64 v[1:2], v[1:2], v[110:111], -v[112:113]
	v_fma_f64 v[3:4], v[3:4], v[110:111], v[106:107]
.LBB112_722:
	s_mov_b32 s8, exec_lo
	v_cmpx_ne_u32_e32 42, v0
	s_cbranch_execz .LBB112_726
; %bb.723:
	v_add_nc_u32_e32 v106, 0x320, v109
	v_add3_u32 v107, 0, v109, 16
	v_mov_b32_e32 v108, v0
	s_mov_b32 s56, 0
	.p2align	6
.LBB112_724:                            ; =>This Inner Loop Header: Depth=1
	s_clause 0x3
	buffer_load_dword v114, v107, s[0:3], 0 offen offset:8
	buffer_load_dword v115, v107, s[0:3], 0 offen offset:12
	buffer_load_dword v116, v107, s[0:3], 0 offen
	buffer_load_dword v117, v107, s[0:3], 0 offen offset:4
	ds_read_b128 v[110:113], v106
	v_add_nc_u32_e32 v108, 1, v108
	v_add_nc_u32_e32 v106, 16, v106
	;; [unrolled: 1-line block ×3, first 2 shown]
	v_cmp_lt_u32_e32 vcc_lo, 41, v108
	s_or_b32 s56, vcc_lo, s56
	s_waitcnt vmcnt(2) lgkmcnt(0)
	v_mul_f64 v[118:119], v[112:113], v[114:115]
	v_mul_f64 v[114:115], v[110:111], v[114:115]
	s_waitcnt vmcnt(0)
	v_fma_f64 v[110:111], v[110:111], v[116:117], -v[118:119]
	v_fma_f64 v[112:113], v[112:113], v[116:117], v[114:115]
	v_add_f64 v[1:2], v[1:2], v[110:111]
	v_add_f64 v[3:4], v[3:4], v[112:113]
	s_andn2_b32 exec_lo, exec_lo, s56
	s_cbranch_execnz .LBB112_724
; %bb.725:
	s_or_b32 exec_lo, exec_lo, s56
.LBB112_726:
	s_or_b32 exec_lo, exec_lo, s8
	v_mov_b32_e32 v106, 0
	ds_read_b128 v[110:113], v106 offset:688
	s_waitcnt lgkmcnt(0)
	v_mul_f64 v[106:107], v[3:4], v[112:113]
	v_mul_f64 v[112:113], v[1:2], v[112:113]
	v_fma_f64 v[1:2], v[1:2], v[110:111], -v[106:107]
	v_fma_f64 v[3:4], v[3:4], v[110:111], v[112:113]
	buffer_store_dword v2, off, s[0:3], 0 offset:692
	buffer_store_dword v1, off, s[0:3], 0 offset:688
	;; [unrolled: 1-line block ×4, first 2 shown]
.LBB112_727:
	s_or_b32 exec_lo, exec_lo, s4
	v_mov_b32_e32 v4, s11
	s_mov_b32 s4, exec_lo
	s_clause 0x3
	buffer_load_dword v1, v4, s[0:3], 0 offen
	buffer_load_dword v2, v4, s[0:3], 0 offen offset:4
	buffer_load_dword v3, v4, s[0:3], 0 offen offset:8
	;; [unrolled: 1-line block ×3, first 2 shown]
	s_waitcnt vmcnt(0)
	ds_write_b128 v104, v[1:4]
	s_waitcnt lgkmcnt(0)
	s_waitcnt_vscnt null, 0x0
	s_barrier
	buffer_gl0_inv
	v_cmpx_gt_u32_e32 44, v0
	s_cbranch_execz .LBB112_735
; %bb.728:
	ds_read_b128 v[1:4], v104
	v_cmp_ne_u32_e32 vcc_lo, 1, v105
	s_cbranch_vccnz .LBB112_730
; %bb.729:
	s_clause 0x3
	buffer_load_dword v106, v103, s[0:3], 0 offen offset:8
	buffer_load_dword v107, v103, s[0:3], 0 offen offset:12
	buffer_load_dword v110, v103, s[0:3], 0 offen
	buffer_load_dword v111, v103, s[0:3], 0 offen offset:4
	s_waitcnt vmcnt(2) lgkmcnt(0)
	v_mul_f64 v[112:113], v[3:4], v[106:107]
	v_mul_f64 v[106:107], v[1:2], v[106:107]
	s_waitcnt vmcnt(0)
	v_fma_f64 v[1:2], v[1:2], v[110:111], -v[112:113]
	v_fma_f64 v[3:4], v[3:4], v[110:111], v[106:107]
.LBB112_730:
	s_mov_b32 s8, exec_lo
	v_cmpx_ne_u32_e32 43, v0
	s_cbranch_execz .LBB112_734
; %bb.731:
	v_add_nc_u32_e32 v106, 0x320, v109
	v_add3_u32 v107, 0, v109, 16
	v_mov_b32_e32 v108, v0
	s_mov_b32 s56, 0
	.p2align	6
.LBB112_732:                            ; =>This Inner Loop Header: Depth=1
	s_clause 0x3
	buffer_load_dword v114, v107, s[0:3], 0 offen offset:8
	buffer_load_dword v115, v107, s[0:3], 0 offen offset:12
	buffer_load_dword v116, v107, s[0:3], 0 offen
	buffer_load_dword v117, v107, s[0:3], 0 offen offset:4
	ds_read_b128 v[110:113], v106
	v_add_nc_u32_e32 v108, 1, v108
	v_add_nc_u32_e32 v106, 16, v106
	;; [unrolled: 1-line block ×3, first 2 shown]
	v_cmp_lt_u32_e32 vcc_lo, 42, v108
	s_or_b32 s56, vcc_lo, s56
	s_waitcnt vmcnt(2) lgkmcnt(0)
	v_mul_f64 v[118:119], v[112:113], v[114:115]
	v_mul_f64 v[114:115], v[110:111], v[114:115]
	s_waitcnt vmcnt(0)
	v_fma_f64 v[110:111], v[110:111], v[116:117], -v[118:119]
	v_fma_f64 v[112:113], v[112:113], v[116:117], v[114:115]
	v_add_f64 v[1:2], v[1:2], v[110:111]
	v_add_f64 v[3:4], v[3:4], v[112:113]
	s_andn2_b32 exec_lo, exec_lo, s56
	s_cbranch_execnz .LBB112_732
; %bb.733:
	s_or_b32 exec_lo, exec_lo, s56
.LBB112_734:
	s_or_b32 exec_lo, exec_lo, s8
	v_mov_b32_e32 v106, 0
	ds_read_b128 v[110:113], v106 offset:704
	s_waitcnt lgkmcnt(0)
	v_mul_f64 v[106:107], v[3:4], v[112:113]
	v_mul_f64 v[112:113], v[1:2], v[112:113]
	v_fma_f64 v[1:2], v[1:2], v[110:111], -v[106:107]
	v_fma_f64 v[3:4], v[3:4], v[110:111], v[112:113]
	buffer_store_dword v2, off, s[0:3], 0 offset:708
	buffer_store_dword v1, off, s[0:3], 0 offset:704
	;; [unrolled: 1-line block ×4, first 2 shown]
.LBB112_735:
	s_or_b32 exec_lo, exec_lo, s4
	v_mov_b32_e32 v4, s10
	s_mov_b32 s4, exec_lo
	s_clause 0x3
	buffer_load_dword v1, v4, s[0:3], 0 offen
	buffer_load_dword v2, v4, s[0:3], 0 offen offset:4
	buffer_load_dword v3, v4, s[0:3], 0 offen offset:8
	;; [unrolled: 1-line block ×3, first 2 shown]
	s_waitcnt vmcnt(0)
	ds_write_b128 v104, v[1:4]
	s_waitcnt lgkmcnt(0)
	s_waitcnt_vscnt null, 0x0
	s_barrier
	buffer_gl0_inv
	v_cmpx_gt_u32_e32 45, v0
	s_cbranch_execz .LBB112_743
; %bb.736:
	ds_read_b128 v[1:4], v104
	v_cmp_ne_u32_e32 vcc_lo, 1, v105
	s_cbranch_vccnz .LBB112_738
; %bb.737:
	s_clause 0x3
	buffer_load_dword v106, v103, s[0:3], 0 offen offset:8
	buffer_load_dword v107, v103, s[0:3], 0 offen offset:12
	buffer_load_dword v110, v103, s[0:3], 0 offen
	buffer_load_dword v111, v103, s[0:3], 0 offen offset:4
	s_waitcnt vmcnt(2) lgkmcnt(0)
	v_mul_f64 v[112:113], v[3:4], v[106:107]
	v_mul_f64 v[106:107], v[1:2], v[106:107]
	s_waitcnt vmcnt(0)
	v_fma_f64 v[1:2], v[1:2], v[110:111], -v[112:113]
	v_fma_f64 v[3:4], v[3:4], v[110:111], v[106:107]
.LBB112_738:
	s_mov_b32 s8, exec_lo
	v_cmpx_ne_u32_e32 44, v0
	s_cbranch_execz .LBB112_742
; %bb.739:
	v_add_nc_u32_e32 v106, 0x320, v109
	v_add3_u32 v107, 0, v109, 16
	v_mov_b32_e32 v108, v0
	s_mov_b32 s56, 0
	.p2align	6
.LBB112_740:                            ; =>This Inner Loop Header: Depth=1
	s_clause 0x3
	buffer_load_dword v114, v107, s[0:3], 0 offen offset:8
	buffer_load_dword v115, v107, s[0:3], 0 offen offset:12
	buffer_load_dword v116, v107, s[0:3], 0 offen
	buffer_load_dword v117, v107, s[0:3], 0 offen offset:4
	ds_read_b128 v[110:113], v106
	v_add_nc_u32_e32 v108, 1, v108
	v_add_nc_u32_e32 v106, 16, v106
	;; [unrolled: 1-line block ×3, first 2 shown]
	v_cmp_lt_u32_e32 vcc_lo, 43, v108
	s_or_b32 s56, vcc_lo, s56
	s_waitcnt vmcnt(2) lgkmcnt(0)
	v_mul_f64 v[118:119], v[112:113], v[114:115]
	v_mul_f64 v[114:115], v[110:111], v[114:115]
	s_waitcnt vmcnt(0)
	v_fma_f64 v[110:111], v[110:111], v[116:117], -v[118:119]
	v_fma_f64 v[112:113], v[112:113], v[116:117], v[114:115]
	v_add_f64 v[1:2], v[1:2], v[110:111]
	v_add_f64 v[3:4], v[3:4], v[112:113]
	s_andn2_b32 exec_lo, exec_lo, s56
	s_cbranch_execnz .LBB112_740
; %bb.741:
	s_or_b32 exec_lo, exec_lo, s56
.LBB112_742:
	s_or_b32 exec_lo, exec_lo, s8
	v_mov_b32_e32 v106, 0
	ds_read_b128 v[110:113], v106 offset:720
	s_waitcnt lgkmcnt(0)
	v_mul_f64 v[106:107], v[3:4], v[112:113]
	v_mul_f64 v[112:113], v[1:2], v[112:113]
	v_fma_f64 v[1:2], v[1:2], v[110:111], -v[106:107]
	v_fma_f64 v[3:4], v[3:4], v[110:111], v[112:113]
	buffer_store_dword v2, off, s[0:3], 0 offset:724
	buffer_store_dword v1, off, s[0:3], 0 offset:720
	;; [unrolled: 1-line block ×4, first 2 shown]
.LBB112_743:
	s_or_b32 exec_lo, exec_lo, s4
	v_mov_b32_e32 v4, s9
	s_mov_b32 s4, exec_lo
	s_clause 0x3
	buffer_load_dword v1, v4, s[0:3], 0 offen
	buffer_load_dword v2, v4, s[0:3], 0 offen offset:4
	buffer_load_dword v3, v4, s[0:3], 0 offen offset:8
	buffer_load_dword v4, v4, s[0:3], 0 offen offset:12
	s_waitcnt vmcnt(0)
	ds_write_b128 v104, v[1:4]
	s_waitcnt lgkmcnt(0)
	s_waitcnt_vscnt null, 0x0
	s_barrier
	buffer_gl0_inv
	v_cmpx_gt_u32_e32 46, v0
	s_cbranch_execz .LBB112_751
; %bb.744:
	ds_read_b128 v[1:4], v104
	v_cmp_ne_u32_e32 vcc_lo, 1, v105
	s_cbranch_vccnz .LBB112_746
; %bb.745:
	s_clause 0x3
	buffer_load_dword v106, v103, s[0:3], 0 offen offset:8
	buffer_load_dword v107, v103, s[0:3], 0 offen offset:12
	buffer_load_dword v110, v103, s[0:3], 0 offen
	buffer_load_dword v111, v103, s[0:3], 0 offen offset:4
	s_waitcnt vmcnt(2) lgkmcnt(0)
	v_mul_f64 v[112:113], v[3:4], v[106:107]
	v_mul_f64 v[106:107], v[1:2], v[106:107]
	s_waitcnt vmcnt(0)
	v_fma_f64 v[1:2], v[1:2], v[110:111], -v[112:113]
	v_fma_f64 v[3:4], v[3:4], v[110:111], v[106:107]
.LBB112_746:
	s_mov_b32 s8, exec_lo
	v_cmpx_ne_u32_e32 45, v0
	s_cbranch_execz .LBB112_750
; %bb.747:
	v_add_nc_u32_e32 v106, 0x320, v109
	v_add3_u32 v107, 0, v109, 16
	v_mov_b32_e32 v108, v0
	s_mov_b32 s56, 0
	.p2align	6
.LBB112_748:                            ; =>This Inner Loop Header: Depth=1
	s_clause 0x3
	buffer_load_dword v114, v107, s[0:3], 0 offen offset:8
	buffer_load_dword v115, v107, s[0:3], 0 offen offset:12
	buffer_load_dword v116, v107, s[0:3], 0 offen
	buffer_load_dword v117, v107, s[0:3], 0 offen offset:4
	ds_read_b128 v[110:113], v106
	v_add_nc_u32_e32 v108, 1, v108
	v_add_nc_u32_e32 v106, 16, v106
	;; [unrolled: 1-line block ×3, first 2 shown]
	v_cmp_lt_u32_e32 vcc_lo, 44, v108
	s_or_b32 s56, vcc_lo, s56
	s_waitcnt vmcnt(2) lgkmcnt(0)
	v_mul_f64 v[118:119], v[112:113], v[114:115]
	v_mul_f64 v[114:115], v[110:111], v[114:115]
	s_waitcnt vmcnt(0)
	v_fma_f64 v[110:111], v[110:111], v[116:117], -v[118:119]
	v_fma_f64 v[112:113], v[112:113], v[116:117], v[114:115]
	v_add_f64 v[1:2], v[1:2], v[110:111]
	v_add_f64 v[3:4], v[3:4], v[112:113]
	s_andn2_b32 exec_lo, exec_lo, s56
	s_cbranch_execnz .LBB112_748
; %bb.749:
	s_or_b32 exec_lo, exec_lo, s56
.LBB112_750:
	s_or_b32 exec_lo, exec_lo, s8
	v_mov_b32_e32 v106, 0
	ds_read_b128 v[110:113], v106 offset:736
	s_waitcnt lgkmcnt(0)
	v_mul_f64 v[106:107], v[3:4], v[112:113]
	v_mul_f64 v[112:113], v[1:2], v[112:113]
	v_fma_f64 v[1:2], v[1:2], v[110:111], -v[106:107]
	v_fma_f64 v[3:4], v[3:4], v[110:111], v[112:113]
	buffer_store_dword v2, off, s[0:3], 0 offset:740
	buffer_store_dword v1, off, s[0:3], 0 offset:736
	;; [unrolled: 1-line block ×4, first 2 shown]
.LBB112_751:
	s_or_b32 exec_lo, exec_lo, s4
	v_mov_b32_e32 v4, s7
	v_cmp_gt_u32_e64 s4, 47, v0
	s_clause 0x3
	buffer_load_dword v1, v4, s[0:3], 0 offen
	buffer_load_dword v2, v4, s[0:3], 0 offen offset:4
	buffer_load_dword v3, v4, s[0:3], 0 offen offset:8
	;; [unrolled: 1-line block ×3, first 2 shown]
	s_waitcnt vmcnt(0)
	ds_write_b128 v104, v[1:4]
	s_waitcnt lgkmcnt(0)
	s_waitcnt_vscnt null, 0x0
	s_barrier
	buffer_gl0_inv
	s_and_saveexec_b32 s8, s4
	s_cbranch_execz .LBB112_759
; %bb.752:
	ds_read_b128 v[1:4], v104
	v_cmp_ne_u32_e32 vcc_lo, 1, v105
	s_cbranch_vccnz .LBB112_754
; %bb.753:
	s_clause 0x3
	buffer_load_dword v106, v103, s[0:3], 0 offen offset:8
	buffer_load_dword v107, v103, s[0:3], 0 offen offset:12
	buffer_load_dword v110, v103, s[0:3], 0 offen
	buffer_load_dword v111, v103, s[0:3], 0 offen offset:4
	s_waitcnt vmcnt(2) lgkmcnt(0)
	v_mul_f64 v[112:113], v[3:4], v[106:107]
	v_mul_f64 v[106:107], v[1:2], v[106:107]
	s_waitcnt vmcnt(0)
	v_fma_f64 v[1:2], v[1:2], v[110:111], -v[112:113]
	v_fma_f64 v[3:4], v[3:4], v[110:111], v[106:107]
.LBB112_754:
	s_mov_b32 s56, exec_lo
	v_cmpx_ne_u32_e32 46, v0
	s_cbranch_execz .LBB112_758
; %bb.755:
	v_add_nc_u32_e32 v106, 0x320, v109
	v_add3_u32 v107, 0, v109, 16
	v_mov_b32_e32 v108, v0
	s_mov_b32 s57, 0
	.p2align	6
.LBB112_756:                            ; =>This Inner Loop Header: Depth=1
	s_clause 0x3
	buffer_load_dword v114, v107, s[0:3], 0 offen offset:8
	buffer_load_dword v115, v107, s[0:3], 0 offen offset:12
	buffer_load_dword v116, v107, s[0:3], 0 offen
	buffer_load_dword v117, v107, s[0:3], 0 offen offset:4
	ds_read_b128 v[110:113], v106
	v_add_nc_u32_e32 v108, 1, v108
	v_add_nc_u32_e32 v106, 16, v106
	;; [unrolled: 1-line block ×3, first 2 shown]
	v_cmp_lt_u32_e32 vcc_lo, 45, v108
	s_or_b32 s57, vcc_lo, s57
	s_waitcnt vmcnt(2) lgkmcnt(0)
	v_mul_f64 v[118:119], v[112:113], v[114:115]
	v_mul_f64 v[114:115], v[110:111], v[114:115]
	s_waitcnt vmcnt(0)
	v_fma_f64 v[110:111], v[110:111], v[116:117], -v[118:119]
	v_fma_f64 v[112:113], v[112:113], v[116:117], v[114:115]
	v_add_f64 v[1:2], v[1:2], v[110:111]
	v_add_f64 v[3:4], v[3:4], v[112:113]
	s_andn2_b32 exec_lo, exec_lo, s57
	s_cbranch_execnz .LBB112_756
; %bb.757:
	s_or_b32 exec_lo, exec_lo, s57
.LBB112_758:
	s_or_b32 exec_lo, exec_lo, s56
	v_mov_b32_e32 v106, 0
	ds_read_b128 v[110:113], v106 offset:752
	s_waitcnt lgkmcnt(0)
	v_mul_f64 v[106:107], v[3:4], v[112:113]
	v_mul_f64 v[112:113], v[1:2], v[112:113]
	v_fma_f64 v[1:2], v[1:2], v[110:111], -v[106:107]
	v_fma_f64 v[3:4], v[3:4], v[110:111], v[112:113]
	buffer_store_dword v2, off, s[0:3], 0 offset:756
	buffer_store_dword v1, off, s[0:3], 0 offset:752
	;; [unrolled: 1-line block ×4, first 2 shown]
.LBB112_759:
	s_or_b32 exec_lo, exec_lo, s8
	v_mov_b32_e32 v4, s6
	s_mov_b32 s8, exec_lo
                                        ; implicit-def: $sgpr58
	s_clause 0x3
	buffer_load_dword v1, v4, s[0:3], 0 offen
	buffer_load_dword v2, v4, s[0:3], 0 offen offset:4
	buffer_load_dword v3, v4, s[0:3], 0 offen offset:8
	;; [unrolled: 1-line block ×3, first 2 shown]
	s_waitcnt vmcnt(0)
	ds_write_b128 v104, v[1:4]
	s_waitcnt lgkmcnt(0)
	s_waitcnt_vscnt null, 0x0
	s_barrier
	buffer_gl0_inv
                                        ; implicit-def: $vgpr1_vgpr2
	v_cmpx_ne_u32_e32 48, v0
	s_cbranch_execz .LBB112_767
; %bb.760:
	ds_read_b128 v[1:4], v104
	v_cmp_ne_u32_e32 vcc_lo, 1, v105
	s_cbranch_vccnz .LBB112_762
; %bb.761:
	s_clause 0x3
	buffer_load_dword v104, v103, s[0:3], 0 offen offset:8
	buffer_load_dword v105, v103, s[0:3], 0 offen offset:12
	buffer_load_dword v106, v103, s[0:3], 0 offen
	buffer_load_dword v107, v103, s[0:3], 0 offen offset:4
	s_waitcnt vmcnt(2) lgkmcnt(0)
	v_mul_f64 v[110:111], v[3:4], v[104:105]
	v_mul_f64 v[103:104], v[1:2], v[104:105]
	s_waitcnt vmcnt(0)
	v_fma_f64 v[1:2], v[1:2], v[106:107], -v[110:111]
	v_fma_f64 v[3:4], v[3:4], v[106:107], v[103:104]
.LBB112_762:
	s_and_saveexec_b32 s56, s4
	s_cbranch_execz .LBB112_766
; %bb.763:
	v_add_nc_u32_e32 v103, 0x320, v109
	v_add3_u32 v104, 0, v109, 16
	s_mov_b32 s4, 0
	.p2align	6
.LBB112_764:                            ; =>This Inner Loop Header: Depth=1
	s_clause 0x3
	buffer_load_dword v109, v104, s[0:3], 0 offen offset:8
	buffer_load_dword v110, v104, s[0:3], 0 offen offset:12
	buffer_load_dword v111, v104, s[0:3], 0 offen
	buffer_load_dword v112, v104, s[0:3], 0 offen offset:4
	ds_read_b128 v[105:108], v103
	v_add_nc_u32_e32 v0, 1, v0
	v_add_nc_u32_e32 v103, 16, v103
	;; [unrolled: 1-line block ×3, first 2 shown]
	v_cmp_lt_u32_e32 vcc_lo, 46, v0
	s_or_b32 s4, vcc_lo, s4
	s_waitcnt vmcnt(2) lgkmcnt(0)
	v_mul_f64 v[113:114], v[107:108], v[109:110]
	v_mul_f64 v[109:110], v[105:106], v[109:110]
	s_waitcnt vmcnt(0)
	v_fma_f64 v[105:106], v[105:106], v[111:112], -v[113:114]
	v_fma_f64 v[107:108], v[107:108], v[111:112], v[109:110]
	v_add_f64 v[1:2], v[1:2], v[105:106]
	v_add_f64 v[3:4], v[3:4], v[107:108]
	s_andn2_b32 exec_lo, exec_lo, s4
	s_cbranch_execnz .LBB112_764
; %bb.765:
	s_or_b32 exec_lo, exec_lo, s4
.LBB112_766:
	s_or_b32 exec_lo, exec_lo, s56
	v_mov_b32_e32 v0, 0
	s_movk_i32 s58, 0x308
	s_or_b32 s5, s5, exec_lo
	ds_read_b128 v[103:106], v0 offset:768
	s_waitcnt lgkmcnt(0)
	v_mul_f64 v[107:108], v[3:4], v[105:106]
	v_mul_f64 v[105:106], v[1:2], v[105:106]
	v_fma_f64 v[107:108], v[1:2], v[103:104], -v[107:108]
	v_fma_f64 v[1:2], v[3:4], v[103:104], v[105:106]
	buffer_store_dword v108, off, s[0:3], 0 offset:772
	buffer_store_dword v107, off, s[0:3], 0 offset:768
.LBB112_767:
	s_or_b32 exec_lo, exec_lo, s8
.LBB112_768:
	s_and_saveexec_b32 s4, s5
	s_cbranch_execz .LBB112_770
; %bb.769:
	v_mov_b32_e32 v0, s58
	buffer_store_dword v2, v0, s[0:3], 0 offen offset:4
	buffer_store_dword v1, v0, s[0:3], 0 offen
.LBB112_770:
	s_or_b32 exec_lo, exec_lo, s4
	s_clause 0x3
	buffer_load_dword v0, off, s[0:3], 0
	buffer_load_dword v1, off, s[0:3], 0 offset:4
	buffer_load_dword v2, off, s[0:3], 0 offset:8
	;; [unrolled: 1-line block ×3, first 2 shown]
	v_mov_b32_e32 v4, s55
	s_waitcnt vmcnt(0)
	flat_store_dwordx4 v[5:6], v[0:3]
	s_clause 0x3
	buffer_load_dword v0, v4, s[0:3], 0 offen
	buffer_load_dword v1, v4, s[0:3], 0 offen offset:4
	buffer_load_dword v2, v4, s[0:3], 0 offen offset:8
	buffer_load_dword v3, v4, s[0:3], 0 offen offset:12
	v_mov_b32_e32 v4, s54
	s_waitcnt vmcnt(0)
	flat_store_dwordx4 v[59:60], v[0:3]
	s_clause 0x3
	buffer_load_dword v0, v4, s[0:3], 0 offen
	buffer_load_dword v1, v4, s[0:3], 0 offen offset:4
	buffer_load_dword v2, v4, s[0:3], 0 offen offset:8
	buffer_load_dword v3, v4, s[0:3], 0 offen offset:12
	;; [unrolled: 8-line block ×48, first 2 shown]
	s_waitcnt vmcnt(0)
	flat_store_dwordx4 v[101:102], v[0:3]
.LBB112_771:
	s_endpgm
	.section	.rodata,"a",@progbits
	.p2align	6, 0x0
	.amdhsa_kernel _ZN9rocsolver6v33100L18trti2_kernel_smallILi49E19rocblas_complex_numIdEPKPS3_EEv13rocblas_fill_17rocblas_diagonal_T1_iil
		.amdhsa_group_segment_fixed_size 1568
		.amdhsa_private_segment_fixed_size 800
		.amdhsa_kernarg_size 32
		.amdhsa_user_sgpr_count 6
		.amdhsa_user_sgpr_private_segment_buffer 1
		.amdhsa_user_sgpr_dispatch_ptr 0
		.amdhsa_user_sgpr_queue_ptr 0
		.amdhsa_user_sgpr_kernarg_segment_ptr 1
		.amdhsa_user_sgpr_dispatch_id 0
		.amdhsa_user_sgpr_flat_scratch_init 0
		.amdhsa_user_sgpr_private_segment_size 0
		.amdhsa_wavefront_size32 1
		.amdhsa_uses_dynamic_stack 0
		.amdhsa_system_sgpr_private_segment_wavefront_offset 1
		.amdhsa_system_sgpr_workgroup_id_x 1
		.amdhsa_system_sgpr_workgroup_id_y 0
		.amdhsa_system_sgpr_workgroup_id_z 0
		.amdhsa_system_sgpr_workgroup_info 0
		.amdhsa_system_vgpr_workitem_id 0
		.amdhsa_next_free_vgpr 120
		.amdhsa_next_free_sgpr 78
		.amdhsa_reserve_vcc 1
		.amdhsa_reserve_flat_scratch 0
		.amdhsa_float_round_mode_32 0
		.amdhsa_float_round_mode_16_64 0
		.amdhsa_float_denorm_mode_32 3
		.amdhsa_float_denorm_mode_16_64 3
		.amdhsa_dx10_clamp 1
		.amdhsa_ieee_mode 1
		.amdhsa_fp16_overflow 0
		.amdhsa_workgroup_processor_mode 1
		.amdhsa_memory_ordered 1
		.amdhsa_forward_progress 1
		.amdhsa_shared_vgpr_count 0
		.amdhsa_exception_fp_ieee_invalid_op 0
		.amdhsa_exception_fp_denorm_src 0
		.amdhsa_exception_fp_ieee_div_zero 0
		.amdhsa_exception_fp_ieee_overflow 0
		.amdhsa_exception_fp_ieee_underflow 0
		.amdhsa_exception_fp_ieee_inexact 0
		.amdhsa_exception_int_div_zero 0
	.end_amdhsa_kernel
	.section	.text._ZN9rocsolver6v33100L18trti2_kernel_smallILi49E19rocblas_complex_numIdEPKPS3_EEv13rocblas_fill_17rocblas_diagonal_T1_iil,"axG",@progbits,_ZN9rocsolver6v33100L18trti2_kernel_smallILi49E19rocblas_complex_numIdEPKPS3_EEv13rocblas_fill_17rocblas_diagonal_T1_iil,comdat
.Lfunc_end112:
	.size	_ZN9rocsolver6v33100L18trti2_kernel_smallILi49E19rocblas_complex_numIdEPKPS3_EEv13rocblas_fill_17rocblas_diagonal_T1_iil, .Lfunc_end112-_ZN9rocsolver6v33100L18trti2_kernel_smallILi49E19rocblas_complex_numIdEPKPS3_EEv13rocblas_fill_17rocblas_diagonal_T1_iil
                                        ; -- End function
	.set _ZN9rocsolver6v33100L18trti2_kernel_smallILi49E19rocblas_complex_numIdEPKPS3_EEv13rocblas_fill_17rocblas_diagonal_T1_iil.num_vgpr, 120
	.set _ZN9rocsolver6v33100L18trti2_kernel_smallILi49E19rocblas_complex_numIdEPKPS3_EEv13rocblas_fill_17rocblas_diagonal_T1_iil.num_agpr, 0
	.set _ZN9rocsolver6v33100L18trti2_kernel_smallILi49E19rocblas_complex_numIdEPKPS3_EEv13rocblas_fill_17rocblas_diagonal_T1_iil.numbered_sgpr, 78
	.set _ZN9rocsolver6v33100L18trti2_kernel_smallILi49E19rocblas_complex_numIdEPKPS3_EEv13rocblas_fill_17rocblas_diagonal_T1_iil.num_named_barrier, 0
	.set _ZN9rocsolver6v33100L18trti2_kernel_smallILi49E19rocblas_complex_numIdEPKPS3_EEv13rocblas_fill_17rocblas_diagonal_T1_iil.private_seg_size, 800
	.set _ZN9rocsolver6v33100L18trti2_kernel_smallILi49E19rocblas_complex_numIdEPKPS3_EEv13rocblas_fill_17rocblas_diagonal_T1_iil.uses_vcc, 1
	.set _ZN9rocsolver6v33100L18trti2_kernel_smallILi49E19rocblas_complex_numIdEPKPS3_EEv13rocblas_fill_17rocblas_diagonal_T1_iil.uses_flat_scratch, 0
	.set _ZN9rocsolver6v33100L18trti2_kernel_smallILi49E19rocblas_complex_numIdEPKPS3_EEv13rocblas_fill_17rocblas_diagonal_T1_iil.has_dyn_sized_stack, 0
	.set _ZN9rocsolver6v33100L18trti2_kernel_smallILi49E19rocblas_complex_numIdEPKPS3_EEv13rocblas_fill_17rocblas_diagonal_T1_iil.has_recursion, 0
	.set _ZN9rocsolver6v33100L18trti2_kernel_smallILi49E19rocblas_complex_numIdEPKPS3_EEv13rocblas_fill_17rocblas_diagonal_T1_iil.has_indirect_call, 0
	.section	.AMDGPU.csdata,"",@progbits
; Kernel info:
; codeLenInByte = 49896
; TotalNumSgprs: 80
; NumVgprs: 120
; ScratchSize: 800
; MemoryBound: 0
; FloatMode: 240
; IeeeMode: 1
; LDSByteSize: 1568 bytes/workgroup (compile time only)
; SGPRBlocks: 0
; VGPRBlocks: 14
; NumSGPRsForWavesPerEU: 80
; NumVGPRsForWavesPerEU: 120
; Occupancy: 8
; WaveLimiterHint : 1
; COMPUTE_PGM_RSRC2:SCRATCH_EN: 1
; COMPUTE_PGM_RSRC2:USER_SGPR: 6
; COMPUTE_PGM_RSRC2:TRAP_HANDLER: 0
; COMPUTE_PGM_RSRC2:TGID_X_EN: 1
; COMPUTE_PGM_RSRC2:TGID_Y_EN: 0
; COMPUTE_PGM_RSRC2:TGID_Z_EN: 0
; COMPUTE_PGM_RSRC2:TIDIG_COMP_CNT: 0
	.section	.text._ZN9rocsolver6v33100L18trti2_kernel_smallILi50E19rocblas_complex_numIdEPKPS3_EEv13rocblas_fill_17rocblas_diagonal_T1_iil,"axG",@progbits,_ZN9rocsolver6v33100L18trti2_kernel_smallILi50E19rocblas_complex_numIdEPKPS3_EEv13rocblas_fill_17rocblas_diagonal_T1_iil,comdat
	.globl	_ZN9rocsolver6v33100L18trti2_kernel_smallILi50E19rocblas_complex_numIdEPKPS3_EEv13rocblas_fill_17rocblas_diagonal_T1_iil ; -- Begin function _ZN9rocsolver6v33100L18trti2_kernel_smallILi50E19rocblas_complex_numIdEPKPS3_EEv13rocblas_fill_17rocblas_diagonal_T1_iil
	.p2align	8
	.type	_ZN9rocsolver6v33100L18trti2_kernel_smallILi50E19rocblas_complex_numIdEPKPS3_EEv13rocblas_fill_17rocblas_diagonal_T1_iil,@function
_ZN9rocsolver6v33100L18trti2_kernel_smallILi50E19rocblas_complex_numIdEPKPS3_EEv13rocblas_fill_17rocblas_diagonal_T1_iil: ; @_ZN9rocsolver6v33100L18trti2_kernel_smallILi50E19rocblas_complex_numIdEPKPS3_EEv13rocblas_fill_17rocblas_diagonal_T1_iil
; %bb.0:
	s_add_u32 s0, s0, s7
	s_addc_u32 s1, s1, 0
	s_mov_b32 s7, exec_lo
	v_cmpx_gt_u32_e32 50, v0
	s_cbranch_execz .LBB113_787
; %bb.1:
	s_clause 0x1
	s_load_dwordx2 s[12:13], s[4:5], 0x10
	s_load_dwordx4 s[8:11], s[4:5], 0x0
	s_ashr_i32 s7, s6, 31
	v_lshlrev_b32_e32 v111, 4, v0
	s_lshl_b64 s[4:5], s[6:7], 3
	s_movk_i32 s14, 0xd0
	s_movk_i32 s15, 0xe0
	;; [unrolled: 1-line block ×15, first 2 shown]
	s_waitcnt lgkmcnt(0)
	s_ashr_i32 s7, s12, 31
	s_add_u32 s4, s10, s4
	s_addc_u32 s5, s11, s5
	s_mov_b32 s6, s12
	s_load_dwordx2 s[4:5], s[4:5], 0x0
	s_lshl_b64 s[6:7], s[6:7], 4
	v_add3_u32 v7, s13, s13, v0
	s_movk_i32 s10, 0x90
	s_movk_i32 s11, 0xa0
	;; [unrolled: 1-line block ×4, first 2 shown]
	v_ashrrev_i32_e32 v8, 31, v7
	s_movk_i32 s59, 0x1d0
	s_movk_i32 s60, 0x1e0
	;; [unrolled: 1-line block ×4, first 2 shown]
	v_lshlrev_b64 v[8:9], 4, v[7:8]
	v_add_nc_u32_e32 v7, s13, v7
	s_movk_i32 s63, 0x210
	s_movk_i32 s64, 0x220
	;; [unrolled: 1-line block ×6, first 2 shown]
	s_waitcnt lgkmcnt(0)
	s_add_u32 s6, s4, s6
	s_addc_u32 s7, s5, s7
	v_add_co_u32 v5, s4, s6, v111
	v_add_co_ci_u32_e64 v6, null, s7, 0, s4
	s_mov_b32 s4, s13
	s_ashr_i32 s5, s13, 31
	s_movk_i32 s69, 0x270
	flat_load_dwordx4 v[1:4], v[5:6]
	s_lshl_b64 s[4:5], s[4:5], 4
	s_cmpk_lg_i32 s9, 0x84
	v_add_co_u32 v59, vcc_lo, v5, s4
	v_add_co_ci_u32_e64 v60, null, s5, v6, vcc_lo
	v_add_co_u32 v57, vcc_lo, s6, v8
	v_add_co_ci_u32_e64 v58, null, s7, v9, vcc_lo
	v_ashrrev_i32_e32 v8, 31, v7
	s_movk_i32 s4, 0x50
	s_movk_i32 s5, 0x60
	;; [unrolled: 1-line block ×4, first 2 shown]
	v_lshlrev_b64 v[8:9], 4, v[7:8]
	v_add_nc_u32_e32 v7, s13, v7
	s_movk_i32 s72, 0x2a0
	s_movk_i32 s73, 0x2b0
	;; [unrolled: 1-line block ×4, first 2 shown]
	v_add_co_u32 v55, vcc_lo, s6, v8
	v_add_co_ci_u32_e64 v56, null, s7, v9, vcc_lo
	v_ashrrev_i32_e32 v8, 31, v7
	s_movk_i32 s76, 0x2e0
	s_movk_i32 s77, 0x2f0
	;; [unrolled: 1-line block ×4, first 2 shown]
	v_lshlrev_b64 v[8:9], 4, v[7:8]
	v_add_nc_u32_e32 v7, s13, v7
	s_cselect_b32 s58, -1, 0
	s_cmpk_eq_i32 s9, 0x84
	s_waitcnt vmcnt(0) lgkmcnt(0)
	buffer_store_dword v4, off, s[0:3], 0 offset:12
	buffer_store_dword v3, off, s[0:3], 0 offset:8
	;; [unrolled: 1-line block ×3, first 2 shown]
	buffer_store_dword v1, off, s[0:3], 0
	flat_load_dwordx4 v[1:4], v[59:60]
	v_add_co_u32 v53, vcc_lo, s6, v8
	v_add_co_ci_u32_e64 v54, null, s7, v9, vcc_lo
	v_ashrrev_i32_e32 v8, 31, v7
	s_waitcnt vmcnt(0) lgkmcnt(0)
	buffer_store_dword v4, off, s[0:3], 0 offset:28
	buffer_store_dword v3, off, s[0:3], 0 offset:24
	buffer_store_dword v2, off, s[0:3], 0 offset:20
	buffer_store_dword v1, off, s[0:3], 0 offset:16
	flat_load_dwordx4 v[1:4], v[57:58]
	v_lshlrev_b64 v[8:9], 4, v[7:8]
	v_add_nc_u32_e32 v7, s13, v7
	s_waitcnt vmcnt(0) lgkmcnt(0)
	buffer_store_dword v4, off, s[0:3], 0 offset:44
	buffer_store_dword v3, off, s[0:3], 0 offset:40
	buffer_store_dword v2, off, s[0:3], 0 offset:36
	buffer_store_dword v1, off, s[0:3], 0 offset:32
	flat_load_dwordx4 v[1:4], v[55:56]
	v_add_co_u32 v49, vcc_lo, s6, v8
	v_add_co_ci_u32_e64 v50, null, s7, v9, vcc_lo
	v_ashrrev_i32_e32 v8, 31, v7
	s_waitcnt vmcnt(0) lgkmcnt(0)
	buffer_store_dword v4, off, s[0:3], 0 offset:60
	buffer_store_dword v3, off, s[0:3], 0 offset:56
	buffer_store_dword v2, off, s[0:3], 0 offset:52
	buffer_store_dword v1, off, s[0:3], 0 offset:48
	flat_load_dwordx4 v[1:4], v[53:54]
	v_lshlrev_b64 v[8:9], 4, v[7:8]
	v_add_nc_u32_e32 v7, s13, v7
	s_waitcnt vmcnt(0) lgkmcnt(0)
	buffer_store_dword v4, off, s[0:3], 0 offset:76
	buffer_store_dword v3, off, s[0:3], 0 offset:72
	buffer_store_dword v2, off, s[0:3], 0 offset:68
	buffer_store_dword v1, off, s[0:3], 0 offset:64
	;; [unrolled: 17-line block ×3, first 2 shown]
	v_add_co_u32 v45, vcc_lo, s6, v8
	v_add_co_ci_u32_e64 v46, null, s7, v9, vcc_lo
	v_ashrrev_i32_e32 v8, 31, v7
	flat_load_dwordx4 v[1:4], v[45:46]
	s_waitcnt vmcnt(0) lgkmcnt(0)
	buffer_store_dword v4, off, s[0:3], 0 offset:124
	buffer_store_dword v3, off, s[0:3], 0 offset:120
	buffer_store_dword v2, off, s[0:3], 0 offset:116
	buffer_store_dword v1, off, s[0:3], 0 offset:112
	v_lshlrev_b64 v[8:9], 4, v[7:8]
	v_add_nc_u32_e32 v7, s13, v7
	v_add_co_u32 v43, vcc_lo, s6, v8
	v_add_co_ci_u32_e64 v44, null, s7, v9, vcc_lo
	v_ashrrev_i32_e32 v8, 31, v7
	flat_load_dwordx4 v[1:4], v[43:44]
	s_waitcnt vmcnt(0) lgkmcnt(0)
	buffer_store_dword v4, off, s[0:3], 0 offset:140
	buffer_store_dword v3, off, s[0:3], 0 offset:136
	buffer_store_dword v2, off, s[0:3], 0 offset:132
	buffer_store_dword v1, off, s[0:3], 0 offset:128
	v_lshlrev_b64 v[8:9], 4, v[7:8]
	v_add_nc_u32_e32 v7, s13, v7
	;; [unrolled: 11-line block ×16, first 2 shown]
	v_add_co_u32 v11, vcc_lo, s6, v8
	v_add_co_ci_u32_e64 v12, null, s7, v9, vcc_lo
	v_ashrrev_i32_e32 v8, 31, v7
	v_add_nc_u32_e32 v33, s13, v7
	flat_load_dwordx4 v[1:4], v[11:12]
	s_waitcnt vmcnt(0) lgkmcnt(0)
	buffer_store_dword v4, off, s[0:3], 0 offset:380
	buffer_store_dword v3, off, s[0:3], 0 offset:376
	;; [unrolled: 1-line block ×4, first 2 shown]
	v_lshlrev_b64 v[9:10], 4, v[7:8]
	v_ashrrev_i32_e32 v34, 31, v33
	v_add_nc_u32_e32 v51, s13, v33
	v_add_co_u32 v9, vcc_lo, s6, v9
	v_add_co_ci_u32_e64 v10, null, s7, v10, vcc_lo
	v_lshlrev_b64 v[7:8], 4, v[33:34]
	v_ashrrev_i32_e32 v52, 31, v51
	v_add_nc_u32_e32 v61, s13, v51
	flat_load_dwordx4 v[1:4], v[9:10]
	s_waitcnt vmcnt(0) lgkmcnt(0)
	buffer_store_dword v4, off, s[0:3], 0 offset:396
	buffer_store_dword v3, off, s[0:3], 0 offset:392
	buffer_store_dword v2, off, s[0:3], 0 offset:388
	buffer_store_dword v1, off, s[0:3], 0 offset:384
	v_add_co_u32 v7, vcc_lo, s6, v7
	v_add_co_ci_u32_e64 v8, null, s7, v8, vcc_lo
	v_lshlrev_b64 v[33:34], 4, v[51:52]
	v_ashrrev_i32_e32 v62, 31, v61
	v_add_nc_u32_e32 v63, s13, v61
	flat_load_dwordx4 v[1:4], v[7:8]
	s_waitcnt vmcnt(0) lgkmcnt(0)
	buffer_store_dword v4, off, s[0:3], 0 offset:412
	buffer_store_dword v3, off, s[0:3], 0 offset:408
	buffer_store_dword v2, off, s[0:3], 0 offset:404
	buffer_store_dword v1, off, s[0:3], 0 offset:400
	;; [unrolled: 11-line block ×22, first 2 shown]
	v_add_co_u32 v97, vcc_lo, s6, v97
	v_add_co_ci_u32_e64 v98, null, s7, v98, vcc_lo
	v_lshlrev_b64 v[99:100], 4, v[101:102]
	v_ashrrev_i32_e32 v104, 31, v103
	flat_load_dwordx4 v[1:4], v[97:98]
	s_waitcnt vmcnt(0) lgkmcnt(0)
	buffer_store_dword v4, off, s[0:3], 0 offset:748
	buffer_store_dword v3, off, s[0:3], 0 offset:744
	;; [unrolled: 1-line block ×4, first 2 shown]
	v_add_co_u32 v99, vcc_lo, s6, v99
	v_add_co_ci_u32_e64 v100, null, s7, v100, vcc_lo
	v_lshlrev_b64 v[101:102], 4, v[103:104]
	v_add_nc_u32_e32 v103, s13, v103
	s_movk_i32 s13, 0xc0
	flat_load_dwordx4 v[1:4], v[99:100]
	s_waitcnt vmcnt(0) lgkmcnt(0)
	buffer_store_dword v4, off, s[0:3], 0 offset:764
	buffer_store_dword v3, off, s[0:3], 0 offset:760
	;; [unrolled: 1-line block ×4, first 2 shown]
	v_add_co_u32 v101, vcc_lo, s6, v101
	v_add_co_ci_u32_e64 v102, null, s7, v102, vcc_lo
	v_ashrrev_i32_e32 v104, 31, v103
	flat_load_dwordx4 v[1:4], v[101:102]
	s_waitcnt vmcnt(0) lgkmcnt(0)
	buffer_store_dword v4, off, s[0:3], 0 offset:780
	buffer_store_dword v3, off, s[0:3], 0 offset:776
	;; [unrolled: 1-line block ×4, first 2 shown]
	v_lshlrev_b64 v[103:104], 4, v[103:104]
	v_add_co_u32 v103, vcc_lo, s6, v103
	v_add_co_ci_u32_e64 v104, null, s7, v104, vcc_lo
	s_movk_i32 s6, 0x70
	s_movk_i32 s7, 0x80
	flat_load_dwordx4 v[1:4], v[103:104]
	s_waitcnt vmcnt(0) lgkmcnt(0)
	buffer_store_dword v4, off, s[0:3], 0 offset:796
	buffer_store_dword v3, off, s[0:3], 0 offset:792
	;; [unrolled: 1-line block ×4, first 2 shown]
	s_cbranch_scc1 .LBB113_7
; %bb.2:
	v_lshl_add_u32 v112, v0, 4, 0
                                        ; implicit-def: $vgpr107_vgpr108
                                        ; implicit-def: $vgpr3_vgpr4
	s_clause 0x3
	buffer_load_dword v105, v112, s[0:3], 0 offen
	buffer_load_dword v106, v112, s[0:3], 0 offen offset:4
	buffer_load_dword v109, v112, s[0:3], 0 offen offset:8
	;; [unrolled: 1-line block ×3, first 2 shown]
	s_waitcnt vmcnt(0)
	v_cmp_ngt_f64_e64 s9, |v[105:106]|, |v[109:110]|
	s_and_saveexec_b32 s30, s9
	s_xor_b32 s9, exec_lo, s30
	s_cbranch_execz .LBB113_4
; %bb.3:
	v_div_scale_f64 v[1:2], null, v[109:110], v[109:110], v[105:106]
	v_div_scale_f64 v[113:114], vcc_lo, v[105:106], v[109:110], v[105:106]
	v_rcp_f64_e32 v[3:4], v[1:2]
	v_fma_f64 v[107:108], -v[1:2], v[3:4], 1.0
	v_fma_f64 v[3:4], v[3:4], v[107:108], v[3:4]
	v_fma_f64 v[107:108], -v[1:2], v[3:4], 1.0
	v_fma_f64 v[3:4], v[3:4], v[107:108], v[3:4]
	v_mul_f64 v[107:108], v[113:114], v[3:4]
	v_fma_f64 v[1:2], -v[1:2], v[107:108], v[113:114]
	v_div_fmas_f64 v[1:2], v[1:2], v[3:4], v[107:108]
	v_div_fixup_f64 v[1:2], v[1:2], v[109:110], v[105:106]
	v_fma_f64 v[3:4], v[105:106], v[1:2], v[109:110]
	v_div_scale_f64 v[105:106], null, v[3:4], v[3:4], 1.0
	v_div_scale_f64 v[113:114], vcc_lo, 1.0, v[3:4], 1.0
	v_rcp_f64_e32 v[107:108], v[105:106]
	v_fma_f64 v[109:110], -v[105:106], v[107:108], 1.0
	v_fma_f64 v[107:108], v[107:108], v[109:110], v[107:108]
	v_fma_f64 v[109:110], -v[105:106], v[107:108], 1.0
	v_fma_f64 v[107:108], v[107:108], v[109:110], v[107:108]
	v_mul_f64 v[109:110], v[113:114], v[107:108]
	v_fma_f64 v[105:106], -v[105:106], v[109:110], v[113:114]
	v_div_fmas_f64 v[105:106], v[105:106], v[107:108], v[109:110]
                                        ; implicit-def: $vgpr109_vgpr110
	v_div_fixup_f64 v[3:4], v[105:106], v[3:4], 1.0
                                        ; implicit-def: $vgpr105_vgpr106
	v_mul_f64 v[107:108], v[1:2], v[3:4]
	v_xor_b32_e32 v4, 0x80000000, v4
	v_xor_b32_e32 v2, 0x80000000, v108
	v_mov_b32_e32 v1, v107
.LBB113_4:
	s_andn2_saveexec_b32 s9, s9
	s_cbranch_execz .LBB113_6
; %bb.5:
	v_div_scale_f64 v[1:2], null, v[105:106], v[105:106], v[109:110]
	v_div_scale_f64 v[113:114], vcc_lo, v[109:110], v[105:106], v[109:110]
	v_rcp_f64_e32 v[3:4], v[1:2]
	v_fma_f64 v[107:108], -v[1:2], v[3:4], 1.0
	v_fma_f64 v[3:4], v[3:4], v[107:108], v[3:4]
	v_fma_f64 v[107:108], -v[1:2], v[3:4], 1.0
	v_fma_f64 v[3:4], v[3:4], v[107:108], v[3:4]
	v_mul_f64 v[107:108], v[113:114], v[3:4]
	v_fma_f64 v[1:2], -v[1:2], v[107:108], v[113:114]
	v_div_fmas_f64 v[1:2], v[1:2], v[3:4], v[107:108]
	v_div_fixup_f64 v[1:2], v[1:2], v[105:106], v[109:110]
	v_fma_f64 v[3:4], v[109:110], v[1:2], v[105:106]
	v_div_scale_f64 v[105:106], null, v[3:4], v[3:4], 1.0
	v_rcp_f64_e32 v[107:108], v[105:106]
	v_fma_f64 v[109:110], -v[105:106], v[107:108], 1.0
	v_fma_f64 v[107:108], v[107:108], v[109:110], v[107:108]
	v_fma_f64 v[109:110], -v[105:106], v[107:108], 1.0
	v_fma_f64 v[107:108], v[107:108], v[109:110], v[107:108]
	v_div_scale_f64 v[109:110], vcc_lo, 1.0, v[3:4], 1.0
	v_mul_f64 v[113:114], v[109:110], v[107:108]
	v_fma_f64 v[105:106], -v[105:106], v[113:114], v[109:110]
	v_div_fmas_f64 v[105:106], v[105:106], v[107:108], v[113:114]
	v_div_fixup_f64 v[107:108], v[105:106], v[3:4], 1.0
	v_mul_f64 v[3:4], v[1:2], -v[107:108]
	v_xor_b32_e32 v2, 0x80000000, v108
	v_mov_b32_e32 v1, v107
.LBB113_6:
	s_or_b32 exec_lo, exec_lo, s9
	buffer_store_dword v4, v112, s[0:3], 0 offen offset:12
	v_xor_b32_e32 v4, 0x80000000, v4
	buffer_store_dword v108, v112, s[0:3], 0 offen offset:4
	buffer_store_dword v107, v112, s[0:3], 0 offen
	buffer_store_dword v3, v112, s[0:3], 0 offen offset:8
	s_branch .LBB113_8
.LBB113_7:
	v_mov_b32_e32 v1, 0
	v_mov_b32_e32 v3, 0
	;; [unrolled: 1-line block ×4, first 2 shown]
.LBB113_8:
	v_add_nc_u32_e32 v106, 0x320, v111
	v_mov_b32_e32 v105, v111
	s_mov_b32 s57, 16
	s_mov_b32 s56, 32
	;; [unrolled: 1-line block ×48, first 2 shown]
	s_cmpk_eq_i32 s8, 0x79
	ds_write_b128 v111, v[1:4]
	s_cbranch_scc1 .LBB113_396
; %bb.9:
	v_mov_b32_e32 v4, s9
	v_cmp_eq_u32_e64 s4, 49, v0
	s_clause 0x3
	buffer_load_dword v1, v4, s[0:3], 0 offen
	buffer_load_dword v2, v4, s[0:3], 0 offen offset:4
	buffer_load_dword v3, v4, s[0:3], 0 offen offset:8
	;; [unrolled: 1-line block ×3, first 2 shown]
	s_waitcnt vmcnt(0)
	ds_write_b128 v106, v[1:4]
	s_waitcnt lgkmcnt(0)
	s_waitcnt_vscnt null, 0x0
	s_barrier
	buffer_gl0_inv
	s_and_saveexec_b32 s5, s4
	s_cbranch_execz .LBB113_13
; %bb.10:
	ds_read_b128 v[1:4], v106
	s_andn2_b32 vcc_lo, exec_lo, s58
	s_cbranch_vccnz .LBB113_12
; %bb.11:
	s_clause 0x3
	buffer_load_dword v107, v105, s[0:3], 0 offen offset:8
	buffer_load_dword v108, v105, s[0:3], 0 offen offset:12
	buffer_load_dword v109, v105, s[0:3], 0 offen
	buffer_load_dword v110, v105, s[0:3], 0 offen offset:4
	s_waitcnt vmcnt(2) lgkmcnt(0)
	v_mul_f64 v[112:113], v[3:4], v[107:108]
	v_mul_f64 v[107:108], v[1:2], v[107:108]
	s_waitcnt vmcnt(0)
	v_fma_f64 v[1:2], v[1:2], v[109:110], -v[112:113]
	v_fma_f64 v[3:4], v[3:4], v[109:110], v[107:108]
.LBB113_12:
	v_mov_b32_e32 v107, 0
	ds_read_b128 v[107:110], v107 offset:768
	s_waitcnt lgkmcnt(0)
	v_mul_f64 v[112:113], v[3:4], v[109:110]
	v_mul_f64 v[109:110], v[1:2], v[109:110]
	v_fma_f64 v[1:2], v[1:2], v[107:108], -v[112:113]
	v_fma_f64 v[3:4], v[3:4], v[107:108], v[109:110]
	buffer_store_dword v2, off, s[0:3], 0 offset:772
	buffer_store_dword v1, off, s[0:3], 0 offset:768
	;; [unrolled: 1-line block ×4, first 2 shown]
.LBB113_13:
	s_or_b32 exec_lo, exec_lo, s5
	v_mov_b32_e32 v4, s10
	v_cmp_lt_u32_e64 s5, 47, v0
	s_clause 0x3
	buffer_load_dword v1, v4, s[0:3], 0 offen
	buffer_load_dword v2, v4, s[0:3], 0 offen offset:4
	buffer_load_dword v3, v4, s[0:3], 0 offen offset:8
	;; [unrolled: 1-line block ×3, first 2 shown]
	s_waitcnt vmcnt(0)
	ds_write_b128 v106, v[1:4]
	s_waitcnt lgkmcnt(0)
	s_waitcnt_vscnt null, 0x0
	s_barrier
	buffer_gl0_inv
	s_and_saveexec_b32 s6, s5
	s_cbranch_execz .LBB113_19
; %bb.14:
	ds_read_b128 v[1:4], v106
	s_andn2_b32 vcc_lo, exec_lo, s58
	s_cbranch_vccnz .LBB113_16
; %bb.15:
	s_clause 0x3
	buffer_load_dword v107, v105, s[0:3], 0 offen offset:8
	buffer_load_dword v108, v105, s[0:3], 0 offen offset:12
	buffer_load_dword v109, v105, s[0:3], 0 offen
	buffer_load_dword v110, v105, s[0:3], 0 offen offset:4
	s_waitcnt vmcnt(2) lgkmcnt(0)
	v_mul_f64 v[112:113], v[3:4], v[107:108]
	v_mul_f64 v[107:108], v[1:2], v[107:108]
	s_waitcnt vmcnt(0)
	v_fma_f64 v[1:2], v[1:2], v[109:110], -v[112:113]
	v_fma_f64 v[3:4], v[3:4], v[109:110], v[107:108]
.LBB113_16:
	s_and_saveexec_b32 s8, s4
	s_cbranch_execz .LBB113_18
; %bb.17:
	s_clause 0x3
	buffer_load_dword v112, off, s[0:3], 0 offset:776
	buffer_load_dword v113, off, s[0:3], 0 offset:780
	;; [unrolled: 1-line block ×4, first 2 shown]
	v_mov_b32_e32 v107, 0
	ds_read_b128 v[107:110], v107 offset:1568
	s_waitcnt vmcnt(2) lgkmcnt(0)
	v_mul_f64 v[116:117], v[107:108], v[112:113]
	v_mul_f64 v[112:113], v[109:110], v[112:113]
	s_waitcnt vmcnt(0)
	v_fma_f64 v[109:110], v[109:110], v[114:115], v[116:117]
	v_fma_f64 v[107:108], v[107:108], v[114:115], -v[112:113]
	v_add_f64 v[3:4], v[3:4], v[109:110]
	v_add_f64 v[1:2], v[1:2], v[107:108]
.LBB113_18:
	s_or_b32 exec_lo, exec_lo, s8
	v_mov_b32_e32 v107, 0
	ds_read_b128 v[107:110], v107 offset:752
	s_waitcnt lgkmcnt(0)
	v_mul_f64 v[112:113], v[3:4], v[109:110]
	v_mul_f64 v[109:110], v[1:2], v[109:110]
	v_fma_f64 v[1:2], v[1:2], v[107:108], -v[112:113]
	v_fma_f64 v[3:4], v[3:4], v[107:108], v[109:110]
	buffer_store_dword v2, off, s[0:3], 0 offset:756
	buffer_store_dword v1, off, s[0:3], 0 offset:752
	;; [unrolled: 1-line block ×4, first 2 shown]
.LBB113_19:
	s_or_b32 exec_lo, exec_lo, s6
	v_mov_b32_e32 v4, s11
	v_cmp_lt_u32_e64 s4, 46, v0
	s_clause 0x3
	buffer_load_dword v1, v4, s[0:3], 0 offen
	buffer_load_dword v2, v4, s[0:3], 0 offen offset:4
	buffer_load_dword v3, v4, s[0:3], 0 offen offset:8
	;; [unrolled: 1-line block ×3, first 2 shown]
	s_waitcnt vmcnt(0)
	ds_write_b128 v106, v[1:4]
	s_waitcnt lgkmcnt(0)
	s_waitcnt_vscnt null, 0x0
	s_barrier
	buffer_gl0_inv
	s_and_saveexec_b32 s6, s4
	s_cbranch_execz .LBB113_27
; %bb.20:
	ds_read_b128 v[1:4], v106
	s_andn2_b32 vcc_lo, exec_lo, s58
	s_cbranch_vccnz .LBB113_22
; %bb.21:
	s_clause 0x3
	buffer_load_dword v107, v105, s[0:3], 0 offen offset:8
	buffer_load_dword v108, v105, s[0:3], 0 offen offset:12
	buffer_load_dword v109, v105, s[0:3], 0 offen
	buffer_load_dword v110, v105, s[0:3], 0 offen offset:4
	s_waitcnt vmcnt(2) lgkmcnt(0)
	v_mul_f64 v[112:113], v[3:4], v[107:108]
	v_mul_f64 v[107:108], v[1:2], v[107:108]
	s_waitcnt vmcnt(0)
	v_fma_f64 v[1:2], v[1:2], v[109:110], -v[112:113]
	v_fma_f64 v[3:4], v[3:4], v[109:110], v[107:108]
.LBB113_22:
	s_and_saveexec_b32 s8, s5
	s_cbranch_execz .LBB113_26
; %bb.23:
	v_subrev_nc_u32_e32 v107, 47, v0
	s_movk_i32 s59, 0x610
	s_mov_b32 s5, 0
	s_mov_b32 s60, s10
	.p2align	6
.LBB113_24:                             ; =>This Inner Loop Header: Depth=1
	v_mov_b32_e32 v110, s60
	v_add_nc_u32_e32 v107, -1, v107
	s_add_i32 s60, s60, 16
	s_clause 0x3
	buffer_load_dword v108, v110, s[0:3], 0 offen offset:8
	buffer_load_dword v109, v110, s[0:3], 0 offen offset:12
	buffer_load_dword v116, v110, s[0:3], 0 offen
	buffer_load_dword v117, v110, s[0:3], 0 offen offset:4
	v_mov_b32_e32 v110, s59
	v_cmp_eq_u32_e32 vcc_lo, 0, v107
	s_add_i32 s59, s59, 16
	ds_read_b128 v[112:115], v110
	s_or_b32 s5, vcc_lo, s5
	s_waitcnt vmcnt(2) lgkmcnt(0)
	v_mul_f64 v[118:119], v[114:115], v[108:109]
	v_mul_f64 v[108:109], v[112:113], v[108:109]
	s_waitcnt vmcnt(0)
	v_fma_f64 v[112:113], v[112:113], v[116:117], -v[118:119]
	v_fma_f64 v[108:109], v[114:115], v[116:117], v[108:109]
	v_add_f64 v[1:2], v[1:2], v[112:113]
	v_add_f64 v[3:4], v[3:4], v[108:109]
	s_andn2_b32 exec_lo, exec_lo, s5
	s_cbranch_execnz .LBB113_24
; %bb.25:
	s_or_b32 exec_lo, exec_lo, s5
.LBB113_26:
	s_or_b32 exec_lo, exec_lo, s8
	v_mov_b32_e32 v107, 0
	ds_read_b128 v[107:110], v107 offset:736
	s_waitcnt lgkmcnt(0)
	v_mul_f64 v[112:113], v[3:4], v[109:110]
	v_mul_f64 v[109:110], v[1:2], v[109:110]
	v_fma_f64 v[1:2], v[1:2], v[107:108], -v[112:113]
	v_fma_f64 v[3:4], v[3:4], v[107:108], v[109:110]
	buffer_store_dword v2, off, s[0:3], 0 offset:740
	buffer_store_dword v1, off, s[0:3], 0 offset:736
	;; [unrolled: 1-line block ×4, first 2 shown]
.LBB113_27:
	s_or_b32 exec_lo, exec_lo, s6
	v_mov_b32_e32 v4, s12
	v_cmp_lt_u32_e64 s5, 45, v0
	s_clause 0x3
	buffer_load_dword v1, v4, s[0:3], 0 offen
	buffer_load_dword v2, v4, s[0:3], 0 offen offset:4
	buffer_load_dword v3, v4, s[0:3], 0 offen offset:8
	;; [unrolled: 1-line block ×3, first 2 shown]
	s_waitcnt vmcnt(0)
	ds_write_b128 v106, v[1:4]
	s_waitcnt lgkmcnt(0)
	s_waitcnt_vscnt null, 0x0
	s_barrier
	buffer_gl0_inv
	s_and_saveexec_b32 s6, s5
	s_cbranch_execz .LBB113_35
; %bb.28:
	ds_read_b128 v[1:4], v106
	s_andn2_b32 vcc_lo, exec_lo, s58
	s_cbranch_vccnz .LBB113_30
; %bb.29:
	s_clause 0x3
	buffer_load_dword v107, v105, s[0:3], 0 offen offset:8
	buffer_load_dword v108, v105, s[0:3], 0 offen offset:12
	buffer_load_dword v109, v105, s[0:3], 0 offen
	buffer_load_dword v110, v105, s[0:3], 0 offen offset:4
	s_waitcnt vmcnt(2) lgkmcnt(0)
	v_mul_f64 v[112:113], v[3:4], v[107:108]
	v_mul_f64 v[107:108], v[1:2], v[107:108]
	s_waitcnt vmcnt(0)
	v_fma_f64 v[1:2], v[1:2], v[109:110], -v[112:113]
	v_fma_f64 v[3:4], v[3:4], v[109:110], v[107:108]
.LBB113_30:
	s_and_saveexec_b32 s8, s4
	s_cbranch_execz .LBB113_34
; %bb.31:
	v_subrev_nc_u32_e32 v107, 46, v0
	s_movk_i32 s59, 0x600
	s_mov_b32 s4, 0
	s_mov_b32 s60, s11
	.p2align	6
.LBB113_32:                             ; =>This Inner Loop Header: Depth=1
	v_mov_b32_e32 v110, s60
	v_add_nc_u32_e32 v107, -1, v107
	s_add_i32 s60, s60, 16
	s_clause 0x3
	buffer_load_dword v108, v110, s[0:3], 0 offen offset:8
	buffer_load_dword v109, v110, s[0:3], 0 offen offset:12
	buffer_load_dword v116, v110, s[0:3], 0 offen
	buffer_load_dword v117, v110, s[0:3], 0 offen offset:4
	v_mov_b32_e32 v110, s59
	v_cmp_eq_u32_e32 vcc_lo, 0, v107
	s_add_i32 s59, s59, 16
	ds_read_b128 v[112:115], v110
	s_or_b32 s4, vcc_lo, s4
	s_waitcnt vmcnt(2) lgkmcnt(0)
	v_mul_f64 v[118:119], v[114:115], v[108:109]
	v_mul_f64 v[108:109], v[112:113], v[108:109]
	s_waitcnt vmcnt(0)
	v_fma_f64 v[112:113], v[112:113], v[116:117], -v[118:119]
	v_fma_f64 v[108:109], v[114:115], v[116:117], v[108:109]
	v_add_f64 v[1:2], v[1:2], v[112:113]
	v_add_f64 v[3:4], v[3:4], v[108:109]
	s_andn2_b32 exec_lo, exec_lo, s4
	s_cbranch_execnz .LBB113_32
; %bb.33:
	s_or_b32 exec_lo, exec_lo, s4
.LBB113_34:
	s_or_b32 exec_lo, exec_lo, s8
	v_mov_b32_e32 v107, 0
	ds_read_b128 v[107:110], v107 offset:720
	s_waitcnt lgkmcnt(0)
	v_mul_f64 v[112:113], v[3:4], v[109:110]
	v_mul_f64 v[109:110], v[1:2], v[109:110]
	v_fma_f64 v[1:2], v[1:2], v[107:108], -v[112:113]
	v_fma_f64 v[3:4], v[3:4], v[107:108], v[109:110]
	buffer_store_dword v2, off, s[0:3], 0 offset:724
	buffer_store_dword v1, off, s[0:3], 0 offset:720
	;; [unrolled: 1-line block ×4, first 2 shown]
.LBB113_35:
	s_or_b32 exec_lo, exec_lo, s6
	v_mov_b32_e32 v4, s13
	v_cmp_lt_u32_e64 s4, 44, v0
	s_clause 0x3
	buffer_load_dword v1, v4, s[0:3], 0 offen
	buffer_load_dword v2, v4, s[0:3], 0 offen offset:4
	buffer_load_dword v3, v4, s[0:3], 0 offen offset:8
	;; [unrolled: 1-line block ×3, first 2 shown]
	s_waitcnt vmcnt(0)
	ds_write_b128 v106, v[1:4]
	s_waitcnt lgkmcnt(0)
	s_waitcnt_vscnt null, 0x0
	s_barrier
	buffer_gl0_inv
	s_and_saveexec_b32 s6, s4
	s_cbranch_execz .LBB113_43
; %bb.36:
	ds_read_b128 v[1:4], v106
	s_andn2_b32 vcc_lo, exec_lo, s58
	s_cbranch_vccnz .LBB113_38
; %bb.37:
	s_clause 0x3
	buffer_load_dword v107, v105, s[0:3], 0 offen offset:8
	buffer_load_dword v108, v105, s[0:3], 0 offen offset:12
	buffer_load_dword v109, v105, s[0:3], 0 offen
	buffer_load_dword v110, v105, s[0:3], 0 offen offset:4
	s_waitcnt vmcnt(2) lgkmcnt(0)
	v_mul_f64 v[112:113], v[3:4], v[107:108]
	v_mul_f64 v[107:108], v[1:2], v[107:108]
	s_waitcnt vmcnt(0)
	v_fma_f64 v[1:2], v[1:2], v[109:110], -v[112:113]
	v_fma_f64 v[3:4], v[3:4], v[109:110], v[107:108]
.LBB113_38:
	s_and_saveexec_b32 s8, s5
	s_cbranch_execz .LBB113_42
; %bb.39:
	v_subrev_nc_u32_e32 v107, 45, v0
	s_movk_i32 s59, 0x5f0
	s_mov_b32 s5, 0
	s_mov_b32 s60, s12
	.p2align	6
.LBB113_40:                             ; =>This Inner Loop Header: Depth=1
	v_mov_b32_e32 v110, s60
	v_add_nc_u32_e32 v107, -1, v107
	s_add_i32 s60, s60, 16
	s_clause 0x3
	buffer_load_dword v108, v110, s[0:3], 0 offen offset:8
	buffer_load_dword v109, v110, s[0:3], 0 offen offset:12
	buffer_load_dword v116, v110, s[0:3], 0 offen
	buffer_load_dword v117, v110, s[0:3], 0 offen offset:4
	v_mov_b32_e32 v110, s59
	v_cmp_eq_u32_e32 vcc_lo, 0, v107
	s_add_i32 s59, s59, 16
	ds_read_b128 v[112:115], v110
	s_or_b32 s5, vcc_lo, s5
	s_waitcnt vmcnt(2) lgkmcnt(0)
	v_mul_f64 v[118:119], v[114:115], v[108:109]
	v_mul_f64 v[108:109], v[112:113], v[108:109]
	s_waitcnt vmcnt(0)
	v_fma_f64 v[112:113], v[112:113], v[116:117], -v[118:119]
	v_fma_f64 v[108:109], v[114:115], v[116:117], v[108:109]
	v_add_f64 v[1:2], v[1:2], v[112:113]
	v_add_f64 v[3:4], v[3:4], v[108:109]
	s_andn2_b32 exec_lo, exec_lo, s5
	s_cbranch_execnz .LBB113_40
; %bb.41:
	s_or_b32 exec_lo, exec_lo, s5
.LBB113_42:
	s_or_b32 exec_lo, exec_lo, s8
	v_mov_b32_e32 v107, 0
	ds_read_b128 v[107:110], v107 offset:704
	s_waitcnt lgkmcnt(0)
	v_mul_f64 v[112:113], v[3:4], v[109:110]
	v_mul_f64 v[109:110], v[1:2], v[109:110]
	v_fma_f64 v[1:2], v[1:2], v[107:108], -v[112:113]
	v_fma_f64 v[3:4], v[3:4], v[107:108], v[109:110]
	buffer_store_dword v2, off, s[0:3], 0 offset:708
	buffer_store_dword v1, off, s[0:3], 0 offset:704
	buffer_store_dword v4, off, s[0:3], 0 offset:716
	buffer_store_dword v3, off, s[0:3], 0 offset:712
.LBB113_43:
	s_or_b32 exec_lo, exec_lo, s6
	v_mov_b32_e32 v4, s14
	v_cmp_lt_u32_e64 s5, 43, v0
	s_clause 0x3
	buffer_load_dword v1, v4, s[0:3], 0 offen
	buffer_load_dword v2, v4, s[0:3], 0 offen offset:4
	buffer_load_dword v3, v4, s[0:3], 0 offen offset:8
	;; [unrolled: 1-line block ×3, first 2 shown]
	s_waitcnt vmcnt(0)
	ds_write_b128 v106, v[1:4]
	s_waitcnt lgkmcnt(0)
	s_waitcnt_vscnt null, 0x0
	s_barrier
	buffer_gl0_inv
	s_and_saveexec_b32 s6, s5
	s_cbranch_execz .LBB113_51
; %bb.44:
	ds_read_b128 v[1:4], v106
	s_andn2_b32 vcc_lo, exec_lo, s58
	s_cbranch_vccnz .LBB113_46
; %bb.45:
	s_clause 0x3
	buffer_load_dword v107, v105, s[0:3], 0 offen offset:8
	buffer_load_dword v108, v105, s[0:3], 0 offen offset:12
	buffer_load_dword v109, v105, s[0:3], 0 offen
	buffer_load_dword v110, v105, s[0:3], 0 offen offset:4
	s_waitcnt vmcnt(2) lgkmcnt(0)
	v_mul_f64 v[112:113], v[3:4], v[107:108]
	v_mul_f64 v[107:108], v[1:2], v[107:108]
	s_waitcnt vmcnt(0)
	v_fma_f64 v[1:2], v[1:2], v[109:110], -v[112:113]
	v_fma_f64 v[3:4], v[3:4], v[109:110], v[107:108]
.LBB113_46:
	s_and_saveexec_b32 s8, s4
	s_cbranch_execz .LBB113_50
; %bb.47:
	v_subrev_nc_u32_e32 v107, 44, v0
	s_movk_i32 s59, 0x5e0
	s_mov_b32 s4, 0
	s_mov_b32 s60, s13
	.p2align	6
.LBB113_48:                             ; =>This Inner Loop Header: Depth=1
	v_mov_b32_e32 v110, s60
	v_add_nc_u32_e32 v107, -1, v107
	s_add_i32 s60, s60, 16
	s_clause 0x3
	buffer_load_dword v108, v110, s[0:3], 0 offen offset:8
	buffer_load_dword v109, v110, s[0:3], 0 offen offset:12
	buffer_load_dword v116, v110, s[0:3], 0 offen
	buffer_load_dword v117, v110, s[0:3], 0 offen offset:4
	v_mov_b32_e32 v110, s59
	v_cmp_eq_u32_e32 vcc_lo, 0, v107
	s_add_i32 s59, s59, 16
	ds_read_b128 v[112:115], v110
	s_or_b32 s4, vcc_lo, s4
	s_waitcnt vmcnt(2) lgkmcnt(0)
	v_mul_f64 v[118:119], v[114:115], v[108:109]
	v_mul_f64 v[108:109], v[112:113], v[108:109]
	s_waitcnt vmcnt(0)
	v_fma_f64 v[112:113], v[112:113], v[116:117], -v[118:119]
	v_fma_f64 v[108:109], v[114:115], v[116:117], v[108:109]
	v_add_f64 v[1:2], v[1:2], v[112:113]
	v_add_f64 v[3:4], v[3:4], v[108:109]
	s_andn2_b32 exec_lo, exec_lo, s4
	s_cbranch_execnz .LBB113_48
; %bb.49:
	s_or_b32 exec_lo, exec_lo, s4
.LBB113_50:
	s_or_b32 exec_lo, exec_lo, s8
	v_mov_b32_e32 v107, 0
	ds_read_b128 v[107:110], v107 offset:688
	s_waitcnt lgkmcnt(0)
	v_mul_f64 v[112:113], v[3:4], v[109:110]
	v_mul_f64 v[109:110], v[1:2], v[109:110]
	v_fma_f64 v[1:2], v[1:2], v[107:108], -v[112:113]
	v_fma_f64 v[3:4], v[3:4], v[107:108], v[109:110]
	buffer_store_dword v2, off, s[0:3], 0 offset:692
	buffer_store_dword v1, off, s[0:3], 0 offset:688
	;; [unrolled: 1-line block ×4, first 2 shown]
.LBB113_51:
	s_or_b32 exec_lo, exec_lo, s6
	v_mov_b32_e32 v4, s15
	v_cmp_lt_u32_e64 s4, 42, v0
	s_clause 0x3
	buffer_load_dword v1, v4, s[0:3], 0 offen
	buffer_load_dword v2, v4, s[0:3], 0 offen offset:4
	buffer_load_dword v3, v4, s[0:3], 0 offen offset:8
	;; [unrolled: 1-line block ×3, first 2 shown]
	s_waitcnt vmcnt(0)
	ds_write_b128 v106, v[1:4]
	s_waitcnt lgkmcnt(0)
	s_waitcnt_vscnt null, 0x0
	s_barrier
	buffer_gl0_inv
	s_and_saveexec_b32 s6, s4
	s_cbranch_execz .LBB113_59
; %bb.52:
	ds_read_b128 v[1:4], v106
	s_andn2_b32 vcc_lo, exec_lo, s58
	s_cbranch_vccnz .LBB113_54
; %bb.53:
	s_clause 0x3
	buffer_load_dword v107, v105, s[0:3], 0 offen offset:8
	buffer_load_dword v108, v105, s[0:3], 0 offen offset:12
	buffer_load_dword v109, v105, s[0:3], 0 offen
	buffer_load_dword v110, v105, s[0:3], 0 offen offset:4
	s_waitcnt vmcnt(2) lgkmcnt(0)
	v_mul_f64 v[112:113], v[3:4], v[107:108]
	v_mul_f64 v[107:108], v[1:2], v[107:108]
	s_waitcnt vmcnt(0)
	v_fma_f64 v[1:2], v[1:2], v[109:110], -v[112:113]
	v_fma_f64 v[3:4], v[3:4], v[109:110], v[107:108]
.LBB113_54:
	s_and_saveexec_b32 s8, s5
	s_cbranch_execz .LBB113_58
; %bb.55:
	v_subrev_nc_u32_e32 v107, 43, v0
	s_movk_i32 s59, 0x5d0
	s_mov_b32 s5, 0
	s_mov_b32 s60, s14
	.p2align	6
.LBB113_56:                             ; =>This Inner Loop Header: Depth=1
	v_mov_b32_e32 v110, s60
	v_add_nc_u32_e32 v107, -1, v107
	s_add_i32 s60, s60, 16
	s_clause 0x3
	buffer_load_dword v108, v110, s[0:3], 0 offen offset:8
	buffer_load_dword v109, v110, s[0:3], 0 offen offset:12
	buffer_load_dword v116, v110, s[0:3], 0 offen
	buffer_load_dword v117, v110, s[0:3], 0 offen offset:4
	v_mov_b32_e32 v110, s59
	v_cmp_eq_u32_e32 vcc_lo, 0, v107
	s_add_i32 s59, s59, 16
	ds_read_b128 v[112:115], v110
	s_or_b32 s5, vcc_lo, s5
	s_waitcnt vmcnt(2) lgkmcnt(0)
	v_mul_f64 v[118:119], v[114:115], v[108:109]
	v_mul_f64 v[108:109], v[112:113], v[108:109]
	s_waitcnt vmcnt(0)
	v_fma_f64 v[112:113], v[112:113], v[116:117], -v[118:119]
	v_fma_f64 v[108:109], v[114:115], v[116:117], v[108:109]
	v_add_f64 v[1:2], v[1:2], v[112:113]
	v_add_f64 v[3:4], v[3:4], v[108:109]
	s_andn2_b32 exec_lo, exec_lo, s5
	s_cbranch_execnz .LBB113_56
; %bb.57:
	s_or_b32 exec_lo, exec_lo, s5
.LBB113_58:
	s_or_b32 exec_lo, exec_lo, s8
	v_mov_b32_e32 v107, 0
	ds_read_b128 v[107:110], v107 offset:672
	s_waitcnt lgkmcnt(0)
	v_mul_f64 v[112:113], v[3:4], v[109:110]
	v_mul_f64 v[109:110], v[1:2], v[109:110]
	v_fma_f64 v[1:2], v[1:2], v[107:108], -v[112:113]
	v_fma_f64 v[3:4], v[3:4], v[107:108], v[109:110]
	buffer_store_dword v2, off, s[0:3], 0 offset:676
	buffer_store_dword v1, off, s[0:3], 0 offset:672
	;; [unrolled: 1-line block ×4, first 2 shown]
.LBB113_59:
	s_or_b32 exec_lo, exec_lo, s6
	v_mov_b32_e32 v4, s16
	v_cmp_lt_u32_e64 s5, 41, v0
	s_clause 0x3
	buffer_load_dword v1, v4, s[0:3], 0 offen
	buffer_load_dword v2, v4, s[0:3], 0 offen offset:4
	buffer_load_dword v3, v4, s[0:3], 0 offen offset:8
	;; [unrolled: 1-line block ×3, first 2 shown]
	s_waitcnt vmcnt(0)
	ds_write_b128 v106, v[1:4]
	s_waitcnt lgkmcnt(0)
	s_waitcnt_vscnt null, 0x0
	s_barrier
	buffer_gl0_inv
	s_and_saveexec_b32 s6, s5
	s_cbranch_execz .LBB113_67
; %bb.60:
	ds_read_b128 v[1:4], v106
	s_andn2_b32 vcc_lo, exec_lo, s58
	s_cbranch_vccnz .LBB113_62
; %bb.61:
	s_clause 0x3
	buffer_load_dword v107, v105, s[0:3], 0 offen offset:8
	buffer_load_dword v108, v105, s[0:3], 0 offen offset:12
	buffer_load_dword v109, v105, s[0:3], 0 offen
	buffer_load_dword v110, v105, s[0:3], 0 offen offset:4
	s_waitcnt vmcnt(2) lgkmcnt(0)
	v_mul_f64 v[112:113], v[3:4], v[107:108]
	v_mul_f64 v[107:108], v[1:2], v[107:108]
	s_waitcnt vmcnt(0)
	v_fma_f64 v[1:2], v[1:2], v[109:110], -v[112:113]
	v_fma_f64 v[3:4], v[3:4], v[109:110], v[107:108]
.LBB113_62:
	s_and_saveexec_b32 s8, s4
	s_cbranch_execz .LBB113_66
; %bb.63:
	v_subrev_nc_u32_e32 v107, 42, v0
	s_movk_i32 s59, 0x5c0
	s_mov_b32 s4, 0
	s_mov_b32 s60, s15
	.p2align	6
.LBB113_64:                             ; =>This Inner Loop Header: Depth=1
	v_mov_b32_e32 v110, s60
	v_add_nc_u32_e32 v107, -1, v107
	s_add_i32 s60, s60, 16
	s_clause 0x3
	buffer_load_dword v108, v110, s[0:3], 0 offen offset:8
	buffer_load_dword v109, v110, s[0:3], 0 offen offset:12
	buffer_load_dword v116, v110, s[0:3], 0 offen
	buffer_load_dword v117, v110, s[0:3], 0 offen offset:4
	v_mov_b32_e32 v110, s59
	v_cmp_eq_u32_e32 vcc_lo, 0, v107
	s_add_i32 s59, s59, 16
	ds_read_b128 v[112:115], v110
	s_or_b32 s4, vcc_lo, s4
	s_waitcnt vmcnt(2) lgkmcnt(0)
	v_mul_f64 v[118:119], v[114:115], v[108:109]
	v_mul_f64 v[108:109], v[112:113], v[108:109]
	s_waitcnt vmcnt(0)
	v_fma_f64 v[112:113], v[112:113], v[116:117], -v[118:119]
	v_fma_f64 v[108:109], v[114:115], v[116:117], v[108:109]
	v_add_f64 v[1:2], v[1:2], v[112:113]
	v_add_f64 v[3:4], v[3:4], v[108:109]
	s_andn2_b32 exec_lo, exec_lo, s4
	s_cbranch_execnz .LBB113_64
; %bb.65:
	s_or_b32 exec_lo, exec_lo, s4
.LBB113_66:
	s_or_b32 exec_lo, exec_lo, s8
	v_mov_b32_e32 v107, 0
	ds_read_b128 v[107:110], v107 offset:656
	s_waitcnt lgkmcnt(0)
	v_mul_f64 v[112:113], v[3:4], v[109:110]
	v_mul_f64 v[109:110], v[1:2], v[109:110]
	v_fma_f64 v[1:2], v[1:2], v[107:108], -v[112:113]
	v_fma_f64 v[3:4], v[3:4], v[107:108], v[109:110]
	buffer_store_dword v2, off, s[0:3], 0 offset:660
	buffer_store_dword v1, off, s[0:3], 0 offset:656
	;; [unrolled: 1-line block ×4, first 2 shown]
.LBB113_67:
	s_or_b32 exec_lo, exec_lo, s6
	v_mov_b32_e32 v4, s17
	v_cmp_lt_u32_e64 s4, 40, v0
	s_clause 0x3
	buffer_load_dword v1, v4, s[0:3], 0 offen
	buffer_load_dword v2, v4, s[0:3], 0 offen offset:4
	buffer_load_dword v3, v4, s[0:3], 0 offen offset:8
	;; [unrolled: 1-line block ×3, first 2 shown]
	s_waitcnt vmcnt(0)
	ds_write_b128 v106, v[1:4]
	s_waitcnt lgkmcnt(0)
	s_waitcnt_vscnt null, 0x0
	s_barrier
	buffer_gl0_inv
	s_and_saveexec_b32 s6, s4
	s_cbranch_execz .LBB113_75
; %bb.68:
	ds_read_b128 v[1:4], v106
	s_andn2_b32 vcc_lo, exec_lo, s58
	s_cbranch_vccnz .LBB113_70
; %bb.69:
	s_clause 0x3
	buffer_load_dword v107, v105, s[0:3], 0 offen offset:8
	buffer_load_dword v108, v105, s[0:3], 0 offen offset:12
	buffer_load_dword v109, v105, s[0:3], 0 offen
	buffer_load_dword v110, v105, s[0:3], 0 offen offset:4
	s_waitcnt vmcnt(2) lgkmcnt(0)
	v_mul_f64 v[112:113], v[3:4], v[107:108]
	v_mul_f64 v[107:108], v[1:2], v[107:108]
	s_waitcnt vmcnt(0)
	v_fma_f64 v[1:2], v[1:2], v[109:110], -v[112:113]
	v_fma_f64 v[3:4], v[3:4], v[109:110], v[107:108]
.LBB113_70:
	s_and_saveexec_b32 s8, s5
	s_cbranch_execz .LBB113_74
; %bb.71:
	v_subrev_nc_u32_e32 v107, 41, v0
	s_movk_i32 s59, 0x5b0
	s_mov_b32 s5, 0
	s_mov_b32 s60, s16
	.p2align	6
.LBB113_72:                             ; =>This Inner Loop Header: Depth=1
	v_mov_b32_e32 v110, s60
	v_add_nc_u32_e32 v107, -1, v107
	s_add_i32 s60, s60, 16
	s_clause 0x3
	buffer_load_dword v108, v110, s[0:3], 0 offen offset:8
	buffer_load_dword v109, v110, s[0:3], 0 offen offset:12
	buffer_load_dword v116, v110, s[0:3], 0 offen
	buffer_load_dword v117, v110, s[0:3], 0 offen offset:4
	v_mov_b32_e32 v110, s59
	v_cmp_eq_u32_e32 vcc_lo, 0, v107
	s_add_i32 s59, s59, 16
	ds_read_b128 v[112:115], v110
	s_or_b32 s5, vcc_lo, s5
	s_waitcnt vmcnt(2) lgkmcnt(0)
	v_mul_f64 v[118:119], v[114:115], v[108:109]
	v_mul_f64 v[108:109], v[112:113], v[108:109]
	s_waitcnt vmcnt(0)
	v_fma_f64 v[112:113], v[112:113], v[116:117], -v[118:119]
	v_fma_f64 v[108:109], v[114:115], v[116:117], v[108:109]
	v_add_f64 v[1:2], v[1:2], v[112:113]
	v_add_f64 v[3:4], v[3:4], v[108:109]
	s_andn2_b32 exec_lo, exec_lo, s5
	s_cbranch_execnz .LBB113_72
; %bb.73:
	s_or_b32 exec_lo, exec_lo, s5
.LBB113_74:
	s_or_b32 exec_lo, exec_lo, s8
	v_mov_b32_e32 v107, 0
	ds_read_b128 v[107:110], v107 offset:640
	s_waitcnt lgkmcnt(0)
	v_mul_f64 v[112:113], v[3:4], v[109:110]
	v_mul_f64 v[109:110], v[1:2], v[109:110]
	v_fma_f64 v[1:2], v[1:2], v[107:108], -v[112:113]
	v_fma_f64 v[3:4], v[3:4], v[107:108], v[109:110]
	buffer_store_dword v2, off, s[0:3], 0 offset:644
	buffer_store_dword v1, off, s[0:3], 0 offset:640
	;; [unrolled: 1-line block ×4, first 2 shown]
.LBB113_75:
	s_or_b32 exec_lo, exec_lo, s6
	v_mov_b32_e32 v4, s18
	v_cmp_lt_u32_e64 s5, 39, v0
	s_clause 0x3
	buffer_load_dword v1, v4, s[0:3], 0 offen
	buffer_load_dword v2, v4, s[0:3], 0 offen offset:4
	buffer_load_dword v3, v4, s[0:3], 0 offen offset:8
	buffer_load_dword v4, v4, s[0:3], 0 offen offset:12
	s_waitcnt vmcnt(0)
	ds_write_b128 v106, v[1:4]
	s_waitcnt lgkmcnt(0)
	s_waitcnt_vscnt null, 0x0
	s_barrier
	buffer_gl0_inv
	s_and_saveexec_b32 s6, s5
	s_cbranch_execz .LBB113_83
; %bb.76:
	ds_read_b128 v[1:4], v106
	s_andn2_b32 vcc_lo, exec_lo, s58
	s_cbranch_vccnz .LBB113_78
; %bb.77:
	s_clause 0x3
	buffer_load_dword v107, v105, s[0:3], 0 offen offset:8
	buffer_load_dword v108, v105, s[0:3], 0 offen offset:12
	buffer_load_dword v109, v105, s[0:3], 0 offen
	buffer_load_dword v110, v105, s[0:3], 0 offen offset:4
	s_waitcnt vmcnt(2) lgkmcnt(0)
	v_mul_f64 v[112:113], v[3:4], v[107:108]
	v_mul_f64 v[107:108], v[1:2], v[107:108]
	s_waitcnt vmcnt(0)
	v_fma_f64 v[1:2], v[1:2], v[109:110], -v[112:113]
	v_fma_f64 v[3:4], v[3:4], v[109:110], v[107:108]
.LBB113_78:
	s_and_saveexec_b32 s8, s4
	s_cbranch_execz .LBB113_82
; %bb.79:
	v_subrev_nc_u32_e32 v107, 40, v0
	s_movk_i32 s59, 0x5a0
	s_mov_b32 s4, 0
	s_mov_b32 s60, s17
	.p2align	6
.LBB113_80:                             ; =>This Inner Loop Header: Depth=1
	v_mov_b32_e32 v110, s60
	v_add_nc_u32_e32 v107, -1, v107
	s_add_i32 s60, s60, 16
	s_clause 0x3
	buffer_load_dword v108, v110, s[0:3], 0 offen offset:8
	buffer_load_dword v109, v110, s[0:3], 0 offen offset:12
	buffer_load_dword v116, v110, s[0:3], 0 offen
	buffer_load_dword v117, v110, s[0:3], 0 offen offset:4
	v_mov_b32_e32 v110, s59
	v_cmp_eq_u32_e32 vcc_lo, 0, v107
	s_add_i32 s59, s59, 16
	ds_read_b128 v[112:115], v110
	s_or_b32 s4, vcc_lo, s4
	s_waitcnt vmcnt(2) lgkmcnt(0)
	v_mul_f64 v[118:119], v[114:115], v[108:109]
	v_mul_f64 v[108:109], v[112:113], v[108:109]
	s_waitcnt vmcnt(0)
	v_fma_f64 v[112:113], v[112:113], v[116:117], -v[118:119]
	v_fma_f64 v[108:109], v[114:115], v[116:117], v[108:109]
	v_add_f64 v[1:2], v[1:2], v[112:113]
	v_add_f64 v[3:4], v[3:4], v[108:109]
	s_andn2_b32 exec_lo, exec_lo, s4
	s_cbranch_execnz .LBB113_80
; %bb.81:
	s_or_b32 exec_lo, exec_lo, s4
.LBB113_82:
	s_or_b32 exec_lo, exec_lo, s8
	v_mov_b32_e32 v107, 0
	ds_read_b128 v[107:110], v107 offset:624
	s_waitcnt lgkmcnt(0)
	v_mul_f64 v[112:113], v[3:4], v[109:110]
	v_mul_f64 v[109:110], v[1:2], v[109:110]
	v_fma_f64 v[1:2], v[1:2], v[107:108], -v[112:113]
	v_fma_f64 v[3:4], v[3:4], v[107:108], v[109:110]
	buffer_store_dword v2, off, s[0:3], 0 offset:628
	buffer_store_dword v1, off, s[0:3], 0 offset:624
	;; [unrolled: 1-line block ×4, first 2 shown]
.LBB113_83:
	s_or_b32 exec_lo, exec_lo, s6
	v_mov_b32_e32 v4, s19
	v_cmp_lt_u32_e64 s4, 38, v0
	s_clause 0x3
	buffer_load_dword v1, v4, s[0:3], 0 offen
	buffer_load_dword v2, v4, s[0:3], 0 offen offset:4
	buffer_load_dword v3, v4, s[0:3], 0 offen offset:8
	;; [unrolled: 1-line block ×3, first 2 shown]
	s_waitcnt vmcnt(0)
	ds_write_b128 v106, v[1:4]
	s_waitcnt lgkmcnt(0)
	s_waitcnt_vscnt null, 0x0
	s_barrier
	buffer_gl0_inv
	s_and_saveexec_b32 s6, s4
	s_cbranch_execz .LBB113_91
; %bb.84:
	ds_read_b128 v[1:4], v106
	s_andn2_b32 vcc_lo, exec_lo, s58
	s_cbranch_vccnz .LBB113_86
; %bb.85:
	s_clause 0x3
	buffer_load_dword v107, v105, s[0:3], 0 offen offset:8
	buffer_load_dword v108, v105, s[0:3], 0 offen offset:12
	buffer_load_dword v109, v105, s[0:3], 0 offen
	buffer_load_dword v110, v105, s[0:3], 0 offen offset:4
	s_waitcnt vmcnt(2) lgkmcnt(0)
	v_mul_f64 v[112:113], v[3:4], v[107:108]
	v_mul_f64 v[107:108], v[1:2], v[107:108]
	s_waitcnt vmcnt(0)
	v_fma_f64 v[1:2], v[1:2], v[109:110], -v[112:113]
	v_fma_f64 v[3:4], v[3:4], v[109:110], v[107:108]
.LBB113_86:
	s_and_saveexec_b32 s8, s5
	s_cbranch_execz .LBB113_90
; %bb.87:
	v_subrev_nc_u32_e32 v107, 39, v0
	s_movk_i32 s59, 0x590
	s_mov_b32 s5, 0
	s_mov_b32 s60, s18
	.p2align	6
.LBB113_88:                             ; =>This Inner Loop Header: Depth=1
	v_mov_b32_e32 v110, s60
	v_add_nc_u32_e32 v107, -1, v107
	s_add_i32 s60, s60, 16
	s_clause 0x3
	buffer_load_dword v108, v110, s[0:3], 0 offen offset:8
	buffer_load_dword v109, v110, s[0:3], 0 offen offset:12
	buffer_load_dword v116, v110, s[0:3], 0 offen
	buffer_load_dword v117, v110, s[0:3], 0 offen offset:4
	v_mov_b32_e32 v110, s59
	v_cmp_eq_u32_e32 vcc_lo, 0, v107
	s_add_i32 s59, s59, 16
	ds_read_b128 v[112:115], v110
	s_or_b32 s5, vcc_lo, s5
	s_waitcnt vmcnt(2) lgkmcnt(0)
	v_mul_f64 v[118:119], v[114:115], v[108:109]
	v_mul_f64 v[108:109], v[112:113], v[108:109]
	s_waitcnt vmcnt(0)
	v_fma_f64 v[112:113], v[112:113], v[116:117], -v[118:119]
	v_fma_f64 v[108:109], v[114:115], v[116:117], v[108:109]
	v_add_f64 v[1:2], v[1:2], v[112:113]
	v_add_f64 v[3:4], v[3:4], v[108:109]
	s_andn2_b32 exec_lo, exec_lo, s5
	s_cbranch_execnz .LBB113_88
; %bb.89:
	s_or_b32 exec_lo, exec_lo, s5
.LBB113_90:
	s_or_b32 exec_lo, exec_lo, s8
	v_mov_b32_e32 v107, 0
	ds_read_b128 v[107:110], v107 offset:608
	s_waitcnt lgkmcnt(0)
	v_mul_f64 v[112:113], v[3:4], v[109:110]
	v_mul_f64 v[109:110], v[1:2], v[109:110]
	v_fma_f64 v[1:2], v[1:2], v[107:108], -v[112:113]
	v_fma_f64 v[3:4], v[3:4], v[107:108], v[109:110]
	buffer_store_dword v2, off, s[0:3], 0 offset:612
	buffer_store_dword v1, off, s[0:3], 0 offset:608
	buffer_store_dword v4, off, s[0:3], 0 offset:620
	buffer_store_dword v3, off, s[0:3], 0 offset:616
.LBB113_91:
	s_or_b32 exec_lo, exec_lo, s6
	v_mov_b32_e32 v4, s20
	v_cmp_lt_u32_e64 s5, 37, v0
	s_clause 0x3
	buffer_load_dword v1, v4, s[0:3], 0 offen
	buffer_load_dword v2, v4, s[0:3], 0 offen offset:4
	buffer_load_dword v3, v4, s[0:3], 0 offen offset:8
	;; [unrolled: 1-line block ×3, first 2 shown]
	s_waitcnt vmcnt(0)
	ds_write_b128 v106, v[1:4]
	s_waitcnt lgkmcnt(0)
	s_waitcnt_vscnt null, 0x0
	s_barrier
	buffer_gl0_inv
	s_and_saveexec_b32 s6, s5
	s_cbranch_execz .LBB113_99
; %bb.92:
	ds_read_b128 v[1:4], v106
	s_andn2_b32 vcc_lo, exec_lo, s58
	s_cbranch_vccnz .LBB113_94
; %bb.93:
	s_clause 0x3
	buffer_load_dword v107, v105, s[0:3], 0 offen offset:8
	buffer_load_dword v108, v105, s[0:3], 0 offen offset:12
	buffer_load_dword v109, v105, s[0:3], 0 offen
	buffer_load_dword v110, v105, s[0:3], 0 offen offset:4
	s_waitcnt vmcnt(2) lgkmcnt(0)
	v_mul_f64 v[112:113], v[3:4], v[107:108]
	v_mul_f64 v[107:108], v[1:2], v[107:108]
	s_waitcnt vmcnt(0)
	v_fma_f64 v[1:2], v[1:2], v[109:110], -v[112:113]
	v_fma_f64 v[3:4], v[3:4], v[109:110], v[107:108]
.LBB113_94:
	s_and_saveexec_b32 s8, s4
	s_cbranch_execz .LBB113_98
; %bb.95:
	v_subrev_nc_u32_e32 v107, 38, v0
	s_movk_i32 s59, 0x580
	s_mov_b32 s4, 0
	s_mov_b32 s60, s19
	.p2align	6
.LBB113_96:                             ; =>This Inner Loop Header: Depth=1
	v_mov_b32_e32 v110, s60
	v_add_nc_u32_e32 v107, -1, v107
	s_add_i32 s60, s60, 16
	s_clause 0x3
	buffer_load_dword v108, v110, s[0:3], 0 offen offset:8
	buffer_load_dword v109, v110, s[0:3], 0 offen offset:12
	buffer_load_dword v116, v110, s[0:3], 0 offen
	buffer_load_dword v117, v110, s[0:3], 0 offen offset:4
	v_mov_b32_e32 v110, s59
	v_cmp_eq_u32_e32 vcc_lo, 0, v107
	s_add_i32 s59, s59, 16
	ds_read_b128 v[112:115], v110
	s_or_b32 s4, vcc_lo, s4
	s_waitcnt vmcnt(2) lgkmcnt(0)
	v_mul_f64 v[118:119], v[114:115], v[108:109]
	v_mul_f64 v[108:109], v[112:113], v[108:109]
	s_waitcnt vmcnt(0)
	v_fma_f64 v[112:113], v[112:113], v[116:117], -v[118:119]
	v_fma_f64 v[108:109], v[114:115], v[116:117], v[108:109]
	v_add_f64 v[1:2], v[1:2], v[112:113]
	v_add_f64 v[3:4], v[3:4], v[108:109]
	s_andn2_b32 exec_lo, exec_lo, s4
	s_cbranch_execnz .LBB113_96
; %bb.97:
	s_or_b32 exec_lo, exec_lo, s4
.LBB113_98:
	s_or_b32 exec_lo, exec_lo, s8
	v_mov_b32_e32 v107, 0
	ds_read_b128 v[107:110], v107 offset:592
	s_waitcnt lgkmcnt(0)
	v_mul_f64 v[112:113], v[3:4], v[109:110]
	v_mul_f64 v[109:110], v[1:2], v[109:110]
	v_fma_f64 v[1:2], v[1:2], v[107:108], -v[112:113]
	v_fma_f64 v[3:4], v[3:4], v[107:108], v[109:110]
	buffer_store_dword v2, off, s[0:3], 0 offset:596
	buffer_store_dword v1, off, s[0:3], 0 offset:592
	buffer_store_dword v4, off, s[0:3], 0 offset:604
	buffer_store_dword v3, off, s[0:3], 0 offset:600
.LBB113_99:
	s_or_b32 exec_lo, exec_lo, s6
	v_mov_b32_e32 v4, s21
	v_cmp_lt_u32_e64 s4, 36, v0
	s_clause 0x3
	buffer_load_dword v1, v4, s[0:3], 0 offen
	buffer_load_dword v2, v4, s[0:3], 0 offen offset:4
	buffer_load_dword v3, v4, s[0:3], 0 offen offset:8
	buffer_load_dword v4, v4, s[0:3], 0 offen offset:12
	s_waitcnt vmcnt(0)
	ds_write_b128 v106, v[1:4]
	s_waitcnt lgkmcnt(0)
	s_waitcnt_vscnt null, 0x0
	s_barrier
	buffer_gl0_inv
	s_and_saveexec_b32 s6, s4
	s_cbranch_execz .LBB113_107
; %bb.100:
	ds_read_b128 v[1:4], v106
	s_andn2_b32 vcc_lo, exec_lo, s58
	s_cbranch_vccnz .LBB113_102
; %bb.101:
	s_clause 0x3
	buffer_load_dword v107, v105, s[0:3], 0 offen offset:8
	buffer_load_dword v108, v105, s[0:3], 0 offen offset:12
	buffer_load_dword v109, v105, s[0:3], 0 offen
	buffer_load_dword v110, v105, s[0:3], 0 offen offset:4
	s_waitcnt vmcnt(2) lgkmcnt(0)
	v_mul_f64 v[112:113], v[3:4], v[107:108]
	v_mul_f64 v[107:108], v[1:2], v[107:108]
	s_waitcnt vmcnt(0)
	v_fma_f64 v[1:2], v[1:2], v[109:110], -v[112:113]
	v_fma_f64 v[3:4], v[3:4], v[109:110], v[107:108]
.LBB113_102:
	s_and_saveexec_b32 s8, s5
	s_cbranch_execz .LBB113_106
; %bb.103:
	v_subrev_nc_u32_e32 v107, 37, v0
	s_movk_i32 s59, 0x570
	s_mov_b32 s5, 0
	s_mov_b32 s60, s20
	.p2align	6
.LBB113_104:                            ; =>This Inner Loop Header: Depth=1
	v_mov_b32_e32 v110, s60
	v_add_nc_u32_e32 v107, -1, v107
	s_add_i32 s60, s60, 16
	s_clause 0x3
	buffer_load_dword v108, v110, s[0:3], 0 offen offset:8
	buffer_load_dword v109, v110, s[0:3], 0 offen offset:12
	buffer_load_dword v116, v110, s[0:3], 0 offen
	buffer_load_dword v117, v110, s[0:3], 0 offen offset:4
	v_mov_b32_e32 v110, s59
	v_cmp_eq_u32_e32 vcc_lo, 0, v107
	s_add_i32 s59, s59, 16
	ds_read_b128 v[112:115], v110
	s_or_b32 s5, vcc_lo, s5
	s_waitcnt vmcnt(2) lgkmcnt(0)
	v_mul_f64 v[118:119], v[114:115], v[108:109]
	v_mul_f64 v[108:109], v[112:113], v[108:109]
	s_waitcnt vmcnt(0)
	v_fma_f64 v[112:113], v[112:113], v[116:117], -v[118:119]
	v_fma_f64 v[108:109], v[114:115], v[116:117], v[108:109]
	v_add_f64 v[1:2], v[1:2], v[112:113]
	v_add_f64 v[3:4], v[3:4], v[108:109]
	s_andn2_b32 exec_lo, exec_lo, s5
	s_cbranch_execnz .LBB113_104
; %bb.105:
	s_or_b32 exec_lo, exec_lo, s5
.LBB113_106:
	s_or_b32 exec_lo, exec_lo, s8
	v_mov_b32_e32 v107, 0
	ds_read_b128 v[107:110], v107 offset:576
	s_waitcnt lgkmcnt(0)
	v_mul_f64 v[112:113], v[3:4], v[109:110]
	v_mul_f64 v[109:110], v[1:2], v[109:110]
	v_fma_f64 v[1:2], v[1:2], v[107:108], -v[112:113]
	v_fma_f64 v[3:4], v[3:4], v[107:108], v[109:110]
	buffer_store_dword v2, off, s[0:3], 0 offset:580
	buffer_store_dword v1, off, s[0:3], 0 offset:576
	;; [unrolled: 1-line block ×4, first 2 shown]
.LBB113_107:
	s_or_b32 exec_lo, exec_lo, s6
	v_mov_b32_e32 v4, s22
	v_cmp_lt_u32_e64 s5, 35, v0
	s_clause 0x3
	buffer_load_dword v1, v4, s[0:3], 0 offen
	buffer_load_dword v2, v4, s[0:3], 0 offen offset:4
	buffer_load_dword v3, v4, s[0:3], 0 offen offset:8
	;; [unrolled: 1-line block ×3, first 2 shown]
	s_waitcnt vmcnt(0)
	ds_write_b128 v106, v[1:4]
	s_waitcnt lgkmcnt(0)
	s_waitcnt_vscnt null, 0x0
	s_barrier
	buffer_gl0_inv
	s_and_saveexec_b32 s6, s5
	s_cbranch_execz .LBB113_115
; %bb.108:
	ds_read_b128 v[1:4], v106
	s_andn2_b32 vcc_lo, exec_lo, s58
	s_cbranch_vccnz .LBB113_110
; %bb.109:
	s_clause 0x3
	buffer_load_dword v107, v105, s[0:3], 0 offen offset:8
	buffer_load_dword v108, v105, s[0:3], 0 offen offset:12
	buffer_load_dword v109, v105, s[0:3], 0 offen
	buffer_load_dword v110, v105, s[0:3], 0 offen offset:4
	s_waitcnt vmcnt(2) lgkmcnt(0)
	v_mul_f64 v[112:113], v[3:4], v[107:108]
	v_mul_f64 v[107:108], v[1:2], v[107:108]
	s_waitcnt vmcnt(0)
	v_fma_f64 v[1:2], v[1:2], v[109:110], -v[112:113]
	v_fma_f64 v[3:4], v[3:4], v[109:110], v[107:108]
.LBB113_110:
	s_and_saveexec_b32 s8, s4
	s_cbranch_execz .LBB113_114
; %bb.111:
	v_subrev_nc_u32_e32 v107, 36, v0
	s_movk_i32 s59, 0x560
	s_mov_b32 s4, 0
	s_mov_b32 s60, s21
	.p2align	6
.LBB113_112:                            ; =>This Inner Loop Header: Depth=1
	v_mov_b32_e32 v110, s60
	v_add_nc_u32_e32 v107, -1, v107
	s_add_i32 s60, s60, 16
	s_clause 0x3
	buffer_load_dword v108, v110, s[0:3], 0 offen offset:8
	buffer_load_dword v109, v110, s[0:3], 0 offen offset:12
	buffer_load_dword v116, v110, s[0:3], 0 offen
	buffer_load_dword v117, v110, s[0:3], 0 offen offset:4
	v_mov_b32_e32 v110, s59
	v_cmp_eq_u32_e32 vcc_lo, 0, v107
	s_add_i32 s59, s59, 16
	ds_read_b128 v[112:115], v110
	s_or_b32 s4, vcc_lo, s4
	s_waitcnt vmcnt(2) lgkmcnt(0)
	v_mul_f64 v[118:119], v[114:115], v[108:109]
	v_mul_f64 v[108:109], v[112:113], v[108:109]
	s_waitcnt vmcnt(0)
	v_fma_f64 v[112:113], v[112:113], v[116:117], -v[118:119]
	v_fma_f64 v[108:109], v[114:115], v[116:117], v[108:109]
	v_add_f64 v[1:2], v[1:2], v[112:113]
	v_add_f64 v[3:4], v[3:4], v[108:109]
	s_andn2_b32 exec_lo, exec_lo, s4
	s_cbranch_execnz .LBB113_112
; %bb.113:
	s_or_b32 exec_lo, exec_lo, s4
.LBB113_114:
	s_or_b32 exec_lo, exec_lo, s8
	v_mov_b32_e32 v107, 0
	ds_read_b128 v[107:110], v107 offset:560
	s_waitcnt lgkmcnt(0)
	v_mul_f64 v[112:113], v[3:4], v[109:110]
	v_mul_f64 v[109:110], v[1:2], v[109:110]
	v_fma_f64 v[1:2], v[1:2], v[107:108], -v[112:113]
	v_fma_f64 v[3:4], v[3:4], v[107:108], v[109:110]
	buffer_store_dword v2, off, s[0:3], 0 offset:564
	buffer_store_dword v1, off, s[0:3], 0 offset:560
	;; [unrolled: 1-line block ×4, first 2 shown]
.LBB113_115:
	s_or_b32 exec_lo, exec_lo, s6
	v_mov_b32_e32 v4, s23
	v_cmp_lt_u32_e64 s4, 34, v0
	s_clause 0x3
	buffer_load_dword v1, v4, s[0:3], 0 offen
	buffer_load_dword v2, v4, s[0:3], 0 offen offset:4
	buffer_load_dword v3, v4, s[0:3], 0 offen offset:8
	;; [unrolled: 1-line block ×3, first 2 shown]
	s_waitcnt vmcnt(0)
	ds_write_b128 v106, v[1:4]
	s_waitcnt lgkmcnt(0)
	s_waitcnt_vscnt null, 0x0
	s_barrier
	buffer_gl0_inv
	s_and_saveexec_b32 s6, s4
	s_cbranch_execz .LBB113_123
; %bb.116:
	ds_read_b128 v[1:4], v106
	s_andn2_b32 vcc_lo, exec_lo, s58
	s_cbranch_vccnz .LBB113_118
; %bb.117:
	s_clause 0x3
	buffer_load_dword v107, v105, s[0:3], 0 offen offset:8
	buffer_load_dword v108, v105, s[0:3], 0 offen offset:12
	buffer_load_dword v109, v105, s[0:3], 0 offen
	buffer_load_dword v110, v105, s[0:3], 0 offen offset:4
	s_waitcnt vmcnt(2) lgkmcnt(0)
	v_mul_f64 v[112:113], v[3:4], v[107:108]
	v_mul_f64 v[107:108], v[1:2], v[107:108]
	s_waitcnt vmcnt(0)
	v_fma_f64 v[1:2], v[1:2], v[109:110], -v[112:113]
	v_fma_f64 v[3:4], v[3:4], v[109:110], v[107:108]
.LBB113_118:
	s_and_saveexec_b32 s8, s5
	s_cbranch_execz .LBB113_122
; %bb.119:
	v_subrev_nc_u32_e32 v107, 35, v0
	s_movk_i32 s59, 0x550
	s_mov_b32 s5, 0
	s_mov_b32 s60, s22
	.p2align	6
.LBB113_120:                            ; =>This Inner Loop Header: Depth=1
	v_mov_b32_e32 v110, s60
	v_add_nc_u32_e32 v107, -1, v107
	s_add_i32 s60, s60, 16
	s_clause 0x3
	buffer_load_dword v108, v110, s[0:3], 0 offen offset:8
	buffer_load_dword v109, v110, s[0:3], 0 offen offset:12
	buffer_load_dword v116, v110, s[0:3], 0 offen
	buffer_load_dword v117, v110, s[0:3], 0 offen offset:4
	v_mov_b32_e32 v110, s59
	v_cmp_eq_u32_e32 vcc_lo, 0, v107
	s_add_i32 s59, s59, 16
	ds_read_b128 v[112:115], v110
	s_or_b32 s5, vcc_lo, s5
	s_waitcnt vmcnt(2) lgkmcnt(0)
	v_mul_f64 v[118:119], v[114:115], v[108:109]
	v_mul_f64 v[108:109], v[112:113], v[108:109]
	s_waitcnt vmcnt(0)
	v_fma_f64 v[112:113], v[112:113], v[116:117], -v[118:119]
	v_fma_f64 v[108:109], v[114:115], v[116:117], v[108:109]
	v_add_f64 v[1:2], v[1:2], v[112:113]
	v_add_f64 v[3:4], v[3:4], v[108:109]
	s_andn2_b32 exec_lo, exec_lo, s5
	s_cbranch_execnz .LBB113_120
; %bb.121:
	s_or_b32 exec_lo, exec_lo, s5
.LBB113_122:
	s_or_b32 exec_lo, exec_lo, s8
	v_mov_b32_e32 v107, 0
	ds_read_b128 v[107:110], v107 offset:544
	s_waitcnt lgkmcnt(0)
	v_mul_f64 v[112:113], v[3:4], v[109:110]
	v_mul_f64 v[109:110], v[1:2], v[109:110]
	v_fma_f64 v[1:2], v[1:2], v[107:108], -v[112:113]
	v_fma_f64 v[3:4], v[3:4], v[107:108], v[109:110]
	buffer_store_dword v2, off, s[0:3], 0 offset:548
	buffer_store_dword v1, off, s[0:3], 0 offset:544
	;; [unrolled: 1-line block ×4, first 2 shown]
.LBB113_123:
	s_or_b32 exec_lo, exec_lo, s6
	v_mov_b32_e32 v4, s24
	v_cmp_lt_u32_e64 s5, 33, v0
	s_clause 0x3
	buffer_load_dword v1, v4, s[0:3], 0 offen
	buffer_load_dword v2, v4, s[0:3], 0 offen offset:4
	buffer_load_dword v3, v4, s[0:3], 0 offen offset:8
	;; [unrolled: 1-line block ×3, first 2 shown]
	s_waitcnt vmcnt(0)
	ds_write_b128 v106, v[1:4]
	s_waitcnt lgkmcnt(0)
	s_waitcnt_vscnt null, 0x0
	s_barrier
	buffer_gl0_inv
	s_and_saveexec_b32 s6, s5
	s_cbranch_execz .LBB113_131
; %bb.124:
	ds_read_b128 v[1:4], v106
	s_andn2_b32 vcc_lo, exec_lo, s58
	s_cbranch_vccnz .LBB113_126
; %bb.125:
	s_clause 0x3
	buffer_load_dword v107, v105, s[0:3], 0 offen offset:8
	buffer_load_dword v108, v105, s[0:3], 0 offen offset:12
	buffer_load_dword v109, v105, s[0:3], 0 offen
	buffer_load_dword v110, v105, s[0:3], 0 offen offset:4
	s_waitcnt vmcnt(2) lgkmcnt(0)
	v_mul_f64 v[112:113], v[3:4], v[107:108]
	v_mul_f64 v[107:108], v[1:2], v[107:108]
	s_waitcnt vmcnt(0)
	v_fma_f64 v[1:2], v[1:2], v[109:110], -v[112:113]
	v_fma_f64 v[3:4], v[3:4], v[109:110], v[107:108]
.LBB113_126:
	s_and_saveexec_b32 s8, s4
	s_cbranch_execz .LBB113_130
; %bb.127:
	v_subrev_nc_u32_e32 v107, 34, v0
	s_movk_i32 s59, 0x540
	s_mov_b32 s4, 0
	s_mov_b32 s60, s23
	.p2align	6
.LBB113_128:                            ; =>This Inner Loop Header: Depth=1
	v_mov_b32_e32 v110, s60
	v_add_nc_u32_e32 v107, -1, v107
	s_add_i32 s60, s60, 16
	s_clause 0x3
	buffer_load_dword v108, v110, s[0:3], 0 offen offset:8
	buffer_load_dword v109, v110, s[0:3], 0 offen offset:12
	buffer_load_dword v116, v110, s[0:3], 0 offen
	buffer_load_dword v117, v110, s[0:3], 0 offen offset:4
	v_mov_b32_e32 v110, s59
	v_cmp_eq_u32_e32 vcc_lo, 0, v107
	s_add_i32 s59, s59, 16
	ds_read_b128 v[112:115], v110
	s_or_b32 s4, vcc_lo, s4
	s_waitcnt vmcnt(2) lgkmcnt(0)
	v_mul_f64 v[118:119], v[114:115], v[108:109]
	v_mul_f64 v[108:109], v[112:113], v[108:109]
	s_waitcnt vmcnt(0)
	v_fma_f64 v[112:113], v[112:113], v[116:117], -v[118:119]
	v_fma_f64 v[108:109], v[114:115], v[116:117], v[108:109]
	v_add_f64 v[1:2], v[1:2], v[112:113]
	v_add_f64 v[3:4], v[3:4], v[108:109]
	s_andn2_b32 exec_lo, exec_lo, s4
	s_cbranch_execnz .LBB113_128
; %bb.129:
	s_or_b32 exec_lo, exec_lo, s4
.LBB113_130:
	s_or_b32 exec_lo, exec_lo, s8
	v_mov_b32_e32 v107, 0
	ds_read_b128 v[107:110], v107 offset:528
	s_waitcnt lgkmcnt(0)
	v_mul_f64 v[112:113], v[3:4], v[109:110]
	v_mul_f64 v[109:110], v[1:2], v[109:110]
	v_fma_f64 v[1:2], v[1:2], v[107:108], -v[112:113]
	v_fma_f64 v[3:4], v[3:4], v[107:108], v[109:110]
	buffer_store_dword v2, off, s[0:3], 0 offset:532
	buffer_store_dword v1, off, s[0:3], 0 offset:528
	;; [unrolled: 1-line block ×4, first 2 shown]
.LBB113_131:
	s_or_b32 exec_lo, exec_lo, s6
	v_mov_b32_e32 v4, s25
	v_cmp_lt_u32_e64 s4, 32, v0
	s_clause 0x3
	buffer_load_dword v1, v4, s[0:3], 0 offen
	buffer_load_dword v2, v4, s[0:3], 0 offen offset:4
	buffer_load_dword v3, v4, s[0:3], 0 offen offset:8
	;; [unrolled: 1-line block ×3, first 2 shown]
	s_waitcnt vmcnt(0)
	ds_write_b128 v106, v[1:4]
	s_waitcnt lgkmcnt(0)
	s_waitcnt_vscnt null, 0x0
	s_barrier
	buffer_gl0_inv
	s_and_saveexec_b32 s6, s4
	s_cbranch_execz .LBB113_139
; %bb.132:
	ds_read_b128 v[1:4], v106
	s_andn2_b32 vcc_lo, exec_lo, s58
	s_cbranch_vccnz .LBB113_134
; %bb.133:
	s_clause 0x3
	buffer_load_dword v107, v105, s[0:3], 0 offen offset:8
	buffer_load_dword v108, v105, s[0:3], 0 offen offset:12
	buffer_load_dword v109, v105, s[0:3], 0 offen
	buffer_load_dword v110, v105, s[0:3], 0 offen offset:4
	s_waitcnt vmcnt(2) lgkmcnt(0)
	v_mul_f64 v[112:113], v[3:4], v[107:108]
	v_mul_f64 v[107:108], v[1:2], v[107:108]
	s_waitcnt vmcnt(0)
	v_fma_f64 v[1:2], v[1:2], v[109:110], -v[112:113]
	v_fma_f64 v[3:4], v[3:4], v[109:110], v[107:108]
.LBB113_134:
	s_and_saveexec_b32 s8, s5
	s_cbranch_execz .LBB113_138
; %bb.135:
	v_subrev_nc_u32_e32 v107, 33, v0
	s_movk_i32 s59, 0x530
	s_mov_b32 s5, 0
	s_mov_b32 s60, s24
	.p2align	6
.LBB113_136:                            ; =>This Inner Loop Header: Depth=1
	v_mov_b32_e32 v110, s60
	v_add_nc_u32_e32 v107, -1, v107
	s_add_i32 s60, s60, 16
	s_clause 0x3
	buffer_load_dword v108, v110, s[0:3], 0 offen offset:8
	buffer_load_dword v109, v110, s[0:3], 0 offen offset:12
	buffer_load_dword v116, v110, s[0:3], 0 offen
	buffer_load_dword v117, v110, s[0:3], 0 offen offset:4
	v_mov_b32_e32 v110, s59
	v_cmp_eq_u32_e32 vcc_lo, 0, v107
	s_add_i32 s59, s59, 16
	ds_read_b128 v[112:115], v110
	s_or_b32 s5, vcc_lo, s5
	s_waitcnt vmcnt(2) lgkmcnt(0)
	v_mul_f64 v[118:119], v[114:115], v[108:109]
	v_mul_f64 v[108:109], v[112:113], v[108:109]
	s_waitcnt vmcnt(0)
	v_fma_f64 v[112:113], v[112:113], v[116:117], -v[118:119]
	v_fma_f64 v[108:109], v[114:115], v[116:117], v[108:109]
	v_add_f64 v[1:2], v[1:2], v[112:113]
	v_add_f64 v[3:4], v[3:4], v[108:109]
	s_andn2_b32 exec_lo, exec_lo, s5
	s_cbranch_execnz .LBB113_136
; %bb.137:
	s_or_b32 exec_lo, exec_lo, s5
.LBB113_138:
	s_or_b32 exec_lo, exec_lo, s8
	v_mov_b32_e32 v107, 0
	ds_read_b128 v[107:110], v107 offset:512
	s_waitcnt lgkmcnt(0)
	v_mul_f64 v[112:113], v[3:4], v[109:110]
	v_mul_f64 v[109:110], v[1:2], v[109:110]
	v_fma_f64 v[1:2], v[1:2], v[107:108], -v[112:113]
	v_fma_f64 v[3:4], v[3:4], v[107:108], v[109:110]
	buffer_store_dword v2, off, s[0:3], 0 offset:516
	buffer_store_dword v1, off, s[0:3], 0 offset:512
	;; [unrolled: 1-line block ×4, first 2 shown]
.LBB113_139:
	s_or_b32 exec_lo, exec_lo, s6
	v_mov_b32_e32 v4, s26
	v_cmp_lt_u32_e64 s5, 31, v0
	s_clause 0x3
	buffer_load_dword v1, v4, s[0:3], 0 offen
	buffer_load_dword v2, v4, s[0:3], 0 offen offset:4
	buffer_load_dword v3, v4, s[0:3], 0 offen offset:8
	;; [unrolled: 1-line block ×3, first 2 shown]
	s_waitcnt vmcnt(0)
	ds_write_b128 v106, v[1:4]
	s_waitcnt lgkmcnt(0)
	s_waitcnt_vscnt null, 0x0
	s_barrier
	buffer_gl0_inv
	s_and_saveexec_b32 s6, s5
	s_cbranch_execz .LBB113_147
; %bb.140:
	ds_read_b128 v[1:4], v106
	s_andn2_b32 vcc_lo, exec_lo, s58
	s_cbranch_vccnz .LBB113_142
; %bb.141:
	s_clause 0x3
	buffer_load_dword v107, v105, s[0:3], 0 offen offset:8
	buffer_load_dword v108, v105, s[0:3], 0 offen offset:12
	buffer_load_dword v109, v105, s[0:3], 0 offen
	buffer_load_dword v110, v105, s[0:3], 0 offen offset:4
	s_waitcnt vmcnt(2) lgkmcnt(0)
	v_mul_f64 v[112:113], v[3:4], v[107:108]
	v_mul_f64 v[107:108], v[1:2], v[107:108]
	s_waitcnt vmcnt(0)
	v_fma_f64 v[1:2], v[1:2], v[109:110], -v[112:113]
	v_fma_f64 v[3:4], v[3:4], v[109:110], v[107:108]
.LBB113_142:
	s_and_saveexec_b32 s8, s4
	s_cbranch_execz .LBB113_146
; %bb.143:
	v_subrev_nc_u32_e32 v107, 32, v0
	s_movk_i32 s59, 0x520
	s_mov_b32 s4, 0
	s_mov_b32 s60, s25
	.p2align	6
.LBB113_144:                            ; =>This Inner Loop Header: Depth=1
	v_mov_b32_e32 v110, s60
	v_add_nc_u32_e32 v107, -1, v107
	s_add_i32 s60, s60, 16
	s_clause 0x3
	buffer_load_dword v108, v110, s[0:3], 0 offen offset:8
	buffer_load_dword v109, v110, s[0:3], 0 offen offset:12
	buffer_load_dword v116, v110, s[0:3], 0 offen
	buffer_load_dword v117, v110, s[0:3], 0 offen offset:4
	v_mov_b32_e32 v110, s59
	v_cmp_eq_u32_e32 vcc_lo, 0, v107
	s_add_i32 s59, s59, 16
	ds_read_b128 v[112:115], v110
	s_or_b32 s4, vcc_lo, s4
	s_waitcnt vmcnt(2) lgkmcnt(0)
	v_mul_f64 v[118:119], v[114:115], v[108:109]
	v_mul_f64 v[108:109], v[112:113], v[108:109]
	s_waitcnt vmcnt(0)
	v_fma_f64 v[112:113], v[112:113], v[116:117], -v[118:119]
	v_fma_f64 v[108:109], v[114:115], v[116:117], v[108:109]
	v_add_f64 v[1:2], v[1:2], v[112:113]
	v_add_f64 v[3:4], v[3:4], v[108:109]
	s_andn2_b32 exec_lo, exec_lo, s4
	s_cbranch_execnz .LBB113_144
; %bb.145:
	s_or_b32 exec_lo, exec_lo, s4
.LBB113_146:
	s_or_b32 exec_lo, exec_lo, s8
	v_mov_b32_e32 v107, 0
	ds_read_b128 v[107:110], v107 offset:496
	s_waitcnt lgkmcnt(0)
	v_mul_f64 v[112:113], v[3:4], v[109:110]
	v_mul_f64 v[109:110], v[1:2], v[109:110]
	v_fma_f64 v[1:2], v[1:2], v[107:108], -v[112:113]
	v_fma_f64 v[3:4], v[3:4], v[107:108], v[109:110]
	buffer_store_dword v2, off, s[0:3], 0 offset:500
	buffer_store_dword v1, off, s[0:3], 0 offset:496
	;; [unrolled: 1-line block ×4, first 2 shown]
.LBB113_147:
	s_or_b32 exec_lo, exec_lo, s6
	v_mov_b32_e32 v4, s27
	v_cmp_lt_u32_e64 s4, 30, v0
	s_clause 0x3
	buffer_load_dword v1, v4, s[0:3], 0 offen
	buffer_load_dword v2, v4, s[0:3], 0 offen offset:4
	buffer_load_dword v3, v4, s[0:3], 0 offen offset:8
	;; [unrolled: 1-line block ×3, first 2 shown]
	s_waitcnt vmcnt(0)
	ds_write_b128 v106, v[1:4]
	s_waitcnt lgkmcnt(0)
	s_waitcnt_vscnt null, 0x0
	s_barrier
	buffer_gl0_inv
	s_and_saveexec_b32 s6, s4
	s_cbranch_execz .LBB113_155
; %bb.148:
	ds_read_b128 v[1:4], v106
	s_andn2_b32 vcc_lo, exec_lo, s58
	s_cbranch_vccnz .LBB113_150
; %bb.149:
	s_clause 0x3
	buffer_load_dword v107, v105, s[0:3], 0 offen offset:8
	buffer_load_dword v108, v105, s[0:3], 0 offen offset:12
	buffer_load_dword v109, v105, s[0:3], 0 offen
	buffer_load_dword v110, v105, s[0:3], 0 offen offset:4
	s_waitcnt vmcnt(2) lgkmcnt(0)
	v_mul_f64 v[112:113], v[3:4], v[107:108]
	v_mul_f64 v[107:108], v[1:2], v[107:108]
	s_waitcnt vmcnt(0)
	v_fma_f64 v[1:2], v[1:2], v[109:110], -v[112:113]
	v_fma_f64 v[3:4], v[3:4], v[109:110], v[107:108]
.LBB113_150:
	s_and_saveexec_b32 s8, s5
	s_cbranch_execz .LBB113_154
; %bb.151:
	v_subrev_nc_u32_e32 v107, 31, v0
	s_movk_i32 s59, 0x510
	s_mov_b32 s5, 0
	s_mov_b32 s60, s26
	.p2align	6
.LBB113_152:                            ; =>This Inner Loop Header: Depth=1
	v_mov_b32_e32 v110, s60
	v_add_nc_u32_e32 v107, -1, v107
	s_add_i32 s60, s60, 16
	s_clause 0x3
	buffer_load_dword v108, v110, s[0:3], 0 offen offset:8
	buffer_load_dword v109, v110, s[0:3], 0 offen offset:12
	buffer_load_dword v116, v110, s[0:3], 0 offen
	buffer_load_dword v117, v110, s[0:3], 0 offen offset:4
	v_mov_b32_e32 v110, s59
	v_cmp_eq_u32_e32 vcc_lo, 0, v107
	s_add_i32 s59, s59, 16
	ds_read_b128 v[112:115], v110
	s_or_b32 s5, vcc_lo, s5
	s_waitcnt vmcnt(2) lgkmcnt(0)
	v_mul_f64 v[118:119], v[114:115], v[108:109]
	v_mul_f64 v[108:109], v[112:113], v[108:109]
	s_waitcnt vmcnt(0)
	v_fma_f64 v[112:113], v[112:113], v[116:117], -v[118:119]
	v_fma_f64 v[108:109], v[114:115], v[116:117], v[108:109]
	v_add_f64 v[1:2], v[1:2], v[112:113]
	v_add_f64 v[3:4], v[3:4], v[108:109]
	s_andn2_b32 exec_lo, exec_lo, s5
	s_cbranch_execnz .LBB113_152
; %bb.153:
	s_or_b32 exec_lo, exec_lo, s5
.LBB113_154:
	s_or_b32 exec_lo, exec_lo, s8
	v_mov_b32_e32 v107, 0
	ds_read_b128 v[107:110], v107 offset:480
	s_waitcnt lgkmcnt(0)
	v_mul_f64 v[112:113], v[3:4], v[109:110]
	v_mul_f64 v[109:110], v[1:2], v[109:110]
	v_fma_f64 v[1:2], v[1:2], v[107:108], -v[112:113]
	v_fma_f64 v[3:4], v[3:4], v[107:108], v[109:110]
	buffer_store_dword v2, off, s[0:3], 0 offset:484
	buffer_store_dword v1, off, s[0:3], 0 offset:480
	;; [unrolled: 1-line block ×4, first 2 shown]
.LBB113_155:
	s_or_b32 exec_lo, exec_lo, s6
	v_mov_b32_e32 v4, s28
	v_cmp_lt_u32_e64 s5, 29, v0
	s_clause 0x3
	buffer_load_dword v1, v4, s[0:3], 0 offen
	buffer_load_dword v2, v4, s[0:3], 0 offen offset:4
	buffer_load_dword v3, v4, s[0:3], 0 offen offset:8
	;; [unrolled: 1-line block ×3, first 2 shown]
	s_waitcnt vmcnt(0)
	ds_write_b128 v106, v[1:4]
	s_waitcnt lgkmcnt(0)
	s_waitcnt_vscnt null, 0x0
	s_barrier
	buffer_gl0_inv
	s_and_saveexec_b32 s6, s5
	s_cbranch_execz .LBB113_163
; %bb.156:
	ds_read_b128 v[1:4], v106
	s_andn2_b32 vcc_lo, exec_lo, s58
	s_cbranch_vccnz .LBB113_158
; %bb.157:
	s_clause 0x3
	buffer_load_dword v107, v105, s[0:3], 0 offen offset:8
	buffer_load_dword v108, v105, s[0:3], 0 offen offset:12
	buffer_load_dword v109, v105, s[0:3], 0 offen
	buffer_load_dword v110, v105, s[0:3], 0 offen offset:4
	s_waitcnt vmcnt(2) lgkmcnt(0)
	v_mul_f64 v[112:113], v[3:4], v[107:108]
	v_mul_f64 v[107:108], v[1:2], v[107:108]
	s_waitcnt vmcnt(0)
	v_fma_f64 v[1:2], v[1:2], v[109:110], -v[112:113]
	v_fma_f64 v[3:4], v[3:4], v[109:110], v[107:108]
.LBB113_158:
	s_and_saveexec_b32 s8, s4
	s_cbranch_execz .LBB113_162
; %bb.159:
	v_subrev_nc_u32_e32 v107, 30, v0
	s_movk_i32 s59, 0x500
	s_mov_b32 s4, 0
	s_mov_b32 s60, s27
	.p2align	6
.LBB113_160:                            ; =>This Inner Loop Header: Depth=1
	v_mov_b32_e32 v110, s60
	v_add_nc_u32_e32 v107, -1, v107
	s_add_i32 s60, s60, 16
	s_clause 0x3
	buffer_load_dword v108, v110, s[0:3], 0 offen offset:8
	buffer_load_dword v109, v110, s[0:3], 0 offen offset:12
	buffer_load_dword v116, v110, s[0:3], 0 offen
	buffer_load_dword v117, v110, s[0:3], 0 offen offset:4
	v_mov_b32_e32 v110, s59
	v_cmp_eq_u32_e32 vcc_lo, 0, v107
	s_add_i32 s59, s59, 16
	ds_read_b128 v[112:115], v110
	s_or_b32 s4, vcc_lo, s4
	s_waitcnt vmcnt(2) lgkmcnt(0)
	v_mul_f64 v[118:119], v[114:115], v[108:109]
	v_mul_f64 v[108:109], v[112:113], v[108:109]
	s_waitcnt vmcnt(0)
	v_fma_f64 v[112:113], v[112:113], v[116:117], -v[118:119]
	v_fma_f64 v[108:109], v[114:115], v[116:117], v[108:109]
	v_add_f64 v[1:2], v[1:2], v[112:113]
	v_add_f64 v[3:4], v[3:4], v[108:109]
	s_andn2_b32 exec_lo, exec_lo, s4
	s_cbranch_execnz .LBB113_160
; %bb.161:
	s_or_b32 exec_lo, exec_lo, s4
.LBB113_162:
	s_or_b32 exec_lo, exec_lo, s8
	v_mov_b32_e32 v107, 0
	ds_read_b128 v[107:110], v107 offset:464
	s_waitcnt lgkmcnt(0)
	v_mul_f64 v[112:113], v[3:4], v[109:110]
	v_mul_f64 v[109:110], v[1:2], v[109:110]
	v_fma_f64 v[1:2], v[1:2], v[107:108], -v[112:113]
	v_fma_f64 v[3:4], v[3:4], v[107:108], v[109:110]
	buffer_store_dword v2, off, s[0:3], 0 offset:468
	buffer_store_dword v1, off, s[0:3], 0 offset:464
	;; [unrolled: 1-line block ×4, first 2 shown]
.LBB113_163:
	s_or_b32 exec_lo, exec_lo, s6
	v_mov_b32_e32 v4, s29
	v_cmp_lt_u32_e64 s4, 28, v0
	s_clause 0x3
	buffer_load_dword v1, v4, s[0:3], 0 offen
	buffer_load_dword v2, v4, s[0:3], 0 offen offset:4
	buffer_load_dword v3, v4, s[0:3], 0 offen offset:8
	;; [unrolled: 1-line block ×3, first 2 shown]
	s_waitcnt vmcnt(0)
	ds_write_b128 v106, v[1:4]
	s_waitcnt lgkmcnt(0)
	s_waitcnt_vscnt null, 0x0
	s_barrier
	buffer_gl0_inv
	s_and_saveexec_b32 s6, s4
	s_cbranch_execz .LBB113_171
; %bb.164:
	ds_read_b128 v[1:4], v106
	s_andn2_b32 vcc_lo, exec_lo, s58
	s_cbranch_vccnz .LBB113_166
; %bb.165:
	s_clause 0x3
	buffer_load_dword v107, v105, s[0:3], 0 offen offset:8
	buffer_load_dword v108, v105, s[0:3], 0 offen offset:12
	buffer_load_dword v109, v105, s[0:3], 0 offen
	buffer_load_dword v110, v105, s[0:3], 0 offen offset:4
	s_waitcnt vmcnt(2) lgkmcnt(0)
	v_mul_f64 v[112:113], v[3:4], v[107:108]
	v_mul_f64 v[107:108], v[1:2], v[107:108]
	s_waitcnt vmcnt(0)
	v_fma_f64 v[1:2], v[1:2], v[109:110], -v[112:113]
	v_fma_f64 v[3:4], v[3:4], v[109:110], v[107:108]
.LBB113_166:
	s_and_saveexec_b32 s8, s5
	s_cbranch_execz .LBB113_170
; %bb.167:
	v_subrev_nc_u32_e32 v107, 29, v0
	s_movk_i32 s59, 0x4f0
	s_mov_b32 s5, 0
	s_mov_b32 s60, s28
	.p2align	6
.LBB113_168:                            ; =>This Inner Loop Header: Depth=1
	v_mov_b32_e32 v110, s60
	v_add_nc_u32_e32 v107, -1, v107
	s_add_i32 s60, s60, 16
	s_clause 0x3
	buffer_load_dword v108, v110, s[0:3], 0 offen offset:8
	buffer_load_dword v109, v110, s[0:3], 0 offen offset:12
	buffer_load_dword v116, v110, s[0:3], 0 offen
	buffer_load_dword v117, v110, s[0:3], 0 offen offset:4
	v_mov_b32_e32 v110, s59
	v_cmp_eq_u32_e32 vcc_lo, 0, v107
	s_add_i32 s59, s59, 16
	ds_read_b128 v[112:115], v110
	s_or_b32 s5, vcc_lo, s5
	s_waitcnt vmcnt(2) lgkmcnt(0)
	v_mul_f64 v[118:119], v[114:115], v[108:109]
	v_mul_f64 v[108:109], v[112:113], v[108:109]
	s_waitcnt vmcnt(0)
	v_fma_f64 v[112:113], v[112:113], v[116:117], -v[118:119]
	v_fma_f64 v[108:109], v[114:115], v[116:117], v[108:109]
	v_add_f64 v[1:2], v[1:2], v[112:113]
	v_add_f64 v[3:4], v[3:4], v[108:109]
	s_andn2_b32 exec_lo, exec_lo, s5
	s_cbranch_execnz .LBB113_168
; %bb.169:
	s_or_b32 exec_lo, exec_lo, s5
.LBB113_170:
	s_or_b32 exec_lo, exec_lo, s8
	v_mov_b32_e32 v107, 0
	ds_read_b128 v[107:110], v107 offset:448
	s_waitcnt lgkmcnt(0)
	v_mul_f64 v[112:113], v[3:4], v[109:110]
	v_mul_f64 v[109:110], v[1:2], v[109:110]
	v_fma_f64 v[1:2], v[1:2], v[107:108], -v[112:113]
	v_fma_f64 v[3:4], v[3:4], v[107:108], v[109:110]
	buffer_store_dword v2, off, s[0:3], 0 offset:452
	buffer_store_dword v1, off, s[0:3], 0 offset:448
	buffer_store_dword v4, off, s[0:3], 0 offset:460
	buffer_store_dword v3, off, s[0:3], 0 offset:456
.LBB113_171:
	s_or_b32 exec_lo, exec_lo, s6
	v_mov_b32_e32 v4, s30
	v_cmp_lt_u32_e64 s5, 27, v0
	s_clause 0x3
	buffer_load_dword v1, v4, s[0:3], 0 offen
	buffer_load_dword v2, v4, s[0:3], 0 offen offset:4
	buffer_load_dword v3, v4, s[0:3], 0 offen offset:8
	;; [unrolled: 1-line block ×3, first 2 shown]
	s_waitcnt vmcnt(0)
	ds_write_b128 v106, v[1:4]
	s_waitcnt lgkmcnt(0)
	s_waitcnt_vscnt null, 0x0
	s_barrier
	buffer_gl0_inv
	s_and_saveexec_b32 s6, s5
	s_cbranch_execz .LBB113_179
; %bb.172:
	ds_read_b128 v[1:4], v106
	s_andn2_b32 vcc_lo, exec_lo, s58
	s_cbranch_vccnz .LBB113_174
; %bb.173:
	s_clause 0x3
	buffer_load_dword v107, v105, s[0:3], 0 offen offset:8
	buffer_load_dword v108, v105, s[0:3], 0 offen offset:12
	buffer_load_dword v109, v105, s[0:3], 0 offen
	buffer_load_dword v110, v105, s[0:3], 0 offen offset:4
	s_waitcnt vmcnt(2) lgkmcnt(0)
	v_mul_f64 v[112:113], v[3:4], v[107:108]
	v_mul_f64 v[107:108], v[1:2], v[107:108]
	s_waitcnt vmcnt(0)
	v_fma_f64 v[1:2], v[1:2], v[109:110], -v[112:113]
	v_fma_f64 v[3:4], v[3:4], v[109:110], v[107:108]
.LBB113_174:
	s_and_saveexec_b32 s8, s4
	s_cbranch_execz .LBB113_178
; %bb.175:
	v_subrev_nc_u32_e32 v107, 28, v0
	s_movk_i32 s59, 0x4e0
	s_mov_b32 s4, 0
	s_mov_b32 s60, s29
	.p2align	6
.LBB113_176:                            ; =>This Inner Loop Header: Depth=1
	v_mov_b32_e32 v110, s60
	v_add_nc_u32_e32 v107, -1, v107
	s_add_i32 s60, s60, 16
	s_clause 0x3
	buffer_load_dword v108, v110, s[0:3], 0 offen offset:8
	buffer_load_dword v109, v110, s[0:3], 0 offen offset:12
	buffer_load_dword v116, v110, s[0:3], 0 offen
	buffer_load_dword v117, v110, s[0:3], 0 offen offset:4
	v_mov_b32_e32 v110, s59
	v_cmp_eq_u32_e32 vcc_lo, 0, v107
	s_add_i32 s59, s59, 16
	ds_read_b128 v[112:115], v110
	s_or_b32 s4, vcc_lo, s4
	s_waitcnt vmcnt(2) lgkmcnt(0)
	v_mul_f64 v[118:119], v[114:115], v[108:109]
	v_mul_f64 v[108:109], v[112:113], v[108:109]
	s_waitcnt vmcnt(0)
	v_fma_f64 v[112:113], v[112:113], v[116:117], -v[118:119]
	v_fma_f64 v[108:109], v[114:115], v[116:117], v[108:109]
	v_add_f64 v[1:2], v[1:2], v[112:113]
	v_add_f64 v[3:4], v[3:4], v[108:109]
	s_andn2_b32 exec_lo, exec_lo, s4
	s_cbranch_execnz .LBB113_176
; %bb.177:
	s_or_b32 exec_lo, exec_lo, s4
.LBB113_178:
	s_or_b32 exec_lo, exec_lo, s8
	v_mov_b32_e32 v107, 0
	ds_read_b128 v[107:110], v107 offset:432
	s_waitcnt lgkmcnt(0)
	v_mul_f64 v[112:113], v[3:4], v[109:110]
	v_mul_f64 v[109:110], v[1:2], v[109:110]
	v_fma_f64 v[1:2], v[1:2], v[107:108], -v[112:113]
	v_fma_f64 v[3:4], v[3:4], v[107:108], v[109:110]
	buffer_store_dword v2, off, s[0:3], 0 offset:436
	buffer_store_dword v1, off, s[0:3], 0 offset:432
	;; [unrolled: 1-line block ×4, first 2 shown]
.LBB113_179:
	s_or_b32 exec_lo, exec_lo, s6
	v_mov_b32_e32 v4, s31
	v_cmp_lt_u32_e64 s4, 26, v0
	s_clause 0x3
	buffer_load_dword v1, v4, s[0:3], 0 offen
	buffer_load_dword v2, v4, s[0:3], 0 offen offset:4
	buffer_load_dword v3, v4, s[0:3], 0 offen offset:8
	;; [unrolled: 1-line block ×3, first 2 shown]
	s_waitcnt vmcnt(0)
	ds_write_b128 v106, v[1:4]
	s_waitcnt lgkmcnt(0)
	s_waitcnt_vscnt null, 0x0
	s_barrier
	buffer_gl0_inv
	s_and_saveexec_b32 s6, s4
	s_cbranch_execz .LBB113_187
; %bb.180:
	ds_read_b128 v[1:4], v106
	s_andn2_b32 vcc_lo, exec_lo, s58
	s_cbranch_vccnz .LBB113_182
; %bb.181:
	s_clause 0x3
	buffer_load_dword v107, v105, s[0:3], 0 offen offset:8
	buffer_load_dword v108, v105, s[0:3], 0 offen offset:12
	buffer_load_dword v109, v105, s[0:3], 0 offen
	buffer_load_dword v110, v105, s[0:3], 0 offen offset:4
	s_waitcnt vmcnt(2) lgkmcnt(0)
	v_mul_f64 v[112:113], v[3:4], v[107:108]
	v_mul_f64 v[107:108], v[1:2], v[107:108]
	s_waitcnt vmcnt(0)
	v_fma_f64 v[1:2], v[1:2], v[109:110], -v[112:113]
	v_fma_f64 v[3:4], v[3:4], v[109:110], v[107:108]
.LBB113_182:
	s_and_saveexec_b32 s8, s5
	s_cbranch_execz .LBB113_186
; %bb.183:
	v_subrev_nc_u32_e32 v107, 27, v0
	s_movk_i32 s59, 0x4d0
	s_mov_b32 s5, 0
	s_mov_b32 s60, s30
	.p2align	6
.LBB113_184:                            ; =>This Inner Loop Header: Depth=1
	v_mov_b32_e32 v110, s60
	v_add_nc_u32_e32 v107, -1, v107
	s_add_i32 s60, s60, 16
	s_clause 0x3
	buffer_load_dword v108, v110, s[0:3], 0 offen offset:8
	buffer_load_dword v109, v110, s[0:3], 0 offen offset:12
	buffer_load_dword v116, v110, s[0:3], 0 offen
	buffer_load_dword v117, v110, s[0:3], 0 offen offset:4
	v_mov_b32_e32 v110, s59
	v_cmp_eq_u32_e32 vcc_lo, 0, v107
	s_add_i32 s59, s59, 16
	ds_read_b128 v[112:115], v110
	s_or_b32 s5, vcc_lo, s5
	s_waitcnt vmcnt(2) lgkmcnt(0)
	v_mul_f64 v[118:119], v[114:115], v[108:109]
	v_mul_f64 v[108:109], v[112:113], v[108:109]
	s_waitcnt vmcnt(0)
	v_fma_f64 v[112:113], v[112:113], v[116:117], -v[118:119]
	v_fma_f64 v[108:109], v[114:115], v[116:117], v[108:109]
	v_add_f64 v[1:2], v[1:2], v[112:113]
	v_add_f64 v[3:4], v[3:4], v[108:109]
	s_andn2_b32 exec_lo, exec_lo, s5
	s_cbranch_execnz .LBB113_184
; %bb.185:
	s_or_b32 exec_lo, exec_lo, s5
.LBB113_186:
	s_or_b32 exec_lo, exec_lo, s8
	v_mov_b32_e32 v107, 0
	ds_read_b128 v[107:110], v107 offset:416
	s_waitcnt lgkmcnt(0)
	v_mul_f64 v[112:113], v[3:4], v[109:110]
	v_mul_f64 v[109:110], v[1:2], v[109:110]
	v_fma_f64 v[1:2], v[1:2], v[107:108], -v[112:113]
	v_fma_f64 v[3:4], v[3:4], v[107:108], v[109:110]
	buffer_store_dword v2, off, s[0:3], 0 offset:420
	buffer_store_dword v1, off, s[0:3], 0 offset:416
	;; [unrolled: 1-line block ×4, first 2 shown]
.LBB113_187:
	s_or_b32 exec_lo, exec_lo, s6
	v_mov_b32_e32 v4, s33
	v_cmp_lt_u32_e64 s5, 25, v0
	s_clause 0x3
	buffer_load_dword v1, v4, s[0:3], 0 offen
	buffer_load_dword v2, v4, s[0:3], 0 offen offset:4
	buffer_load_dword v3, v4, s[0:3], 0 offen offset:8
	;; [unrolled: 1-line block ×3, first 2 shown]
	s_waitcnt vmcnt(0)
	ds_write_b128 v106, v[1:4]
	s_waitcnt lgkmcnt(0)
	s_waitcnt_vscnt null, 0x0
	s_barrier
	buffer_gl0_inv
	s_and_saveexec_b32 s6, s5
	s_cbranch_execz .LBB113_195
; %bb.188:
	ds_read_b128 v[1:4], v106
	s_andn2_b32 vcc_lo, exec_lo, s58
	s_cbranch_vccnz .LBB113_190
; %bb.189:
	s_clause 0x3
	buffer_load_dword v107, v105, s[0:3], 0 offen offset:8
	buffer_load_dword v108, v105, s[0:3], 0 offen offset:12
	buffer_load_dword v109, v105, s[0:3], 0 offen
	buffer_load_dword v110, v105, s[0:3], 0 offen offset:4
	s_waitcnt vmcnt(2) lgkmcnt(0)
	v_mul_f64 v[112:113], v[3:4], v[107:108]
	v_mul_f64 v[107:108], v[1:2], v[107:108]
	s_waitcnt vmcnt(0)
	v_fma_f64 v[1:2], v[1:2], v[109:110], -v[112:113]
	v_fma_f64 v[3:4], v[3:4], v[109:110], v[107:108]
.LBB113_190:
	s_and_saveexec_b32 s8, s4
	s_cbranch_execz .LBB113_194
; %bb.191:
	v_subrev_nc_u32_e32 v107, 26, v0
	s_movk_i32 s59, 0x4c0
	s_mov_b32 s4, 0
	s_mov_b32 s60, s31
	.p2align	6
.LBB113_192:                            ; =>This Inner Loop Header: Depth=1
	v_mov_b32_e32 v110, s60
	v_add_nc_u32_e32 v107, -1, v107
	s_add_i32 s60, s60, 16
	s_clause 0x3
	buffer_load_dword v108, v110, s[0:3], 0 offen offset:8
	buffer_load_dword v109, v110, s[0:3], 0 offen offset:12
	buffer_load_dword v116, v110, s[0:3], 0 offen
	buffer_load_dword v117, v110, s[0:3], 0 offen offset:4
	v_mov_b32_e32 v110, s59
	v_cmp_eq_u32_e32 vcc_lo, 0, v107
	s_add_i32 s59, s59, 16
	ds_read_b128 v[112:115], v110
	s_or_b32 s4, vcc_lo, s4
	s_waitcnt vmcnt(2) lgkmcnt(0)
	v_mul_f64 v[118:119], v[114:115], v[108:109]
	v_mul_f64 v[108:109], v[112:113], v[108:109]
	s_waitcnt vmcnt(0)
	v_fma_f64 v[112:113], v[112:113], v[116:117], -v[118:119]
	v_fma_f64 v[108:109], v[114:115], v[116:117], v[108:109]
	v_add_f64 v[1:2], v[1:2], v[112:113]
	v_add_f64 v[3:4], v[3:4], v[108:109]
	s_andn2_b32 exec_lo, exec_lo, s4
	s_cbranch_execnz .LBB113_192
; %bb.193:
	s_or_b32 exec_lo, exec_lo, s4
.LBB113_194:
	s_or_b32 exec_lo, exec_lo, s8
	v_mov_b32_e32 v107, 0
	ds_read_b128 v[107:110], v107 offset:400
	s_waitcnt lgkmcnt(0)
	v_mul_f64 v[112:113], v[3:4], v[109:110]
	v_mul_f64 v[109:110], v[1:2], v[109:110]
	v_fma_f64 v[1:2], v[1:2], v[107:108], -v[112:113]
	v_fma_f64 v[3:4], v[3:4], v[107:108], v[109:110]
	buffer_store_dword v2, off, s[0:3], 0 offset:404
	buffer_store_dword v1, off, s[0:3], 0 offset:400
	;; [unrolled: 1-line block ×4, first 2 shown]
.LBB113_195:
	s_or_b32 exec_lo, exec_lo, s6
	v_mov_b32_e32 v4, s34
	v_cmp_lt_u32_e64 s4, 24, v0
	s_clause 0x3
	buffer_load_dword v1, v4, s[0:3], 0 offen
	buffer_load_dword v2, v4, s[0:3], 0 offen offset:4
	buffer_load_dword v3, v4, s[0:3], 0 offen offset:8
	;; [unrolled: 1-line block ×3, first 2 shown]
	s_waitcnt vmcnt(0)
	ds_write_b128 v106, v[1:4]
	s_waitcnt lgkmcnt(0)
	s_waitcnt_vscnt null, 0x0
	s_barrier
	buffer_gl0_inv
	s_and_saveexec_b32 s6, s4
	s_cbranch_execz .LBB113_203
; %bb.196:
	ds_read_b128 v[1:4], v106
	s_andn2_b32 vcc_lo, exec_lo, s58
	s_cbranch_vccnz .LBB113_198
; %bb.197:
	s_clause 0x3
	buffer_load_dword v107, v105, s[0:3], 0 offen offset:8
	buffer_load_dword v108, v105, s[0:3], 0 offen offset:12
	buffer_load_dword v109, v105, s[0:3], 0 offen
	buffer_load_dword v110, v105, s[0:3], 0 offen offset:4
	s_waitcnt vmcnt(2) lgkmcnt(0)
	v_mul_f64 v[112:113], v[3:4], v[107:108]
	v_mul_f64 v[107:108], v[1:2], v[107:108]
	s_waitcnt vmcnt(0)
	v_fma_f64 v[1:2], v[1:2], v[109:110], -v[112:113]
	v_fma_f64 v[3:4], v[3:4], v[109:110], v[107:108]
.LBB113_198:
	s_and_saveexec_b32 s8, s5
	s_cbranch_execz .LBB113_202
; %bb.199:
	v_subrev_nc_u32_e32 v107, 25, v0
	s_movk_i32 s59, 0x4b0
	s_mov_b32 s5, 0
	s_mov_b32 s60, s33
	.p2align	6
.LBB113_200:                            ; =>This Inner Loop Header: Depth=1
	v_mov_b32_e32 v110, s60
	v_add_nc_u32_e32 v107, -1, v107
	s_add_i32 s60, s60, 16
	s_clause 0x3
	buffer_load_dword v108, v110, s[0:3], 0 offen offset:8
	buffer_load_dword v109, v110, s[0:3], 0 offen offset:12
	buffer_load_dword v116, v110, s[0:3], 0 offen
	buffer_load_dword v117, v110, s[0:3], 0 offen offset:4
	v_mov_b32_e32 v110, s59
	v_cmp_eq_u32_e32 vcc_lo, 0, v107
	s_add_i32 s59, s59, 16
	ds_read_b128 v[112:115], v110
	s_or_b32 s5, vcc_lo, s5
	s_waitcnt vmcnt(2) lgkmcnt(0)
	v_mul_f64 v[118:119], v[114:115], v[108:109]
	v_mul_f64 v[108:109], v[112:113], v[108:109]
	s_waitcnt vmcnt(0)
	v_fma_f64 v[112:113], v[112:113], v[116:117], -v[118:119]
	v_fma_f64 v[108:109], v[114:115], v[116:117], v[108:109]
	v_add_f64 v[1:2], v[1:2], v[112:113]
	v_add_f64 v[3:4], v[3:4], v[108:109]
	s_andn2_b32 exec_lo, exec_lo, s5
	s_cbranch_execnz .LBB113_200
; %bb.201:
	s_or_b32 exec_lo, exec_lo, s5
.LBB113_202:
	s_or_b32 exec_lo, exec_lo, s8
	v_mov_b32_e32 v107, 0
	ds_read_b128 v[107:110], v107 offset:384
	s_waitcnt lgkmcnt(0)
	v_mul_f64 v[112:113], v[3:4], v[109:110]
	v_mul_f64 v[109:110], v[1:2], v[109:110]
	v_fma_f64 v[1:2], v[1:2], v[107:108], -v[112:113]
	v_fma_f64 v[3:4], v[3:4], v[107:108], v[109:110]
	buffer_store_dword v2, off, s[0:3], 0 offset:388
	buffer_store_dword v1, off, s[0:3], 0 offset:384
	;; [unrolled: 1-line block ×4, first 2 shown]
.LBB113_203:
	s_or_b32 exec_lo, exec_lo, s6
	v_mov_b32_e32 v4, s35
	v_cmp_lt_u32_e64 s5, 23, v0
	s_clause 0x3
	buffer_load_dword v1, v4, s[0:3], 0 offen
	buffer_load_dword v2, v4, s[0:3], 0 offen offset:4
	buffer_load_dword v3, v4, s[0:3], 0 offen offset:8
	;; [unrolled: 1-line block ×3, first 2 shown]
	s_waitcnt vmcnt(0)
	ds_write_b128 v106, v[1:4]
	s_waitcnt lgkmcnt(0)
	s_waitcnt_vscnt null, 0x0
	s_barrier
	buffer_gl0_inv
	s_and_saveexec_b32 s6, s5
	s_cbranch_execz .LBB113_211
; %bb.204:
	ds_read_b128 v[1:4], v106
	s_andn2_b32 vcc_lo, exec_lo, s58
	s_cbranch_vccnz .LBB113_206
; %bb.205:
	s_clause 0x3
	buffer_load_dword v107, v105, s[0:3], 0 offen offset:8
	buffer_load_dword v108, v105, s[0:3], 0 offen offset:12
	buffer_load_dword v109, v105, s[0:3], 0 offen
	buffer_load_dword v110, v105, s[0:3], 0 offen offset:4
	s_waitcnt vmcnt(2) lgkmcnt(0)
	v_mul_f64 v[112:113], v[3:4], v[107:108]
	v_mul_f64 v[107:108], v[1:2], v[107:108]
	s_waitcnt vmcnt(0)
	v_fma_f64 v[1:2], v[1:2], v[109:110], -v[112:113]
	v_fma_f64 v[3:4], v[3:4], v[109:110], v[107:108]
.LBB113_206:
	s_and_saveexec_b32 s8, s4
	s_cbranch_execz .LBB113_210
; %bb.207:
	v_subrev_nc_u32_e32 v107, 24, v0
	s_movk_i32 s59, 0x4a0
	s_mov_b32 s4, 0
	s_mov_b32 s60, s34
	.p2align	6
.LBB113_208:                            ; =>This Inner Loop Header: Depth=1
	v_mov_b32_e32 v110, s60
	v_add_nc_u32_e32 v107, -1, v107
	s_add_i32 s60, s60, 16
	s_clause 0x3
	buffer_load_dword v108, v110, s[0:3], 0 offen offset:8
	buffer_load_dword v109, v110, s[0:3], 0 offen offset:12
	buffer_load_dword v116, v110, s[0:3], 0 offen
	buffer_load_dword v117, v110, s[0:3], 0 offen offset:4
	v_mov_b32_e32 v110, s59
	v_cmp_eq_u32_e32 vcc_lo, 0, v107
	s_add_i32 s59, s59, 16
	ds_read_b128 v[112:115], v110
	s_or_b32 s4, vcc_lo, s4
	s_waitcnt vmcnt(2) lgkmcnt(0)
	v_mul_f64 v[118:119], v[114:115], v[108:109]
	v_mul_f64 v[108:109], v[112:113], v[108:109]
	s_waitcnt vmcnt(0)
	v_fma_f64 v[112:113], v[112:113], v[116:117], -v[118:119]
	v_fma_f64 v[108:109], v[114:115], v[116:117], v[108:109]
	v_add_f64 v[1:2], v[1:2], v[112:113]
	v_add_f64 v[3:4], v[3:4], v[108:109]
	s_andn2_b32 exec_lo, exec_lo, s4
	s_cbranch_execnz .LBB113_208
; %bb.209:
	s_or_b32 exec_lo, exec_lo, s4
.LBB113_210:
	s_or_b32 exec_lo, exec_lo, s8
	v_mov_b32_e32 v107, 0
	ds_read_b128 v[107:110], v107 offset:368
	s_waitcnt lgkmcnt(0)
	v_mul_f64 v[112:113], v[3:4], v[109:110]
	v_mul_f64 v[109:110], v[1:2], v[109:110]
	v_fma_f64 v[1:2], v[1:2], v[107:108], -v[112:113]
	v_fma_f64 v[3:4], v[3:4], v[107:108], v[109:110]
	buffer_store_dword v2, off, s[0:3], 0 offset:372
	buffer_store_dword v1, off, s[0:3], 0 offset:368
	;; [unrolled: 1-line block ×4, first 2 shown]
.LBB113_211:
	s_or_b32 exec_lo, exec_lo, s6
	v_mov_b32_e32 v4, s36
	v_cmp_lt_u32_e64 s4, 22, v0
	s_clause 0x3
	buffer_load_dword v1, v4, s[0:3], 0 offen
	buffer_load_dword v2, v4, s[0:3], 0 offen offset:4
	buffer_load_dword v3, v4, s[0:3], 0 offen offset:8
	;; [unrolled: 1-line block ×3, first 2 shown]
	s_waitcnt vmcnt(0)
	ds_write_b128 v106, v[1:4]
	s_waitcnt lgkmcnt(0)
	s_waitcnt_vscnt null, 0x0
	s_barrier
	buffer_gl0_inv
	s_and_saveexec_b32 s6, s4
	s_cbranch_execz .LBB113_219
; %bb.212:
	ds_read_b128 v[1:4], v106
	s_andn2_b32 vcc_lo, exec_lo, s58
	s_cbranch_vccnz .LBB113_214
; %bb.213:
	s_clause 0x3
	buffer_load_dword v107, v105, s[0:3], 0 offen offset:8
	buffer_load_dword v108, v105, s[0:3], 0 offen offset:12
	buffer_load_dword v109, v105, s[0:3], 0 offen
	buffer_load_dword v110, v105, s[0:3], 0 offen offset:4
	s_waitcnt vmcnt(2) lgkmcnt(0)
	v_mul_f64 v[112:113], v[3:4], v[107:108]
	v_mul_f64 v[107:108], v[1:2], v[107:108]
	s_waitcnt vmcnt(0)
	v_fma_f64 v[1:2], v[1:2], v[109:110], -v[112:113]
	v_fma_f64 v[3:4], v[3:4], v[109:110], v[107:108]
.LBB113_214:
	s_and_saveexec_b32 s8, s5
	s_cbranch_execz .LBB113_218
; %bb.215:
	v_subrev_nc_u32_e32 v107, 23, v0
	s_movk_i32 s59, 0x490
	s_mov_b32 s5, 0
	s_mov_b32 s60, s35
	.p2align	6
.LBB113_216:                            ; =>This Inner Loop Header: Depth=1
	v_mov_b32_e32 v110, s60
	v_add_nc_u32_e32 v107, -1, v107
	s_add_i32 s60, s60, 16
	s_clause 0x3
	buffer_load_dword v108, v110, s[0:3], 0 offen offset:8
	buffer_load_dword v109, v110, s[0:3], 0 offen offset:12
	buffer_load_dword v116, v110, s[0:3], 0 offen
	buffer_load_dword v117, v110, s[0:3], 0 offen offset:4
	v_mov_b32_e32 v110, s59
	v_cmp_eq_u32_e32 vcc_lo, 0, v107
	s_add_i32 s59, s59, 16
	ds_read_b128 v[112:115], v110
	s_or_b32 s5, vcc_lo, s5
	s_waitcnt vmcnt(2) lgkmcnt(0)
	v_mul_f64 v[118:119], v[114:115], v[108:109]
	v_mul_f64 v[108:109], v[112:113], v[108:109]
	s_waitcnt vmcnt(0)
	v_fma_f64 v[112:113], v[112:113], v[116:117], -v[118:119]
	v_fma_f64 v[108:109], v[114:115], v[116:117], v[108:109]
	v_add_f64 v[1:2], v[1:2], v[112:113]
	v_add_f64 v[3:4], v[3:4], v[108:109]
	s_andn2_b32 exec_lo, exec_lo, s5
	s_cbranch_execnz .LBB113_216
; %bb.217:
	s_or_b32 exec_lo, exec_lo, s5
.LBB113_218:
	s_or_b32 exec_lo, exec_lo, s8
	v_mov_b32_e32 v107, 0
	ds_read_b128 v[107:110], v107 offset:352
	s_waitcnt lgkmcnt(0)
	v_mul_f64 v[112:113], v[3:4], v[109:110]
	v_mul_f64 v[109:110], v[1:2], v[109:110]
	v_fma_f64 v[1:2], v[1:2], v[107:108], -v[112:113]
	v_fma_f64 v[3:4], v[3:4], v[107:108], v[109:110]
	buffer_store_dword v2, off, s[0:3], 0 offset:356
	buffer_store_dword v1, off, s[0:3], 0 offset:352
	buffer_store_dword v4, off, s[0:3], 0 offset:364
	buffer_store_dword v3, off, s[0:3], 0 offset:360
.LBB113_219:
	s_or_b32 exec_lo, exec_lo, s6
	v_mov_b32_e32 v4, s37
	v_cmp_lt_u32_e64 s5, 21, v0
	s_clause 0x3
	buffer_load_dword v1, v4, s[0:3], 0 offen
	buffer_load_dword v2, v4, s[0:3], 0 offen offset:4
	buffer_load_dword v3, v4, s[0:3], 0 offen offset:8
	;; [unrolled: 1-line block ×3, first 2 shown]
	s_waitcnt vmcnt(0)
	ds_write_b128 v106, v[1:4]
	s_waitcnt lgkmcnt(0)
	s_waitcnt_vscnt null, 0x0
	s_barrier
	buffer_gl0_inv
	s_and_saveexec_b32 s6, s5
	s_cbranch_execz .LBB113_227
; %bb.220:
	ds_read_b128 v[1:4], v106
	s_andn2_b32 vcc_lo, exec_lo, s58
	s_cbranch_vccnz .LBB113_222
; %bb.221:
	s_clause 0x3
	buffer_load_dword v107, v105, s[0:3], 0 offen offset:8
	buffer_load_dword v108, v105, s[0:3], 0 offen offset:12
	buffer_load_dword v109, v105, s[0:3], 0 offen
	buffer_load_dword v110, v105, s[0:3], 0 offen offset:4
	s_waitcnt vmcnt(2) lgkmcnt(0)
	v_mul_f64 v[112:113], v[3:4], v[107:108]
	v_mul_f64 v[107:108], v[1:2], v[107:108]
	s_waitcnt vmcnt(0)
	v_fma_f64 v[1:2], v[1:2], v[109:110], -v[112:113]
	v_fma_f64 v[3:4], v[3:4], v[109:110], v[107:108]
.LBB113_222:
	s_and_saveexec_b32 s8, s4
	s_cbranch_execz .LBB113_226
; %bb.223:
	v_subrev_nc_u32_e32 v107, 22, v0
	s_movk_i32 s59, 0x480
	s_mov_b32 s4, 0
	s_mov_b32 s60, s36
	.p2align	6
.LBB113_224:                            ; =>This Inner Loop Header: Depth=1
	v_mov_b32_e32 v110, s60
	v_add_nc_u32_e32 v107, -1, v107
	s_add_i32 s60, s60, 16
	s_clause 0x3
	buffer_load_dword v108, v110, s[0:3], 0 offen offset:8
	buffer_load_dword v109, v110, s[0:3], 0 offen offset:12
	buffer_load_dword v116, v110, s[0:3], 0 offen
	buffer_load_dword v117, v110, s[0:3], 0 offen offset:4
	v_mov_b32_e32 v110, s59
	v_cmp_eq_u32_e32 vcc_lo, 0, v107
	s_add_i32 s59, s59, 16
	ds_read_b128 v[112:115], v110
	s_or_b32 s4, vcc_lo, s4
	s_waitcnt vmcnt(2) lgkmcnt(0)
	v_mul_f64 v[118:119], v[114:115], v[108:109]
	v_mul_f64 v[108:109], v[112:113], v[108:109]
	s_waitcnt vmcnt(0)
	v_fma_f64 v[112:113], v[112:113], v[116:117], -v[118:119]
	v_fma_f64 v[108:109], v[114:115], v[116:117], v[108:109]
	v_add_f64 v[1:2], v[1:2], v[112:113]
	v_add_f64 v[3:4], v[3:4], v[108:109]
	s_andn2_b32 exec_lo, exec_lo, s4
	s_cbranch_execnz .LBB113_224
; %bb.225:
	s_or_b32 exec_lo, exec_lo, s4
.LBB113_226:
	s_or_b32 exec_lo, exec_lo, s8
	v_mov_b32_e32 v107, 0
	ds_read_b128 v[107:110], v107 offset:336
	s_waitcnt lgkmcnt(0)
	v_mul_f64 v[112:113], v[3:4], v[109:110]
	v_mul_f64 v[109:110], v[1:2], v[109:110]
	v_fma_f64 v[1:2], v[1:2], v[107:108], -v[112:113]
	v_fma_f64 v[3:4], v[3:4], v[107:108], v[109:110]
	buffer_store_dword v2, off, s[0:3], 0 offset:340
	buffer_store_dword v1, off, s[0:3], 0 offset:336
	;; [unrolled: 1-line block ×4, first 2 shown]
.LBB113_227:
	s_or_b32 exec_lo, exec_lo, s6
	v_mov_b32_e32 v4, s38
	v_cmp_lt_u32_e64 s4, 20, v0
	s_clause 0x3
	buffer_load_dword v1, v4, s[0:3], 0 offen
	buffer_load_dword v2, v4, s[0:3], 0 offen offset:4
	buffer_load_dword v3, v4, s[0:3], 0 offen offset:8
	;; [unrolled: 1-line block ×3, first 2 shown]
	s_waitcnt vmcnt(0)
	ds_write_b128 v106, v[1:4]
	s_waitcnt lgkmcnt(0)
	s_waitcnt_vscnt null, 0x0
	s_barrier
	buffer_gl0_inv
	s_and_saveexec_b32 s6, s4
	s_cbranch_execz .LBB113_235
; %bb.228:
	ds_read_b128 v[1:4], v106
	s_andn2_b32 vcc_lo, exec_lo, s58
	s_cbranch_vccnz .LBB113_230
; %bb.229:
	s_clause 0x3
	buffer_load_dword v107, v105, s[0:3], 0 offen offset:8
	buffer_load_dword v108, v105, s[0:3], 0 offen offset:12
	buffer_load_dword v109, v105, s[0:3], 0 offen
	buffer_load_dword v110, v105, s[0:3], 0 offen offset:4
	s_waitcnt vmcnt(2) lgkmcnt(0)
	v_mul_f64 v[112:113], v[3:4], v[107:108]
	v_mul_f64 v[107:108], v[1:2], v[107:108]
	s_waitcnt vmcnt(0)
	v_fma_f64 v[1:2], v[1:2], v[109:110], -v[112:113]
	v_fma_f64 v[3:4], v[3:4], v[109:110], v[107:108]
.LBB113_230:
	s_and_saveexec_b32 s8, s5
	s_cbranch_execz .LBB113_234
; %bb.231:
	v_subrev_nc_u32_e32 v107, 21, v0
	s_movk_i32 s59, 0x470
	s_mov_b32 s5, 0
	s_mov_b32 s60, s37
	.p2align	6
.LBB113_232:                            ; =>This Inner Loop Header: Depth=1
	v_mov_b32_e32 v110, s60
	v_add_nc_u32_e32 v107, -1, v107
	s_add_i32 s60, s60, 16
	s_clause 0x3
	buffer_load_dword v108, v110, s[0:3], 0 offen offset:8
	buffer_load_dword v109, v110, s[0:3], 0 offen offset:12
	buffer_load_dword v116, v110, s[0:3], 0 offen
	buffer_load_dword v117, v110, s[0:3], 0 offen offset:4
	v_mov_b32_e32 v110, s59
	v_cmp_eq_u32_e32 vcc_lo, 0, v107
	s_add_i32 s59, s59, 16
	ds_read_b128 v[112:115], v110
	s_or_b32 s5, vcc_lo, s5
	s_waitcnt vmcnt(2) lgkmcnt(0)
	v_mul_f64 v[118:119], v[114:115], v[108:109]
	v_mul_f64 v[108:109], v[112:113], v[108:109]
	s_waitcnt vmcnt(0)
	v_fma_f64 v[112:113], v[112:113], v[116:117], -v[118:119]
	v_fma_f64 v[108:109], v[114:115], v[116:117], v[108:109]
	v_add_f64 v[1:2], v[1:2], v[112:113]
	v_add_f64 v[3:4], v[3:4], v[108:109]
	s_andn2_b32 exec_lo, exec_lo, s5
	s_cbranch_execnz .LBB113_232
; %bb.233:
	s_or_b32 exec_lo, exec_lo, s5
.LBB113_234:
	s_or_b32 exec_lo, exec_lo, s8
	v_mov_b32_e32 v107, 0
	ds_read_b128 v[107:110], v107 offset:320
	s_waitcnt lgkmcnt(0)
	v_mul_f64 v[112:113], v[3:4], v[109:110]
	v_mul_f64 v[109:110], v[1:2], v[109:110]
	v_fma_f64 v[1:2], v[1:2], v[107:108], -v[112:113]
	v_fma_f64 v[3:4], v[3:4], v[107:108], v[109:110]
	buffer_store_dword v2, off, s[0:3], 0 offset:324
	buffer_store_dword v1, off, s[0:3], 0 offset:320
	;; [unrolled: 1-line block ×4, first 2 shown]
.LBB113_235:
	s_or_b32 exec_lo, exec_lo, s6
	v_mov_b32_e32 v4, s39
	v_cmp_lt_u32_e64 s5, 19, v0
	s_clause 0x3
	buffer_load_dword v1, v4, s[0:3], 0 offen
	buffer_load_dword v2, v4, s[0:3], 0 offen offset:4
	buffer_load_dword v3, v4, s[0:3], 0 offen offset:8
	buffer_load_dword v4, v4, s[0:3], 0 offen offset:12
	s_waitcnt vmcnt(0)
	ds_write_b128 v106, v[1:4]
	s_waitcnt lgkmcnt(0)
	s_waitcnt_vscnt null, 0x0
	s_barrier
	buffer_gl0_inv
	s_and_saveexec_b32 s6, s5
	s_cbranch_execz .LBB113_243
; %bb.236:
	ds_read_b128 v[1:4], v106
	s_andn2_b32 vcc_lo, exec_lo, s58
	s_cbranch_vccnz .LBB113_238
; %bb.237:
	s_clause 0x3
	buffer_load_dword v107, v105, s[0:3], 0 offen offset:8
	buffer_load_dword v108, v105, s[0:3], 0 offen offset:12
	buffer_load_dword v109, v105, s[0:3], 0 offen
	buffer_load_dword v110, v105, s[0:3], 0 offen offset:4
	s_waitcnt vmcnt(2) lgkmcnt(0)
	v_mul_f64 v[112:113], v[3:4], v[107:108]
	v_mul_f64 v[107:108], v[1:2], v[107:108]
	s_waitcnt vmcnt(0)
	v_fma_f64 v[1:2], v[1:2], v[109:110], -v[112:113]
	v_fma_f64 v[3:4], v[3:4], v[109:110], v[107:108]
.LBB113_238:
	s_and_saveexec_b32 s8, s4
	s_cbranch_execz .LBB113_242
; %bb.239:
	v_subrev_nc_u32_e32 v107, 20, v0
	s_movk_i32 s59, 0x460
	s_mov_b32 s4, 0
	s_mov_b32 s60, s38
	.p2align	6
.LBB113_240:                            ; =>This Inner Loop Header: Depth=1
	v_mov_b32_e32 v110, s60
	v_add_nc_u32_e32 v107, -1, v107
	s_add_i32 s60, s60, 16
	s_clause 0x3
	buffer_load_dword v108, v110, s[0:3], 0 offen offset:8
	buffer_load_dword v109, v110, s[0:3], 0 offen offset:12
	buffer_load_dword v116, v110, s[0:3], 0 offen
	buffer_load_dword v117, v110, s[0:3], 0 offen offset:4
	v_mov_b32_e32 v110, s59
	v_cmp_eq_u32_e32 vcc_lo, 0, v107
	s_add_i32 s59, s59, 16
	ds_read_b128 v[112:115], v110
	s_or_b32 s4, vcc_lo, s4
	s_waitcnt vmcnt(2) lgkmcnt(0)
	v_mul_f64 v[118:119], v[114:115], v[108:109]
	v_mul_f64 v[108:109], v[112:113], v[108:109]
	s_waitcnt vmcnt(0)
	v_fma_f64 v[112:113], v[112:113], v[116:117], -v[118:119]
	v_fma_f64 v[108:109], v[114:115], v[116:117], v[108:109]
	v_add_f64 v[1:2], v[1:2], v[112:113]
	v_add_f64 v[3:4], v[3:4], v[108:109]
	s_andn2_b32 exec_lo, exec_lo, s4
	s_cbranch_execnz .LBB113_240
; %bb.241:
	s_or_b32 exec_lo, exec_lo, s4
.LBB113_242:
	s_or_b32 exec_lo, exec_lo, s8
	v_mov_b32_e32 v107, 0
	ds_read_b128 v[107:110], v107 offset:304
	s_waitcnt lgkmcnt(0)
	v_mul_f64 v[112:113], v[3:4], v[109:110]
	v_mul_f64 v[109:110], v[1:2], v[109:110]
	v_fma_f64 v[1:2], v[1:2], v[107:108], -v[112:113]
	v_fma_f64 v[3:4], v[3:4], v[107:108], v[109:110]
	buffer_store_dword v2, off, s[0:3], 0 offset:308
	buffer_store_dword v1, off, s[0:3], 0 offset:304
	;; [unrolled: 1-line block ×4, first 2 shown]
.LBB113_243:
	s_or_b32 exec_lo, exec_lo, s6
	v_mov_b32_e32 v4, s40
	v_cmp_lt_u32_e64 s4, 18, v0
	s_clause 0x3
	buffer_load_dword v1, v4, s[0:3], 0 offen
	buffer_load_dword v2, v4, s[0:3], 0 offen offset:4
	buffer_load_dword v3, v4, s[0:3], 0 offen offset:8
	;; [unrolled: 1-line block ×3, first 2 shown]
	s_waitcnt vmcnt(0)
	ds_write_b128 v106, v[1:4]
	s_waitcnt lgkmcnt(0)
	s_waitcnt_vscnt null, 0x0
	s_barrier
	buffer_gl0_inv
	s_and_saveexec_b32 s6, s4
	s_cbranch_execz .LBB113_251
; %bb.244:
	ds_read_b128 v[1:4], v106
	s_andn2_b32 vcc_lo, exec_lo, s58
	s_cbranch_vccnz .LBB113_246
; %bb.245:
	s_clause 0x3
	buffer_load_dword v107, v105, s[0:3], 0 offen offset:8
	buffer_load_dword v108, v105, s[0:3], 0 offen offset:12
	buffer_load_dword v109, v105, s[0:3], 0 offen
	buffer_load_dword v110, v105, s[0:3], 0 offen offset:4
	s_waitcnt vmcnt(2) lgkmcnt(0)
	v_mul_f64 v[112:113], v[3:4], v[107:108]
	v_mul_f64 v[107:108], v[1:2], v[107:108]
	s_waitcnt vmcnt(0)
	v_fma_f64 v[1:2], v[1:2], v[109:110], -v[112:113]
	v_fma_f64 v[3:4], v[3:4], v[109:110], v[107:108]
.LBB113_246:
	s_and_saveexec_b32 s8, s5
	s_cbranch_execz .LBB113_250
; %bb.247:
	v_subrev_nc_u32_e32 v107, 19, v0
	s_movk_i32 s59, 0x450
	s_mov_b32 s5, 0
	s_mov_b32 s60, s39
	.p2align	6
.LBB113_248:                            ; =>This Inner Loop Header: Depth=1
	v_mov_b32_e32 v110, s60
	v_add_nc_u32_e32 v107, -1, v107
	s_add_i32 s60, s60, 16
	s_clause 0x3
	buffer_load_dword v108, v110, s[0:3], 0 offen offset:8
	buffer_load_dword v109, v110, s[0:3], 0 offen offset:12
	buffer_load_dword v116, v110, s[0:3], 0 offen
	buffer_load_dword v117, v110, s[0:3], 0 offen offset:4
	v_mov_b32_e32 v110, s59
	v_cmp_eq_u32_e32 vcc_lo, 0, v107
	s_add_i32 s59, s59, 16
	ds_read_b128 v[112:115], v110
	s_or_b32 s5, vcc_lo, s5
	s_waitcnt vmcnt(2) lgkmcnt(0)
	v_mul_f64 v[118:119], v[114:115], v[108:109]
	v_mul_f64 v[108:109], v[112:113], v[108:109]
	s_waitcnt vmcnt(0)
	v_fma_f64 v[112:113], v[112:113], v[116:117], -v[118:119]
	v_fma_f64 v[108:109], v[114:115], v[116:117], v[108:109]
	v_add_f64 v[1:2], v[1:2], v[112:113]
	v_add_f64 v[3:4], v[3:4], v[108:109]
	s_andn2_b32 exec_lo, exec_lo, s5
	s_cbranch_execnz .LBB113_248
; %bb.249:
	s_or_b32 exec_lo, exec_lo, s5
.LBB113_250:
	s_or_b32 exec_lo, exec_lo, s8
	v_mov_b32_e32 v107, 0
	ds_read_b128 v[107:110], v107 offset:288
	s_waitcnt lgkmcnt(0)
	v_mul_f64 v[112:113], v[3:4], v[109:110]
	v_mul_f64 v[109:110], v[1:2], v[109:110]
	v_fma_f64 v[1:2], v[1:2], v[107:108], -v[112:113]
	v_fma_f64 v[3:4], v[3:4], v[107:108], v[109:110]
	buffer_store_dword v2, off, s[0:3], 0 offset:292
	buffer_store_dword v1, off, s[0:3], 0 offset:288
	;; [unrolled: 1-line block ×4, first 2 shown]
.LBB113_251:
	s_or_b32 exec_lo, exec_lo, s6
	v_mov_b32_e32 v4, s41
	v_cmp_lt_u32_e64 s5, 17, v0
	s_clause 0x3
	buffer_load_dword v1, v4, s[0:3], 0 offen
	buffer_load_dword v2, v4, s[0:3], 0 offen offset:4
	buffer_load_dword v3, v4, s[0:3], 0 offen offset:8
	;; [unrolled: 1-line block ×3, first 2 shown]
	s_waitcnt vmcnt(0)
	ds_write_b128 v106, v[1:4]
	s_waitcnt lgkmcnt(0)
	s_waitcnt_vscnt null, 0x0
	s_barrier
	buffer_gl0_inv
	s_and_saveexec_b32 s6, s5
	s_cbranch_execz .LBB113_259
; %bb.252:
	ds_read_b128 v[1:4], v106
	s_andn2_b32 vcc_lo, exec_lo, s58
	s_cbranch_vccnz .LBB113_254
; %bb.253:
	s_clause 0x3
	buffer_load_dword v107, v105, s[0:3], 0 offen offset:8
	buffer_load_dword v108, v105, s[0:3], 0 offen offset:12
	buffer_load_dword v109, v105, s[0:3], 0 offen
	buffer_load_dword v110, v105, s[0:3], 0 offen offset:4
	s_waitcnt vmcnt(2) lgkmcnt(0)
	v_mul_f64 v[112:113], v[3:4], v[107:108]
	v_mul_f64 v[107:108], v[1:2], v[107:108]
	s_waitcnt vmcnt(0)
	v_fma_f64 v[1:2], v[1:2], v[109:110], -v[112:113]
	v_fma_f64 v[3:4], v[3:4], v[109:110], v[107:108]
.LBB113_254:
	s_and_saveexec_b32 s8, s4
	s_cbranch_execz .LBB113_258
; %bb.255:
	v_subrev_nc_u32_e32 v107, 18, v0
	s_movk_i32 s59, 0x440
	s_mov_b32 s4, 0
	s_mov_b32 s60, s40
	.p2align	6
.LBB113_256:                            ; =>This Inner Loop Header: Depth=1
	v_mov_b32_e32 v110, s60
	v_add_nc_u32_e32 v107, -1, v107
	s_add_i32 s60, s60, 16
	s_clause 0x3
	buffer_load_dword v108, v110, s[0:3], 0 offen offset:8
	buffer_load_dword v109, v110, s[0:3], 0 offen offset:12
	buffer_load_dword v116, v110, s[0:3], 0 offen
	buffer_load_dword v117, v110, s[0:3], 0 offen offset:4
	v_mov_b32_e32 v110, s59
	v_cmp_eq_u32_e32 vcc_lo, 0, v107
	s_add_i32 s59, s59, 16
	ds_read_b128 v[112:115], v110
	s_or_b32 s4, vcc_lo, s4
	s_waitcnt vmcnt(2) lgkmcnt(0)
	v_mul_f64 v[118:119], v[114:115], v[108:109]
	v_mul_f64 v[108:109], v[112:113], v[108:109]
	s_waitcnt vmcnt(0)
	v_fma_f64 v[112:113], v[112:113], v[116:117], -v[118:119]
	v_fma_f64 v[108:109], v[114:115], v[116:117], v[108:109]
	v_add_f64 v[1:2], v[1:2], v[112:113]
	v_add_f64 v[3:4], v[3:4], v[108:109]
	s_andn2_b32 exec_lo, exec_lo, s4
	s_cbranch_execnz .LBB113_256
; %bb.257:
	s_or_b32 exec_lo, exec_lo, s4
.LBB113_258:
	s_or_b32 exec_lo, exec_lo, s8
	v_mov_b32_e32 v107, 0
	ds_read_b128 v[107:110], v107 offset:272
	s_waitcnt lgkmcnt(0)
	v_mul_f64 v[112:113], v[3:4], v[109:110]
	v_mul_f64 v[109:110], v[1:2], v[109:110]
	v_fma_f64 v[1:2], v[1:2], v[107:108], -v[112:113]
	v_fma_f64 v[3:4], v[3:4], v[107:108], v[109:110]
	buffer_store_dword v2, off, s[0:3], 0 offset:276
	buffer_store_dword v1, off, s[0:3], 0 offset:272
	;; [unrolled: 1-line block ×4, first 2 shown]
.LBB113_259:
	s_or_b32 exec_lo, exec_lo, s6
	v_mov_b32_e32 v4, s42
	v_cmp_lt_u32_e64 s4, 16, v0
	s_clause 0x3
	buffer_load_dword v1, v4, s[0:3], 0 offen
	buffer_load_dword v2, v4, s[0:3], 0 offen offset:4
	buffer_load_dword v3, v4, s[0:3], 0 offen offset:8
	;; [unrolled: 1-line block ×3, first 2 shown]
	s_waitcnt vmcnt(0)
	ds_write_b128 v106, v[1:4]
	s_waitcnt lgkmcnt(0)
	s_waitcnt_vscnt null, 0x0
	s_barrier
	buffer_gl0_inv
	s_and_saveexec_b32 s6, s4
	s_cbranch_execz .LBB113_267
; %bb.260:
	ds_read_b128 v[1:4], v106
	s_andn2_b32 vcc_lo, exec_lo, s58
	s_cbranch_vccnz .LBB113_262
; %bb.261:
	s_clause 0x3
	buffer_load_dword v107, v105, s[0:3], 0 offen offset:8
	buffer_load_dword v108, v105, s[0:3], 0 offen offset:12
	buffer_load_dword v109, v105, s[0:3], 0 offen
	buffer_load_dword v110, v105, s[0:3], 0 offen offset:4
	s_waitcnt vmcnt(2) lgkmcnt(0)
	v_mul_f64 v[112:113], v[3:4], v[107:108]
	v_mul_f64 v[107:108], v[1:2], v[107:108]
	s_waitcnt vmcnt(0)
	v_fma_f64 v[1:2], v[1:2], v[109:110], -v[112:113]
	v_fma_f64 v[3:4], v[3:4], v[109:110], v[107:108]
.LBB113_262:
	s_and_saveexec_b32 s8, s5
	s_cbranch_execz .LBB113_266
; %bb.263:
	v_subrev_nc_u32_e32 v107, 17, v0
	s_movk_i32 s59, 0x430
	s_mov_b32 s5, 0
	s_mov_b32 s60, s41
	.p2align	6
.LBB113_264:                            ; =>This Inner Loop Header: Depth=1
	v_mov_b32_e32 v110, s60
	v_add_nc_u32_e32 v107, -1, v107
	s_add_i32 s60, s60, 16
	s_clause 0x3
	buffer_load_dword v108, v110, s[0:3], 0 offen offset:8
	buffer_load_dword v109, v110, s[0:3], 0 offen offset:12
	buffer_load_dword v116, v110, s[0:3], 0 offen
	buffer_load_dword v117, v110, s[0:3], 0 offen offset:4
	v_mov_b32_e32 v110, s59
	v_cmp_eq_u32_e32 vcc_lo, 0, v107
	s_add_i32 s59, s59, 16
	ds_read_b128 v[112:115], v110
	s_or_b32 s5, vcc_lo, s5
	s_waitcnt vmcnt(2) lgkmcnt(0)
	v_mul_f64 v[118:119], v[114:115], v[108:109]
	v_mul_f64 v[108:109], v[112:113], v[108:109]
	s_waitcnt vmcnt(0)
	v_fma_f64 v[112:113], v[112:113], v[116:117], -v[118:119]
	v_fma_f64 v[108:109], v[114:115], v[116:117], v[108:109]
	v_add_f64 v[1:2], v[1:2], v[112:113]
	v_add_f64 v[3:4], v[3:4], v[108:109]
	s_andn2_b32 exec_lo, exec_lo, s5
	s_cbranch_execnz .LBB113_264
; %bb.265:
	s_or_b32 exec_lo, exec_lo, s5
.LBB113_266:
	s_or_b32 exec_lo, exec_lo, s8
	v_mov_b32_e32 v107, 0
	ds_read_b128 v[107:110], v107 offset:256
	s_waitcnt lgkmcnt(0)
	v_mul_f64 v[112:113], v[3:4], v[109:110]
	v_mul_f64 v[109:110], v[1:2], v[109:110]
	v_fma_f64 v[1:2], v[1:2], v[107:108], -v[112:113]
	v_fma_f64 v[3:4], v[3:4], v[107:108], v[109:110]
	buffer_store_dword v2, off, s[0:3], 0 offset:260
	buffer_store_dword v1, off, s[0:3], 0 offset:256
	;; [unrolled: 1-line block ×4, first 2 shown]
.LBB113_267:
	s_or_b32 exec_lo, exec_lo, s6
	v_mov_b32_e32 v4, s43
	v_cmp_lt_u32_e64 s5, 15, v0
	s_clause 0x3
	buffer_load_dword v1, v4, s[0:3], 0 offen
	buffer_load_dword v2, v4, s[0:3], 0 offen offset:4
	buffer_load_dword v3, v4, s[0:3], 0 offen offset:8
	;; [unrolled: 1-line block ×3, first 2 shown]
	s_waitcnt vmcnt(0)
	ds_write_b128 v106, v[1:4]
	s_waitcnt lgkmcnt(0)
	s_waitcnt_vscnt null, 0x0
	s_barrier
	buffer_gl0_inv
	s_and_saveexec_b32 s6, s5
	s_cbranch_execz .LBB113_275
; %bb.268:
	ds_read_b128 v[1:4], v106
	s_andn2_b32 vcc_lo, exec_lo, s58
	s_cbranch_vccnz .LBB113_270
; %bb.269:
	s_clause 0x3
	buffer_load_dword v107, v105, s[0:3], 0 offen offset:8
	buffer_load_dword v108, v105, s[0:3], 0 offen offset:12
	buffer_load_dword v109, v105, s[0:3], 0 offen
	buffer_load_dword v110, v105, s[0:3], 0 offen offset:4
	s_waitcnt vmcnt(2) lgkmcnt(0)
	v_mul_f64 v[112:113], v[3:4], v[107:108]
	v_mul_f64 v[107:108], v[1:2], v[107:108]
	s_waitcnt vmcnt(0)
	v_fma_f64 v[1:2], v[1:2], v[109:110], -v[112:113]
	v_fma_f64 v[3:4], v[3:4], v[109:110], v[107:108]
.LBB113_270:
	s_and_saveexec_b32 s8, s4
	s_cbranch_execz .LBB113_274
; %bb.271:
	v_add_nc_u32_e32 v107, -16, v0
	s_movk_i32 s59, 0x420
	s_mov_b32 s4, 0
	s_mov_b32 s60, s42
	.p2align	6
.LBB113_272:                            ; =>This Inner Loop Header: Depth=1
	v_mov_b32_e32 v110, s60
	v_add_nc_u32_e32 v107, -1, v107
	s_add_i32 s60, s60, 16
	s_clause 0x3
	buffer_load_dword v108, v110, s[0:3], 0 offen offset:8
	buffer_load_dword v109, v110, s[0:3], 0 offen offset:12
	buffer_load_dword v116, v110, s[0:3], 0 offen
	buffer_load_dword v117, v110, s[0:3], 0 offen offset:4
	v_mov_b32_e32 v110, s59
	v_cmp_eq_u32_e32 vcc_lo, 0, v107
	s_add_i32 s59, s59, 16
	ds_read_b128 v[112:115], v110
	s_or_b32 s4, vcc_lo, s4
	s_waitcnt vmcnt(2) lgkmcnt(0)
	v_mul_f64 v[118:119], v[114:115], v[108:109]
	v_mul_f64 v[108:109], v[112:113], v[108:109]
	s_waitcnt vmcnt(0)
	v_fma_f64 v[112:113], v[112:113], v[116:117], -v[118:119]
	v_fma_f64 v[108:109], v[114:115], v[116:117], v[108:109]
	v_add_f64 v[1:2], v[1:2], v[112:113]
	v_add_f64 v[3:4], v[3:4], v[108:109]
	s_andn2_b32 exec_lo, exec_lo, s4
	s_cbranch_execnz .LBB113_272
; %bb.273:
	s_or_b32 exec_lo, exec_lo, s4
.LBB113_274:
	s_or_b32 exec_lo, exec_lo, s8
	v_mov_b32_e32 v107, 0
	ds_read_b128 v[107:110], v107 offset:240
	s_waitcnt lgkmcnt(0)
	v_mul_f64 v[112:113], v[3:4], v[109:110]
	v_mul_f64 v[109:110], v[1:2], v[109:110]
	v_fma_f64 v[1:2], v[1:2], v[107:108], -v[112:113]
	v_fma_f64 v[3:4], v[3:4], v[107:108], v[109:110]
	buffer_store_dword v2, off, s[0:3], 0 offset:244
	buffer_store_dword v1, off, s[0:3], 0 offset:240
	;; [unrolled: 1-line block ×4, first 2 shown]
.LBB113_275:
	s_or_b32 exec_lo, exec_lo, s6
	v_mov_b32_e32 v4, s44
	v_cmp_lt_u32_e64 s4, 14, v0
	s_clause 0x3
	buffer_load_dword v1, v4, s[0:3], 0 offen
	buffer_load_dword v2, v4, s[0:3], 0 offen offset:4
	buffer_load_dword v3, v4, s[0:3], 0 offen offset:8
	;; [unrolled: 1-line block ×3, first 2 shown]
	s_waitcnt vmcnt(0)
	ds_write_b128 v106, v[1:4]
	s_waitcnt lgkmcnt(0)
	s_waitcnt_vscnt null, 0x0
	s_barrier
	buffer_gl0_inv
	s_and_saveexec_b32 s6, s4
	s_cbranch_execz .LBB113_283
; %bb.276:
	ds_read_b128 v[1:4], v106
	s_andn2_b32 vcc_lo, exec_lo, s58
	s_cbranch_vccnz .LBB113_278
; %bb.277:
	s_clause 0x3
	buffer_load_dword v107, v105, s[0:3], 0 offen offset:8
	buffer_load_dword v108, v105, s[0:3], 0 offen offset:12
	buffer_load_dword v109, v105, s[0:3], 0 offen
	buffer_load_dword v110, v105, s[0:3], 0 offen offset:4
	s_waitcnt vmcnt(2) lgkmcnt(0)
	v_mul_f64 v[112:113], v[3:4], v[107:108]
	v_mul_f64 v[107:108], v[1:2], v[107:108]
	s_waitcnt vmcnt(0)
	v_fma_f64 v[1:2], v[1:2], v[109:110], -v[112:113]
	v_fma_f64 v[3:4], v[3:4], v[109:110], v[107:108]
.LBB113_278:
	s_and_saveexec_b32 s8, s5
	s_cbranch_execz .LBB113_282
; %bb.279:
	v_add_nc_u32_e32 v107, -15, v0
	s_movk_i32 s59, 0x410
	s_mov_b32 s5, 0
	s_mov_b32 s60, s43
	.p2align	6
.LBB113_280:                            ; =>This Inner Loop Header: Depth=1
	v_mov_b32_e32 v110, s60
	v_add_nc_u32_e32 v107, -1, v107
	s_add_i32 s60, s60, 16
	s_clause 0x3
	buffer_load_dword v108, v110, s[0:3], 0 offen offset:8
	buffer_load_dword v109, v110, s[0:3], 0 offen offset:12
	buffer_load_dword v116, v110, s[0:3], 0 offen
	buffer_load_dword v117, v110, s[0:3], 0 offen offset:4
	v_mov_b32_e32 v110, s59
	v_cmp_eq_u32_e32 vcc_lo, 0, v107
	s_add_i32 s59, s59, 16
	ds_read_b128 v[112:115], v110
	s_or_b32 s5, vcc_lo, s5
	s_waitcnt vmcnt(2) lgkmcnt(0)
	v_mul_f64 v[118:119], v[114:115], v[108:109]
	v_mul_f64 v[108:109], v[112:113], v[108:109]
	s_waitcnt vmcnt(0)
	v_fma_f64 v[112:113], v[112:113], v[116:117], -v[118:119]
	v_fma_f64 v[108:109], v[114:115], v[116:117], v[108:109]
	v_add_f64 v[1:2], v[1:2], v[112:113]
	v_add_f64 v[3:4], v[3:4], v[108:109]
	s_andn2_b32 exec_lo, exec_lo, s5
	s_cbranch_execnz .LBB113_280
; %bb.281:
	s_or_b32 exec_lo, exec_lo, s5
.LBB113_282:
	s_or_b32 exec_lo, exec_lo, s8
	v_mov_b32_e32 v107, 0
	ds_read_b128 v[107:110], v107 offset:224
	s_waitcnt lgkmcnt(0)
	v_mul_f64 v[112:113], v[3:4], v[109:110]
	v_mul_f64 v[109:110], v[1:2], v[109:110]
	v_fma_f64 v[1:2], v[1:2], v[107:108], -v[112:113]
	v_fma_f64 v[3:4], v[3:4], v[107:108], v[109:110]
	buffer_store_dword v2, off, s[0:3], 0 offset:228
	buffer_store_dword v1, off, s[0:3], 0 offset:224
	;; [unrolled: 1-line block ×4, first 2 shown]
.LBB113_283:
	s_or_b32 exec_lo, exec_lo, s6
	v_mov_b32_e32 v4, s45
	v_cmp_lt_u32_e64 s5, 13, v0
	s_clause 0x3
	buffer_load_dword v1, v4, s[0:3], 0 offen
	buffer_load_dword v2, v4, s[0:3], 0 offen offset:4
	buffer_load_dword v3, v4, s[0:3], 0 offen offset:8
	;; [unrolled: 1-line block ×3, first 2 shown]
	s_waitcnt vmcnt(0)
	ds_write_b128 v106, v[1:4]
	s_waitcnt lgkmcnt(0)
	s_waitcnt_vscnt null, 0x0
	s_barrier
	buffer_gl0_inv
	s_and_saveexec_b32 s6, s5
	s_cbranch_execz .LBB113_291
; %bb.284:
	ds_read_b128 v[1:4], v106
	s_andn2_b32 vcc_lo, exec_lo, s58
	s_cbranch_vccnz .LBB113_286
; %bb.285:
	s_clause 0x3
	buffer_load_dword v107, v105, s[0:3], 0 offen offset:8
	buffer_load_dword v108, v105, s[0:3], 0 offen offset:12
	buffer_load_dword v109, v105, s[0:3], 0 offen
	buffer_load_dword v110, v105, s[0:3], 0 offen offset:4
	s_waitcnt vmcnt(2) lgkmcnt(0)
	v_mul_f64 v[112:113], v[3:4], v[107:108]
	v_mul_f64 v[107:108], v[1:2], v[107:108]
	s_waitcnt vmcnt(0)
	v_fma_f64 v[1:2], v[1:2], v[109:110], -v[112:113]
	v_fma_f64 v[3:4], v[3:4], v[109:110], v[107:108]
.LBB113_286:
	s_and_saveexec_b32 s8, s4
	s_cbranch_execz .LBB113_290
; %bb.287:
	v_add_nc_u32_e32 v107, -14, v0
	s_movk_i32 s59, 0x400
	s_mov_b32 s4, 0
	s_mov_b32 s60, s44
	.p2align	6
.LBB113_288:                            ; =>This Inner Loop Header: Depth=1
	v_mov_b32_e32 v110, s60
	v_add_nc_u32_e32 v107, -1, v107
	s_add_i32 s60, s60, 16
	s_clause 0x3
	buffer_load_dword v108, v110, s[0:3], 0 offen offset:8
	buffer_load_dword v109, v110, s[0:3], 0 offen offset:12
	buffer_load_dword v116, v110, s[0:3], 0 offen
	buffer_load_dword v117, v110, s[0:3], 0 offen offset:4
	v_mov_b32_e32 v110, s59
	v_cmp_eq_u32_e32 vcc_lo, 0, v107
	s_add_i32 s59, s59, 16
	ds_read_b128 v[112:115], v110
	s_or_b32 s4, vcc_lo, s4
	s_waitcnt vmcnt(2) lgkmcnt(0)
	v_mul_f64 v[118:119], v[114:115], v[108:109]
	v_mul_f64 v[108:109], v[112:113], v[108:109]
	s_waitcnt vmcnt(0)
	v_fma_f64 v[112:113], v[112:113], v[116:117], -v[118:119]
	v_fma_f64 v[108:109], v[114:115], v[116:117], v[108:109]
	v_add_f64 v[1:2], v[1:2], v[112:113]
	v_add_f64 v[3:4], v[3:4], v[108:109]
	s_andn2_b32 exec_lo, exec_lo, s4
	s_cbranch_execnz .LBB113_288
; %bb.289:
	s_or_b32 exec_lo, exec_lo, s4
.LBB113_290:
	s_or_b32 exec_lo, exec_lo, s8
	v_mov_b32_e32 v107, 0
	ds_read_b128 v[107:110], v107 offset:208
	s_waitcnt lgkmcnt(0)
	v_mul_f64 v[112:113], v[3:4], v[109:110]
	v_mul_f64 v[109:110], v[1:2], v[109:110]
	v_fma_f64 v[1:2], v[1:2], v[107:108], -v[112:113]
	v_fma_f64 v[3:4], v[3:4], v[107:108], v[109:110]
	buffer_store_dword v2, off, s[0:3], 0 offset:212
	buffer_store_dword v1, off, s[0:3], 0 offset:208
	;; [unrolled: 1-line block ×4, first 2 shown]
.LBB113_291:
	s_or_b32 exec_lo, exec_lo, s6
	v_mov_b32_e32 v4, s46
	v_cmp_lt_u32_e64 s4, 12, v0
	s_clause 0x3
	buffer_load_dword v1, v4, s[0:3], 0 offen
	buffer_load_dword v2, v4, s[0:3], 0 offen offset:4
	buffer_load_dword v3, v4, s[0:3], 0 offen offset:8
	;; [unrolled: 1-line block ×3, first 2 shown]
	s_waitcnt vmcnt(0)
	ds_write_b128 v106, v[1:4]
	s_waitcnt lgkmcnt(0)
	s_waitcnt_vscnt null, 0x0
	s_barrier
	buffer_gl0_inv
	s_and_saveexec_b32 s6, s4
	s_cbranch_execz .LBB113_299
; %bb.292:
	ds_read_b128 v[1:4], v106
	s_andn2_b32 vcc_lo, exec_lo, s58
	s_cbranch_vccnz .LBB113_294
; %bb.293:
	s_clause 0x3
	buffer_load_dword v107, v105, s[0:3], 0 offen offset:8
	buffer_load_dword v108, v105, s[0:3], 0 offen offset:12
	buffer_load_dword v109, v105, s[0:3], 0 offen
	buffer_load_dword v110, v105, s[0:3], 0 offen offset:4
	s_waitcnt vmcnt(2) lgkmcnt(0)
	v_mul_f64 v[112:113], v[3:4], v[107:108]
	v_mul_f64 v[107:108], v[1:2], v[107:108]
	s_waitcnt vmcnt(0)
	v_fma_f64 v[1:2], v[1:2], v[109:110], -v[112:113]
	v_fma_f64 v[3:4], v[3:4], v[109:110], v[107:108]
.LBB113_294:
	s_and_saveexec_b32 s8, s5
	s_cbranch_execz .LBB113_298
; %bb.295:
	v_add_nc_u32_e32 v107, -13, v0
	s_movk_i32 s59, 0x3f0
	s_mov_b32 s5, 0
	s_mov_b32 s60, s45
	.p2align	6
.LBB113_296:                            ; =>This Inner Loop Header: Depth=1
	v_mov_b32_e32 v110, s60
	v_add_nc_u32_e32 v107, -1, v107
	s_add_i32 s60, s60, 16
	s_clause 0x3
	buffer_load_dword v108, v110, s[0:3], 0 offen offset:8
	buffer_load_dword v109, v110, s[0:3], 0 offen offset:12
	buffer_load_dword v116, v110, s[0:3], 0 offen
	buffer_load_dword v117, v110, s[0:3], 0 offen offset:4
	v_mov_b32_e32 v110, s59
	v_cmp_eq_u32_e32 vcc_lo, 0, v107
	s_add_i32 s59, s59, 16
	ds_read_b128 v[112:115], v110
	s_or_b32 s5, vcc_lo, s5
	s_waitcnt vmcnt(2) lgkmcnt(0)
	v_mul_f64 v[118:119], v[114:115], v[108:109]
	v_mul_f64 v[108:109], v[112:113], v[108:109]
	s_waitcnt vmcnt(0)
	v_fma_f64 v[112:113], v[112:113], v[116:117], -v[118:119]
	v_fma_f64 v[108:109], v[114:115], v[116:117], v[108:109]
	v_add_f64 v[1:2], v[1:2], v[112:113]
	v_add_f64 v[3:4], v[3:4], v[108:109]
	s_andn2_b32 exec_lo, exec_lo, s5
	s_cbranch_execnz .LBB113_296
; %bb.297:
	s_or_b32 exec_lo, exec_lo, s5
.LBB113_298:
	s_or_b32 exec_lo, exec_lo, s8
	v_mov_b32_e32 v107, 0
	ds_read_b128 v[107:110], v107 offset:192
	s_waitcnt lgkmcnt(0)
	v_mul_f64 v[112:113], v[3:4], v[109:110]
	v_mul_f64 v[109:110], v[1:2], v[109:110]
	v_fma_f64 v[1:2], v[1:2], v[107:108], -v[112:113]
	v_fma_f64 v[3:4], v[3:4], v[107:108], v[109:110]
	buffer_store_dword v2, off, s[0:3], 0 offset:196
	buffer_store_dword v1, off, s[0:3], 0 offset:192
	;; [unrolled: 1-line block ×4, first 2 shown]
.LBB113_299:
	s_or_b32 exec_lo, exec_lo, s6
	v_mov_b32_e32 v4, s47
	v_cmp_lt_u32_e64 s5, 11, v0
	s_clause 0x3
	buffer_load_dword v1, v4, s[0:3], 0 offen
	buffer_load_dword v2, v4, s[0:3], 0 offen offset:4
	buffer_load_dword v3, v4, s[0:3], 0 offen offset:8
	;; [unrolled: 1-line block ×3, first 2 shown]
	s_waitcnt vmcnt(0)
	ds_write_b128 v106, v[1:4]
	s_waitcnt lgkmcnt(0)
	s_waitcnt_vscnt null, 0x0
	s_barrier
	buffer_gl0_inv
	s_and_saveexec_b32 s6, s5
	s_cbranch_execz .LBB113_307
; %bb.300:
	ds_read_b128 v[1:4], v106
	s_andn2_b32 vcc_lo, exec_lo, s58
	s_cbranch_vccnz .LBB113_302
; %bb.301:
	s_clause 0x3
	buffer_load_dword v107, v105, s[0:3], 0 offen offset:8
	buffer_load_dword v108, v105, s[0:3], 0 offen offset:12
	buffer_load_dword v109, v105, s[0:3], 0 offen
	buffer_load_dword v110, v105, s[0:3], 0 offen offset:4
	s_waitcnt vmcnt(2) lgkmcnt(0)
	v_mul_f64 v[112:113], v[3:4], v[107:108]
	v_mul_f64 v[107:108], v[1:2], v[107:108]
	s_waitcnt vmcnt(0)
	v_fma_f64 v[1:2], v[1:2], v[109:110], -v[112:113]
	v_fma_f64 v[3:4], v[3:4], v[109:110], v[107:108]
.LBB113_302:
	s_and_saveexec_b32 s8, s4
	s_cbranch_execz .LBB113_306
; %bb.303:
	v_add_nc_u32_e32 v107, -12, v0
	s_movk_i32 s59, 0x3e0
	s_mov_b32 s4, 0
	s_mov_b32 s60, s46
	.p2align	6
.LBB113_304:                            ; =>This Inner Loop Header: Depth=1
	v_mov_b32_e32 v110, s60
	v_add_nc_u32_e32 v107, -1, v107
	s_add_i32 s60, s60, 16
	s_clause 0x3
	buffer_load_dword v108, v110, s[0:3], 0 offen offset:8
	buffer_load_dword v109, v110, s[0:3], 0 offen offset:12
	buffer_load_dword v116, v110, s[0:3], 0 offen
	buffer_load_dword v117, v110, s[0:3], 0 offen offset:4
	v_mov_b32_e32 v110, s59
	v_cmp_eq_u32_e32 vcc_lo, 0, v107
	s_add_i32 s59, s59, 16
	ds_read_b128 v[112:115], v110
	s_or_b32 s4, vcc_lo, s4
	s_waitcnt vmcnt(2) lgkmcnt(0)
	v_mul_f64 v[118:119], v[114:115], v[108:109]
	v_mul_f64 v[108:109], v[112:113], v[108:109]
	s_waitcnt vmcnt(0)
	v_fma_f64 v[112:113], v[112:113], v[116:117], -v[118:119]
	v_fma_f64 v[108:109], v[114:115], v[116:117], v[108:109]
	v_add_f64 v[1:2], v[1:2], v[112:113]
	v_add_f64 v[3:4], v[3:4], v[108:109]
	s_andn2_b32 exec_lo, exec_lo, s4
	s_cbranch_execnz .LBB113_304
; %bb.305:
	s_or_b32 exec_lo, exec_lo, s4
.LBB113_306:
	s_or_b32 exec_lo, exec_lo, s8
	v_mov_b32_e32 v107, 0
	ds_read_b128 v[107:110], v107 offset:176
	s_waitcnt lgkmcnt(0)
	v_mul_f64 v[112:113], v[3:4], v[109:110]
	v_mul_f64 v[109:110], v[1:2], v[109:110]
	v_fma_f64 v[1:2], v[1:2], v[107:108], -v[112:113]
	v_fma_f64 v[3:4], v[3:4], v[107:108], v[109:110]
	buffer_store_dword v2, off, s[0:3], 0 offset:180
	buffer_store_dword v1, off, s[0:3], 0 offset:176
	;; [unrolled: 1-line block ×4, first 2 shown]
.LBB113_307:
	s_or_b32 exec_lo, exec_lo, s6
	v_mov_b32_e32 v4, s48
	v_cmp_lt_u32_e64 s4, 10, v0
	s_clause 0x3
	buffer_load_dword v1, v4, s[0:3], 0 offen
	buffer_load_dword v2, v4, s[0:3], 0 offen offset:4
	buffer_load_dword v3, v4, s[0:3], 0 offen offset:8
	;; [unrolled: 1-line block ×3, first 2 shown]
	s_waitcnt vmcnt(0)
	ds_write_b128 v106, v[1:4]
	s_waitcnt lgkmcnt(0)
	s_waitcnt_vscnt null, 0x0
	s_barrier
	buffer_gl0_inv
	s_and_saveexec_b32 s6, s4
	s_cbranch_execz .LBB113_315
; %bb.308:
	ds_read_b128 v[1:4], v106
	s_andn2_b32 vcc_lo, exec_lo, s58
	s_cbranch_vccnz .LBB113_310
; %bb.309:
	s_clause 0x3
	buffer_load_dword v107, v105, s[0:3], 0 offen offset:8
	buffer_load_dword v108, v105, s[0:3], 0 offen offset:12
	buffer_load_dword v109, v105, s[0:3], 0 offen
	buffer_load_dword v110, v105, s[0:3], 0 offen offset:4
	s_waitcnt vmcnt(2) lgkmcnt(0)
	v_mul_f64 v[112:113], v[3:4], v[107:108]
	v_mul_f64 v[107:108], v[1:2], v[107:108]
	s_waitcnt vmcnt(0)
	v_fma_f64 v[1:2], v[1:2], v[109:110], -v[112:113]
	v_fma_f64 v[3:4], v[3:4], v[109:110], v[107:108]
.LBB113_310:
	s_and_saveexec_b32 s8, s5
	s_cbranch_execz .LBB113_314
; %bb.311:
	v_add_nc_u32_e32 v107, -11, v0
	s_movk_i32 s59, 0x3d0
	s_mov_b32 s5, 0
	s_mov_b32 s60, s47
	.p2align	6
.LBB113_312:                            ; =>This Inner Loop Header: Depth=1
	v_mov_b32_e32 v110, s60
	v_add_nc_u32_e32 v107, -1, v107
	s_add_i32 s60, s60, 16
	s_clause 0x3
	buffer_load_dword v108, v110, s[0:3], 0 offen offset:8
	buffer_load_dword v109, v110, s[0:3], 0 offen offset:12
	buffer_load_dword v116, v110, s[0:3], 0 offen
	buffer_load_dword v117, v110, s[0:3], 0 offen offset:4
	v_mov_b32_e32 v110, s59
	v_cmp_eq_u32_e32 vcc_lo, 0, v107
	s_add_i32 s59, s59, 16
	ds_read_b128 v[112:115], v110
	s_or_b32 s5, vcc_lo, s5
	s_waitcnt vmcnt(2) lgkmcnt(0)
	v_mul_f64 v[118:119], v[114:115], v[108:109]
	v_mul_f64 v[108:109], v[112:113], v[108:109]
	s_waitcnt vmcnt(0)
	v_fma_f64 v[112:113], v[112:113], v[116:117], -v[118:119]
	v_fma_f64 v[108:109], v[114:115], v[116:117], v[108:109]
	v_add_f64 v[1:2], v[1:2], v[112:113]
	v_add_f64 v[3:4], v[3:4], v[108:109]
	s_andn2_b32 exec_lo, exec_lo, s5
	s_cbranch_execnz .LBB113_312
; %bb.313:
	s_or_b32 exec_lo, exec_lo, s5
.LBB113_314:
	s_or_b32 exec_lo, exec_lo, s8
	v_mov_b32_e32 v107, 0
	ds_read_b128 v[107:110], v107 offset:160
	s_waitcnt lgkmcnt(0)
	v_mul_f64 v[112:113], v[3:4], v[109:110]
	v_mul_f64 v[109:110], v[1:2], v[109:110]
	v_fma_f64 v[1:2], v[1:2], v[107:108], -v[112:113]
	v_fma_f64 v[3:4], v[3:4], v[107:108], v[109:110]
	buffer_store_dword v2, off, s[0:3], 0 offset:164
	buffer_store_dword v1, off, s[0:3], 0 offset:160
	;; [unrolled: 1-line block ×4, first 2 shown]
.LBB113_315:
	s_or_b32 exec_lo, exec_lo, s6
	v_mov_b32_e32 v4, s49
	v_cmp_lt_u32_e64 s5, 9, v0
	s_clause 0x3
	buffer_load_dword v1, v4, s[0:3], 0 offen
	buffer_load_dword v2, v4, s[0:3], 0 offen offset:4
	buffer_load_dword v3, v4, s[0:3], 0 offen offset:8
	;; [unrolled: 1-line block ×3, first 2 shown]
	s_waitcnt vmcnt(0)
	ds_write_b128 v106, v[1:4]
	s_waitcnt lgkmcnt(0)
	s_waitcnt_vscnt null, 0x0
	s_barrier
	buffer_gl0_inv
	s_and_saveexec_b32 s6, s5
	s_cbranch_execz .LBB113_323
; %bb.316:
	ds_read_b128 v[1:4], v106
	s_andn2_b32 vcc_lo, exec_lo, s58
	s_cbranch_vccnz .LBB113_318
; %bb.317:
	s_clause 0x3
	buffer_load_dword v107, v105, s[0:3], 0 offen offset:8
	buffer_load_dword v108, v105, s[0:3], 0 offen offset:12
	buffer_load_dword v109, v105, s[0:3], 0 offen
	buffer_load_dword v110, v105, s[0:3], 0 offen offset:4
	s_waitcnt vmcnt(2) lgkmcnt(0)
	v_mul_f64 v[112:113], v[3:4], v[107:108]
	v_mul_f64 v[107:108], v[1:2], v[107:108]
	s_waitcnt vmcnt(0)
	v_fma_f64 v[1:2], v[1:2], v[109:110], -v[112:113]
	v_fma_f64 v[3:4], v[3:4], v[109:110], v[107:108]
.LBB113_318:
	s_and_saveexec_b32 s8, s4
	s_cbranch_execz .LBB113_322
; %bb.319:
	v_add_nc_u32_e32 v107, -10, v0
	s_movk_i32 s59, 0x3c0
	s_mov_b32 s4, 0
	s_mov_b32 s60, s48
	.p2align	6
.LBB113_320:                            ; =>This Inner Loop Header: Depth=1
	v_mov_b32_e32 v110, s60
	v_add_nc_u32_e32 v107, -1, v107
	s_add_i32 s60, s60, 16
	s_clause 0x3
	buffer_load_dword v108, v110, s[0:3], 0 offen offset:8
	buffer_load_dword v109, v110, s[0:3], 0 offen offset:12
	buffer_load_dword v116, v110, s[0:3], 0 offen
	buffer_load_dword v117, v110, s[0:3], 0 offen offset:4
	v_mov_b32_e32 v110, s59
	v_cmp_eq_u32_e32 vcc_lo, 0, v107
	s_add_i32 s59, s59, 16
	ds_read_b128 v[112:115], v110
	s_or_b32 s4, vcc_lo, s4
	s_waitcnt vmcnt(2) lgkmcnt(0)
	v_mul_f64 v[118:119], v[114:115], v[108:109]
	v_mul_f64 v[108:109], v[112:113], v[108:109]
	s_waitcnt vmcnt(0)
	v_fma_f64 v[112:113], v[112:113], v[116:117], -v[118:119]
	v_fma_f64 v[108:109], v[114:115], v[116:117], v[108:109]
	v_add_f64 v[1:2], v[1:2], v[112:113]
	v_add_f64 v[3:4], v[3:4], v[108:109]
	s_andn2_b32 exec_lo, exec_lo, s4
	s_cbranch_execnz .LBB113_320
; %bb.321:
	s_or_b32 exec_lo, exec_lo, s4
.LBB113_322:
	s_or_b32 exec_lo, exec_lo, s8
	v_mov_b32_e32 v107, 0
	ds_read_b128 v[107:110], v107 offset:144
	s_waitcnt lgkmcnt(0)
	v_mul_f64 v[112:113], v[3:4], v[109:110]
	v_mul_f64 v[109:110], v[1:2], v[109:110]
	v_fma_f64 v[1:2], v[1:2], v[107:108], -v[112:113]
	v_fma_f64 v[3:4], v[3:4], v[107:108], v[109:110]
	buffer_store_dword v2, off, s[0:3], 0 offset:148
	buffer_store_dword v1, off, s[0:3], 0 offset:144
	;; [unrolled: 1-line block ×4, first 2 shown]
.LBB113_323:
	s_or_b32 exec_lo, exec_lo, s6
	v_mov_b32_e32 v4, s50
	v_cmp_lt_u32_e64 s4, 8, v0
	s_clause 0x3
	buffer_load_dword v1, v4, s[0:3], 0 offen
	buffer_load_dword v2, v4, s[0:3], 0 offen offset:4
	buffer_load_dword v3, v4, s[0:3], 0 offen offset:8
	;; [unrolled: 1-line block ×3, first 2 shown]
	s_waitcnt vmcnt(0)
	ds_write_b128 v106, v[1:4]
	s_waitcnt lgkmcnt(0)
	s_waitcnt_vscnt null, 0x0
	s_barrier
	buffer_gl0_inv
	s_and_saveexec_b32 s6, s4
	s_cbranch_execz .LBB113_331
; %bb.324:
	ds_read_b128 v[1:4], v106
	s_andn2_b32 vcc_lo, exec_lo, s58
	s_cbranch_vccnz .LBB113_326
; %bb.325:
	s_clause 0x3
	buffer_load_dword v107, v105, s[0:3], 0 offen offset:8
	buffer_load_dword v108, v105, s[0:3], 0 offen offset:12
	buffer_load_dword v109, v105, s[0:3], 0 offen
	buffer_load_dword v110, v105, s[0:3], 0 offen offset:4
	s_waitcnt vmcnt(2) lgkmcnt(0)
	v_mul_f64 v[112:113], v[3:4], v[107:108]
	v_mul_f64 v[107:108], v[1:2], v[107:108]
	s_waitcnt vmcnt(0)
	v_fma_f64 v[1:2], v[1:2], v[109:110], -v[112:113]
	v_fma_f64 v[3:4], v[3:4], v[109:110], v[107:108]
.LBB113_326:
	s_and_saveexec_b32 s8, s5
	s_cbranch_execz .LBB113_330
; %bb.327:
	v_add_nc_u32_e32 v107, -9, v0
	s_movk_i32 s59, 0x3b0
	s_mov_b32 s5, 0
	s_mov_b32 s60, s49
	.p2align	6
.LBB113_328:                            ; =>This Inner Loop Header: Depth=1
	v_mov_b32_e32 v110, s60
	v_add_nc_u32_e32 v107, -1, v107
	s_add_i32 s60, s60, 16
	s_clause 0x3
	buffer_load_dword v108, v110, s[0:3], 0 offen offset:8
	buffer_load_dword v109, v110, s[0:3], 0 offen offset:12
	buffer_load_dword v116, v110, s[0:3], 0 offen
	buffer_load_dword v117, v110, s[0:3], 0 offen offset:4
	v_mov_b32_e32 v110, s59
	v_cmp_eq_u32_e32 vcc_lo, 0, v107
	s_add_i32 s59, s59, 16
	ds_read_b128 v[112:115], v110
	s_or_b32 s5, vcc_lo, s5
	s_waitcnt vmcnt(2) lgkmcnt(0)
	v_mul_f64 v[118:119], v[114:115], v[108:109]
	v_mul_f64 v[108:109], v[112:113], v[108:109]
	s_waitcnt vmcnt(0)
	v_fma_f64 v[112:113], v[112:113], v[116:117], -v[118:119]
	v_fma_f64 v[108:109], v[114:115], v[116:117], v[108:109]
	v_add_f64 v[1:2], v[1:2], v[112:113]
	v_add_f64 v[3:4], v[3:4], v[108:109]
	s_andn2_b32 exec_lo, exec_lo, s5
	s_cbranch_execnz .LBB113_328
; %bb.329:
	s_or_b32 exec_lo, exec_lo, s5
.LBB113_330:
	s_or_b32 exec_lo, exec_lo, s8
	v_mov_b32_e32 v107, 0
	ds_read_b128 v[107:110], v107 offset:128
	s_waitcnt lgkmcnt(0)
	v_mul_f64 v[112:113], v[3:4], v[109:110]
	v_mul_f64 v[109:110], v[1:2], v[109:110]
	v_fma_f64 v[1:2], v[1:2], v[107:108], -v[112:113]
	v_fma_f64 v[3:4], v[3:4], v[107:108], v[109:110]
	buffer_store_dword v2, off, s[0:3], 0 offset:132
	buffer_store_dword v1, off, s[0:3], 0 offset:128
	;; [unrolled: 1-line block ×4, first 2 shown]
.LBB113_331:
	s_or_b32 exec_lo, exec_lo, s6
	v_mov_b32_e32 v4, s51
	v_cmp_lt_u32_e64 s5, 7, v0
	s_clause 0x3
	buffer_load_dword v1, v4, s[0:3], 0 offen
	buffer_load_dword v2, v4, s[0:3], 0 offen offset:4
	buffer_load_dword v3, v4, s[0:3], 0 offen offset:8
	;; [unrolled: 1-line block ×3, first 2 shown]
	s_waitcnt vmcnt(0)
	ds_write_b128 v106, v[1:4]
	s_waitcnt lgkmcnt(0)
	s_waitcnt_vscnt null, 0x0
	s_barrier
	buffer_gl0_inv
	s_and_saveexec_b32 s6, s5
	s_cbranch_execz .LBB113_339
; %bb.332:
	ds_read_b128 v[1:4], v106
	s_andn2_b32 vcc_lo, exec_lo, s58
	s_cbranch_vccnz .LBB113_334
; %bb.333:
	s_clause 0x3
	buffer_load_dword v107, v105, s[0:3], 0 offen offset:8
	buffer_load_dword v108, v105, s[0:3], 0 offen offset:12
	buffer_load_dword v109, v105, s[0:3], 0 offen
	buffer_load_dword v110, v105, s[0:3], 0 offen offset:4
	s_waitcnt vmcnt(2) lgkmcnt(0)
	v_mul_f64 v[112:113], v[3:4], v[107:108]
	v_mul_f64 v[107:108], v[1:2], v[107:108]
	s_waitcnt vmcnt(0)
	v_fma_f64 v[1:2], v[1:2], v[109:110], -v[112:113]
	v_fma_f64 v[3:4], v[3:4], v[109:110], v[107:108]
.LBB113_334:
	s_and_saveexec_b32 s8, s4
	s_cbranch_execz .LBB113_338
; %bb.335:
	v_add_nc_u32_e32 v107, -8, v0
	s_movk_i32 s59, 0x3a0
	s_mov_b32 s4, 0
	s_mov_b32 s60, s50
	.p2align	6
.LBB113_336:                            ; =>This Inner Loop Header: Depth=1
	v_mov_b32_e32 v110, s60
	v_add_nc_u32_e32 v107, -1, v107
	s_add_i32 s60, s60, 16
	s_clause 0x3
	buffer_load_dword v108, v110, s[0:3], 0 offen offset:8
	buffer_load_dword v109, v110, s[0:3], 0 offen offset:12
	buffer_load_dword v116, v110, s[0:3], 0 offen
	buffer_load_dword v117, v110, s[0:3], 0 offen offset:4
	v_mov_b32_e32 v110, s59
	v_cmp_eq_u32_e32 vcc_lo, 0, v107
	s_add_i32 s59, s59, 16
	ds_read_b128 v[112:115], v110
	s_or_b32 s4, vcc_lo, s4
	s_waitcnt vmcnt(2) lgkmcnt(0)
	v_mul_f64 v[118:119], v[114:115], v[108:109]
	v_mul_f64 v[108:109], v[112:113], v[108:109]
	s_waitcnt vmcnt(0)
	v_fma_f64 v[112:113], v[112:113], v[116:117], -v[118:119]
	v_fma_f64 v[108:109], v[114:115], v[116:117], v[108:109]
	v_add_f64 v[1:2], v[1:2], v[112:113]
	v_add_f64 v[3:4], v[3:4], v[108:109]
	s_andn2_b32 exec_lo, exec_lo, s4
	s_cbranch_execnz .LBB113_336
; %bb.337:
	s_or_b32 exec_lo, exec_lo, s4
.LBB113_338:
	s_or_b32 exec_lo, exec_lo, s8
	v_mov_b32_e32 v107, 0
	ds_read_b128 v[107:110], v107 offset:112
	s_waitcnt lgkmcnt(0)
	v_mul_f64 v[112:113], v[3:4], v[109:110]
	v_mul_f64 v[109:110], v[1:2], v[109:110]
	v_fma_f64 v[1:2], v[1:2], v[107:108], -v[112:113]
	v_fma_f64 v[3:4], v[3:4], v[107:108], v[109:110]
	buffer_store_dword v2, off, s[0:3], 0 offset:116
	buffer_store_dword v1, off, s[0:3], 0 offset:112
	;; [unrolled: 1-line block ×4, first 2 shown]
.LBB113_339:
	s_or_b32 exec_lo, exec_lo, s6
	v_mov_b32_e32 v4, s52
	v_cmp_lt_u32_e64 s4, 6, v0
	s_clause 0x3
	buffer_load_dword v1, v4, s[0:3], 0 offen
	buffer_load_dword v2, v4, s[0:3], 0 offen offset:4
	buffer_load_dword v3, v4, s[0:3], 0 offen offset:8
	;; [unrolled: 1-line block ×3, first 2 shown]
	s_waitcnt vmcnt(0)
	ds_write_b128 v106, v[1:4]
	s_waitcnt lgkmcnt(0)
	s_waitcnt_vscnt null, 0x0
	s_barrier
	buffer_gl0_inv
	s_and_saveexec_b32 s6, s4
	s_cbranch_execz .LBB113_347
; %bb.340:
	ds_read_b128 v[1:4], v106
	s_andn2_b32 vcc_lo, exec_lo, s58
	s_cbranch_vccnz .LBB113_342
; %bb.341:
	s_clause 0x3
	buffer_load_dword v107, v105, s[0:3], 0 offen offset:8
	buffer_load_dword v108, v105, s[0:3], 0 offen offset:12
	buffer_load_dword v109, v105, s[0:3], 0 offen
	buffer_load_dword v110, v105, s[0:3], 0 offen offset:4
	s_waitcnt vmcnt(2) lgkmcnt(0)
	v_mul_f64 v[112:113], v[3:4], v[107:108]
	v_mul_f64 v[107:108], v[1:2], v[107:108]
	s_waitcnt vmcnt(0)
	v_fma_f64 v[1:2], v[1:2], v[109:110], -v[112:113]
	v_fma_f64 v[3:4], v[3:4], v[109:110], v[107:108]
.LBB113_342:
	s_and_saveexec_b32 s8, s5
	s_cbranch_execz .LBB113_346
; %bb.343:
	v_add_nc_u32_e32 v107, -7, v0
	s_movk_i32 s59, 0x390
	s_mov_b32 s5, 0
	s_mov_b32 s60, s51
	.p2align	6
.LBB113_344:                            ; =>This Inner Loop Header: Depth=1
	v_mov_b32_e32 v110, s60
	v_add_nc_u32_e32 v107, -1, v107
	s_add_i32 s60, s60, 16
	s_clause 0x3
	buffer_load_dword v108, v110, s[0:3], 0 offen offset:8
	buffer_load_dword v109, v110, s[0:3], 0 offen offset:12
	buffer_load_dword v116, v110, s[0:3], 0 offen
	buffer_load_dword v117, v110, s[0:3], 0 offen offset:4
	v_mov_b32_e32 v110, s59
	v_cmp_eq_u32_e32 vcc_lo, 0, v107
	s_add_i32 s59, s59, 16
	ds_read_b128 v[112:115], v110
	s_or_b32 s5, vcc_lo, s5
	s_waitcnt vmcnt(2) lgkmcnt(0)
	v_mul_f64 v[118:119], v[114:115], v[108:109]
	v_mul_f64 v[108:109], v[112:113], v[108:109]
	s_waitcnt vmcnt(0)
	v_fma_f64 v[112:113], v[112:113], v[116:117], -v[118:119]
	v_fma_f64 v[108:109], v[114:115], v[116:117], v[108:109]
	v_add_f64 v[1:2], v[1:2], v[112:113]
	v_add_f64 v[3:4], v[3:4], v[108:109]
	s_andn2_b32 exec_lo, exec_lo, s5
	s_cbranch_execnz .LBB113_344
; %bb.345:
	s_or_b32 exec_lo, exec_lo, s5
.LBB113_346:
	s_or_b32 exec_lo, exec_lo, s8
	v_mov_b32_e32 v107, 0
	ds_read_b128 v[107:110], v107 offset:96
	s_waitcnt lgkmcnt(0)
	v_mul_f64 v[112:113], v[3:4], v[109:110]
	v_mul_f64 v[109:110], v[1:2], v[109:110]
	v_fma_f64 v[1:2], v[1:2], v[107:108], -v[112:113]
	v_fma_f64 v[3:4], v[3:4], v[107:108], v[109:110]
	buffer_store_dword v2, off, s[0:3], 0 offset:100
	buffer_store_dword v1, off, s[0:3], 0 offset:96
	;; [unrolled: 1-line block ×4, first 2 shown]
.LBB113_347:
	s_or_b32 exec_lo, exec_lo, s6
	v_mov_b32_e32 v4, s53
	v_cmp_lt_u32_e64 s5, 5, v0
	s_clause 0x3
	buffer_load_dword v1, v4, s[0:3], 0 offen
	buffer_load_dword v2, v4, s[0:3], 0 offen offset:4
	buffer_load_dword v3, v4, s[0:3], 0 offen offset:8
	;; [unrolled: 1-line block ×3, first 2 shown]
	s_waitcnt vmcnt(0)
	ds_write_b128 v106, v[1:4]
	s_waitcnt lgkmcnt(0)
	s_waitcnt_vscnt null, 0x0
	s_barrier
	buffer_gl0_inv
	s_and_saveexec_b32 s6, s5
	s_cbranch_execz .LBB113_355
; %bb.348:
	ds_read_b128 v[1:4], v106
	s_andn2_b32 vcc_lo, exec_lo, s58
	s_cbranch_vccnz .LBB113_350
; %bb.349:
	s_clause 0x3
	buffer_load_dword v107, v105, s[0:3], 0 offen offset:8
	buffer_load_dword v108, v105, s[0:3], 0 offen offset:12
	buffer_load_dword v109, v105, s[0:3], 0 offen
	buffer_load_dword v110, v105, s[0:3], 0 offen offset:4
	s_waitcnt vmcnt(2) lgkmcnt(0)
	v_mul_f64 v[112:113], v[3:4], v[107:108]
	v_mul_f64 v[107:108], v[1:2], v[107:108]
	s_waitcnt vmcnt(0)
	v_fma_f64 v[1:2], v[1:2], v[109:110], -v[112:113]
	v_fma_f64 v[3:4], v[3:4], v[109:110], v[107:108]
.LBB113_350:
	s_and_saveexec_b32 s8, s4
	s_cbranch_execz .LBB113_354
; %bb.351:
	v_add_nc_u32_e32 v107, -6, v0
	s_movk_i32 s59, 0x380
	s_mov_b32 s4, 0
	s_mov_b32 s60, s52
	.p2align	6
.LBB113_352:                            ; =>This Inner Loop Header: Depth=1
	v_mov_b32_e32 v110, s60
	v_add_nc_u32_e32 v107, -1, v107
	s_add_i32 s60, s60, 16
	s_clause 0x3
	buffer_load_dword v108, v110, s[0:3], 0 offen offset:8
	buffer_load_dword v109, v110, s[0:3], 0 offen offset:12
	buffer_load_dword v116, v110, s[0:3], 0 offen
	buffer_load_dword v117, v110, s[0:3], 0 offen offset:4
	v_mov_b32_e32 v110, s59
	v_cmp_eq_u32_e32 vcc_lo, 0, v107
	s_add_i32 s59, s59, 16
	ds_read_b128 v[112:115], v110
	s_or_b32 s4, vcc_lo, s4
	s_waitcnt vmcnt(2) lgkmcnt(0)
	v_mul_f64 v[118:119], v[114:115], v[108:109]
	v_mul_f64 v[108:109], v[112:113], v[108:109]
	s_waitcnt vmcnt(0)
	v_fma_f64 v[112:113], v[112:113], v[116:117], -v[118:119]
	v_fma_f64 v[108:109], v[114:115], v[116:117], v[108:109]
	v_add_f64 v[1:2], v[1:2], v[112:113]
	v_add_f64 v[3:4], v[3:4], v[108:109]
	s_andn2_b32 exec_lo, exec_lo, s4
	s_cbranch_execnz .LBB113_352
; %bb.353:
	s_or_b32 exec_lo, exec_lo, s4
.LBB113_354:
	s_or_b32 exec_lo, exec_lo, s8
	v_mov_b32_e32 v107, 0
	ds_read_b128 v[107:110], v107 offset:80
	s_waitcnt lgkmcnt(0)
	v_mul_f64 v[112:113], v[3:4], v[109:110]
	v_mul_f64 v[109:110], v[1:2], v[109:110]
	v_fma_f64 v[1:2], v[1:2], v[107:108], -v[112:113]
	v_fma_f64 v[3:4], v[3:4], v[107:108], v[109:110]
	buffer_store_dword v2, off, s[0:3], 0 offset:84
	buffer_store_dword v1, off, s[0:3], 0 offset:80
	;; [unrolled: 1-line block ×4, first 2 shown]
.LBB113_355:
	s_or_b32 exec_lo, exec_lo, s6
	v_mov_b32_e32 v4, s54
	v_cmp_lt_u32_e64 s4, 4, v0
	s_clause 0x3
	buffer_load_dword v1, v4, s[0:3], 0 offen
	buffer_load_dword v2, v4, s[0:3], 0 offen offset:4
	buffer_load_dword v3, v4, s[0:3], 0 offen offset:8
	;; [unrolled: 1-line block ×3, first 2 shown]
	s_waitcnt vmcnt(0)
	ds_write_b128 v106, v[1:4]
	s_waitcnt lgkmcnt(0)
	s_waitcnt_vscnt null, 0x0
	s_barrier
	buffer_gl0_inv
	s_and_saveexec_b32 s6, s4
	s_cbranch_execz .LBB113_363
; %bb.356:
	ds_read_b128 v[1:4], v106
	s_andn2_b32 vcc_lo, exec_lo, s58
	s_cbranch_vccnz .LBB113_358
; %bb.357:
	s_clause 0x3
	buffer_load_dword v107, v105, s[0:3], 0 offen offset:8
	buffer_load_dword v108, v105, s[0:3], 0 offen offset:12
	buffer_load_dword v109, v105, s[0:3], 0 offen
	buffer_load_dword v110, v105, s[0:3], 0 offen offset:4
	s_waitcnt vmcnt(2) lgkmcnt(0)
	v_mul_f64 v[112:113], v[3:4], v[107:108]
	v_mul_f64 v[107:108], v[1:2], v[107:108]
	s_waitcnt vmcnt(0)
	v_fma_f64 v[1:2], v[1:2], v[109:110], -v[112:113]
	v_fma_f64 v[3:4], v[3:4], v[109:110], v[107:108]
.LBB113_358:
	s_and_saveexec_b32 s8, s5
	s_cbranch_execz .LBB113_362
; %bb.359:
	v_add_nc_u32_e32 v107, -5, v0
	s_movk_i32 s59, 0x370
	s_mov_b32 s5, 0
	s_mov_b32 s60, s53
	.p2align	6
.LBB113_360:                            ; =>This Inner Loop Header: Depth=1
	v_mov_b32_e32 v110, s60
	v_add_nc_u32_e32 v107, -1, v107
	s_add_i32 s60, s60, 16
	s_clause 0x3
	buffer_load_dword v108, v110, s[0:3], 0 offen offset:8
	buffer_load_dword v109, v110, s[0:3], 0 offen offset:12
	buffer_load_dword v116, v110, s[0:3], 0 offen
	buffer_load_dword v117, v110, s[0:3], 0 offen offset:4
	v_mov_b32_e32 v110, s59
	v_cmp_eq_u32_e32 vcc_lo, 0, v107
	s_add_i32 s59, s59, 16
	ds_read_b128 v[112:115], v110
	s_or_b32 s5, vcc_lo, s5
	s_waitcnt vmcnt(2) lgkmcnt(0)
	v_mul_f64 v[118:119], v[114:115], v[108:109]
	v_mul_f64 v[108:109], v[112:113], v[108:109]
	s_waitcnt vmcnt(0)
	v_fma_f64 v[112:113], v[112:113], v[116:117], -v[118:119]
	v_fma_f64 v[108:109], v[114:115], v[116:117], v[108:109]
	v_add_f64 v[1:2], v[1:2], v[112:113]
	v_add_f64 v[3:4], v[3:4], v[108:109]
	s_andn2_b32 exec_lo, exec_lo, s5
	s_cbranch_execnz .LBB113_360
; %bb.361:
	s_or_b32 exec_lo, exec_lo, s5
.LBB113_362:
	s_or_b32 exec_lo, exec_lo, s8
	v_mov_b32_e32 v107, 0
	ds_read_b128 v[107:110], v107 offset:64
	s_waitcnt lgkmcnt(0)
	v_mul_f64 v[112:113], v[3:4], v[109:110]
	v_mul_f64 v[109:110], v[1:2], v[109:110]
	v_fma_f64 v[1:2], v[1:2], v[107:108], -v[112:113]
	v_fma_f64 v[3:4], v[3:4], v[107:108], v[109:110]
	buffer_store_dword v2, off, s[0:3], 0 offset:68
	buffer_store_dword v1, off, s[0:3], 0 offset:64
	;; [unrolled: 1-line block ×4, first 2 shown]
.LBB113_363:
	s_or_b32 exec_lo, exec_lo, s6
	v_mov_b32_e32 v4, s55
	v_cmp_lt_u32_e64 s5, 3, v0
	s_clause 0x3
	buffer_load_dword v1, v4, s[0:3], 0 offen
	buffer_load_dword v2, v4, s[0:3], 0 offen offset:4
	buffer_load_dword v3, v4, s[0:3], 0 offen offset:8
	;; [unrolled: 1-line block ×3, first 2 shown]
	s_waitcnt vmcnt(0)
	ds_write_b128 v106, v[1:4]
	s_waitcnt lgkmcnt(0)
	s_waitcnt_vscnt null, 0x0
	s_barrier
	buffer_gl0_inv
	s_and_saveexec_b32 s6, s5
	s_cbranch_execz .LBB113_371
; %bb.364:
	ds_read_b128 v[1:4], v106
	s_andn2_b32 vcc_lo, exec_lo, s58
	s_cbranch_vccnz .LBB113_366
; %bb.365:
	s_clause 0x3
	buffer_load_dword v107, v105, s[0:3], 0 offen offset:8
	buffer_load_dword v108, v105, s[0:3], 0 offen offset:12
	buffer_load_dword v109, v105, s[0:3], 0 offen
	buffer_load_dword v110, v105, s[0:3], 0 offen offset:4
	s_waitcnt vmcnt(2) lgkmcnt(0)
	v_mul_f64 v[112:113], v[3:4], v[107:108]
	v_mul_f64 v[107:108], v[1:2], v[107:108]
	s_waitcnt vmcnt(0)
	v_fma_f64 v[1:2], v[1:2], v[109:110], -v[112:113]
	v_fma_f64 v[3:4], v[3:4], v[109:110], v[107:108]
.LBB113_366:
	s_and_saveexec_b32 s8, s4
	s_cbranch_execz .LBB113_370
; %bb.367:
	v_add_nc_u32_e32 v107, -4, v0
	s_movk_i32 s59, 0x360
	s_mov_b32 s4, 0
	s_mov_b32 s60, s54
	.p2align	6
.LBB113_368:                            ; =>This Inner Loop Header: Depth=1
	v_mov_b32_e32 v110, s60
	v_add_nc_u32_e32 v107, -1, v107
	s_add_i32 s60, s60, 16
	s_clause 0x3
	buffer_load_dword v108, v110, s[0:3], 0 offen offset:8
	buffer_load_dword v109, v110, s[0:3], 0 offen offset:12
	buffer_load_dword v116, v110, s[0:3], 0 offen
	buffer_load_dword v117, v110, s[0:3], 0 offen offset:4
	v_mov_b32_e32 v110, s59
	v_cmp_eq_u32_e32 vcc_lo, 0, v107
	s_add_i32 s59, s59, 16
	ds_read_b128 v[112:115], v110
	s_or_b32 s4, vcc_lo, s4
	s_waitcnt vmcnt(2) lgkmcnt(0)
	v_mul_f64 v[118:119], v[114:115], v[108:109]
	v_mul_f64 v[108:109], v[112:113], v[108:109]
	s_waitcnt vmcnt(0)
	v_fma_f64 v[112:113], v[112:113], v[116:117], -v[118:119]
	v_fma_f64 v[108:109], v[114:115], v[116:117], v[108:109]
	v_add_f64 v[1:2], v[1:2], v[112:113]
	v_add_f64 v[3:4], v[3:4], v[108:109]
	s_andn2_b32 exec_lo, exec_lo, s4
	s_cbranch_execnz .LBB113_368
; %bb.369:
	s_or_b32 exec_lo, exec_lo, s4
.LBB113_370:
	s_or_b32 exec_lo, exec_lo, s8
	v_mov_b32_e32 v107, 0
	ds_read_b128 v[107:110], v107 offset:48
	s_waitcnt lgkmcnt(0)
	v_mul_f64 v[112:113], v[3:4], v[109:110]
	v_mul_f64 v[109:110], v[1:2], v[109:110]
	v_fma_f64 v[1:2], v[1:2], v[107:108], -v[112:113]
	v_fma_f64 v[3:4], v[3:4], v[107:108], v[109:110]
	buffer_store_dword v2, off, s[0:3], 0 offset:52
	buffer_store_dword v1, off, s[0:3], 0 offset:48
	;; [unrolled: 1-line block ×4, first 2 shown]
.LBB113_371:
	s_or_b32 exec_lo, exec_lo, s6
	v_mov_b32_e32 v4, s56
	v_cmp_lt_u32_e64 s6, 2, v0
	s_clause 0x3
	buffer_load_dword v1, v4, s[0:3], 0 offen
	buffer_load_dword v2, v4, s[0:3], 0 offen offset:4
	buffer_load_dword v3, v4, s[0:3], 0 offen offset:8
	;; [unrolled: 1-line block ×3, first 2 shown]
	s_waitcnt vmcnt(0)
	ds_write_b128 v106, v[1:4]
	s_waitcnt lgkmcnt(0)
	s_waitcnt_vscnt null, 0x0
	s_barrier
	buffer_gl0_inv
	s_and_saveexec_b32 s4, s6
	s_cbranch_execz .LBB113_379
; %bb.372:
	ds_read_b128 v[1:4], v106
	s_andn2_b32 vcc_lo, exec_lo, s58
	s_cbranch_vccnz .LBB113_374
; %bb.373:
	s_clause 0x3
	buffer_load_dword v107, v105, s[0:3], 0 offen offset:8
	buffer_load_dword v108, v105, s[0:3], 0 offen offset:12
	buffer_load_dword v109, v105, s[0:3], 0 offen
	buffer_load_dword v110, v105, s[0:3], 0 offen offset:4
	s_waitcnt vmcnt(2) lgkmcnt(0)
	v_mul_f64 v[112:113], v[3:4], v[107:108]
	v_mul_f64 v[107:108], v[1:2], v[107:108]
	s_waitcnt vmcnt(0)
	v_fma_f64 v[1:2], v[1:2], v[109:110], -v[112:113]
	v_fma_f64 v[3:4], v[3:4], v[109:110], v[107:108]
.LBB113_374:
	s_and_saveexec_b32 s8, s5
	s_cbranch_execz .LBB113_378
; %bb.375:
	v_add_nc_u32_e32 v107, -3, v0
	s_movk_i32 s59, 0x350
	s_mov_b32 s5, 0
	s_mov_b32 s60, s55
	.p2align	6
.LBB113_376:                            ; =>This Inner Loop Header: Depth=1
	v_mov_b32_e32 v110, s60
	v_add_nc_u32_e32 v107, -1, v107
	s_add_i32 s60, s60, 16
	s_clause 0x3
	buffer_load_dword v108, v110, s[0:3], 0 offen offset:8
	buffer_load_dword v109, v110, s[0:3], 0 offen offset:12
	buffer_load_dword v116, v110, s[0:3], 0 offen
	buffer_load_dword v117, v110, s[0:3], 0 offen offset:4
	v_mov_b32_e32 v110, s59
	v_cmp_eq_u32_e32 vcc_lo, 0, v107
	s_add_i32 s59, s59, 16
	ds_read_b128 v[112:115], v110
	s_or_b32 s5, vcc_lo, s5
	s_waitcnt vmcnt(2) lgkmcnt(0)
	v_mul_f64 v[118:119], v[114:115], v[108:109]
	v_mul_f64 v[108:109], v[112:113], v[108:109]
	s_waitcnt vmcnt(0)
	v_fma_f64 v[112:113], v[112:113], v[116:117], -v[118:119]
	v_fma_f64 v[108:109], v[114:115], v[116:117], v[108:109]
	v_add_f64 v[1:2], v[1:2], v[112:113]
	v_add_f64 v[3:4], v[3:4], v[108:109]
	s_andn2_b32 exec_lo, exec_lo, s5
	s_cbranch_execnz .LBB113_376
; %bb.377:
	s_or_b32 exec_lo, exec_lo, s5
.LBB113_378:
	s_or_b32 exec_lo, exec_lo, s8
	v_mov_b32_e32 v107, 0
	ds_read_b128 v[107:110], v107 offset:32
	s_waitcnt lgkmcnt(0)
	v_mul_f64 v[112:113], v[3:4], v[109:110]
	v_mul_f64 v[109:110], v[1:2], v[109:110]
	v_fma_f64 v[1:2], v[1:2], v[107:108], -v[112:113]
	v_fma_f64 v[3:4], v[3:4], v[107:108], v[109:110]
	buffer_store_dword v2, off, s[0:3], 0 offset:36
	buffer_store_dword v1, off, s[0:3], 0 offset:32
	buffer_store_dword v4, off, s[0:3], 0 offset:44
	buffer_store_dword v3, off, s[0:3], 0 offset:40
.LBB113_379:
	s_or_b32 exec_lo, exec_lo, s4
	v_mov_b32_e32 v4, s57
	v_cmp_lt_u32_e64 s4, 1, v0
	s_clause 0x3
	buffer_load_dword v1, v4, s[0:3], 0 offen
	buffer_load_dword v2, v4, s[0:3], 0 offen offset:4
	buffer_load_dword v3, v4, s[0:3], 0 offen offset:8
	;; [unrolled: 1-line block ×3, first 2 shown]
	s_waitcnt vmcnt(0)
	ds_write_b128 v106, v[1:4]
	s_waitcnt lgkmcnt(0)
	s_waitcnt_vscnt null, 0x0
	s_barrier
	buffer_gl0_inv
	s_and_saveexec_b32 s5, s4
	s_cbranch_execz .LBB113_387
; %bb.380:
	ds_read_b128 v[1:4], v106
	s_andn2_b32 vcc_lo, exec_lo, s58
	s_cbranch_vccnz .LBB113_382
; %bb.381:
	s_clause 0x3
	buffer_load_dword v107, v105, s[0:3], 0 offen offset:8
	buffer_load_dword v108, v105, s[0:3], 0 offen offset:12
	buffer_load_dword v109, v105, s[0:3], 0 offen
	buffer_load_dword v110, v105, s[0:3], 0 offen offset:4
	s_waitcnt vmcnt(2) lgkmcnt(0)
	v_mul_f64 v[112:113], v[3:4], v[107:108]
	v_mul_f64 v[107:108], v[1:2], v[107:108]
	s_waitcnt vmcnt(0)
	v_fma_f64 v[1:2], v[1:2], v[109:110], -v[112:113]
	v_fma_f64 v[3:4], v[3:4], v[109:110], v[107:108]
.LBB113_382:
	s_and_saveexec_b32 s8, s6
	s_cbranch_execz .LBB113_386
; %bb.383:
	v_add_nc_u32_e32 v107, -2, v0
	s_movk_i32 s59, 0x340
	s_mov_b32 s6, 0
	s_mov_b32 s60, s56
	.p2align	6
.LBB113_384:                            ; =>This Inner Loop Header: Depth=1
	v_mov_b32_e32 v110, s60
	v_add_nc_u32_e32 v107, -1, v107
	s_add_i32 s60, s60, 16
	s_clause 0x3
	buffer_load_dword v108, v110, s[0:3], 0 offen offset:8
	buffer_load_dword v109, v110, s[0:3], 0 offen offset:12
	buffer_load_dword v116, v110, s[0:3], 0 offen
	buffer_load_dword v117, v110, s[0:3], 0 offen offset:4
	v_mov_b32_e32 v110, s59
	v_cmp_eq_u32_e32 vcc_lo, 0, v107
	s_add_i32 s59, s59, 16
	ds_read_b128 v[112:115], v110
	s_or_b32 s6, vcc_lo, s6
	s_waitcnt vmcnt(2) lgkmcnt(0)
	v_mul_f64 v[118:119], v[114:115], v[108:109]
	v_mul_f64 v[108:109], v[112:113], v[108:109]
	s_waitcnt vmcnt(0)
	v_fma_f64 v[112:113], v[112:113], v[116:117], -v[118:119]
	v_fma_f64 v[108:109], v[114:115], v[116:117], v[108:109]
	v_add_f64 v[1:2], v[1:2], v[112:113]
	v_add_f64 v[3:4], v[3:4], v[108:109]
	s_andn2_b32 exec_lo, exec_lo, s6
	s_cbranch_execnz .LBB113_384
; %bb.385:
	s_or_b32 exec_lo, exec_lo, s6
.LBB113_386:
	s_or_b32 exec_lo, exec_lo, s8
	v_mov_b32_e32 v107, 0
	ds_read_b128 v[107:110], v107 offset:16
	s_waitcnt lgkmcnt(0)
	v_mul_f64 v[112:113], v[3:4], v[109:110]
	v_mul_f64 v[109:110], v[1:2], v[109:110]
	v_fma_f64 v[1:2], v[1:2], v[107:108], -v[112:113]
	v_fma_f64 v[3:4], v[3:4], v[107:108], v[109:110]
	buffer_store_dword v2, off, s[0:3], 0 offset:20
	buffer_store_dword v1, off, s[0:3], 0 offset:16
	;; [unrolled: 1-line block ×4, first 2 shown]
.LBB113_387:
	s_or_b32 exec_lo, exec_lo, s5
	s_clause 0x3
	buffer_load_dword v1, off, s[0:3], 0
	buffer_load_dword v2, off, s[0:3], 0 offset:4
	buffer_load_dword v3, off, s[0:3], 0 offset:8
	;; [unrolled: 1-line block ×3, first 2 shown]
	s_mov_b32 s6, 0
	s_mov_b32 s5, 0
	s_mov_b32 s8, exec_lo
                                        ; implicit-def: $sgpr59
	s_waitcnt vmcnt(0)
	ds_write_b128 v106, v[1:4]
	s_waitcnt lgkmcnt(0)
	s_waitcnt_vscnt null, 0x0
	s_barrier
	buffer_gl0_inv
                                        ; implicit-def: $vgpr1_vgpr2
	v_cmpx_ne_u32_e32 0, v0
	s_cbranch_execz .LBB113_395
; %bb.388:
	ds_read_b128 v[1:4], v106
	s_andn2_b32 vcc_lo, exec_lo, s58
	s_cbranch_vccnz .LBB113_390
; %bb.389:
	s_clause 0x3
	buffer_load_dword v107, v105, s[0:3], 0 offen offset:8
	buffer_load_dword v108, v105, s[0:3], 0 offen offset:12
	buffer_load_dword v109, v105, s[0:3], 0 offen
	buffer_load_dword v110, v105, s[0:3], 0 offen offset:4
	s_waitcnt vmcnt(2) lgkmcnt(0)
	v_mul_f64 v[112:113], v[3:4], v[107:108]
	v_mul_f64 v[107:108], v[1:2], v[107:108]
	s_waitcnt vmcnt(0)
	v_fma_f64 v[1:2], v[1:2], v[109:110], -v[112:113]
	v_fma_f64 v[3:4], v[3:4], v[109:110], v[107:108]
.LBB113_390:
	s_and_saveexec_b32 s5, s4
	s_cbranch_execz .LBB113_394
; %bb.391:
	v_add_nc_u32_e32 v107, -1, v0
	s_movk_i32 s59, 0x330
	s_mov_b32 s4, 0
	s_mov_b32 s60, s57
	.p2align	6
.LBB113_392:                            ; =>This Inner Loop Header: Depth=1
	v_mov_b32_e32 v110, s60
	v_add_nc_u32_e32 v107, -1, v107
	s_add_i32 s60, s60, 16
	s_clause 0x3
	buffer_load_dword v108, v110, s[0:3], 0 offen offset:8
	buffer_load_dword v109, v110, s[0:3], 0 offen offset:12
	buffer_load_dword v116, v110, s[0:3], 0 offen
	buffer_load_dword v117, v110, s[0:3], 0 offen offset:4
	v_mov_b32_e32 v110, s59
	v_cmp_eq_u32_e32 vcc_lo, 0, v107
	s_add_i32 s59, s59, 16
	ds_read_b128 v[112:115], v110
	s_or_b32 s4, vcc_lo, s4
	s_waitcnt vmcnt(2) lgkmcnt(0)
	v_mul_f64 v[118:119], v[114:115], v[108:109]
	v_mul_f64 v[108:109], v[112:113], v[108:109]
	s_waitcnt vmcnt(0)
	v_fma_f64 v[112:113], v[112:113], v[116:117], -v[118:119]
	v_fma_f64 v[108:109], v[114:115], v[116:117], v[108:109]
	v_add_f64 v[1:2], v[1:2], v[112:113]
	v_add_f64 v[3:4], v[3:4], v[108:109]
	s_andn2_b32 exec_lo, exec_lo, s4
	s_cbranch_execnz .LBB113_392
; %bb.393:
	s_or_b32 exec_lo, exec_lo, s4
.LBB113_394:
	s_or_b32 exec_lo, exec_lo, s5
	v_mov_b32_e32 v107, 0
	s_mov_b32 s5, exec_lo
	s_or_b32 s59, 0, 8
	ds_read_b128 v[107:110], v107
	s_waitcnt lgkmcnt(0)
	v_mul_f64 v[112:113], v[3:4], v[109:110]
	v_mul_f64 v[109:110], v[1:2], v[109:110]
	v_fma_f64 v[112:113], v[1:2], v[107:108], -v[112:113]
	v_fma_f64 v[1:2], v[3:4], v[107:108], v[109:110]
	buffer_store_dword v113, off, s[0:3], 0 offset:4
	buffer_store_dword v112, off, s[0:3], 0
.LBB113_395:
	s_or_b32 exec_lo, exec_lo, s8
	s_and_b32 vcc_lo, exec_lo, s6
	s_cbranch_vccnz .LBB113_397
	s_branch .LBB113_784
.LBB113_396:
	s_mov_b32 s5, 0
                                        ; implicit-def: $vgpr1_vgpr2
                                        ; implicit-def: $sgpr59
	s_cbranch_execz .LBB113_784
.LBB113_397:
	v_mov_b32_e32 v4, s57
	v_cmp_eq_u32_e64 s4, 0, v0
	v_cndmask_b32_e64 v107, 0, 1, s58
	s_clause 0x3
	buffer_load_dword v1, v4, s[0:3], 0 offen
	buffer_load_dword v2, v4, s[0:3], 0 offen offset:4
	buffer_load_dword v3, v4, s[0:3], 0 offen offset:8
	;; [unrolled: 1-line block ×3, first 2 shown]
	s_waitcnt vmcnt(0)
	ds_write_b128 v106, v[1:4]
	s_waitcnt lgkmcnt(0)
	s_waitcnt_vscnt null, 0x0
	s_barrier
	buffer_gl0_inv
	s_and_saveexec_b32 s6, s4
	s_cbranch_execz .LBB113_401
; %bb.398:
	ds_read_b128 v[1:4], v106
	s_andn2_b32 vcc_lo, exec_lo, s58
	s_cbranch_vccnz .LBB113_400
; %bb.399:
	s_clause 0x3
	buffer_load_dword v108, v105, s[0:3], 0 offen offset:8
	buffer_load_dword v109, v105, s[0:3], 0 offen offset:12
	buffer_load_dword v112, v105, s[0:3], 0 offen
	buffer_load_dword v113, v105, s[0:3], 0 offen offset:4
	s_waitcnt vmcnt(2) lgkmcnt(0)
	v_mul_f64 v[114:115], v[3:4], v[108:109]
	v_mul_f64 v[108:109], v[1:2], v[108:109]
	s_waitcnt vmcnt(0)
	v_fma_f64 v[1:2], v[1:2], v[112:113], -v[114:115]
	v_fma_f64 v[3:4], v[3:4], v[112:113], v[108:109]
.LBB113_400:
	v_mov_b32_e32 v108, 0
	ds_read_b128 v[112:115], v108 offset:16
	s_waitcnt lgkmcnt(0)
	v_mul_f64 v[108:109], v[3:4], v[114:115]
	v_mul_f64 v[114:115], v[1:2], v[114:115]
	v_fma_f64 v[1:2], v[1:2], v[112:113], -v[108:109]
	v_fma_f64 v[3:4], v[3:4], v[112:113], v[114:115]
	buffer_store_dword v2, off, s[0:3], 0 offset:20
	buffer_store_dword v1, off, s[0:3], 0 offset:16
	buffer_store_dword v4, off, s[0:3], 0 offset:28
	buffer_store_dword v3, off, s[0:3], 0 offset:24
.LBB113_401:
	s_or_b32 exec_lo, exec_lo, s6
	v_mov_b32_e32 v4, s56
	s_mov_b32 s6, exec_lo
	s_clause 0x3
	buffer_load_dword v1, v4, s[0:3], 0 offen
	buffer_load_dword v2, v4, s[0:3], 0 offen offset:4
	buffer_load_dword v3, v4, s[0:3], 0 offen offset:8
	;; [unrolled: 1-line block ×3, first 2 shown]
	s_waitcnt vmcnt(0)
	ds_write_b128 v106, v[1:4]
	s_waitcnt lgkmcnt(0)
	s_waitcnt_vscnt null, 0x0
	s_barrier
	buffer_gl0_inv
	v_cmpx_gt_u32_e32 2, v0
	s_cbranch_execz .LBB113_407
; %bb.402:
	ds_read_b128 v[1:4], v106
	v_cmp_ne_u32_e32 vcc_lo, 1, v107
	s_cbranch_vccnz .LBB113_404
; %bb.403:
	s_clause 0x3
	buffer_load_dword v108, v105, s[0:3], 0 offen offset:8
	buffer_load_dword v109, v105, s[0:3], 0 offen offset:12
	buffer_load_dword v112, v105, s[0:3], 0 offen
	buffer_load_dword v113, v105, s[0:3], 0 offen offset:4
	s_waitcnt vmcnt(2) lgkmcnt(0)
	v_mul_f64 v[114:115], v[3:4], v[108:109]
	v_mul_f64 v[108:109], v[1:2], v[108:109]
	s_waitcnt vmcnt(0)
	v_fma_f64 v[1:2], v[1:2], v[112:113], -v[114:115]
	v_fma_f64 v[3:4], v[3:4], v[112:113], v[108:109]
.LBB113_404:
	s_and_saveexec_b32 s8, s4
	s_cbranch_execz .LBB113_406
; %bb.405:
	s_clause 0x3
	buffer_load_dword v108, off, s[0:3], 0 offset:24
	buffer_load_dword v109, off, s[0:3], 0 offset:28
	;; [unrolled: 1-line block ×4, first 2 shown]
	v_mov_b32_e32 v110, 0
	ds_read_b128 v[112:115], v110 offset:816
	s_waitcnt vmcnt(2) lgkmcnt(0)
	v_mul_f64 v[118:119], v[114:115], v[108:109]
	v_mul_f64 v[108:109], v[112:113], v[108:109]
	s_waitcnt vmcnt(0)
	v_fma_f64 v[112:113], v[112:113], v[116:117], -v[118:119]
	v_fma_f64 v[108:109], v[114:115], v[116:117], v[108:109]
	v_add_f64 v[1:2], v[1:2], v[112:113]
	v_add_f64 v[3:4], v[3:4], v[108:109]
.LBB113_406:
	s_or_b32 exec_lo, exec_lo, s8
	v_mov_b32_e32 v108, 0
	ds_read_b128 v[112:115], v108 offset:32
	s_waitcnt lgkmcnt(0)
	v_mul_f64 v[108:109], v[3:4], v[114:115]
	v_mul_f64 v[114:115], v[1:2], v[114:115]
	v_fma_f64 v[1:2], v[1:2], v[112:113], -v[108:109]
	v_fma_f64 v[3:4], v[3:4], v[112:113], v[114:115]
	buffer_store_dword v2, off, s[0:3], 0 offset:36
	buffer_store_dword v1, off, s[0:3], 0 offset:32
	buffer_store_dword v4, off, s[0:3], 0 offset:44
	buffer_store_dword v3, off, s[0:3], 0 offset:40
.LBB113_407:
	s_or_b32 exec_lo, exec_lo, s6
	v_mov_b32_e32 v4, s55
	s_mov_b32 s6, exec_lo
	s_clause 0x3
	buffer_load_dword v1, v4, s[0:3], 0 offen
	buffer_load_dword v2, v4, s[0:3], 0 offen offset:4
	buffer_load_dword v3, v4, s[0:3], 0 offen offset:8
	;; [unrolled: 1-line block ×3, first 2 shown]
	s_waitcnt vmcnt(0)
	ds_write_b128 v106, v[1:4]
	s_waitcnt lgkmcnt(0)
	s_waitcnt_vscnt null, 0x0
	s_barrier
	buffer_gl0_inv
	v_cmpx_gt_u32_e32 3, v0
	s_cbranch_execz .LBB113_415
; %bb.408:
	ds_read_b128 v[1:4], v106
	v_cmp_ne_u32_e32 vcc_lo, 1, v107
	s_cbranch_vccnz .LBB113_410
; %bb.409:
	s_clause 0x3
	buffer_load_dword v108, v105, s[0:3], 0 offen offset:8
	buffer_load_dword v109, v105, s[0:3], 0 offen offset:12
	buffer_load_dword v112, v105, s[0:3], 0 offen
	buffer_load_dword v113, v105, s[0:3], 0 offen offset:4
	s_waitcnt vmcnt(2) lgkmcnt(0)
	v_mul_f64 v[114:115], v[3:4], v[108:109]
	v_mul_f64 v[108:109], v[1:2], v[108:109]
	s_waitcnt vmcnt(0)
	v_fma_f64 v[1:2], v[1:2], v[112:113], -v[114:115]
	v_fma_f64 v[3:4], v[3:4], v[112:113], v[108:109]
.LBB113_410:
	s_mov_b32 s8, exec_lo
	v_cmpx_ne_u32_e32 2, v0
	s_cbranch_execz .LBB113_414
; %bb.411:
	s_clause 0x3
	buffer_load_dword v108, v105, s[0:3], 0 offen offset:24
	buffer_load_dword v109, v105, s[0:3], 0 offen offset:28
	;; [unrolled: 1-line block ×4, first 2 shown]
	ds_read_b128 v[112:115], v106 offset:16
	s_waitcnt vmcnt(2) lgkmcnt(0)
	v_mul_f64 v[118:119], v[114:115], v[108:109]
	v_mul_f64 v[108:109], v[112:113], v[108:109]
	s_waitcnt vmcnt(0)
	v_fma_f64 v[112:113], v[112:113], v[116:117], -v[118:119]
	v_fma_f64 v[108:109], v[114:115], v[116:117], v[108:109]
	v_add_f64 v[1:2], v[1:2], v[112:113]
	v_add_f64 v[3:4], v[3:4], v[108:109]
	s_and_saveexec_b32 s58, s4
	s_cbranch_execz .LBB113_413
; %bb.412:
	s_clause 0x3
	buffer_load_dword v108, off, s[0:3], 0 offset:40
	buffer_load_dword v109, off, s[0:3], 0 offset:44
	;; [unrolled: 1-line block ×4, first 2 shown]
	v_mov_b32_e32 v110, 0
	ds_read_b128 v[112:115], v110 offset:832
	s_waitcnt vmcnt(2) lgkmcnt(0)
	v_mul_f64 v[118:119], v[112:113], v[108:109]
	v_mul_f64 v[108:109], v[114:115], v[108:109]
	s_waitcnt vmcnt(0)
	v_fma_f64 v[114:115], v[114:115], v[116:117], v[118:119]
	v_fma_f64 v[108:109], v[112:113], v[116:117], -v[108:109]
	v_add_f64 v[3:4], v[3:4], v[114:115]
	v_add_f64 v[1:2], v[1:2], v[108:109]
.LBB113_413:
	s_or_b32 exec_lo, exec_lo, s58
.LBB113_414:
	s_or_b32 exec_lo, exec_lo, s8
	v_mov_b32_e32 v108, 0
	ds_read_b128 v[112:115], v108 offset:48
	s_waitcnt lgkmcnt(0)
	v_mul_f64 v[108:109], v[3:4], v[114:115]
	v_mul_f64 v[114:115], v[1:2], v[114:115]
	v_fma_f64 v[1:2], v[1:2], v[112:113], -v[108:109]
	v_fma_f64 v[3:4], v[3:4], v[112:113], v[114:115]
	buffer_store_dword v2, off, s[0:3], 0 offset:52
	buffer_store_dword v1, off, s[0:3], 0 offset:48
	;; [unrolled: 1-line block ×4, first 2 shown]
.LBB113_415:
	s_or_b32 exec_lo, exec_lo, s6
	v_mov_b32_e32 v4, s54
	s_mov_b32 s4, exec_lo
	s_clause 0x3
	buffer_load_dword v1, v4, s[0:3], 0 offen
	buffer_load_dword v2, v4, s[0:3], 0 offen offset:4
	buffer_load_dword v3, v4, s[0:3], 0 offen offset:8
	;; [unrolled: 1-line block ×3, first 2 shown]
	s_waitcnt vmcnt(0)
	ds_write_b128 v106, v[1:4]
	s_waitcnt lgkmcnt(0)
	s_waitcnt_vscnt null, 0x0
	s_barrier
	buffer_gl0_inv
	v_cmpx_gt_u32_e32 4, v0
	s_cbranch_execz .LBB113_423
; %bb.416:
	ds_read_b128 v[1:4], v106
	v_cmp_ne_u32_e32 vcc_lo, 1, v107
	s_cbranch_vccnz .LBB113_418
; %bb.417:
	s_clause 0x3
	buffer_load_dword v108, v105, s[0:3], 0 offen offset:8
	buffer_load_dword v109, v105, s[0:3], 0 offen offset:12
	buffer_load_dword v112, v105, s[0:3], 0 offen
	buffer_load_dword v113, v105, s[0:3], 0 offen offset:4
	s_waitcnt vmcnt(2) lgkmcnt(0)
	v_mul_f64 v[114:115], v[3:4], v[108:109]
	v_mul_f64 v[108:109], v[1:2], v[108:109]
	s_waitcnt vmcnt(0)
	v_fma_f64 v[1:2], v[1:2], v[112:113], -v[114:115]
	v_fma_f64 v[3:4], v[3:4], v[112:113], v[108:109]
.LBB113_418:
	s_mov_b32 s6, exec_lo
	v_cmpx_ne_u32_e32 3, v0
	s_cbranch_execz .LBB113_422
; %bb.419:
	v_add_nc_u32_e32 v108, 0x330, v111
	v_add3_u32 v109, 0, v111, 16
	v_mov_b32_e32 v110, v0
	s_mov_b32 s8, 0
	.p2align	6
.LBB113_420:                            ; =>This Inner Loop Header: Depth=1
	s_clause 0x3
	buffer_load_dword v116, v109, s[0:3], 0 offen offset:8
	buffer_load_dword v117, v109, s[0:3], 0 offen offset:12
	buffer_load_dword v118, v109, s[0:3], 0 offen
	buffer_load_dword v119, v109, s[0:3], 0 offen offset:4
	ds_read_b128 v[112:115], v108
	v_add_nc_u32_e32 v110, 1, v110
	v_add_nc_u32_e32 v108, 16, v108
	v_add_nc_u32_e32 v109, 16, v109
	v_cmp_lt_u32_e32 vcc_lo, 2, v110
	s_or_b32 s8, vcc_lo, s8
	s_waitcnt vmcnt(2) lgkmcnt(0)
	v_mul_f64 v[120:121], v[114:115], v[116:117]
	v_mul_f64 v[116:117], v[112:113], v[116:117]
	s_waitcnt vmcnt(0)
	v_fma_f64 v[112:113], v[112:113], v[118:119], -v[120:121]
	v_fma_f64 v[114:115], v[114:115], v[118:119], v[116:117]
	v_add_f64 v[1:2], v[1:2], v[112:113]
	v_add_f64 v[3:4], v[3:4], v[114:115]
	s_andn2_b32 exec_lo, exec_lo, s8
	s_cbranch_execnz .LBB113_420
; %bb.421:
	s_or_b32 exec_lo, exec_lo, s8
.LBB113_422:
	s_or_b32 exec_lo, exec_lo, s6
	v_mov_b32_e32 v108, 0
	ds_read_b128 v[112:115], v108 offset:64
	s_waitcnt lgkmcnt(0)
	v_mul_f64 v[108:109], v[3:4], v[114:115]
	v_mul_f64 v[114:115], v[1:2], v[114:115]
	v_fma_f64 v[1:2], v[1:2], v[112:113], -v[108:109]
	v_fma_f64 v[3:4], v[3:4], v[112:113], v[114:115]
	buffer_store_dword v2, off, s[0:3], 0 offset:68
	buffer_store_dword v1, off, s[0:3], 0 offset:64
	;; [unrolled: 1-line block ×4, first 2 shown]
.LBB113_423:
	s_or_b32 exec_lo, exec_lo, s4
	v_mov_b32_e32 v4, s53
	s_mov_b32 s4, exec_lo
	s_clause 0x3
	buffer_load_dword v1, v4, s[0:3], 0 offen
	buffer_load_dword v2, v4, s[0:3], 0 offen offset:4
	buffer_load_dword v3, v4, s[0:3], 0 offen offset:8
	;; [unrolled: 1-line block ×3, first 2 shown]
	s_waitcnt vmcnt(0)
	ds_write_b128 v106, v[1:4]
	s_waitcnt lgkmcnt(0)
	s_waitcnt_vscnt null, 0x0
	s_barrier
	buffer_gl0_inv
	v_cmpx_gt_u32_e32 5, v0
	s_cbranch_execz .LBB113_431
; %bb.424:
	ds_read_b128 v[1:4], v106
	v_cmp_ne_u32_e32 vcc_lo, 1, v107
	s_cbranch_vccnz .LBB113_426
; %bb.425:
	s_clause 0x3
	buffer_load_dword v108, v105, s[0:3], 0 offen offset:8
	buffer_load_dword v109, v105, s[0:3], 0 offen offset:12
	buffer_load_dword v112, v105, s[0:3], 0 offen
	buffer_load_dword v113, v105, s[0:3], 0 offen offset:4
	s_waitcnt vmcnt(2) lgkmcnt(0)
	v_mul_f64 v[114:115], v[3:4], v[108:109]
	v_mul_f64 v[108:109], v[1:2], v[108:109]
	s_waitcnt vmcnt(0)
	v_fma_f64 v[1:2], v[1:2], v[112:113], -v[114:115]
	v_fma_f64 v[3:4], v[3:4], v[112:113], v[108:109]
.LBB113_426:
	s_mov_b32 s6, exec_lo
	v_cmpx_ne_u32_e32 4, v0
	s_cbranch_execz .LBB113_430
; %bb.427:
	v_add_nc_u32_e32 v108, 0x330, v111
	v_add3_u32 v109, 0, v111, 16
	v_mov_b32_e32 v110, v0
	s_mov_b32 s8, 0
	.p2align	6
.LBB113_428:                            ; =>This Inner Loop Header: Depth=1
	s_clause 0x3
	buffer_load_dword v116, v109, s[0:3], 0 offen offset:8
	buffer_load_dword v117, v109, s[0:3], 0 offen offset:12
	buffer_load_dword v118, v109, s[0:3], 0 offen
	buffer_load_dword v119, v109, s[0:3], 0 offen offset:4
	ds_read_b128 v[112:115], v108
	v_add_nc_u32_e32 v110, 1, v110
	v_add_nc_u32_e32 v108, 16, v108
	;; [unrolled: 1-line block ×3, first 2 shown]
	v_cmp_lt_u32_e32 vcc_lo, 3, v110
	s_or_b32 s8, vcc_lo, s8
	s_waitcnt vmcnt(2) lgkmcnt(0)
	v_mul_f64 v[120:121], v[114:115], v[116:117]
	v_mul_f64 v[116:117], v[112:113], v[116:117]
	s_waitcnt vmcnt(0)
	v_fma_f64 v[112:113], v[112:113], v[118:119], -v[120:121]
	v_fma_f64 v[114:115], v[114:115], v[118:119], v[116:117]
	v_add_f64 v[1:2], v[1:2], v[112:113]
	v_add_f64 v[3:4], v[3:4], v[114:115]
	s_andn2_b32 exec_lo, exec_lo, s8
	s_cbranch_execnz .LBB113_428
; %bb.429:
	s_or_b32 exec_lo, exec_lo, s8
.LBB113_430:
	s_or_b32 exec_lo, exec_lo, s6
	v_mov_b32_e32 v108, 0
	ds_read_b128 v[112:115], v108 offset:80
	s_waitcnt lgkmcnt(0)
	v_mul_f64 v[108:109], v[3:4], v[114:115]
	v_mul_f64 v[114:115], v[1:2], v[114:115]
	v_fma_f64 v[1:2], v[1:2], v[112:113], -v[108:109]
	v_fma_f64 v[3:4], v[3:4], v[112:113], v[114:115]
	buffer_store_dword v2, off, s[0:3], 0 offset:84
	buffer_store_dword v1, off, s[0:3], 0 offset:80
	;; [unrolled: 1-line block ×4, first 2 shown]
.LBB113_431:
	s_or_b32 exec_lo, exec_lo, s4
	v_mov_b32_e32 v4, s52
	s_mov_b32 s4, exec_lo
	s_clause 0x3
	buffer_load_dword v1, v4, s[0:3], 0 offen
	buffer_load_dword v2, v4, s[0:3], 0 offen offset:4
	buffer_load_dword v3, v4, s[0:3], 0 offen offset:8
	buffer_load_dword v4, v4, s[0:3], 0 offen offset:12
	s_waitcnt vmcnt(0)
	ds_write_b128 v106, v[1:4]
	s_waitcnt lgkmcnt(0)
	s_waitcnt_vscnt null, 0x0
	s_barrier
	buffer_gl0_inv
	v_cmpx_gt_u32_e32 6, v0
	s_cbranch_execz .LBB113_439
; %bb.432:
	ds_read_b128 v[1:4], v106
	v_cmp_ne_u32_e32 vcc_lo, 1, v107
	s_cbranch_vccnz .LBB113_434
; %bb.433:
	s_clause 0x3
	buffer_load_dword v108, v105, s[0:3], 0 offen offset:8
	buffer_load_dword v109, v105, s[0:3], 0 offen offset:12
	buffer_load_dword v112, v105, s[0:3], 0 offen
	buffer_load_dword v113, v105, s[0:3], 0 offen offset:4
	s_waitcnt vmcnt(2) lgkmcnt(0)
	v_mul_f64 v[114:115], v[3:4], v[108:109]
	v_mul_f64 v[108:109], v[1:2], v[108:109]
	s_waitcnt vmcnt(0)
	v_fma_f64 v[1:2], v[1:2], v[112:113], -v[114:115]
	v_fma_f64 v[3:4], v[3:4], v[112:113], v[108:109]
.LBB113_434:
	s_mov_b32 s6, exec_lo
	v_cmpx_ne_u32_e32 5, v0
	s_cbranch_execz .LBB113_438
; %bb.435:
	v_add_nc_u32_e32 v108, 0x330, v111
	v_add3_u32 v109, 0, v111, 16
	v_mov_b32_e32 v110, v0
	s_mov_b32 s8, 0
	.p2align	6
.LBB113_436:                            ; =>This Inner Loop Header: Depth=1
	s_clause 0x3
	buffer_load_dword v116, v109, s[0:3], 0 offen offset:8
	buffer_load_dword v117, v109, s[0:3], 0 offen offset:12
	buffer_load_dword v118, v109, s[0:3], 0 offen
	buffer_load_dword v119, v109, s[0:3], 0 offen offset:4
	ds_read_b128 v[112:115], v108
	v_add_nc_u32_e32 v110, 1, v110
	v_add_nc_u32_e32 v108, 16, v108
	;; [unrolled: 1-line block ×3, first 2 shown]
	v_cmp_lt_u32_e32 vcc_lo, 4, v110
	s_or_b32 s8, vcc_lo, s8
	s_waitcnt vmcnt(2) lgkmcnt(0)
	v_mul_f64 v[120:121], v[114:115], v[116:117]
	v_mul_f64 v[116:117], v[112:113], v[116:117]
	s_waitcnt vmcnt(0)
	v_fma_f64 v[112:113], v[112:113], v[118:119], -v[120:121]
	v_fma_f64 v[114:115], v[114:115], v[118:119], v[116:117]
	v_add_f64 v[1:2], v[1:2], v[112:113]
	v_add_f64 v[3:4], v[3:4], v[114:115]
	s_andn2_b32 exec_lo, exec_lo, s8
	s_cbranch_execnz .LBB113_436
; %bb.437:
	s_or_b32 exec_lo, exec_lo, s8
.LBB113_438:
	s_or_b32 exec_lo, exec_lo, s6
	v_mov_b32_e32 v108, 0
	ds_read_b128 v[112:115], v108 offset:96
	s_waitcnt lgkmcnt(0)
	v_mul_f64 v[108:109], v[3:4], v[114:115]
	v_mul_f64 v[114:115], v[1:2], v[114:115]
	v_fma_f64 v[1:2], v[1:2], v[112:113], -v[108:109]
	v_fma_f64 v[3:4], v[3:4], v[112:113], v[114:115]
	buffer_store_dword v2, off, s[0:3], 0 offset:100
	buffer_store_dword v1, off, s[0:3], 0 offset:96
	;; [unrolled: 1-line block ×4, first 2 shown]
.LBB113_439:
	s_or_b32 exec_lo, exec_lo, s4
	v_mov_b32_e32 v4, s51
	s_mov_b32 s4, exec_lo
	s_clause 0x3
	buffer_load_dword v1, v4, s[0:3], 0 offen
	buffer_load_dword v2, v4, s[0:3], 0 offen offset:4
	buffer_load_dword v3, v4, s[0:3], 0 offen offset:8
	;; [unrolled: 1-line block ×3, first 2 shown]
	s_waitcnt vmcnt(0)
	ds_write_b128 v106, v[1:4]
	s_waitcnt lgkmcnt(0)
	s_waitcnt_vscnt null, 0x0
	s_barrier
	buffer_gl0_inv
	v_cmpx_gt_u32_e32 7, v0
	s_cbranch_execz .LBB113_447
; %bb.440:
	ds_read_b128 v[1:4], v106
	v_cmp_ne_u32_e32 vcc_lo, 1, v107
	s_cbranch_vccnz .LBB113_442
; %bb.441:
	s_clause 0x3
	buffer_load_dword v108, v105, s[0:3], 0 offen offset:8
	buffer_load_dword v109, v105, s[0:3], 0 offen offset:12
	buffer_load_dword v112, v105, s[0:3], 0 offen
	buffer_load_dword v113, v105, s[0:3], 0 offen offset:4
	s_waitcnt vmcnt(2) lgkmcnt(0)
	v_mul_f64 v[114:115], v[3:4], v[108:109]
	v_mul_f64 v[108:109], v[1:2], v[108:109]
	s_waitcnt vmcnt(0)
	v_fma_f64 v[1:2], v[1:2], v[112:113], -v[114:115]
	v_fma_f64 v[3:4], v[3:4], v[112:113], v[108:109]
.LBB113_442:
	s_mov_b32 s6, exec_lo
	v_cmpx_ne_u32_e32 6, v0
	s_cbranch_execz .LBB113_446
; %bb.443:
	v_add_nc_u32_e32 v108, 0x330, v111
	v_add3_u32 v109, 0, v111, 16
	v_mov_b32_e32 v110, v0
	s_mov_b32 s8, 0
	.p2align	6
.LBB113_444:                            ; =>This Inner Loop Header: Depth=1
	s_clause 0x3
	buffer_load_dword v116, v109, s[0:3], 0 offen offset:8
	buffer_load_dword v117, v109, s[0:3], 0 offen offset:12
	buffer_load_dword v118, v109, s[0:3], 0 offen
	buffer_load_dword v119, v109, s[0:3], 0 offen offset:4
	ds_read_b128 v[112:115], v108
	v_add_nc_u32_e32 v110, 1, v110
	v_add_nc_u32_e32 v108, 16, v108
	;; [unrolled: 1-line block ×3, first 2 shown]
	v_cmp_lt_u32_e32 vcc_lo, 5, v110
	s_or_b32 s8, vcc_lo, s8
	s_waitcnt vmcnt(2) lgkmcnt(0)
	v_mul_f64 v[120:121], v[114:115], v[116:117]
	v_mul_f64 v[116:117], v[112:113], v[116:117]
	s_waitcnt vmcnt(0)
	v_fma_f64 v[112:113], v[112:113], v[118:119], -v[120:121]
	v_fma_f64 v[114:115], v[114:115], v[118:119], v[116:117]
	v_add_f64 v[1:2], v[1:2], v[112:113]
	v_add_f64 v[3:4], v[3:4], v[114:115]
	s_andn2_b32 exec_lo, exec_lo, s8
	s_cbranch_execnz .LBB113_444
; %bb.445:
	s_or_b32 exec_lo, exec_lo, s8
.LBB113_446:
	s_or_b32 exec_lo, exec_lo, s6
	v_mov_b32_e32 v108, 0
	ds_read_b128 v[112:115], v108 offset:112
	s_waitcnt lgkmcnt(0)
	v_mul_f64 v[108:109], v[3:4], v[114:115]
	v_mul_f64 v[114:115], v[1:2], v[114:115]
	v_fma_f64 v[1:2], v[1:2], v[112:113], -v[108:109]
	v_fma_f64 v[3:4], v[3:4], v[112:113], v[114:115]
	buffer_store_dword v2, off, s[0:3], 0 offset:116
	buffer_store_dword v1, off, s[0:3], 0 offset:112
	;; [unrolled: 1-line block ×4, first 2 shown]
.LBB113_447:
	s_or_b32 exec_lo, exec_lo, s4
	v_mov_b32_e32 v4, s50
	s_mov_b32 s4, exec_lo
	s_clause 0x3
	buffer_load_dword v1, v4, s[0:3], 0 offen
	buffer_load_dword v2, v4, s[0:3], 0 offen offset:4
	buffer_load_dword v3, v4, s[0:3], 0 offen offset:8
	;; [unrolled: 1-line block ×3, first 2 shown]
	s_waitcnt vmcnt(0)
	ds_write_b128 v106, v[1:4]
	s_waitcnt lgkmcnt(0)
	s_waitcnt_vscnt null, 0x0
	s_barrier
	buffer_gl0_inv
	v_cmpx_gt_u32_e32 8, v0
	s_cbranch_execz .LBB113_455
; %bb.448:
	ds_read_b128 v[1:4], v106
	v_cmp_ne_u32_e32 vcc_lo, 1, v107
	s_cbranch_vccnz .LBB113_450
; %bb.449:
	s_clause 0x3
	buffer_load_dword v108, v105, s[0:3], 0 offen offset:8
	buffer_load_dword v109, v105, s[0:3], 0 offen offset:12
	buffer_load_dword v112, v105, s[0:3], 0 offen
	buffer_load_dword v113, v105, s[0:3], 0 offen offset:4
	s_waitcnt vmcnt(2) lgkmcnt(0)
	v_mul_f64 v[114:115], v[3:4], v[108:109]
	v_mul_f64 v[108:109], v[1:2], v[108:109]
	s_waitcnt vmcnt(0)
	v_fma_f64 v[1:2], v[1:2], v[112:113], -v[114:115]
	v_fma_f64 v[3:4], v[3:4], v[112:113], v[108:109]
.LBB113_450:
	s_mov_b32 s6, exec_lo
	v_cmpx_ne_u32_e32 7, v0
	s_cbranch_execz .LBB113_454
; %bb.451:
	v_add_nc_u32_e32 v108, 0x330, v111
	v_add3_u32 v109, 0, v111, 16
	v_mov_b32_e32 v110, v0
	s_mov_b32 s8, 0
	.p2align	6
.LBB113_452:                            ; =>This Inner Loop Header: Depth=1
	s_clause 0x3
	buffer_load_dword v116, v109, s[0:3], 0 offen offset:8
	buffer_load_dword v117, v109, s[0:3], 0 offen offset:12
	buffer_load_dword v118, v109, s[0:3], 0 offen
	buffer_load_dword v119, v109, s[0:3], 0 offen offset:4
	ds_read_b128 v[112:115], v108
	v_add_nc_u32_e32 v110, 1, v110
	v_add_nc_u32_e32 v108, 16, v108
	;; [unrolled: 1-line block ×3, first 2 shown]
	v_cmp_lt_u32_e32 vcc_lo, 6, v110
	s_or_b32 s8, vcc_lo, s8
	s_waitcnt vmcnt(2) lgkmcnt(0)
	v_mul_f64 v[120:121], v[114:115], v[116:117]
	v_mul_f64 v[116:117], v[112:113], v[116:117]
	s_waitcnt vmcnt(0)
	v_fma_f64 v[112:113], v[112:113], v[118:119], -v[120:121]
	v_fma_f64 v[114:115], v[114:115], v[118:119], v[116:117]
	v_add_f64 v[1:2], v[1:2], v[112:113]
	v_add_f64 v[3:4], v[3:4], v[114:115]
	s_andn2_b32 exec_lo, exec_lo, s8
	s_cbranch_execnz .LBB113_452
; %bb.453:
	s_or_b32 exec_lo, exec_lo, s8
.LBB113_454:
	s_or_b32 exec_lo, exec_lo, s6
	v_mov_b32_e32 v108, 0
	ds_read_b128 v[112:115], v108 offset:128
	s_waitcnt lgkmcnt(0)
	v_mul_f64 v[108:109], v[3:4], v[114:115]
	v_mul_f64 v[114:115], v[1:2], v[114:115]
	v_fma_f64 v[1:2], v[1:2], v[112:113], -v[108:109]
	v_fma_f64 v[3:4], v[3:4], v[112:113], v[114:115]
	buffer_store_dword v2, off, s[0:3], 0 offset:132
	buffer_store_dword v1, off, s[0:3], 0 offset:128
	;; [unrolled: 1-line block ×4, first 2 shown]
.LBB113_455:
	s_or_b32 exec_lo, exec_lo, s4
	v_mov_b32_e32 v4, s49
	s_mov_b32 s4, exec_lo
	s_clause 0x3
	buffer_load_dword v1, v4, s[0:3], 0 offen
	buffer_load_dword v2, v4, s[0:3], 0 offen offset:4
	buffer_load_dword v3, v4, s[0:3], 0 offen offset:8
	;; [unrolled: 1-line block ×3, first 2 shown]
	s_waitcnt vmcnt(0)
	ds_write_b128 v106, v[1:4]
	s_waitcnt lgkmcnt(0)
	s_waitcnt_vscnt null, 0x0
	s_barrier
	buffer_gl0_inv
	v_cmpx_gt_u32_e32 9, v0
	s_cbranch_execz .LBB113_463
; %bb.456:
	ds_read_b128 v[1:4], v106
	v_cmp_ne_u32_e32 vcc_lo, 1, v107
	s_cbranch_vccnz .LBB113_458
; %bb.457:
	s_clause 0x3
	buffer_load_dword v108, v105, s[0:3], 0 offen offset:8
	buffer_load_dword v109, v105, s[0:3], 0 offen offset:12
	buffer_load_dword v112, v105, s[0:3], 0 offen
	buffer_load_dword v113, v105, s[0:3], 0 offen offset:4
	s_waitcnt vmcnt(2) lgkmcnt(0)
	v_mul_f64 v[114:115], v[3:4], v[108:109]
	v_mul_f64 v[108:109], v[1:2], v[108:109]
	s_waitcnt vmcnt(0)
	v_fma_f64 v[1:2], v[1:2], v[112:113], -v[114:115]
	v_fma_f64 v[3:4], v[3:4], v[112:113], v[108:109]
.LBB113_458:
	s_mov_b32 s6, exec_lo
	v_cmpx_ne_u32_e32 8, v0
	s_cbranch_execz .LBB113_462
; %bb.459:
	v_add_nc_u32_e32 v108, 0x330, v111
	v_add3_u32 v109, 0, v111, 16
	v_mov_b32_e32 v110, v0
	s_mov_b32 s8, 0
	.p2align	6
.LBB113_460:                            ; =>This Inner Loop Header: Depth=1
	s_clause 0x3
	buffer_load_dword v116, v109, s[0:3], 0 offen offset:8
	buffer_load_dword v117, v109, s[0:3], 0 offen offset:12
	buffer_load_dword v118, v109, s[0:3], 0 offen
	buffer_load_dword v119, v109, s[0:3], 0 offen offset:4
	ds_read_b128 v[112:115], v108
	v_add_nc_u32_e32 v110, 1, v110
	v_add_nc_u32_e32 v108, 16, v108
	;; [unrolled: 1-line block ×3, first 2 shown]
	v_cmp_lt_u32_e32 vcc_lo, 7, v110
	s_or_b32 s8, vcc_lo, s8
	s_waitcnt vmcnt(2) lgkmcnt(0)
	v_mul_f64 v[120:121], v[114:115], v[116:117]
	v_mul_f64 v[116:117], v[112:113], v[116:117]
	s_waitcnt vmcnt(0)
	v_fma_f64 v[112:113], v[112:113], v[118:119], -v[120:121]
	v_fma_f64 v[114:115], v[114:115], v[118:119], v[116:117]
	v_add_f64 v[1:2], v[1:2], v[112:113]
	v_add_f64 v[3:4], v[3:4], v[114:115]
	s_andn2_b32 exec_lo, exec_lo, s8
	s_cbranch_execnz .LBB113_460
; %bb.461:
	s_or_b32 exec_lo, exec_lo, s8
.LBB113_462:
	s_or_b32 exec_lo, exec_lo, s6
	v_mov_b32_e32 v108, 0
	ds_read_b128 v[112:115], v108 offset:144
	s_waitcnt lgkmcnt(0)
	v_mul_f64 v[108:109], v[3:4], v[114:115]
	v_mul_f64 v[114:115], v[1:2], v[114:115]
	v_fma_f64 v[1:2], v[1:2], v[112:113], -v[108:109]
	v_fma_f64 v[3:4], v[3:4], v[112:113], v[114:115]
	buffer_store_dword v2, off, s[0:3], 0 offset:148
	buffer_store_dword v1, off, s[0:3], 0 offset:144
	;; [unrolled: 1-line block ×4, first 2 shown]
.LBB113_463:
	s_or_b32 exec_lo, exec_lo, s4
	v_mov_b32_e32 v4, s48
	s_mov_b32 s4, exec_lo
	s_clause 0x3
	buffer_load_dword v1, v4, s[0:3], 0 offen
	buffer_load_dword v2, v4, s[0:3], 0 offen offset:4
	buffer_load_dword v3, v4, s[0:3], 0 offen offset:8
	;; [unrolled: 1-line block ×3, first 2 shown]
	s_waitcnt vmcnt(0)
	ds_write_b128 v106, v[1:4]
	s_waitcnt lgkmcnt(0)
	s_waitcnt_vscnt null, 0x0
	s_barrier
	buffer_gl0_inv
	v_cmpx_gt_u32_e32 10, v0
	s_cbranch_execz .LBB113_471
; %bb.464:
	ds_read_b128 v[1:4], v106
	v_cmp_ne_u32_e32 vcc_lo, 1, v107
	s_cbranch_vccnz .LBB113_466
; %bb.465:
	s_clause 0x3
	buffer_load_dword v108, v105, s[0:3], 0 offen offset:8
	buffer_load_dword v109, v105, s[0:3], 0 offen offset:12
	buffer_load_dword v112, v105, s[0:3], 0 offen
	buffer_load_dword v113, v105, s[0:3], 0 offen offset:4
	s_waitcnt vmcnt(2) lgkmcnt(0)
	v_mul_f64 v[114:115], v[3:4], v[108:109]
	v_mul_f64 v[108:109], v[1:2], v[108:109]
	s_waitcnt vmcnt(0)
	v_fma_f64 v[1:2], v[1:2], v[112:113], -v[114:115]
	v_fma_f64 v[3:4], v[3:4], v[112:113], v[108:109]
.LBB113_466:
	s_mov_b32 s6, exec_lo
	v_cmpx_ne_u32_e32 9, v0
	s_cbranch_execz .LBB113_470
; %bb.467:
	v_add_nc_u32_e32 v108, 0x330, v111
	v_add3_u32 v109, 0, v111, 16
	v_mov_b32_e32 v110, v0
	s_mov_b32 s8, 0
	.p2align	6
.LBB113_468:                            ; =>This Inner Loop Header: Depth=1
	s_clause 0x3
	buffer_load_dword v116, v109, s[0:3], 0 offen offset:8
	buffer_load_dword v117, v109, s[0:3], 0 offen offset:12
	buffer_load_dword v118, v109, s[0:3], 0 offen
	buffer_load_dword v119, v109, s[0:3], 0 offen offset:4
	ds_read_b128 v[112:115], v108
	v_add_nc_u32_e32 v110, 1, v110
	v_add_nc_u32_e32 v108, 16, v108
	;; [unrolled: 1-line block ×3, first 2 shown]
	v_cmp_lt_u32_e32 vcc_lo, 8, v110
	s_or_b32 s8, vcc_lo, s8
	s_waitcnt vmcnt(2) lgkmcnt(0)
	v_mul_f64 v[120:121], v[114:115], v[116:117]
	v_mul_f64 v[116:117], v[112:113], v[116:117]
	s_waitcnt vmcnt(0)
	v_fma_f64 v[112:113], v[112:113], v[118:119], -v[120:121]
	v_fma_f64 v[114:115], v[114:115], v[118:119], v[116:117]
	v_add_f64 v[1:2], v[1:2], v[112:113]
	v_add_f64 v[3:4], v[3:4], v[114:115]
	s_andn2_b32 exec_lo, exec_lo, s8
	s_cbranch_execnz .LBB113_468
; %bb.469:
	s_or_b32 exec_lo, exec_lo, s8
.LBB113_470:
	s_or_b32 exec_lo, exec_lo, s6
	v_mov_b32_e32 v108, 0
	ds_read_b128 v[112:115], v108 offset:160
	s_waitcnt lgkmcnt(0)
	v_mul_f64 v[108:109], v[3:4], v[114:115]
	v_mul_f64 v[114:115], v[1:2], v[114:115]
	v_fma_f64 v[1:2], v[1:2], v[112:113], -v[108:109]
	v_fma_f64 v[3:4], v[3:4], v[112:113], v[114:115]
	buffer_store_dword v2, off, s[0:3], 0 offset:164
	buffer_store_dword v1, off, s[0:3], 0 offset:160
	;; [unrolled: 1-line block ×4, first 2 shown]
.LBB113_471:
	s_or_b32 exec_lo, exec_lo, s4
	v_mov_b32_e32 v4, s47
	s_mov_b32 s4, exec_lo
	s_clause 0x3
	buffer_load_dword v1, v4, s[0:3], 0 offen
	buffer_load_dword v2, v4, s[0:3], 0 offen offset:4
	buffer_load_dword v3, v4, s[0:3], 0 offen offset:8
	;; [unrolled: 1-line block ×3, first 2 shown]
	s_waitcnt vmcnt(0)
	ds_write_b128 v106, v[1:4]
	s_waitcnt lgkmcnt(0)
	s_waitcnt_vscnt null, 0x0
	s_barrier
	buffer_gl0_inv
	v_cmpx_gt_u32_e32 11, v0
	s_cbranch_execz .LBB113_479
; %bb.472:
	ds_read_b128 v[1:4], v106
	v_cmp_ne_u32_e32 vcc_lo, 1, v107
	s_cbranch_vccnz .LBB113_474
; %bb.473:
	s_clause 0x3
	buffer_load_dword v108, v105, s[0:3], 0 offen offset:8
	buffer_load_dword v109, v105, s[0:3], 0 offen offset:12
	buffer_load_dword v112, v105, s[0:3], 0 offen
	buffer_load_dword v113, v105, s[0:3], 0 offen offset:4
	s_waitcnt vmcnt(2) lgkmcnt(0)
	v_mul_f64 v[114:115], v[3:4], v[108:109]
	v_mul_f64 v[108:109], v[1:2], v[108:109]
	s_waitcnt vmcnt(0)
	v_fma_f64 v[1:2], v[1:2], v[112:113], -v[114:115]
	v_fma_f64 v[3:4], v[3:4], v[112:113], v[108:109]
.LBB113_474:
	s_mov_b32 s6, exec_lo
	v_cmpx_ne_u32_e32 10, v0
	s_cbranch_execz .LBB113_478
; %bb.475:
	v_add_nc_u32_e32 v108, 0x330, v111
	v_add3_u32 v109, 0, v111, 16
	v_mov_b32_e32 v110, v0
	s_mov_b32 s8, 0
	.p2align	6
.LBB113_476:                            ; =>This Inner Loop Header: Depth=1
	s_clause 0x3
	buffer_load_dword v116, v109, s[0:3], 0 offen offset:8
	buffer_load_dword v117, v109, s[0:3], 0 offen offset:12
	buffer_load_dword v118, v109, s[0:3], 0 offen
	buffer_load_dword v119, v109, s[0:3], 0 offen offset:4
	ds_read_b128 v[112:115], v108
	v_add_nc_u32_e32 v110, 1, v110
	v_add_nc_u32_e32 v108, 16, v108
	;; [unrolled: 1-line block ×3, first 2 shown]
	v_cmp_lt_u32_e32 vcc_lo, 9, v110
	s_or_b32 s8, vcc_lo, s8
	s_waitcnt vmcnt(2) lgkmcnt(0)
	v_mul_f64 v[120:121], v[114:115], v[116:117]
	v_mul_f64 v[116:117], v[112:113], v[116:117]
	s_waitcnt vmcnt(0)
	v_fma_f64 v[112:113], v[112:113], v[118:119], -v[120:121]
	v_fma_f64 v[114:115], v[114:115], v[118:119], v[116:117]
	v_add_f64 v[1:2], v[1:2], v[112:113]
	v_add_f64 v[3:4], v[3:4], v[114:115]
	s_andn2_b32 exec_lo, exec_lo, s8
	s_cbranch_execnz .LBB113_476
; %bb.477:
	s_or_b32 exec_lo, exec_lo, s8
.LBB113_478:
	s_or_b32 exec_lo, exec_lo, s6
	v_mov_b32_e32 v108, 0
	ds_read_b128 v[112:115], v108 offset:176
	s_waitcnt lgkmcnt(0)
	v_mul_f64 v[108:109], v[3:4], v[114:115]
	v_mul_f64 v[114:115], v[1:2], v[114:115]
	v_fma_f64 v[1:2], v[1:2], v[112:113], -v[108:109]
	v_fma_f64 v[3:4], v[3:4], v[112:113], v[114:115]
	buffer_store_dword v2, off, s[0:3], 0 offset:180
	buffer_store_dword v1, off, s[0:3], 0 offset:176
	;; [unrolled: 1-line block ×4, first 2 shown]
.LBB113_479:
	s_or_b32 exec_lo, exec_lo, s4
	v_mov_b32_e32 v4, s46
	s_mov_b32 s4, exec_lo
	s_clause 0x3
	buffer_load_dword v1, v4, s[0:3], 0 offen
	buffer_load_dword v2, v4, s[0:3], 0 offen offset:4
	buffer_load_dword v3, v4, s[0:3], 0 offen offset:8
	buffer_load_dword v4, v4, s[0:3], 0 offen offset:12
	s_waitcnt vmcnt(0)
	ds_write_b128 v106, v[1:4]
	s_waitcnt lgkmcnt(0)
	s_waitcnt_vscnt null, 0x0
	s_barrier
	buffer_gl0_inv
	v_cmpx_gt_u32_e32 12, v0
	s_cbranch_execz .LBB113_487
; %bb.480:
	ds_read_b128 v[1:4], v106
	v_cmp_ne_u32_e32 vcc_lo, 1, v107
	s_cbranch_vccnz .LBB113_482
; %bb.481:
	s_clause 0x3
	buffer_load_dword v108, v105, s[0:3], 0 offen offset:8
	buffer_load_dword v109, v105, s[0:3], 0 offen offset:12
	buffer_load_dword v112, v105, s[0:3], 0 offen
	buffer_load_dword v113, v105, s[0:3], 0 offen offset:4
	s_waitcnt vmcnt(2) lgkmcnt(0)
	v_mul_f64 v[114:115], v[3:4], v[108:109]
	v_mul_f64 v[108:109], v[1:2], v[108:109]
	s_waitcnt vmcnt(0)
	v_fma_f64 v[1:2], v[1:2], v[112:113], -v[114:115]
	v_fma_f64 v[3:4], v[3:4], v[112:113], v[108:109]
.LBB113_482:
	s_mov_b32 s6, exec_lo
	v_cmpx_ne_u32_e32 11, v0
	s_cbranch_execz .LBB113_486
; %bb.483:
	v_add_nc_u32_e32 v108, 0x330, v111
	v_add3_u32 v109, 0, v111, 16
	v_mov_b32_e32 v110, v0
	s_mov_b32 s8, 0
	.p2align	6
.LBB113_484:                            ; =>This Inner Loop Header: Depth=1
	s_clause 0x3
	buffer_load_dword v116, v109, s[0:3], 0 offen offset:8
	buffer_load_dword v117, v109, s[0:3], 0 offen offset:12
	buffer_load_dword v118, v109, s[0:3], 0 offen
	buffer_load_dword v119, v109, s[0:3], 0 offen offset:4
	ds_read_b128 v[112:115], v108
	v_add_nc_u32_e32 v110, 1, v110
	v_add_nc_u32_e32 v108, 16, v108
	;; [unrolled: 1-line block ×3, first 2 shown]
	v_cmp_lt_u32_e32 vcc_lo, 10, v110
	s_or_b32 s8, vcc_lo, s8
	s_waitcnt vmcnt(2) lgkmcnt(0)
	v_mul_f64 v[120:121], v[114:115], v[116:117]
	v_mul_f64 v[116:117], v[112:113], v[116:117]
	s_waitcnt vmcnt(0)
	v_fma_f64 v[112:113], v[112:113], v[118:119], -v[120:121]
	v_fma_f64 v[114:115], v[114:115], v[118:119], v[116:117]
	v_add_f64 v[1:2], v[1:2], v[112:113]
	v_add_f64 v[3:4], v[3:4], v[114:115]
	s_andn2_b32 exec_lo, exec_lo, s8
	s_cbranch_execnz .LBB113_484
; %bb.485:
	s_or_b32 exec_lo, exec_lo, s8
.LBB113_486:
	s_or_b32 exec_lo, exec_lo, s6
	v_mov_b32_e32 v108, 0
	ds_read_b128 v[112:115], v108 offset:192
	s_waitcnt lgkmcnt(0)
	v_mul_f64 v[108:109], v[3:4], v[114:115]
	v_mul_f64 v[114:115], v[1:2], v[114:115]
	v_fma_f64 v[1:2], v[1:2], v[112:113], -v[108:109]
	v_fma_f64 v[3:4], v[3:4], v[112:113], v[114:115]
	buffer_store_dword v2, off, s[0:3], 0 offset:196
	buffer_store_dword v1, off, s[0:3], 0 offset:192
	buffer_store_dword v4, off, s[0:3], 0 offset:204
	buffer_store_dword v3, off, s[0:3], 0 offset:200
.LBB113_487:
	s_or_b32 exec_lo, exec_lo, s4
	v_mov_b32_e32 v4, s45
	s_mov_b32 s4, exec_lo
	s_clause 0x3
	buffer_load_dword v1, v4, s[0:3], 0 offen
	buffer_load_dword v2, v4, s[0:3], 0 offen offset:4
	buffer_load_dword v3, v4, s[0:3], 0 offen offset:8
	;; [unrolled: 1-line block ×3, first 2 shown]
	s_waitcnt vmcnt(0)
	ds_write_b128 v106, v[1:4]
	s_waitcnt lgkmcnt(0)
	s_waitcnt_vscnt null, 0x0
	s_barrier
	buffer_gl0_inv
	v_cmpx_gt_u32_e32 13, v0
	s_cbranch_execz .LBB113_495
; %bb.488:
	ds_read_b128 v[1:4], v106
	v_cmp_ne_u32_e32 vcc_lo, 1, v107
	s_cbranch_vccnz .LBB113_490
; %bb.489:
	s_clause 0x3
	buffer_load_dword v108, v105, s[0:3], 0 offen offset:8
	buffer_load_dword v109, v105, s[0:3], 0 offen offset:12
	buffer_load_dword v112, v105, s[0:3], 0 offen
	buffer_load_dword v113, v105, s[0:3], 0 offen offset:4
	s_waitcnt vmcnt(2) lgkmcnt(0)
	v_mul_f64 v[114:115], v[3:4], v[108:109]
	v_mul_f64 v[108:109], v[1:2], v[108:109]
	s_waitcnt vmcnt(0)
	v_fma_f64 v[1:2], v[1:2], v[112:113], -v[114:115]
	v_fma_f64 v[3:4], v[3:4], v[112:113], v[108:109]
.LBB113_490:
	s_mov_b32 s6, exec_lo
	v_cmpx_ne_u32_e32 12, v0
	s_cbranch_execz .LBB113_494
; %bb.491:
	v_add_nc_u32_e32 v108, 0x330, v111
	v_add3_u32 v109, 0, v111, 16
	v_mov_b32_e32 v110, v0
	s_mov_b32 s8, 0
	.p2align	6
.LBB113_492:                            ; =>This Inner Loop Header: Depth=1
	s_clause 0x3
	buffer_load_dword v116, v109, s[0:3], 0 offen offset:8
	buffer_load_dword v117, v109, s[0:3], 0 offen offset:12
	buffer_load_dword v118, v109, s[0:3], 0 offen
	buffer_load_dword v119, v109, s[0:3], 0 offen offset:4
	ds_read_b128 v[112:115], v108
	v_add_nc_u32_e32 v110, 1, v110
	v_add_nc_u32_e32 v108, 16, v108
	;; [unrolled: 1-line block ×3, first 2 shown]
	v_cmp_lt_u32_e32 vcc_lo, 11, v110
	s_or_b32 s8, vcc_lo, s8
	s_waitcnt vmcnt(2) lgkmcnt(0)
	v_mul_f64 v[120:121], v[114:115], v[116:117]
	v_mul_f64 v[116:117], v[112:113], v[116:117]
	s_waitcnt vmcnt(0)
	v_fma_f64 v[112:113], v[112:113], v[118:119], -v[120:121]
	v_fma_f64 v[114:115], v[114:115], v[118:119], v[116:117]
	v_add_f64 v[1:2], v[1:2], v[112:113]
	v_add_f64 v[3:4], v[3:4], v[114:115]
	s_andn2_b32 exec_lo, exec_lo, s8
	s_cbranch_execnz .LBB113_492
; %bb.493:
	s_or_b32 exec_lo, exec_lo, s8
.LBB113_494:
	s_or_b32 exec_lo, exec_lo, s6
	v_mov_b32_e32 v108, 0
	ds_read_b128 v[112:115], v108 offset:208
	s_waitcnt lgkmcnt(0)
	v_mul_f64 v[108:109], v[3:4], v[114:115]
	v_mul_f64 v[114:115], v[1:2], v[114:115]
	v_fma_f64 v[1:2], v[1:2], v[112:113], -v[108:109]
	v_fma_f64 v[3:4], v[3:4], v[112:113], v[114:115]
	buffer_store_dword v2, off, s[0:3], 0 offset:212
	buffer_store_dword v1, off, s[0:3], 0 offset:208
	buffer_store_dword v4, off, s[0:3], 0 offset:220
	buffer_store_dword v3, off, s[0:3], 0 offset:216
.LBB113_495:
	s_or_b32 exec_lo, exec_lo, s4
	v_mov_b32_e32 v4, s44
	s_mov_b32 s4, exec_lo
	s_clause 0x3
	buffer_load_dword v1, v4, s[0:3], 0 offen
	buffer_load_dword v2, v4, s[0:3], 0 offen offset:4
	buffer_load_dword v3, v4, s[0:3], 0 offen offset:8
	;; [unrolled: 1-line block ×3, first 2 shown]
	s_waitcnt vmcnt(0)
	ds_write_b128 v106, v[1:4]
	s_waitcnt lgkmcnt(0)
	s_waitcnt_vscnt null, 0x0
	s_barrier
	buffer_gl0_inv
	v_cmpx_gt_u32_e32 14, v0
	s_cbranch_execz .LBB113_503
; %bb.496:
	ds_read_b128 v[1:4], v106
	v_cmp_ne_u32_e32 vcc_lo, 1, v107
	s_cbranch_vccnz .LBB113_498
; %bb.497:
	s_clause 0x3
	buffer_load_dword v108, v105, s[0:3], 0 offen offset:8
	buffer_load_dword v109, v105, s[0:3], 0 offen offset:12
	buffer_load_dword v112, v105, s[0:3], 0 offen
	buffer_load_dword v113, v105, s[0:3], 0 offen offset:4
	s_waitcnt vmcnt(2) lgkmcnt(0)
	v_mul_f64 v[114:115], v[3:4], v[108:109]
	v_mul_f64 v[108:109], v[1:2], v[108:109]
	s_waitcnt vmcnt(0)
	v_fma_f64 v[1:2], v[1:2], v[112:113], -v[114:115]
	v_fma_f64 v[3:4], v[3:4], v[112:113], v[108:109]
.LBB113_498:
	s_mov_b32 s6, exec_lo
	v_cmpx_ne_u32_e32 13, v0
	s_cbranch_execz .LBB113_502
; %bb.499:
	v_add_nc_u32_e32 v108, 0x330, v111
	v_add3_u32 v109, 0, v111, 16
	v_mov_b32_e32 v110, v0
	s_mov_b32 s8, 0
	.p2align	6
.LBB113_500:                            ; =>This Inner Loop Header: Depth=1
	s_clause 0x3
	buffer_load_dword v116, v109, s[0:3], 0 offen offset:8
	buffer_load_dword v117, v109, s[0:3], 0 offen offset:12
	buffer_load_dword v118, v109, s[0:3], 0 offen
	buffer_load_dword v119, v109, s[0:3], 0 offen offset:4
	ds_read_b128 v[112:115], v108
	v_add_nc_u32_e32 v110, 1, v110
	v_add_nc_u32_e32 v108, 16, v108
	;; [unrolled: 1-line block ×3, first 2 shown]
	v_cmp_lt_u32_e32 vcc_lo, 12, v110
	s_or_b32 s8, vcc_lo, s8
	s_waitcnt vmcnt(2) lgkmcnt(0)
	v_mul_f64 v[120:121], v[114:115], v[116:117]
	v_mul_f64 v[116:117], v[112:113], v[116:117]
	s_waitcnt vmcnt(0)
	v_fma_f64 v[112:113], v[112:113], v[118:119], -v[120:121]
	v_fma_f64 v[114:115], v[114:115], v[118:119], v[116:117]
	v_add_f64 v[1:2], v[1:2], v[112:113]
	v_add_f64 v[3:4], v[3:4], v[114:115]
	s_andn2_b32 exec_lo, exec_lo, s8
	s_cbranch_execnz .LBB113_500
; %bb.501:
	s_or_b32 exec_lo, exec_lo, s8
.LBB113_502:
	s_or_b32 exec_lo, exec_lo, s6
	v_mov_b32_e32 v108, 0
	ds_read_b128 v[112:115], v108 offset:224
	s_waitcnt lgkmcnt(0)
	v_mul_f64 v[108:109], v[3:4], v[114:115]
	v_mul_f64 v[114:115], v[1:2], v[114:115]
	v_fma_f64 v[1:2], v[1:2], v[112:113], -v[108:109]
	v_fma_f64 v[3:4], v[3:4], v[112:113], v[114:115]
	buffer_store_dword v2, off, s[0:3], 0 offset:228
	buffer_store_dword v1, off, s[0:3], 0 offset:224
	;; [unrolled: 1-line block ×4, first 2 shown]
.LBB113_503:
	s_or_b32 exec_lo, exec_lo, s4
	v_mov_b32_e32 v4, s43
	s_mov_b32 s4, exec_lo
	s_clause 0x3
	buffer_load_dword v1, v4, s[0:3], 0 offen
	buffer_load_dword v2, v4, s[0:3], 0 offen offset:4
	buffer_load_dword v3, v4, s[0:3], 0 offen offset:8
	;; [unrolled: 1-line block ×3, first 2 shown]
	s_waitcnt vmcnt(0)
	ds_write_b128 v106, v[1:4]
	s_waitcnt lgkmcnt(0)
	s_waitcnt_vscnt null, 0x0
	s_barrier
	buffer_gl0_inv
	v_cmpx_gt_u32_e32 15, v0
	s_cbranch_execz .LBB113_511
; %bb.504:
	ds_read_b128 v[1:4], v106
	v_cmp_ne_u32_e32 vcc_lo, 1, v107
	s_cbranch_vccnz .LBB113_506
; %bb.505:
	s_clause 0x3
	buffer_load_dword v108, v105, s[0:3], 0 offen offset:8
	buffer_load_dword v109, v105, s[0:3], 0 offen offset:12
	buffer_load_dword v112, v105, s[0:3], 0 offen
	buffer_load_dword v113, v105, s[0:3], 0 offen offset:4
	s_waitcnt vmcnt(2) lgkmcnt(0)
	v_mul_f64 v[114:115], v[3:4], v[108:109]
	v_mul_f64 v[108:109], v[1:2], v[108:109]
	s_waitcnt vmcnt(0)
	v_fma_f64 v[1:2], v[1:2], v[112:113], -v[114:115]
	v_fma_f64 v[3:4], v[3:4], v[112:113], v[108:109]
.LBB113_506:
	s_mov_b32 s6, exec_lo
	v_cmpx_ne_u32_e32 14, v0
	s_cbranch_execz .LBB113_510
; %bb.507:
	v_add_nc_u32_e32 v108, 0x330, v111
	v_add3_u32 v109, 0, v111, 16
	v_mov_b32_e32 v110, v0
	s_mov_b32 s8, 0
	.p2align	6
.LBB113_508:                            ; =>This Inner Loop Header: Depth=1
	s_clause 0x3
	buffer_load_dword v116, v109, s[0:3], 0 offen offset:8
	buffer_load_dword v117, v109, s[0:3], 0 offen offset:12
	buffer_load_dword v118, v109, s[0:3], 0 offen
	buffer_load_dword v119, v109, s[0:3], 0 offen offset:4
	ds_read_b128 v[112:115], v108
	v_add_nc_u32_e32 v110, 1, v110
	v_add_nc_u32_e32 v108, 16, v108
	;; [unrolled: 1-line block ×3, first 2 shown]
	v_cmp_lt_u32_e32 vcc_lo, 13, v110
	s_or_b32 s8, vcc_lo, s8
	s_waitcnt vmcnt(2) lgkmcnt(0)
	v_mul_f64 v[120:121], v[114:115], v[116:117]
	v_mul_f64 v[116:117], v[112:113], v[116:117]
	s_waitcnt vmcnt(0)
	v_fma_f64 v[112:113], v[112:113], v[118:119], -v[120:121]
	v_fma_f64 v[114:115], v[114:115], v[118:119], v[116:117]
	v_add_f64 v[1:2], v[1:2], v[112:113]
	v_add_f64 v[3:4], v[3:4], v[114:115]
	s_andn2_b32 exec_lo, exec_lo, s8
	s_cbranch_execnz .LBB113_508
; %bb.509:
	s_or_b32 exec_lo, exec_lo, s8
.LBB113_510:
	s_or_b32 exec_lo, exec_lo, s6
	v_mov_b32_e32 v108, 0
	ds_read_b128 v[112:115], v108 offset:240
	s_waitcnt lgkmcnt(0)
	v_mul_f64 v[108:109], v[3:4], v[114:115]
	v_mul_f64 v[114:115], v[1:2], v[114:115]
	v_fma_f64 v[1:2], v[1:2], v[112:113], -v[108:109]
	v_fma_f64 v[3:4], v[3:4], v[112:113], v[114:115]
	buffer_store_dword v2, off, s[0:3], 0 offset:244
	buffer_store_dword v1, off, s[0:3], 0 offset:240
	;; [unrolled: 1-line block ×4, first 2 shown]
.LBB113_511:
	s_or_b32 exec_lo, exec_lo, s4
	v_mov_b32_e32 v4, s42
	s_mov_b32 s4, exec_lo
	s_clause 0x3
	buffer_load_dword v1, v4, s[0:3], 0 offen
	buffer_load_dword v2, v4, s[0:3], 0 offen offset:4
	buffer_load_dword v3, v4, s[0:3], 0 offen offset:8
	;; [unrolled: 1-line block ×3, first 2 shown]
	s_waitcnt vmcnt(0)
	ds_write_b128 v106, v[1:4]
	s_waitcnt lgkmcnt(0)
	s_waitcnt_vscnt null, 0x0
	s_barrier
	buffer_gl0_inv
	v_cmpx_gt_u32_e32 16, v0
	s_cbranch_execz .LBB113_519
; %bb.512:
	ds_read_b128 v[1:4], v106
	v_cmp_ne_u32_e32 vcc_lo, 1, v107
	s_cbranch_vccnz .LBB113_514
; %bb.513:
	s_clause 0x3
	buffer_load_dword v108, v105, s[0:3], 0 offen offset:8
	buffer_load_dword v109, v105, s[0:3], 0 offen offset:12
	buffer_load_dword v112, v105, s[0:3], 0 offen
	buffer_load_dword v113, v105, s[0:3], 0 offen offset:4
	s_waitcnt vmcnt(2) lgkmcnt(0)
	v_mul_f64 v[114:115], v[3:4], v[108:109]
	v_mul_f64 v[108:109], v[1:2], v[108:109]
	s_waitcnt vmcnt(0)
	v_fma_f64 v[1:2], v[1:2], v[112:113], -v[114:115]
	v_fma_f64 v[3:4], v[3:4], v[112:113], v[108:109]
.LBB113_514:
	s_mov_b32 s6, exec_lo
	v_cmpx_ne_u32_e32 15, v0
	s_cbranch_execz .LBB113_518
; %bb.515:
	v_add_nc_u32_e32 v108, 0x330, v111
	v_add3_u32 v109, 0, v111, 16
	v_mov_b32_e32 v110, v0
	s_mov_b32 s8, 0
	.p2align	6
.LBB113_516:                            ; =>This Inner Loop Header: Depth=1
	s_clause 0x3
	buffer_load_dword v116, v109, s[0:3], 0 offen offset:8
	buffer_load_dword v117, v109, s[0:3], 0 offen offset:12
	buffer_load_dword v118, v109, s[0:3], 0 offen
	buffer_load_dword v119, v109, s[0:3], 0 offen offset:4
	ds_read_b128 v[112:115], v108
	v_add_nc_u32_e32 v110, 1, v110
	v_add_nc_u32_e32 v108, 16, v108
	;; [unrolled: 1-line block ×3, first 2 shown]
	v_cmp_lt_u32_e32 vcc_lo, 14, v110
	s_or_b32 s8, vcc_lo, s8
	s_waitcnt vmcnt(2) lgkmcnt(0)
	v_mul_f64 v[120:121], v[114:115], v[116:117]
	v_mul_f64 v[116:117], v[112:113], v[116:117]
	s_waitcnt vmcnt(0)
	v_fma_f64 v[112:113], v[112:113], v[118:119], -v[120:121]
	v_fma_f64 v[114:115], v[114:115], v[118:119], v[116:117]
	v_add_f64 v[1:2], v[1:2], v[112:113]
	v_add_f64 v[3:4], v[3:4], v[114:115]
	s_andn2_b32 exec_lo, exec_lo, s8
	s_cbranch_execnz .LBB113_516
; %bb.517:
	s_or_b32 exec_lo, exec_lo, s8
.LBB113_518:
	s_or_b32 exec_lo, exec_lo, s6
	v_mov_b32_e32 v108, 0
	ds_read_b128 v[112:115], v108 offset:256
	s_waitcnt lgkmcnt(0)
	v_mul_f64 v[108:109], v[3:4], v[114:115]
	v_mul_f64 v[114:115], v[1:2], v[114:115]
	v_fma_f64 v[1:2], v[1:2], v[112:113], -v[108:109]
	v_fma_f64 v[3:4], v[3:4], v[112:113], v[114:115]
	buffer_store_dword v2, off, s[0:3], 0 offset:260
	buffer_store_dword v1, off, s[0:3], 0 offset:256
	;; [unrolled: 1-line block ×4, first 2 shown]
.LBB113_519:
	s_or_b32 exec_lo, exec_lo, s4
	v_mov_b32_e32 v4, s41
	s_mov_b32 s4, exec_lo
	s_clause 0x3
	buffer_load_dword v1, v4, s[0:3], 0 offen
	buffer_load_dword v2, v4, s[0:3], 0 offen offset:4
	buffer_load_dword v3, v4, s[0:3], 0 offen offset:8
	;; [unrolled: 1-line block ×3, first 2 shown]
	s_waitcnt vmcnt(0)
	ds_write_b128 v106, v[1:4]
	s_waitcnt lgkmcnt(0)
	s_waitcnt_vscnt null, 0x0
	s_barrier
	buffer_gl0_inv
	v_cmpx_gt_u32_e32 17, v0
	s_cbranch_execz .LBB113_527
; %bb.520:
	ds_read_b128 v[1:4], v106
	v_cmp_ne_u32_e32 vcc_lo, 1, v107
	s_cbranch_vccnz .LBB113_522
; %bb.521:
	s_clause 0x3
	buffer_load_dword v108, v105, s[0:3], 0 offen offset:8
	buffer_load_dword v109, v105, s[0:3], 0 offen offset:12
	buffer_load_dword v112, v105, s[0:3], 0 offen
	buffer_load_dword v113, v105, s[0:3], 0 offen offset:4
	s_waitcnt vmcnt(2) lgkmcnt(0)
	v_mul_f64 v[114:115], v[3:4], v[108:109]
	v_mul_f64 v[108:109], v[1:2], v[108:109]
	s_waitcnt vmcnt(0)
	v_fma_f64 v[1:2], v[1:2], v[112:113], -v[114:115]
	v_fma_f64 v[3:4], v[3:4], v[112:113], v[108:109]
.LBB113_522:
	s_mov_b32 s6, exec_lo
	v_cmpx_ne_u32_e32 16, v0
	s_cbranch_execz .LBB113_526
; %bb.523:
	v_add_nc_u32_e32 v108, 0x330, v111
	v_add3_u32 v109, 0, v111, 16
	v_mov_b32_e32 v110, v0
	s_mov_b32 s8, 0
	.p2align	6
.LBB113_524:                            ; =>This Inner Loop Header: Depth=1
	s_clause 0x3
	buffer_load_dword v116, v109, s[0:3], 0 offen offset:8
	buffer_load_dword v117, v109, s[0:3], 0 offen offset:12
	buffer_load_dword v118, v109, s[0:3], 0 offen
	buffer_load_dword v119, v109, s[0:3], 0 offen offset:4
	ds_read_b128 v[112:115], v108
	v_add_nc_u32_e32 v110, 1, v110
	v_add_nc_u32_e32 v108, 16, v108
	;; [unrolled: 1-line block ×3, first 2 shown]
	v_cmp_lt_u32_e32 vcc_lo, 15, v110
	s_or_b32 s8, vcc_lo, s8
	s_waitcnt vmcnt(2) lgkmcnt(0)
	v_mul_f64 v[120:121], v[114:115], v[116:117]
	v_mul_f64 v[116:117], v[112:113], v[116:117]
	s_waitcnt vmcnt(0)
	v_fma_f64 v[112:113], v[112:113], v[118:119], -v[120:121]
	v_fma_f64 v[114:115], v[114:115], v[118:119], v[116:117]
	v_add_f64 v[1:2], v[1:2], v[112:113]
	v_add_f64 v[3:4], v[3:4], v[114:115]
	s_andn2_b32 exec_lo, exec_lo, s8
	s_cbranch_execnz .LBB113_524
; %bb.525:
	s_or_b32 exec_lo, exec_lo, s8
.LBB113_526:
	s_or_b32 exec_lo, exec_lo, s6
	v_mov_b32_e32 v108, 0
	ds_read_b128 v[112:115], v108 offset:272
	s_waitcnt lgkmcnt(0)
	v_mul_f64 v[108:109], v[3:4], v[114:115]
	v_mul_f64 v[114:115], v[1:2], v[114:115]
	v_fma_f64 v[1:2], v[1:2], v[112:113], -v[108:109]
	v_fma_f64 v[3:4], v[3:4], v[112:113], v[114:115]
	buffer_store_dword v2, off, s[0:3], 0 offset:276
	buffer_store_dword v1, off, s[0:3], 0 offset:272
	;; [unrolled: 1-line block ×4, first 2 shown]
.LBB113_527:
	s_or_b32 exec_lo, exec_lo, s4
	v_mov_b32_e32 v4, s40
	s_mov_b32 s4, exec_lo
	s_clause 0x3
	buffer_load_dword v1, v4, s[0:3], 0 offen
	buffer_load_dword v2, v4, s[0:3], 0 offen offset:4
	buffer_load_dword v3, v4, s[0:3], 0 offen offset:8
	buffer_load_dword v4, v4, s[0:3], 0 offen offset:12
	s_waitcnt vmcnt(0)
	ds_write_b128 v106, v[1:4]
	s_waitcnt lgkmcnt(0)
	s_waitcnt_vscnt null, 0x0
	s_barrier
	buffer_gl0_inv
	v_cmpx_gt_u32_e32 18, v0
	s_cbranch_execz .LBB113_535
; %bb.528:
	ds_read_b128 v[1:4], v106
	v_cmp_ne_u32_e32 vcc_lo, 1, v107
	s_cbranch_vccnz .LBB113_530
; %bb.529:
	s_clause 0x3
	buffer_load_dword v108, v105, s[0:3], 0 offen offset:8
	buffer_load_dword v109, v105, s[0:3], 0 offen offset:12
	buffer_load_dword v112, v105, s[0:3], 0 offen
	buffer_load_dword v113, v105, s[0:3], 0 offen offset:4
	s_waitcnt vmcnt(2) lgkmcnt(0)
	v_mul_f64 v[114:115], v[3:4], v[108:109]
	v_mul_f64 v[108:109], v[1:2], v[108:109]
	s_waitcnt vmcnt(0)
	v_fma_f64 v[1:2], v[1:2], v[112:113], -v[114:115]
	v_fma_f64 v[3:4], v[3:4], v[112:113], v[108:109]
.LBB113_530:
	s_mov_b32 s6, exec_lo
	v_cmpx_ne_u32_e32 17, v0
	s_cbranch_execz .LBB113_534
; %bb.531:
	v_add_nc_u32_e32 v108, 0x330, v111
	v_add3_u32 v109, 0, v111, 16
	v_mov_b32_e32 v110, v0
	s_mov_b32 s8, 0
	.p2align	6
.LBB113_532:                            ; =>This Inner Loop Header: Depth=1
	s_clause 0x3
	buffer_load_dword v116, v109, s[0:3], 0 offen offset:8
	buffer_load_dword v117, v109, s[0:3], 0 offen offset:12
	buffer_load_dword v118, v109, s[0:3], 0 offen
	buffer_load_dword v119, v109, s[0:3], 0 offen offset:4
	ds_read_b128 v[112:115], v108
	v_add_nc_u32_e32 v110, 1, v110
	v_add_nc_u32_e32 v108, 16, v108
	;; [unrolled: 1-line block ×3, first 2 shown]
	v_cmp_lt_u32_e32 vcc_lo, 16, v110
	s_or_b32 s8, vcc_lo, s8
	s_waitcnt vmcnt(2) lgkmcnt(0)
	v_mul_f64 v[120:121], v[114:115], v[116:117]
	v_mul_f64 v[116:117], v[112:113], v[116:117]
	s_waitcnt vmcnt(0)
	v_fma_f64 v[112:113], v[112:113], v[118:119], -v[120:121]
	v_fma_f64 v[114:115], v[114:115], v[118:119], v[116:117]
	v_add_f64 v[1:2], v[1:2], v[112:113]
	v_add_f64 v[3:4], v[3:4], v[114:115]
	s_andn2_b32 exec_lo, exec_lo, s8
	s_cbranch_execnz .LBB113_532
; %bb.533:
	s_or_b32 exec_lo, exec_lo, s8
.LBB113_534:
	s_or_b32 exec_lo, exec_lo, s6
	v_mov_b32_e32 v108, 0
	ds_read_b128 v[112:115], v108 offset:288
	s_waitcnt lgkmcnt(0)
	v_mul_f64 v[108:109], v[3:4], v[114:115]
	v_mul_f64 v[114:115], v[1:2], v[114:115]
	v_fma_f64 v[1:2], v[1:2], v[112:113], -v[108:109]
	v_fma_f64 v[3:4], v[3:4], v[112:113], v[114:115]
	buffer_store_dword v2, off, s[0:3], 0 offset:292
	buffer_store_dword v1, off, s[0:3], 0 offset:288
	;; [unrolled: 1-line block ×4, first 2 shown]
.LBB113_535:
	s_or_b32 exec_lo, exec_lo, s4
	v_mov_b32_e32 v4, s39
	s_mov_b32 s4, exec_lo
	s_clause 0x3
	buffer_load_dword v1, v4, s[0:3], 0 offen
	buffer_load_dword v2, v4, s[0:3], 0 offen offset:4
	buffer_load_dword v3, v4, s[0:3], 0 offen offset:8
	;; [unrolled: 1-line block ×3, first 2 shown]
	s_waitcnt vmcnt(0)
	ds_write_b128 v106, v[1:4]
	s_waitcnt lgkmcnt(0)
	s_waitcnt_vscnt null, 0x0
	s_barrier
	buffer_gl0_inv
	v_cmpx_gt_u32_e32 19, v0
	s_cbranch_execz .LBB113_543
; %bb.536:
	ds_read_b128 v[1:4], v106
	v_cmp_ne_u32_e32 vcc_lo, 1, v107
	s_cbranch_vccnz .LBB113_538
; %bb.537:
	s_clause 0x3
	buffer_load_dword v108, v105, s[0:3], 0 offen offset:8
	buffer_load_dword v109, v105, s[0:3], 0 offen offset:12
	buffer_load_dword v112, v105, s[0:3], 0 offen
	buffer_load_dword v113, v105, s[0:3], 0 offen offset:4
	s_waitcnt vmcnt(2) lgkmcnt(0)
	v_mul_f64 v[114:115], v[3:4], v[108:109]
	v_mul_f64 v[108:109], v[1:2], v[108:109]
	s_waitcnt vmcnt(0)
	v_fma_f64 v[1:2], v[1:2], v[112:113], -v[114:115]
	v_fma_f64 v[3:4], v[3:4], v[112:113], v[108:109]
.LBB113_538:
	s_mov_b32 s6, exec_lo
	v_cmpx_ne_u32_e32 18, v0
	s_cbranch_execz .LBB113_542
; %bb.539:
	v_add_nc_u32_e32 v108, 0x330, v111
	v_add3_u32 v109, 0, v111, 16
	v_mov_b32_e32 v110, v0
	s_mov_b32 s8, 0
	.p2align	6
.LBB113_540:                            ; =>This Inner Loop Header: Depth=1
	s_clause 0x3
	buffer_load_dword v116, v109, s[0:3], 0 offen offset:8
	buffer_load_dword v117, v109, s[0:3], 0 offen offset:12
	buffer_load_dword v118, v109, s[0:3], 0 offen
	buffer_load_dword v119, v109, s[0:3], 0 offen offset:4
	ds_read_b128 v[112:115], v108
	v_add_nc_u32_e32 v110, 1, v110
	v_add_nc_u32_e32 v108, 16, v108
	v_add_nc_u32_e32 v109, 16, v109
	v_cmp_lt_u32_e32 vcc_lo, 17, v110
	s_or_b32 s8, vcc_lo, s8
	s_waitcnt vmcnt(2) lgkmcnt(0)
	v_mul_f64 v[120:121], v[114:115], v[116:117]
	v_mul_f64 v[116:117], v[112:113], v[116:117]
	s_waitcnt vmcnt(0)
	v_fma_f64 v[112:113], v[112:113], v[118:119], -v[120:121]
	v_fma_f64 v[114:115], v[114:115], v[118:119], v[116:117]
	v_add_f64 v[1:2], v[1:2], v[112:113]
	v_add_f64 v[3:4], v[3:4], v[114:115]
	s_andn2_b32 exec_lo, exec_lo, s8
	s_cbranch_execnz .LBB113_540
; %bb.541:
	s_or_b32 exec_lo, exec_lo, s8
.LBB113_542:
	s_or_b32 exec_lo, exec_lo, s6
	v_mov_b32_e32 v108, 0
	ds_read_b128 v[112:115], v108 offset:304
	s_waitcnt lgkmcnt(0)
	v_mul_f64 v[108:109], v[3:4], v[114:115]
	v_mul_f64 v[114:115], v[1:2], v[114:115]
	v_fma_f64 v[1:2], v[1:2], v[112:113], -v[108:109]
	v_fma_f64 v[3:4], v[3:4], v[112:113], v[114:115]
	buffer_store_dword v2, off, s[0:3], 0 offset:308
	buffer_store_dword v1, off, s[0:3], 0 offset:304
	;; [unrolled: 1-line block ×4, first 2 shown]
.LBB113_543:
	s_or_b32 exec_lo, exec_lo, s4
	v_mov_b32_e32 v4, s38
	s_mov_b32 s4, exec_lo
	s_clause 0x3
	buffer_load_dword v1, v4, s[0:3], 0 offen
	buffer_load_dword v2, v4, s[0:3], 0 offen offset:4
	buffer_load_dword v3, v4, s[0:3], 0 offen offset:8
	;; [unrolled: 1-line block ×3, first 2 shown]
	s_waitcnt vmcnt(0)
	ds_write_b128 v106, v[1:4]
	s_waitcnt lgkmcnt(0)
	s_waitcnt_vscnt null, 0x0
	s_barrier
	buffer_gl0_inv
	v_cmpx_gt_u32_e32 20, v0
	s_cbranch_execz .LBB113_551
; %bb.544:
	ds_read_b128 v[1:4], v106
	v_cmp_ne_u32_e32 vcc_lo, 1, v107
	s_cbranch_vccnz .LBB113_546
; %bb.545:
	s_clause 0x3
	buffer_load_dword v108, v105, s[0:3], 0 offen offset:8
	buffer_load_dword v109, v105, s[0:3], 0 offen offset:12
	buffer_load_dword v112, v105, s[0:3], 0 offen
	buffer_load_dword v113, v105, s[0:3], 0 offen offset:4
	s_waitcnt vmcnt(2) lgkmcnt(0)
	v_mul_f64 v[114:115], v[3:4], v[108:109]
	v_mul_f64 v[108:109], v[1:2], v[108:109]
	s_waitcnt vmcnt(0)
	v_fma_f64 v[1:2], v[1:2], v[112:113], -v[114:115]
	v_fma_f64 v[3:4], v[3:4], v[112:113], v[108:109]
.LBB113_546:
	s_mov_b32 s6, exec_lo
	v_cmpx_ne_u32_e32 19, v0
	s_cbranch_execz .LBB113_550
; %bb.547:
	v_add_nc_u32_e32 v108, 0x330, v111
	v_add3_u32 v109, 0, v111, 16
	v_mov_b32_e32 v110, v0
	s_mov_b32 s8, 0
	.p2align	6
.LBB113_548:                            ; =>This Inner Loop Header: Depth=1
	s_clause 0x3
	buffer_load_dword v116, v109, s[0:3], 0 offen offset:8
	buffer_load_dword v117, v109, s[0:3], 0 offen offset:12
	buffer_load_dword v118, v109, s[0:3], 0 offen
	buffer_load_dword v119, v109, s[0:3], 0 offen offset:4
	ds_read_b128 v[112:115], v108
	v_add_nc_u32_e32 v110, 1, v110
	v_add_nc_u32_e32 v108, 16, v108
	;; [unrolled: 1-line block ×3, first 2 shown]
	v_cmp_lt_u32_e32 vcc_lo, 18, v110
	s_or_b32 s8, vcc_lo, s8
	s_waitcnt vmcnt(2) lgkmcnt(0)
	v_mul_f64 v[120:121], v[114:115], v[116:117]
	v_mul_f64 v[116:117], v[112:113], v[116:117]
	s_waitcnt vmcnt(0)
	v_fma_f64 v[112:113], v[112:113], v[118:119], -v[120:121]
	v_fma_f64 v[114:115], v[114:115], v[118:119], v[116:117]
	v_add_f64 v[1:2], v[1:2], v[112:113]
	v_add_f64 v[3:4], v[3:4], v[114:115]
	s_andn2_b32 exec_lo, exec_lo, s8
	s_cbranch_execnz .LBB113_548
; %bb.549:
	s_or_b32 exec_lo, exec_lo, s8
.LBB113_550:
	s_or_b32 exec_lo, exec_lo, s6
	v_mov_b32_e32 v108, 0
	ds_read_b128 v[112:115], v108 offset:320
	s_waitcnt lgkmcnt(0)
	v_mul_f64 v[108:109], v[3:4], v[114:115]
	v_mul_f64 v[114:115], v[1:2], v[114:115]
	v_fma_f64 v[1:2], v[1:2], v[112:113], -v[108:109]
	v_fma_f64 v[3:4], v[3:4], v[112:113], v[114:115]
	buffer_store_dword v2, off, s[0:3], 0 offset:324
	buffer_store_dword v1, off, s[0:3], 0 offset:320
	buffer_store_dword v4, off, s[0:3], 0 offset:332
	buffer_store_dword v3, off, s[0:3], 0 offset:328
.LBB113_551:
	s_or_b32 exec_lo, exec_lo, s4
	v_mov_b32_e32 v4, s37
	s_mov_b32 s4, exec_lo
	s_clause 0x3
	buffer_load_dword v1, v4, s[0:3], 0 offen
	buffer_load_dword v2, v4, s[0:3], 0 offen offset:4
	buffer_load_dword v3, v4, s[0:3], 0 offen offset:8
	;; [unrolled: 1-line block ×3, first 2 shown]
	s_waitcnt vmcnt(0)
	ds_write_b128 v106, v[1:4]
	s_waitcnt lgkmcnt(0)
	s_waitcnt_vscnt null, 0x0
	s_barrier
	buffer_gl0_inv
	v_cmpx_gt_u32_e32 21, v0
	s_cbranch_execz .LBB113_559
; %bb.552:
	ds_read_b128 v[1:4], v106
	v_cmp_ne_u32_e32 vcc_lo, 1, v107
	s_cbranch_vccnz .LBB113_554
; %bb.553:
	s_clause 0x3
	buffer_load_dword v108, v105, s[0:3], 0 offen offset:8
	buffer_load_dword v109, v105, s[0:3], 0 offen offset:12
	buffer_load_dword v112, v105, s[0:3], 0 offen
	buffer_load_dword v113, v105, s[0:3], 0 offen offset:4
	s_waitcnt vmcnt(2) lgkmcnt(0)
	v_mul_f64 v[114:115], v[3:4], v[108:109]
	v_mul_f64 v[108:109], v[1:2], v[108:109]
	s_waitcnt vmcnt(0)
	v_fma_f64 v[1:2], v[1:2], v[112:113], -v[114:115]
	v_fma_f64 v[3:4], v[3:4], v[112:113], v[108:109]
.LBB113_554:
	s_mov_b32 s6, exec_lo
	v_cmpx_ne_u32_e32 20, v0
	s_cbranch_execz .LBB113_558
; %bb.555:
	v_add_nc_u32_e32 v108, 0x330, v111
	v_add3_u32 v109, 0, v111, 16
	v_mov_b32_e32 v110, v0
	s_mov_b32 s8, 0
	.p2align	6
.LBB113_556:                            ; =>This Inner Loop Header: Depth=1
	s_clause 0x3
	buffer_load_dword v116, v109, s[0:3], 0 offen offset:8
	buffer_load_dword v117, v109, s[0:3], 0 offen offset:12
	buffer_load_dword v118, v109, s[0:3], 0 offen
	buffer_load_dword v119, v109, s[0:3], 0 offen offset:4
	ds_read_b128 v[112:115], v108
	v_add_nc_u32_e32 v110, 1, v110
	v_add_nc_u32_e32 v108, 16, v108
	;; [unrolled: 1-line block ×3, first 2 shown]
	v_cmp_lt_u32_e32 vcc_lo, 19, v110
	s_or_b32 s8, vcc_lo, s8
	s_waitcnt vmcnt(2) lgkmcnt(0)
	v_mul_f64 v[120:121], v[114:115], v[116:117]
	v_mul_f64 v[116:117], v[112:113], v[116:117]
	s_waitcnt vmcnt(0)
	v_fma_f64 v[112:113], v[112:113], v[118:119], -v[120:121]
	v_fma_f64 v[114:115], v[114:115], v[118:119], v[116:117]
	v_add_f64 v[1:2], v[1:2], v[112:113]
	v_add_f64 v[3:4], v[3:4], v[114:115]
	s_andn2_b32 exec_lo, exec_lo, s8
	s_cbranch_execnz .LBB113_556
; %bb.557:
	s_or_b32 exec_lo, exec_lo, s8
.LBB113_558:
	s_or_b32 exec_lo, exec_lo, s6
	v_mov_b32_e32 v108, 0
	ds_read_b128 v[112:115], v108 offset:336
	s_waitcnt lgkmcnt(0)
	v_mul_f64 v[108:109], v[3:4], v[114:115]
	v_mul_f64 v[114:115], v[1:2], v[114:115]
	v_fma_f64 v[1:2], v[1:2], v[112:113], -v[108:109]
	v_fma_f64 v[3:4], v[3:4], v[112:113], v[114:115]
	buffer_store_dword v2, off, s[0:3], 0 offset:340
	buffer_store_dword v1, off, s[0:3], 0 offset:336
	;; [unrolled: 1-line block ×4, first 2 shown]
.LBB113_559:
	s_or_b32 exec_lo, exec_lo, s4
	v_mov_b32_e32 v4, s36
	s_mov_b32 s4, exec_lo
	s_clause 0x3
	buffer_load_dword v1, v4, s[0:3], 0 offen
	buffer_load_dword v2, v4, s[0:3], 0 offen offset:4
	buffer_load_dword v3, v4, s[0:3], 0 offen offset:8
	;; [unrolled: 1-line block ×3, first 2 shown]
	s_waitcnt vmcnt(0)
	ds_write_b128 v106, v[1:4]
	s_waitcnt lgkmcnt(0)
	s_waitcnt_vscnt null, 0x0
	s_barrier
	buffer_gl0_inv
	v_cmpx_gt_u32_e32 22, v0
	s_cbranch_execz .LBB113_567
; %bb.560:
	ds_read_b128 v[1:4], v106
	v_cmp_ne_u32_e32 vcc_lo, 1, v107
	s_cbranch_vccnz .LBB113_562
; %bb.561:
	s_clause 0x3
	buffer_load_dword v108, v105, s[0:3], 0 offen offset:8
	buffer_load_dword v109, v105, s[0:3], 0 offen offset:12
	buffer_load_dword v112, v105, s[0:3], 0 offen
	buffer_load_dword v113, v105, s[0:3], 0 offen offset:4
	s_waitcnt vmcnt(2) lgkmcnt(0)
	v_mul_f64 v[114:115], v[3:4], v[108:109]
	v_mul_f64 v[108:109], v[1:2], v[108:109]
	s_waitcnt vmcnt(0)
	v_fma_f64 v[1:2], v[1:2], v[112:113], -v[114:115]
	v_fma_f64 v[3:4], v[3:4], v[112:113], v[108:109]
.LBB113_562:
	s_mov_b32 s6, exec_lo
	v_cmpx_ne_u32_e32 21, v0
	s_cbranch_execz .LBB113_566
; %bb.563:
	v_add_nc_u32_e32 v108, 0x330, v111
	v_add3_u32 v109, 0, v111, 16
	v_mov_b32_e32 v110, v0
	s_mov_b32 s8, 0
	.p2align	6
.LBB113_564:                            ; =>This Inner Loop Header: Depth=1
	s_clause 0x3
	buffer_load_dword v116, v109, s[0:3], 0 offen offset:8
	buffer_load_dword v117, v109, s[0:3], 0 offen offset:12
	buffer_load_dword v118, v109, s[0:3], 0 offen
	buffer_load_dword v119, v109, s[0:3], 0 offen offset:4
	ds_read_b128 v[112:115], v108
	v_add_nc_u32_e32 v110, 1, v110
	v_add_nc_u32_e32 v108, 16, v108
	;; [unrolled: 1-line block ×3, first 2 shown]
	v_cmp_lt_u32_e32 vcc_lo, 20, v110
	s_or_b32 s8, vcc_lo, s8
	s_waitcnt vmcnt(2) lgkmcnt(0)
	v_mul_f64 v[120:121], v[114:115], v[116:117]
	v_mul_f64 v[116:117], v[112:113], v[116:117]
	s_waitcnt vmcnt(0)
	v_fma_f64 v[112:113], v[112:113], v[118:119], -v[120:121]
	v_fma_f64 v[114:115], v[114:115], v[118:119], v[116:117]
	v_add_f64 v[1:2], v[1:2], v[112:113]
	v_add_f64 v[3:4], v[3:4], v[114:115]
	s_andn2_b32 exec_lo, exec_lo, s8
	s_cbranch_execnz .LBB113_564
; %bb.565:
	s_or_b32 exec_lo, exec_lo, s8
.LBB113_566:
	s_or_b32 exec_lo, exec_lo, s6
	v_mov_b32_e32 v108, 0
	ds_read_b128 v[112:115], v108 offset:352
	s_waitcnt lgkmcnt(0)
	v_mul_f64 v[108:109], v[3:4], v[114:115]
	v_mul_f64 v[114:115], v[1:2], v[114:115]
	v_fma_f64 v[1:2], v[1:2], v[112:113], -v[108:109]
	v_fma_f64 v[3:4], v[3:4], v[112:113], v[114:115]
	buffer_store_dword v2, off, s[0:3], 0 offset:356
	buffer_store_dword v1, off, s[0:3], 0 offset:352
	;; [unrolled: 1-line block ×4, first 2 shown]
.LBB113_567:
	s_or_b32 exec_lo, exec_lo, s4
	v_mov_b32_e32 v4, s35
	s_mov_b32 s4, exec_lo
	s_clause 0x3
	buffer_load_dword v1, v4, s[0:3], 0 offen
	buffer_load_dword v2, v4, s[0:3], 0 offen offset:4
	buffer_load_dword v3, v4, s[0:3], 0 offen offset:8
	;; [unrolled: 1-line block ×3, first 2 shown]
	s_waitcnt vmcnt(0)
	ds_write_b128 v106, v[1:4]
	s_waitcnt lgkmcnt(0)
	s_waitcnt_vscnt null, 0x0
	s_barrier
	buffer_gl0_inv
	v_cmpx_gt_u32_e32 23, v0
	s_cbranch_execz .LBB113_575
; %bb.568:
	ds_read_b128 v[1:4], v106
	v_cmp_ne_u32_e32 vcc_lo, 1, v107
	s_cbranch_vccnz .LBB113_570
; %bb.569:
	s_clause 0x3
	buffer_load_dword v108, v105, s[0:3], 0 offen offset:8
	buffer_load_dword v109, v105, s[0:3], 0 offen offset:12
	buffer_load_dword v112, v105, s[0:3], 0 offen
	buffer_load_dword v113, v105, s[0:3], 0 offen offset:4
	s_waitcnt vmcnt(2) lgkmcnt(0)
	v_mul_f64 v[114:115], v[3:4], v[108:109]
	v_mul_f64 v[108:109], v[1:2], v[108:109]
	s_waitcnt vmcnt(0)
	v_fma_f64 v[1:2], v[1:2], v[112:113], -v[114:115]
	v_fma_f64 v[3:4], v[3:4], v[112:113], v[108:109]
.LBB113_570:
	s_mov_b32 s6, exec_lo
	v_cmpx_ne_u32_e32 22, v0
	s_cbranch_execz .LBB113_574
; %bb.571:
	v_add_nc_u32_e32 v108, 0x330, v111
	v_add3_u32 v109, 0, v111, 16
	v_mov_b32_e32 v110, v0
	s_mov_b32 s8, 0
	.p2align	6
.LBB113_572:                            ; =>This Inner Loop Header: Depth=1
	s_clause 0x3
	buffer_load_dword v116, v109, s[0:3], 0 offen offset:8
	buffer_load_dword v117, v109, s[0:3], 0 offen offset:12
	buffer_load_dword v118, v109, s[0:3], 0 offen
	buffer_load_dword v119, v109, s[0:3], 0 offen offset:4
	ds_read_b128 v[112:115], v108
	v_add_nc_u32_e32 v110, 1, v110
	v_add_nc_u32_e32 v108, 16, v108
	;; [unrolled: 1-line block ×3, first 2 shown]
	v_cmp_lt_u32_e32 vcc_lo, 21, v110
	s_or_b32 s8, vcc_lo, s8
	s_waitcnt vmcnt(2) lgkmcnt(0)
	v_mul_f64 v[120:121], v[114:115], v[116:117]
	v_mul_f64 v[116:117], v[112:113], v[116:117]
	s_waitcnt vmcnt(0)
	v_fma_f64 v[112:113], v[112:113], v[118:119], -v[120:121]
	v_fma_f64 v[114:115], v[114:115], v[118:119], v[116:117]
	v_add_f64 v[1:2], v[1:2], v[112:113]
	v_add_f64 v[3:4], v[3:4], v[114:115]
	s_andn2_b32 exec_lo, exec_lo, s8
	s_cbranch_execnz .LBB113_572
; %bb.573:
	s_or_b32 exec_lo, exec_lo, s8
.LBB113_574:
	s_or_b32 exec_lo, exec_lo, s6
	v_mov_b32_e32 v108, 0
	ds_read_b128 v[112:115], v108 offset:368
	s_waitcnt lgkmcnt(0)
	v_mul_f64 v[108:109], v[3:4], v[114:115]
	v_mul_f64 v[114:115], v[1:2], v[114:115]
	v_fma_f64 v[1:2], v[1:2], v[112:113], -v[108:109]
	v_fma_f64 v[3:4], v[3:4], v[112:113], v[114:115]
	buffer_store_dword v2, off, s[0:3], 0 offset:372
	buffer_store_dword v1, off, s[0:3], 0 offset:368
	;; [unrolled: 1-line block ×4, first 2 shown]
.LBB113_575:
	s_or_b32 exec_lo, exec_lo, s4
	v_mov_b32_e32 v4, s34
	s_mov_b32 s4, exec_lo
	s_clause 0x3
	buffer_load_dword v1, v4, s[0:3], 0 offen
	buffer_load_dword v2, v4, s[0:3], 0 offen offset:4
	buffer_load_dword v3, v4, s[0:3], 0 offen offset:8
	;; [unrolled: 1-line block ×3, first 2 shown]
	s_waitcnt vmcnt(0)
	ds_write_b128 v106, v[1:4]
	s_waitcnt lgkmcnt(0)
	s_waitcnt_vscnt null, 0x0
	s_barrier
	buffer_gl0_inv
	v_cmpx_gt_u32_e32 24, v0
	s_cbranch_execz .LBB113_583
; %bb.576:
	ds_read_b128 v[1:4], v106
	v_cmp_ne_u32_e32 vcc_lo, 1, v107
	s_cbranch_vccnz .LBB113_578
; %bb.577:
	s_clause 0x3
	buffer_load_dword v108, v105, s[0:3], 0 offen offset:8
	buffer_load_dword v109, v105, s[0:3], 0 offen offset:12
	buffer_load_dword v112, v105, s[0:3], 0 offen
	buffer_load_dword v113, v105, s[0:3], 0 offen offset:4
	s_waitcnt vmcnt(2) lgkmcnt(0)
	v_mul_f64 v[114:115], v[3:4], v[108:109]
	v_mul_f64 v[108:109], v[1:2], v[108:109]
	s_waitcnt vmcnt(0)
	v_fma_f64 v[1:2], v[1:2], v[112:113], -v[114:115]
	v_fma_f64 v[3:4], v[3:4], v[112:113], v[108:109]
.LBB113_578:
	s_mov_b32 s6, exec_lo
	v_cmpx_ne_u32_e32 23, v0
	s_cbranch_execz .LBB113_582
; %bb.579:
	v_add_nc_u32_e32 v108, 0x330, v111
	v_add3_u32 v109, 0, v111, 16
	v_mov_b32_e32 v110, v0
	s_mov_b32 s8, 0
	.p2align	6
.LBB113_580:                            ; =>This Inner Loop Header: Depth=1
	s_clause 0x3
	buffer_load_dword v116, v109, s[0:3], 0 offen offset:8
	buffer_load_dword v117, v109, s[0:3], 0 offen offset:12
	buffer_load_dword v118, v109, s[0:3], 0 offen
	buffer_load_dword v119, v109, s[0:3], 0 offen offset:4
	ds_read_b128 v[112:115], v108
	v_add_nc_u32_e32 v110, 1, v110
	v_add_nc_u32_e32 v108, 16, v108
	;; [unrolled: 1-line block ×3, first 2 shown]
	v_cmp_lt_u32_e32 vcc_lo, 22, v110
	s_or_b32 s8, vcc_lo, s8
	s_waitcnt vmcnt(2) lgkmcnt(0)
	v_mul_f64 v[120:121], v[114:115], v[116:117]
	v_mul_f64 v[116:117], v[112:113], v[116:117]
	s_waitcnt vmcnt(0)
	v_fma_f64 v[112:113], v[112:113], v[118:119], -v[120:121]
	v_fma_f64 v[114:115], v[114:115], v[118:119], v[116:117]
	v_add_f64 v[1:2], v[1:2], v[112:113]
	v_add_f64 v[3:4], v[3:4], v[114:115]
	s_andn2_b32 exec_lo, exec_lo, s8
	s_cbranch_execnz .LBB113_580
; %bb.581:
	s_or_b32 exec_lo, exec_lo, s8
.LBB113_582:
	s_or_b32 exec_lo, exec_lo, s6
	v_mov_b32_e32 v108, 0
	ds_read_b128 v[112:115], v108 offset:384
	s_waitcnt lgkmcnt(0)
	v_mul_f64 v[108:109], v[3:4], v[114:115]
	v_mul_f64 v[114:115], v[1:2], v[114:115]
	v_fma_f64 v[1:2], v[1:2], v[112:113], -v[108:109]
	v_fma_f64 v[3:4], v[3:4], v[112:113], v[114:115]
	buffer_store_dword v2, off, s[0:3], 0 offset:388
	buffer_store_dword v1, off, s[0:3], 0 offset:384
	;; [unrolled: 1-line block ×4, first 2 shown]
.LBB113_583:
	s_or_b32 exec_lo, exec_lo, s4
	v_mov_b32_e32 v4, s33
	s_mov_b32 s4, exec_lo
	s_clause 0x3
	buffer_load_dword v1, v4, s[0:3], 0 offen
	buffer_load_dword v2, v4, s[0:3], 0 offen offset:4
	buffer_load_dword v3, v4, s[0:3], 0 offen offset:8
	;; [unrolled: 1-line block ×3, first 2 shown]
	s_waitcnt vmcnt(0)
	ds_write_b128 v106, v[1:4]
	s_waitcnt lgkmcnt(0)
	s_waitcnt_vscnt null, 0x0
	s_barrier
	buffer_gl0_inv
	v_cmpx_gt_u32_e32 25, v0
	s_cbranch_execz .LBB113_591
; %bb.584:
	ds_read_b128 v[1:4], v106
	v_cmp_ne_u32_e32 vcc_lo, 1, v107
	s_cbranch_vccnz .LBB113_586
; %bb.585:
	s_clause 0x3
	buffer_load_dword v108, v105, s[0:3], 0 offen offset:8
	buffer_load_dword v109, v105, s[0:3], 0 offen offset:12
	buffer_load_dword v112, v105, s[0:3], 0 offen
	buffer_load_dword v113, v105, s[0:3], 0 offen offset:4
	s_waitcnt vmcnt(2) lgkmcnt(0)
	v_mul_f64 v[114:115], v[3:4], v[108:109]
	v_mul_f64 v[108:109], v[1:2], v[108:109]
	s_waitcnt vmcnt(0)
	v_fma_f64 v[1:2], v[1:2], v[112:113], -v[114:115]
	v_fma_f64 v[3:4], v[3:4], v[112:113], v[108:109]
.LBB113_586:
	s_mov_b32 s6, exec_lo
	v_cmpx_ne_u32_e32 24, v0
	s_cbranch_execz .LBB113_590
; %bb.587:
	v_add_nc_u32_e32 v108, 0x330, v111
	v_add3_u32 v109, 0, v111, 16
	v_mov_b32_e32 v110, v0
	s_mov_b32 s8, 0
	.p2align	6
.LBB113_588:                            ; =>This Inner Loop Header: Depth=1
	s_clause 0x3
	buffer_load_dword v116, v109, s[0:3], 0 offen offset:8
	buffer_load_dword v117, v109, s[0:3], 0 offen offset:12
	buffer_load_dword v118, v109, s[0:3], 0 offen
	buffer_load_dword v119, v109, s[0:3], 0 offen offset:4
	ds_read_b128 v[112:115], v108
	v_add_nc_u32_e32 v110, 1, v110
	v_add_nc_u32_e32 v108, 16, v108
	;; [unrolled: 1-line block ×3, first 2 shown]
	v_cmp_lt_u32_e32 vcc_lo, 23, v110
	s_or_b32 s8, vcc_lo, s8
	s_waitcnt vmcnt(2) lgkmcnt(0)
	v_mul_f64 v[120:121], v[114:115], v[116:117]
	v_mul_f64 v[116:117], v[112:113], v[116:117]
	s_waitcnt vmcnt(0)
	v_fma_f64 v[112:113], v[112:113], v[118:119], -v[120:121]
	v_fma_f64 v[114:115], v[114:115], v[118:119], v[116:117]
	v_add_f64 v[1:2], v[1:2], v[112:113]
	v_add_f64 v[3:4], v[3:4], v[114:115]
	s_andn2_b32 exec_lo, exec_lo, s8
	s_cbranch_execnz .LBB113_588
; %bb.589:
	s_or_b32 exec_lo, exec_lo, s8
.LBB113_590:
	s_or_b32 exec_lo, exec_lo, s6
	v_mov_b32_e32 v108, 0
	ds_read_b128 v[112:115], v108 offset:400
	s_waitcnt lgkmcnt(0)
	v_mul_f64 v[108:109], v[3:4], v[114:115]
	v_mul_f64 v[114:115], v[1:2], v[114:115]
	v_fma_f64 v[1:2], v[1:2], v[112:113], -v[108:109]
	v_fma_f64 v[3:4], v[3:4], v[112:113], v[114:115]
	buffer_store_dword v2, off, s[0:3], 0 offset:404
	buffer_store_dword v1, off, s[0:3], 0 offset:400
	buffer_store_dword v4, off, s[0:3], 0 offset:412
	buffer_store_dword v3, off, s[0:3], 0 offset:408
.LBB113_591:
	s_or_b32 exec_lo, exec_lo, s4
	v_mov_b32_e32 v4, s31
	s_mov_b32 s4, exec_lo
	s_clause 0x3
	buffer_load_dword v1, v4, s[0:3], 0 offen
	buffer_load_dword v2, v4, s[0:3], 0 offen offset:4
	buffer_load_dword v3, v4, s[0:3], 0 offen offset:8
	;; [unrolled: 1-line block ×3, first 2 shown]
	s_waitcnt vmcnt(0)
	ds_write_b128 v106, v[1:4]
	s_waitcnt lgkmcnt(0)
	s_waitcnt_vscnt null, 0x0
	s_barrier
	buffer_gl0_inv
	v_cmpx_gt_u32_e32 26, v0
	s_cbranch_execz .LBB113_599
; %bb.592:
	ds_read_b128 v[1:4], v106
	v_cmp_ne_u32_e32 vcc_lo, 1, v107
	s_cbranch_vccnz .LBB113_594
; %bb.593:
	s_clause 0x3
	buffer_load_dword v108, v105, s[0:3], 0 offen offset:8
	buffer_load_dword v109, v105, s[0:3], 0 offen offset:12
	buffer_load_dword v112, v105, s[0:3], 0 offen
	buffer_load_dword v113, v105, s[0:3], 0 offen offset:4
	s_waitcnt vmcnt(2) lgkmcnt(0)
	v_mul_f64 v[114:115], v[3:4], v[108:109]
	v_mul_f64 v[108:109], v[1:2], v[108:109]
	s_waitcnt vmcnt(0)
	v_fma_f64 v[1:2], v[1:2], v[112:113], -v[114:115]
	v_fma_f64 v[3:4], v[3:4], v[112:113], v[108:109]
.LBB113_594:
	s_mov_b32 s6, exec_lo
	v_cmpx_ne_u32_e32 25, v0
	s_cbranch_execz .LBB113_598
; %bb.595:
	v_add_nc_u32_e32 v108, 0x330, v111
	v_add3_u32 v109, 0, v111, 16
	v_mov_b32_e32 v110, v0
	s_mov_b32 s8, 0
	.p2align	6
.LBB113_596:                            ; =>This Inner Loop Header: Depth=1
	s_clause 0x3
	buffer_load_dword v116, v109, s[0:3], 0 offen offset:8
	buffer_load_dword v117, v109, s[0:3], 0 offen offset:12
	buffer_load_dword v118, v109, s[0:3], 0 offen
	buffer_load_dword v119, v109, s[0:3], 0 offen offset:4
	ds_read_b128 v[112:115], v108
	v_add_nc_u32_e32 v110, 1, v110
	v_add_nc_u32_e32 v108, 16, v108
	;; [unrolled: 1-line block ×3, first 2 shown]
	v_cmp_lt_u32_e32 vcc_lo, 24, v110
	s_or_b32 s8, vcc_lo, s8
	s_waitcnt vmcnt(2) lgkmcnt(0)
	v_mul_f64 v[120:121], v[114:115], v[116:117]
	v_mul_f64 v[116:117], v[112:113], v[116:117]
	s_waitcnt vmcnt(0)
	v_fma_f64 v[112:113], v[112:113], v[118:119], -v[120:121]
	v_fma_f64 v[114:115], v[114:115], v[118:119], v[116:117]
	v_add_f64 v[1:2], v[1:2], v[112:113]
	v_add_f64 v[3:4], v[3:4], v[114:115]
	s_andn2_b32 exec_lo, exec_lo, s8
	s_cbranch_execnz .LBB113_596
; %bb.597:
	s_or_b32 exec_lo, exec_lo, s8
.LBB113_598:
	s_or_b32 exec_lo, exec_lo, s6
	v_mov_b32_e32 v108, 0
	ds_read_b128 v[112:115], v108 offset:416
	s_waitcnt lgkmcnt(0)
	v_mul_f64 v[108:109], v[3:4], v[114:115]
	v_mul_f64 v[114:115], v[1:2], v[114:115]
	v_fma_f64 v[1:2], v[1:2], v[112:113], -v[108:109]
	v_fma_f64 v[3:4], v[3:4], v[112:113], v[114:115]
	buffer_store_dword v2, off, s[0:3], 0 offset:420
	buffer_store_dword v1, off, s[0:3], 0 offset:416
	;; [unrolled: 1-line block ×4, first 2 shown]
.LBB113_599:
	s_or_b32 exec_lo, exec_lo, s4
	v_mov_b32_e32 v4, s30
	s_mov_b32 s4, exec_lo
	s_clause 0x3
	buffer_load_dword v1, v4, s[0:3], 0 offen
	buffer_load_dword v2, v4, s[0:3], 0 offen offset:4
	buffer_load_dword v3, v4, s[0:3], 0 offen offset:8
	;; [unrolled: 1-line block ×3, first 2 shown]
	s_waitcnt vmcnt(0)
	ds_write_b128 v106, v[1:4]
	s_waitcnt lgkmcnt(0)
	s_waitcnt_vscnt null, 0x0
	s_barrier
	buffer_gl0_inv
	v_cmpx_gt_u32_e32 27, v0
	s_cbranch_execz .LBB113_607
; %bb.600:
	ds_read_b128 v[1:4], v106
	v_cmp_ne_u32_e32 vcc_lo, 1, v107
	s_cbranch_vccnz .LBB113_602
; %bb.601:
	s_clause 0x3
	buffer_load_dword v108, v105, s[0:3], 0 offen offset:8
	buffer_load_dword v109, v105, s[0:3], 0 offen offset:12
	buffer_load_dword v112, v105, s[0:3], 0 offen
	buffer_load_dword v113, v105, s[0:3], 0 offen offset:4
	s_waitcnt vmcnt(2) lgkmcnt(0)
	v_mul_f64 v[114:115], v[3:4], v[108:109]
	v_mul_f64 v[108:109], v[1:2], v[108:109]
	s_waitcnt vmcnt(0)
	v_fma_f64 v[1:2], v[1:2], v[112:113], -v[114:115]
	v_fma_f64 v[3:4], v[3:4], v[112:113], v[108:109]
.LBB113_602:
	s_mov_b32 s6, exec_lo
	v_cmpx_ne_u32_e32 26, v0
	s_cbranch_execz .LBB113_606
; %bb.603:
	v_add_nc_u32_e32 v108, 0x330, v111
	v_add3_u32 v109, 0, v111, 16
	v_mov_b32_e32 v110, v0
	s_mov_b32 s8, 0
	.p2align	6
.LBB113_604:                            ; =>This Inner Loop Header: Depth=1
	s_clause 0x3
	buffer_load_dword v116, v109, s[0:3], 0 offen offset:8
	buffer_load_dword v117, v109, s[0:3], 0 offen offset:12
	buffer_load_dword v118, v109, s[0:3], 0 offen
	buffer_load_dword v119, v109, s[0:3], 0 offen offset:4
	ds_read_b128 v[112:115], v108
	v_add_nc_u32_e32 v110, 1, v110
	v_add_nc_u32_e32 v108, 16, v108
	;; [unrolled: 1-line block ×3, first 2 shown]
	v_cmp_lt_u32_e32 vcc_lo, 25, v110
	s_or_b32 s8, vcc_lo, s8
	s_waitcnt vmcnt(2) lgkmcnt(0)
	v_mul_f64 v[120:121], v[114:115], v[116:117]
	v_mul_f64 v[116:117], v[112:113], v[116:117]
	s_waitcnt vmcnt(0)
	v_fma_f64 v[112:113], v[112:113], v[118:119], -v[120:121]
	v_fma_f64 v[114:115], v[114:115], v[118:119], v[116:117]
	v_add_f64 v[1:2], v[1:2], v[112:113]
	v_add_f64 v[3:4], v[3:4], v[114:115]
	s_andn2_b32 exec_lo, exec_lo, s8
	s_cbranch_execnz .LBB113_604
; %bb.605:
	s_or_b32 exec_lo, exec_lo, s8
.LBB113_606:
	s_or_b32 exec_lo, exec_lo, s6
	v_mov_b32_e32 v108, 0
	ds_read_b128 v[112:115], v108 offset:432
	s_waitcnt lgkmcnt(0)
	v_mul_f64 v[108:109], v[3:4], v[114:115]
	v_mul_f64 v[114:115], v[1:2], v[114:115]
	v_fma_f64 v[1:2], v[1:2], v[112:113], -v[108:109]
	v_fma_f64 v[3:4], v[3:4], v[112:113], v[114:115]
	buffer_store_dword v2, off, s[0:3], 0 offset:436
	buffer_store_dword v1, off, s[0:3], 0 offset:432
	;; [unrolled: 1-line block ×4, first 2 shown]
.LBB113_607:
	s_or_b32 exec_lo, exec_lo, s4
	v_mov_b32_e32 v4, s29
	s_mov_b32 s4, exec_lo
	s_clause 0x3
	buffer_load_dword v1, v4, s[0:3], 0 offen
	buffer_load_dword v2, v4, s[0:3], 0 offen offset:4
	buffer_load_dword v3, v4, s[0:3], 0 offen offset:8
	;; [unrolled: 1-line block ×3, first 2 shown]
	s_waitcnt vmcnt(0)
	ds_write_b128 v106, v[1:4]
	s_waitcnt lgkmcnt(0)
	s_waitcnt_vscnt null, 0x0
	s_barrier
	buffer_gl0_inv
	v_cmpx_gt_u32_e32 28, v0
	s_cbranch_execz .LBB113_615
; %bb.608:
	ds_read_b128 v[1:4], v106
	v_cmp_ne_u32_e32 vcc_lo, 1, v107
	s_cbranch_vccnz .LBB113_610
; %bb.609:
	s_clause 0x3
	buffer_load_dword v108, v105, s[0:3], 0 offen offset:8
	buffer_load_dword v109, v105, s[0:3], 0 offen offset:12
	buffer_load_dword v112, v105, s[0:3], 0 offen
	buffer_load_dword v113, v105, s[0:3], 0 offen offset:4
	s_waitcnt vmcnt(2) lgkmcnt(0)
	v_mul_f64 v[114:115], v[3:4], v[108:109]
	v_mul_f64 v[108:109], v[1:2], v[108:109]
	s_waitcnt vmcnt(0)
	v_fma_f64 v[1:2], v[1:2], v[112:113], -v[114:115]
	v_fma_f64 v[3:4], v[3:4], v[112:113], v[108:109]
.LBB113_610:
	s_mov_b32 s6, exec_lo
	v_cmpx_ne_u32_e32 27, v0
	s_cbranch_execz .LBB113_614
; %bb.611:
	v_add_nc_u32_e32 v108, 0x330, v111
	v_add3_u32 v109, 0, v111, 16
	v_mov_b32_e32 v110, v0
	s_mov_b32 s8, 0
	.p2align	6
.LBB113_612:                            ; =>This Inner Loop Header: Depth=1
	s_clause 0x3
	buffer_load_dword v116, v109, s[0:3], 0 offen offset:8
	buffer_load_dword v117, v109, s[0:3], 0 offen offset:12
	buffer_load_dword v118, v109, s[0:3], 0 offen
	buffer_load_dword v119, v109, s[0:3], 0 offen offset:4
	ds_read_b128 v[112:115], v108
	v_add_nc_u32_e32 v110, 1, v110
	v_add_nc_u32_e32 v108, 16, v108
	;; [unrolled: 1-line block ×3, first 2 shown]
	v_cmp_lt_u32_e32 vcc_lo, 26, v110
	s_or_b32 s8, vcc_lo, s8
	s_waitcnt vmcnt(2) lgkmcnt(0)
	v_mul_f64 v[120:121], v[114:115], v[116:117]
	v_mul_f64 v[116:117], v[112:113], v[116:117]
	s_waitcnt vmcnt(0)
	v_fma_f64 v[112:113], v[112:113], v[118:119], -v[120:121]
	v_fma_f64 v[114:115], v[114:115], v[118:119], v[116:117]
	v_add_f64 v[1:2], v[1:2], v[112:113]
	v_add_f64 v[3:4], v[3:4], v[114:115]
	s_andn2_b32 exec_lo, exec_lo, s8
	s_cbranch_execnz .LBB113_612
; %bb.613:
	s_or_b32 exec_lo, exec_lo, s8
.LBB113_614:
	s_or_b32 exec_lo, exec_lo, s6
	v_mov_b32_e32 v108, 0
	ds_read_b128 v[112:115], v108 offset:448
	s_waitcnt lgkmcnt(0)
	v_mul_f64 v[108:109], v[3:4], v[114:115]
	v_mul_f64 v[114:115], v[1:2], v[114:115]
	v_fma_f64 v[1:2], v[1:2], v[112:113], -v[108:109]
	v_fma_f64 v[3:4], v[3:4], v[112:113], v[114:115]
	buffer_store_dword v2, off, s[0:3], 0 offset:452
	buffer_store_dword v1, off, s[0:3], 0 offset:448
	;; [unrolled: 1-line block ×4, first 2 shown]
.LBB113_615:
	s_or_b32 exec_lo, exec_lo, s4
	v_mov_b32_e32 v4, s28
	s_mov_b32 s4, exec_lo
	s_clause 0x3
	buffer_load_dword v1, v4, s[0:3], 0 offen
	buffer_load_dword v2, v4, s[0:3], 0 offen offset:4
	buffer_load_dword v3, v4, s[0:3], 0 offen offset:8
	;; [unrolled: 1-line block ×3, first 2 shown]
	s_waitcnt vmcnt(0)
	ds_write_b128 v106, v[1:4]
	s_waitcnt lgkmcnt(0)
	s_waitcnt_vscnt null, 0x0
	s_barrier
	buffer_gl0_inv
	v_cmpx_gt_u32_e32 29, v0
	s_cbranch_execz .LBB113_623
; %bb.616:
	ds_read_b128 v[1:4], v106
	v_cmp_ne_u32_e32 vcc_lo, 1, v107
	s_cbranch_vccnz .LBB113_618
; %bb.617:
	s_clause 0x3
	buffer_load_dword v108, v105, s[0:3], 0 offen offset:8
	buffer_load_dword v109, v105, s[0:3], 0 offen offset:12
	buffer_load_dword v112, v105, s[0:3], 0 offen
	buffer_load_dword v113, v105, s[0:3], 0 offen offset:4
	s_waitcnt vmcnt(2) lgkmcnt(0)
	v_mul_f64 v[114:115], v[3:4], v[108:109]
	v_mul_f64 v[108:109], v[1:2], v[108:109]
	s_waitcnt vmcnt(0)
	v_fma_f64 v[1:2], v[1:2], v[112:113], -v[114:115]
	v_fma_f64 v[3:4], v[3:4], v[112:113], v[108:109]
.LBB113_618:
	s_mov_b32 s6, exec_lo
	v_cmpx_ne_u32_e32 28, v0
	s_cbranch_execz .LBB113_622
; %bb.619:
	v_add_nc_u32_e32 v108, 0x330, v111
	v_add3_u32 v109, 0, v111, 16
	v_mov_b32_e32 v110, v0
	s_mov_b32 s8, 0
	.p2align	6
.LBB113_620:                            ; =>This Inner Loop Header: Depth=1
	s_clause 0x3
	buffer_load_dword v116, v109, s[0:3], 0 offen offset:8
	buffer_load_dword v117, v109, s[0:3], 0 offen offset:12
	buffer_load_dword v118, v109, s[0:3], 0 offen
	buffer_load_dword v119, v109, s[0:3], 0 offen offset:4
	ds_read_b128 v[112:115], v108
	v_add_nc_u32_e32 v110, 1, v110
	v_add_nc_u32_e32 v108, 16, v108
	;; [unrolled: 1-line block ×3, first 2 shown]
	v_cmp_lt_u32_e32 vcc_lo, 27, v110
	s_or_b32 s8, vcc_lo, s8
	s_waitcnt vmcnt(2) lgkmcnt(0)
	v_mul_f64 v[120:121], v[114:115], v[116:117]
	v_mul_f64 v[116:117], v[112:113], v[116:117]
	s_waitcnt vmcnt(0)
	v_fma_f64 v[112:113], v[112:113], v[118:119], -v[120:121]
	v_fma_f64 v[114:115], v[114:115], v[118:119], v[116:117]
	v_add_f64 v[1:2], v[1:2], v[112:113]
	v_add_f64 v[3:4], v[3:4], v[114:115]
	s_andn2_b32 exec_lo, exec_lo, s8
	s_cbranch_execnz .LBB113_620
; %bb.621:
	s_or_b32 exec_lo, exec_lo, s8
.LBB113_622:
	s_or_b32 exec_lo, exec_lo, s6
	v_mov_b32_e32 v108, 0
	ds_read_b128 v[112:115], v108 offset:464
	s_waitcnt lgkmcnt(0)
	v_mul_f64 v[108:109], v[3:4], v[114:115]
	v_mul_f64 v[114:115], v[1:2], v[114:115]
	v_fma_f64 v[1:2], v[1:2], v[112:113], -v[108:109]
	v_fma_f64 v[3:4], v[3:4], v[112:113], v[114:115]
	buffer_store_dword v2, off, s[0:3], 0 offset:468
	buffer_store_dword v1, off, s[0:3], 0 offset:464
	;; [unrolled: 1-line block ×4, first 2 shown]
.LBB113_623:
	s_or_b32 exec_lo, exec_lo, s4
	v_mov_b32_e32 v4, s27
	s_mov_b32 s4, exec_lo
	s_clause 0x3
	buffer_load_dword v1, v4, s[0:3], 0 offen
	buffer_load_dword v2, v4, s[0:3], 0 offen offset:4
	buffer_load_dword v3, v4, s[0:3], 0 offen offset:8
	;; [unrolled: 1-line block ×3, first 2 shown]
	s_waitcnt vmcnt(0)
	ds_write_b128 v106, v[1:4]
	s_waitcnt lgkmcnt(0)
	s_waitcnt_vscnt null, 0x0
	s_barrier
	buffer_gl0_inv
	v_cmpx_gt_u32_e32 30, v0
	s_cbranch_execz .LBB113_631
; %bb.624:
	ds_read_b128 v[1:4], v106
	v_cmp_ne_u32_e32 vcc_lo, 1, v107
	s_cbranch_vccnz .LBB113_626
; %bb.625:
	s_clause 0x3
	buffer_load_dword v108, v105, s[0:3], 0 offen offset:8
	buffer_load_dword v109, v105, s[0:3], 0 offen offset:12
	buffer_load_dword v112, v105, s[0:3], 0 offen
	buffer_load_dword v113, v105, s[0:3], 0 offen offset:4
	s_waitcnt vmcnt(2) lgkmcnt(0)
	v_mul_f64 v[114:115], v[3:4], v[108:109]
	v_mul_f64 v[108:109], v[1:2], v[108:109]
	s_waitcnt vmcnt(0)
	v_fma_f64 v[1:2], v[1:2], v[112:113], -v[114:115]
	v_fma_f64 v[3:4], v[3:4], v[112:113], v[108:109]
.LBB113_626:
	s_mov_b32 s6, exec_lo
	v_cmpx_ne_u32_e32 29, v0
	s_cbranch_execz .LBB113_630
; %bb.627:
	v_add_nc_u32_e32 v108, 0x330, v111
	v_add3_u32 v109, 0, v111, 16
	v_mov_b32_e32 v110, v0
	s_mov_b32 s8, 0
	.p2align	6
.LBB113_628:                            ; =>This Inner Loop Header: Depth=1
	s_clause 0x3
	buffer_load_dword v116, v109, s[0:3], 0 offen offset:8
	buffer_load_dword v117, v109, s[0:3], 0 offen offset:12
	buffer_load_dword v118, v109, s[0:3], 0 offen
	buffer_load_dword v119, v109, s[0:3], 0 offen offset:4
	ds_read_b128 v[112:115], v108
	v_add_nc_u32_e32 v110, 1, v110
	v_add_nc_u32_e32 v108, 16, v108
	;; [unrolled: 1-line block ×3, first 2 shown]
	v_cmp_lt_u32_e32 vcc_lo, 28, v110
	s_or_b32 s8, vcc_lo, s8
	s_waitcnt vmcnt(2) lgkmcnt(0)
	v_mul_f64 v[120:121], v[114:115], v[116:117]
	v_mul_f64 v[116:117], v[112:113], v[116:117]
	s_waitcnt vmcnt(0)
	v_fma_f64 v[112:113], v[112:113], v[118:119], -v[120:121]
	v_fma_f64 v[114:115], v[114:115], v[118:119], v[116:117]
	v_add_f64 v[1:2], v[1:2], v[112:113]
	v_add_f64 v[3:4], v[3:4], v[114:115]
	s_andn2_b32 exec_lo, exec_lo, s8
	s_cbranch_execnz .LBB113_628
; %bb.629:
	s_or_b32 exec_lo, exec_lo, s8
.LBB113_630:
	s_or_b32 exec_lo, exec_lo, s6
	v_mov_b32_e32 v108, 0
	ds_read_b128 v[112:115], v108 offset:480
	s_waitcnt lgkmcnt(0)
	v_mul_f64 v[108:109], v[3:4], v[114:115]
	v_mul_f64 v[114:115], v[1:2], v[114:115]
	v_fma_f64 v[1:2], v[1:2], v[112:113], -v[108:109]
	v_fma_f64 v[3:4], v[3:4], v[112:113], v[114:115]
	buffer_store_dword v2, off, s[0:3], 0 offset:484
	buffer_store_dword v1, off, s[0:3], 0 offset:480
	;; [unrolled: 1-line block ×4, first 2 shown]
.LBB113_631:
	s_or_b32 exec_lo, exec_lo, s4
	v_mov_b32_e32 v4, s26
	s_mov_b32 s4, exec_lo
	s_clause 0x3
	buffer_load_dword v1, v4, s[0:3], 0 offen
	buffer_load_dword v2, v4, s[0:3], 0 offen offset:4
	buffer_load_dword v3, v4, s[0:3], 0 offen offset:8
	;; [unrolled: 1-line block ×3, first 2 shown]
	s_waitcnt vmcnt(0)
	ds_write_b128 v106, v[1:4]
	s_waitcnt lgkmcnt(0)
	s_waitcnt_vscnt null, 0x0
	s_barrier
	buffer_gl0_inv
	v_cmpx_gt_u32_e32 31, v0
	s_cbranch_execz .LBB113_639
; %bb.632:
	ds_read_b128 v[1:4], v106
	v_cmp_ne_u32_e32 vcc_lo, 1, v107
	s_cbranch_vccnz .LBB113_634
; %bb.633:
	s_clause 0x3
	buffer_load_dword v108, v105, s[0:3], 0 offen offset:8
	buffer_load_dword v109, v105, s[0:3], 0 offen offset:12
	buffer_load_dword v112, v105, s[0:3], 0 offen
	buffer_load_dword v113, v105, s[0:3], 0 offen offset:4
	s_waitcnt vmcnt(2) lgkmcnt(0)
	v_mul_f64 v[114:115], v[3:4], v[108:109]
	v_mul_f64 v[108:109], v[1:2], v[108:109]
	s_waitcnt vmcnt(0)
	v_fma_f64 v[1:2], v[1:2], v[112:113], -v[114:115]
	v_fma_f64 v[3:4], v[3:4], v[112:113], v[108:109]
.LBB113_634:
	s_mov_b32 s6, exec_lo
	v_cmpx_ne_u32_e32 30, v0
	s_cbranch_execz .LBB113_638
; %bb.635:
	v_add_nc_u32_e32 v108, 0x330, v111
	v_add3_u32 v109, 0, v111, 16
	v_mov_b32_e32 v110, v0
	s_mov_b32 s8, 0
	.p2align	6
.LBB113_636:                            ; =>This Inner Loop Header: Depth=1
	s_clause 0x3
	buffer_load_dword v116, v109, s[0:3], 0 offen offset:8
	buffer_load_dword v117, v109, s[0:3], 0 offen offset:12
	buffer_load_dword v118, v109, s[0:3], 0 offen
	buffer_load_dword v119, v109, s[0:3], 0 offen offset:4
	ds_read_b128 v[112:115], v108
	v_add_nc_u32_e32 v110, 1, v110
	v_add_nc_u32_e32 v108, 16, v108
	;; [unrolled: 1-line block ×3, first 2 shown]
	v_cmp_lt_u32_e32 vcc_lo, 29, v110
	s_or_b32 s8, vcc_lo, s8
	s_waitcnt vmcnt(2) lgkmcnt(0)
	v_mul_f64 v[120:121], v[114:115], v[116:117]
	v_mul_f64 v[116:117], v[112:113], v[116:117]
	s_waitcnt vmcnt(0)
	v_fma_f64 v[112:113], v[112:113], v[118:119], -v[120:121]
	v_fma_f64 v[114:115], v[114:115], v[118:119], v[116:117]
	v_add_f64 v[1:2], v[1:2], v[112:113]
	v_add_f64 v[3:4], v[3:4], v[114:115]
	s_andn2_b32 exec_lo, exec_lo, s8
	s_cbranch_execnz .LBB113_636
; %bb.637:
	s_or_b32 exec_lo, exec_lo, s8
.LBB113_638:
	s_or_b32 exec_lo, exec_lo, s6
	v_mov_b32_e32 v108, 0
	ds_read_b128 v[112:115], v108 offset:496
	s_waitcnt lgkmcnt(0)
	v_mul_f64 v[108:109], v[3:4], v[114:115]
	v_mul_f64 v[114:115], v[1:2], v[114:115]
	v_fma_f64 v[1:2], v[1:2], v[112:113], -v[108:109]
	v_fma_f64 v[3:4], v[3:4], v[112:113], v[114:115]
	buffer_store_dword v2, off, s[0:3], 0 offset:500
	buffer_store_dword v1, off, s[0:3], 0 offset:496
	;; [unrolled: 1-line block ×4, first 2 shown]
.LBB113_639:
	s_or_b32 exec_lo, exec_lo, s4
	v_mov_b32_e32 v4, s25
	s_mov_b32 s4, exec_lo
	s_clause 0x3
	buffer_load_dword v1, v4, s[0:3], 0 offen
	buffer_load_dword v2, v4, s[0:3], 0 offen offset:4
	buffer_load_dword v3, v4, s[0:3], 0 offen offset:8
	;; [unrolled: 1-line block ×3, first 2 shown]
	s_waitcnt vmcnt(0)
	ds_write_b128 v106, v[1:4]
	s_waitcnt lgkmcnt(0)
	s_waitcnt_vscnt null, 0x0
	s_barrier
	buffer_gl0_inv
	v_cmpx_gt_u32_e32 32, v0
	s_cbranch_execz .LBB113_647
; %bb.640:
	ds_read_b128 v[1:4], v106
	v_cmp_ne_u32_e32 vcc_lo, 1, v107
	s_cbranch_vccnz .LBB113_642
; %bb.641:
	s_clause 0x3
	buffer_load_dword v108, v105, s[0:3], 0 offen offset:8
	buffer_load_dword v109, v105, s[0:3], 0 offen offset:12
	buffer_load_dword v112, v105, s[0:3], 0 offen
	buffer_load_dword v113, v105, s[0:3], 0 offen offset:4
	s_waitcnt vmcnt(2) lgkmcnt(0)
	v_mul_f64 v[114:115], v[3:4], v[108:109]
	v_mul_f64 v[108:109], v[1:2], v[108:109]
	s_waitcnt vmcnt(0)
	v_fma_f64 v[1:2], v[1:2], v[112:113], -v[114:115]
	v_fma_f64 v[3:4], v[3:4], v[112:113], v[108:109]
.LBB113_642:
	s_mov_b32 s6, exec_lo
	v_cmpx_ne_u32_e32 31, v0
	s_cbranch_execz .LBB113_646
; %bb.643:
	v_add_nc_u32_e32 v108, 0x330, v111
	v_add3_u32 v109, 0, v111, 16
	v_mov_b32_e32 v110, v0
	s_mov_b32 s8, 0
	.p2align	6
.LBB113_644:                            ; =>This Inner Loop Header: Depth=1
	s_clause 0x3
	buffer_load_dword v116, v109, s[0:3], 0 offen offset:8
	buffer_load_dword v117, v109, s[0:3], 0 offen offset:12
	buffer_load_dword v118, v109, s[0:3], 0 offen
	buffer_load_dword v119, v109, s[0:3], 0 offen offset:4
	ds_read_b128 v[112:115], v108
	v_add_nc_u32_e32 v110, 1, v110
	v_add_nc_u32_e32 v108, 16, v108
	;; [unrolled: 1-line block ×3, first 2 shown]
	v_cmp_lt_u32_e32 vcc_lo, 30, v110
	s_or_b32 s8, vcc_lo, s8
	s_waitcnt vmcnt(2) lgkmcnt(0)
	v_mul_f64 v[120:121], v[114:115], v[116:117]
	v_mul_f64 v[116:117], v[112:113], v[116:117]
	s_waitcnt vmcnt(0)
	v_fma_f64 v[112:113], v[112:113], v[118:119], -v[120:121]
	v_fma_f64 v[114:115], v[114:115], v[118:119], v[116:117]
	v_add_f64 v[1:2], v[1:2], v[112:113]
	v_add_f64 v[3:4], v[3:4], v[114:115]
	s_andn2_b32 exec_lo, exec_lo, s8
	s_cbranch_execnz .LBB113_644
; %bb.645:
	s_or_b32 exec_lo, exec_lo, s8
.LBB113_646:
	s_or_b32 exec_lo, exec_lo, s6
	v_mov_b32_e32 v108, 0
	ds_read_b128 v[112:115], v108 offset:512
	s_waitcnt lgkmcnt(0)
	v_mul_f64 v[108:109], v[3:4], v[114:115]
	v_mul_f64 v[114:115], v[1:2], v[114:115]
	v_fma_f64 v[1:2], v[1:2], v[112:113], -v[108:109]
	v_fma_f64 v[3:4], v[3:4], v[112:113], v[114:115]
	buffer_store_dword v2, off, s[0:3], 0 offset:516
	buffer_store_dword v1, off, s[0:3], 0 offset:512
	;; [unrolled: 1-line block ×4, first 2 shown]
.LBB113_647:
	s_or_b32 exec_lo, exec_lo, s4
	v_mov_b32_e32 v4, s24
	s_mov_b32 s4, exec_lo
	s_clause 0x3
	buffer_load_dword v1, v4, s[0:3], 0 offen
	buffer_load_dword v2, v4, s[0:3], 0 offen offset:4
	buffer_load_dword v3, v4, s[0:3], 0 offen offset:8
	;; [unrolled: 1-line block ×3, first 2 shown]
	s_waitcnt vmcnt(0)
	ds_write_b128 v106, v[1:4]
	s_waitcnt lgkmcnt(0)
	s_waitcnt_vscnt null, 0x0
	s_barrier
	buffer_gl0_inv
	v_cmpx_gt_u32_e32 33, v0
	s_cbranch_execz .LBB113_655
; %bb.648:
	ds_read_b128 v[1:4], v106
	v_cmp_ne_u32_e32 vcc_lo, 1, v107
	s_cbranch_vccnz .LBB113_650
; %bb.649:
	s_clause 0x3
	buffer_load_dword v108, v105, s[0:3], 0 offen offset:8
	buffer_load_dword v109, v105, s[0:3], 0 offen offset:12
	buffer_load_dword v112, v105, s[0:3], 0 offen
	buffer_load_dword v113, v105, s[0:3], 0 offen offset:4
	s_waitcnt vmcnt(2) lgkmcnt(0)
	v_mul_f64 v[114:115], v[3:4], v[108:109]
	v_mul_f64 v[108:109], v[1:2], v[108:109]
	s_waitcnt vmcnt(0)
	v_fma_f64 v[1:2], v[1:2], v[112:113], -v[114:115]
	v_fma_f64 v[3:4], v[3:4], v[112:113], v[108:109]
.LBB113_650:
	s_mov_b32 s6, exec_lo
	v_cmpx_ne_u32_e32 32, v0
	s_cbranch_execz .LBB113_654
; %bb.651:
	v_add_nc_u32_e32 v108, 0x330, v111
	v_add3_u32 v109, 0, v111, 16
	v_mov_b32_e32 v110, v0
	s_mov_b32 s8, 0
	.p2align	6
.LBB113_652:                            ; =>This Inner Loop Header: Depth=1
	s_clause 0x3
	buffer_load_dword v116, v109, s[0:3], 0 offen offset:8
	buffer_load_dword v117, v109, s[0:3], 0 offen offset:12
	buffer_load_dword v118, v109, s[0:3], 0 offen
	buffer_load_dword v119, v109, s[0:3], 0 offen offset:4
	ds_read_b128 v[112:115], v108
	v_add_nc_u32_e32 v110, 1, v110
	v_add_nc_u32_e32 v108, 16, v108
	;; [unrolled: 1-line block ×3, first 2 shown]
	v_cmp_lt_u32_e32 vcc_lo, 31, v110
	s_or_b32 s8, vcc_lo, s8
	s_waitcnt vmcnt(2) lgkmcnt(0)
	v_mul_f64 v[120:121], v[114:115], v[116:117]
	v_mul_f64 v[116:117], v[112:113], v[116:117]
	s_waitcnt vmcnt(0)
	v_fma_f64 v[112:113], v[112:113], v[118:119], -v[120:121]
	v_fma_f64 v[114:115], v[114:115], v[118:119], v[116:117]
	v_add_f64 v[1:2], v[1:2], v[112:113]
	v_add_f64 v[3:4], v[3:4], v[114:115]
	s_andn2_b32 exec_lo, exec_lo, s8
	s_cbranch_execnz .LBB113_652
; %bb.653:
	s_or_b32 exec_lo, exec_lo, s8
.LBB113_654:
	s_or_b32 exec_lo, exec_lo, s6
	v_mov_b32_e32 v108, 0
	ds_read_b128 v[112:115], v108 offset:528
	s_waitcnt lgkmcnt(0)
	v_mul_f64 v[108:109], v[3:4], v[114:115]
	v_mul_f64 v[114:115], v[1:2], v[114:115]
	v_fma_f64 v[1:2], v[1:2], v[112:113], -v[108:109]
	v_fma_f64 v[3:4], v[3:4], v[112:113], v[114:115]
	buffer_store_dword v2, off, s[0:3], 0 offset:532
	buffer_store_dword v1, off, s[0:3], 0 offset:528
	;; [unrolled: 1-line block ×4, first 2 shown]
.LBB113_655:
	s_or_b32 exec_lo, exec_lo, s4
	v_mov_b32_e32 v4, s23
	s_mov_b32 s4, exec_lo
	s_clause 0x3
	buffer_load_dword v1, v4, s[0:3], 0 offen
	buffer_load_dword v2, v4, s[0:3], 0 offen offset:4
	buffer_load_dword v3, v4, s[0:3], 0 offen offset:8
	;; [unrolled: 1-line block ×3, first 2 shown]
	s_waitcnt vmcnt(0)
	ds_write_b128 v106, v[1:4]
	s_waitcnt lgkmcnt(0)
	s_waitcnt_vscnt null, 0x0
	s_barrier
	buffer_gl0_inv
	v_cmpx_gt_u32_e32 34, v0
	s_cbranch_execz .LBB113_663
; %bb.656:
	ds_read_b128 v[1:4], v106
	v_cmp_ne_u32_e32 vcc_lo, 1, v107
	s_cbranch_vccnz .LBB113_658
; %bb.657:
	s_clause 0x3
	buffer_load_dword v108, v105, s[0:3], 0 offen offset:8
	buffer_load_dword v109, v105, s[0:3], 0 offen offset:12
	buffer_load_dword v112, v105, s[0:3], 0 offen
	buffer_load_dword v113, v105, s[0:3], 0 offen offset:4
	s_waitcnt vmcnt(2) lgkmcnt(0)
	v_mul_f64 v[114:115], v[3:4], v[108:109]
	v_mul_f64 v[108:109], v[1:2], v[108:109]
	s_waitcnt vmcnt(0)
	v_fma_f64 v[1:2], v[1:2], v[112:113], -v[114:115]
	v_fma_f64 v[3:4], v[3:4], v[112:113], v[108:109]
.LBB113_658:
	s_mov_b32 s6, exec_lo
	v_cmpx_ne_u32_e32 33, v0
	s_cbranch_execz .LBB113_662
; %bb.659:
	v_add_nc_u32_e32 v108, 0x330, v111
	v_add3_u32 v109, 0, v111, 16
	v_mov_b32_e32 v110, v0
	s_mov_b32 s8, 0
	.p2align	6
.LBB113_660:                            ; =>This Inner Loop Header: Depth=1
	s_clause 0x3
	buffer_load_dword v116, v109, s[0:3], 0 offen offset:8
	buffer_load_dword v117, v109, s[0:3], 0 offen offset:12
	buffer_load_dword v118, v109, s[0:3], 0 offen
	buffer_load_dword v119, v109, s[0:3], 0 offen offset:4
	ds_read_b128 v[112:115], v108
	v_add_nc_u32_e32 v110, 1, v110
	v_add_nc_u32_e32 v108, 16, v108
	;; [unrolled: 1-line block ×3, first 2 shown]
	v_cmp_lt_u32_e32 vcc_lo, 32, v110
	s_or_b32 s8, vcc_lo, s8
	s_waitcnt vmcnt(2) lgkmcnt(0)
	v_mul_f64 v[120:121], v[114:115], v[116:117]
	v_mul_f64 v[116:117], v[112:113], v[116:117]
	s_waitcnt vmcnt(0)
	v_fma_f64 v[112:113], v[112:113], v[118:119], -v[120:121]
	v_fma_f64 v[114:115], v[114:115], v[118:119], v[116:117]
	v_add_f64 v[1:2], v[1:2], v[112:113]
	v_add_f64 v[3:4], v[3:4], v[114:115]
	s_andn2_b32 exec_lo, exec_lo, s8
	s_cbranch_execnz .LBB113_660
; %bb.661:
	s_or_b32 exec_lo, exec_lo, s8
.LBB113_662:
	s_or_b32 exec_lo, exec_lo, s6
	v_mov_b32_e32 v108, 0
	ds_read_b128 v[112:115], v108 offset:544
	s_waitcnt lgkmcnt(0)
	v_mul_f64 v[108:109], v[3:4], v[114:115]
	v_mul_f64 v[114:115], v[1:2], v[114:115]
	v_fma_f64 v[1:2], v[1:2], v[112:113], -v[108:109]
	v_fma_f64 v[3:4], v[3:4], v[112:113], v[114:115]
	buffer_store_dword v2, off, s[0:3], 0 offset:548
	buffer_store_dword v1, off, s[0:3], 0 offset:544
	;; [unrolled: 1-line block ×4, first 2 shown]
.LBB113_663:
	s_or_b32 exec_lo, exec_lo, s4
	v_mov_b32_e32 v4, s22
	s_mov_b32 s4, exec_lo
	s_clause 0x3
	buffer_load_dword v1, v4, s[0:3], 0 offen
	buffer_load_dword v2, v4, s[0:3], 0 offen offset:4
	buffer_load_dword v3, v4, s[0:3], 0 offen offset:8
	;; [unrolled: 1-line block ×3, first 2 shown]
	s_waitcnt vmcnt(0)
	ds_write_b128 v106, v[1:4]
	s_waitcnt lgkmcnt(0)
	s_waitcnt_vscnt null, 0x0
	s_barrier
	buffer_gl0_inv
	v_cmpx_gt_u32_e32 35, v0
	s_cbranch_execz .LBB113_671
; %bb.664:
	ds_read_b128 v[1:4], v106
	v_cmp_ne_u32_e32 vcc_lo, 1, v107
	s_cbranch_vccnz .LBB113_666
; %bb.665:
	s_clause 0x3
	buffer_load_dword v108, v105, s[0:3], 0 offen offset:8
	buffer_load_dword v109, v105, s[0:3], 0 offen offset:12
	buffer_load_dword v112, v105, s[0:3], 0 offen
	buffer_load_dword v113, v105, s[0:3], 0 offen offset:4
	s_waitcnt vmcnt(2) lgkmcnt(0)
	v_mul_f64 v[114:115], v[3:4], v[108:109]
	v_mul_f64 v[108:109], v[1:2], v[108:109]
	s_waitcnt vmcnt(0)
	v_fma_f64 v[1:2], v[1:2], v[112:113], -v[114:115]
	v_fma_f64 v[3:4], v[3:4], v[112:113], v[108:109]
.LBB113_666:
	s_mov_b32 s6, exec_lo
	v_cmpx_ne_u32_e32 34, v0
	s_cbranch_execz .LBB113_670
; %bb.667:
	v_add_nc_u32_e32 v108, 0x330, v111
	v_add3_u32 v109, 0, v111, 16
	v_mov_b32_e32 v110, v0
	s_mov_b32 s8, 0
	.p2align	6
.LBB113_668:                            ; =>This Inner Loop Header: Depth=1
	s_clause 0x3
	buffer_load_dword v116, v109, s[0:3], 0 offen offset:8
	buffer_load_dword v117, v109, s[0:3], 0 offen offset:12
	buffer_load_dword v118, v109, s[0:3], 0 offen
	buffer_load_dword v119, v109, s[0:3], 0 offen offset:4
	ds_read_b128 v[112:115], v108
	v_add_nc_u32_e32 v110, 1, v110
	v_add_nc_u32_e32 v108, 16, v108
	;; [unrolled: 1-line block ×3, first 2 shown]
	v_cmp_lt_u32_e32 vcc_lo, 33, v110
	s_or_b32 s8, vcc_lo, s8
	s_waitcnt vmcnt(2) lgkmcnt(0)
	v_mul_f64 v[120:121], v[114:115], v[116:117]
	v_mul_f64 v[116:117], v[112:113], v[116:117]
	s_waitcnt vmcnt(0)
	v_fma_f64 v[112:113], v[112:113], v[118:119], -v[120:121]
	v_fma_f64 v[114:115], v[114:115], v[118:119], v[116:117]
	v_add_f64 v[1:2], v[1:2], v[112:113]
	v_add_f64 v[3:4], v[3:4], v[114:115]
	s_andn2_b32 exec_lo, exec_lo, s8
	s_cbranch_execnz .LBB113_668
; %bb.669:
	s_or_b32 exec_lo, exec_lo, s8
.LBB113_670:
	s_or_b32 exec_lo, exec_lo, s6
	v_mov_b32_e32 v108, 0
	ds_read_b128 v[112:115], v108 offset:560
	s_waitcnt lgkmcnt(0)
	v_mul_f64 v[108:109], v[3:4], v[114:115]
	v_mul_f64 v[114:115], v[1:2], v[114:115]
	v_fma_f64 v[1:2], v[1:2], v[112:113], -v[108:109]
	v_fma_f64 v[3:4], v[3:4], v[112:113], v[114:115]
	buffer_store_dword v2, off, s[0:3], 0 offset:564
	buffer_store_dword v1, off, s[0:3], 0 offset:560
	buffer_store_dword v4, off, s[0:3], 0 offset:572
	buffer_store_dword v3, off, s[0:3], 0 offset:568
.LBB113_671:
	s_or_b32 exec_lo, exec_lo, s4
	v_mov_b32_e32 v4, s21
	s_mov_b32 s4, exec_lo
	s_clause 0x3
	buffer_load_dword v1, v4, s[0:3], 0 offen
	buffer_load_dword v2, v4, s[0:3], 0 offen offset:4
	buffer_load_dword v3, v4, s[0:3], 0 offen offset:8
	;; [unrolled: 1-line block ×3, first 2 shown]
	s_waitcnt vmcnt(0)
	ds_write_b128 v106, v[1:4]
	s_waitcnt lgkmcnt(0)
	s_waitcnt_vscnt null, 0x0
	s_barrier
	buffer_gl0_inv
	v_cmpx_gt_u32_e32 36, v0
	s_cbranch_execz .LBB113_679
; %bb.672:
	ds_read_b128 v[1:4], v106
	v_cmp_ne_u32_e32 vcc_lo, 1, v107
	s_cbranch_vccnz .LBB113_674
; %bb.673:
	s_clause 0x3
	buffer_load_dword v108, v105, s[0:3], 0 offen offset:8
	buffer_load_dword v109, v105, s[0:3], 0 offen offset:12
	buffer_load_dword v112, v105, s[0:3], 0 offen
	buffer_load_dword v113, v105, s[0:3], 0 offen offset:4
	s_waitcnt vmcnt(2) lgkmcnt(0)
	v_mul_f64 v[114:115], v[3:4], v[108:109]
	v_mul_f64 v[108:109], v[1:2], v[108:109]
	s_waitcnt vmcnt(0)
	v_fma_f64 v[1:2], v[1:2], v[112:113], -v[114:115]
	v_fma_f64 v[3:4], v[3:4], v[112:113], v[108:109]
.LBB113_674:
	s_mov_b32 s6, exec_lo
	v_cmpx_ne_u32_e32 35, v0
	s_cbranch_execz .LBB113_678
; %bb.675:
	v_add_nc_u32_e32 v108, 0x330, v111
	v_add3_u32 v109, 0, v111, 16
	v_mov_b32_e32 v110, v0
	s_mov_b32 s8, 0
	.p2align	6
.LBB113_676:                            ; =>This Inner Loop Header: Depth=1
	s_clause 0x3
	buffer_load_dword v116, v109, s[0:3], 0 offen offset:8
	buffer_load_dword v117, v109, s[0:3], 0 offen offset:12
	buffer_load_dword v118, v109, s[0:3], 0 offen
	buffer_load_dword v119, v109, s[0:3], 0 offen offset:4
	ds_read_b128 v[112:115], v108
	v_add_nc_u32_e32 v110, 1, v110
	v_add_nc_u32_e32 v108, 16, v108
	;; [unrolled: 1-line block ×3, first 2 shown]
	v_cmp_lt_u32_e32 vcc_lo, 34, v110
	s_or_b32 s8, vcc_lo, s8
	s_waitcnt vmcnt(2) lgkmcnt(0)
	v_mul_f64 v[120:121], v[114:115], v[116:117]
	v_mul_f64 v[116:117], v[112:113], v[116:117]
	s_waitcnt vmcnt(0)
	v_fma_f64 v[112:113], v[112:113], v[118:119], -v[120:121]
	v_fma_f64 v[114:115], v[114:115], v[118:119], v[116:117]
	v_add_f64 v[1:2], v[1:2], v[112:113]
	v_add_f64 v[3:4], v[3:4], v[114:115]
	s_andn2_b32 exec_lo, exec_lo, s8
	s_cbranch_execnz .LBB113_676
; %bb.677:
	s_or_b32 exec_lo, exec_lo, s8
.LBB113_678:
	s_or_b32 exec_lo, exec_lo, s6
	v_mov_b32_e32 v108, 0
	ds_read_b128 v[112:115], v108 offset:576
	s_waitcnt lgkmcnt(0)
	v_mul_f64 v[108:109], v[3:4], v[114:115]
	v_mul_f64 v[114:115], v[1:2], v[114:115]
	v_fma_f64 v[1:2], v[1:2], v[112:113], -v[108:109]
	v_fma_f64 v[3:4], v[3:4], v[112:113], v[114:115]
	buffer_store_dword v2, off, s[0:3], 0 offset:580
	buffer_store_dword v1, off, s[0:3], 0 offset:576
	;; [unrolled: 1-line block ×4, first 2 shown]
.LBB113_679:
	s_or_b32 exec_lo, exec_lo, s4
	v_mov_b32_e32 v4, s20
	s_mov_b32 s4, exec_lo
	s_clause 0x3
	buffer_load_dword v1, v4, s[0:3], 0 offen
	buffer_load_dword v2, v4, s[0:3], 0 offen offset:4
	buffer_load_dword v3, v4, s[0:3], 0 offen offset:8
	;; [unrolled: 1-line block ×3, first 2 shown]
	s_waitcnt vmcnt(0)
	ds_write_b128 v106, v[1:4]
	s_waitcnt lgkmcnt(0)
	s_waitcnt_vscnt null, 0x0
	s_barrier
	buffer_gl0_inv
	v_cmpx_gt_u32_e32 37, v0
	s_cbranch_execz .LBB113_687
; %bb.680:
	ds_read_b128 v[1:4], v106
	v_cmp_ne_u32_e32 vcc_lo, 1, v107
	s_cbranch_vccnz .LBB113_682
; %bb.681:
	s_clause 0x3
	buffer_load_dword v108, v105, s[0:3], 0 offen offset:8
	buffer_load_dword v109, v105, s[0:3], 0 offen offset:12
	buffer_load_dword v112, v105, s[0:3], 0 offen
	buffer_load_dword v113, v105, s[0:3], 0 offen offset:4
	s_waitcnt vmcnt(2) lgkmcnt(0)
	v_mul_f64 v[114:115], v[3:4], v[108:109]
	v_mul_f64 v[108:109], v[1:2], v[108:109]
	s_waitcnt vmcnt(0)
	v_fma_f64 v[1:2], v[1:2], v[112:113], -v[114:115]
	v_fma_f64 v[3:4], v[3:4], v[112:113], v[108:109]
.LBB113_682:
	s_mov_b32 s6, exec_lo
	v_cmpx_ne_u32_e32 36, v0
	s_cbranch_execz .LBB113_686
; %bb.683:
	v_add_nc_u32_e32 v108, 0x330, v111
	v_add3_u32 v109, 0, v111, 16
	v_mov_b32_e32 v110, v0
	s_mov_b32 s8, 0
	.p2align	6
.LBB113_684:                            ; =>This Inner Loop Header: Depth=1
	s_clause 0x3
	buffer_load_dword v116, v109, s[0:3], 0 offen offset:8
	buffer_load_dword v117, v109, s[0:3], 0 offen offset:12
	buffer_load_dword v118, v109, s[0:3], 0 offen
	buffer_load_dword v119, v109, s[0:3], 0 offen offset:4
	ds_read_b128 v[112:115], v108
	v_add_nc_u32_e32 v110, 1, v110
	v_add_nc_u32_e32 v108, 16, v108
	;; [unrolled: 1-line block ×3, first 2 shown]
	v_cmp_lt_u32_e32 vcc_lo, 35, v110
	s_or_b32 s8, vcc_lo, s8
	s_waitcnt vmcnt(2) lgkmcnt(0)
	v_mul_f64 v[120:121], v[114:115], v[116:117]
	v_mul_f64 v[116:117], v[112:113], v[116:117]
	s_waitcnt vmcnt(0)
	v_fma_f64 v[112:113], v[112:113], v[118:119], -v[120:121]
	v_fma_f64 v[114:115], v[114:115], v[118:119], v[116:117]
	v_add_f64 v[1:2], v[1:2], v[112:113]
	v_add_f64 v[3:4], v[3:4], v[114:115]
	s_andn2_b32 exec_lo, exec_lo, s8
	s_cbranch_execnz .LBB113_684
; %bb.685:
	s_or_b32 exec_lo, exec_lo, s8
.LBB113_686:
	s_or_b32 exec_lo, exec_lo, s6
	v_mov_b32_e32 v108, 0
	ds_read_b128 v[112:115], v108 offset:592
	s_waitcnt lgkmcnt(0)
	v_mul_f64 v[108:109], v[3:4], v[114:115]
	v_mul_f64 v[114:115], v[1:2], v[114:115]
	v_fma_f64 v[1:2], v[1:2], v[112:113], -v[108:109]
	v_fma_f64 v[3:4], v[3:4], v[112:113], v[114:115]
	buffer_store_dword v2, off, s[0:3], 0 offset:596
	buffer_store_dword v1, off, s[0:3], 0 offset:592
	;; [unrolled: 1-line block ×4, first 2 shown]
.LBB113_687:
	s_or_b32 exec_lo, exec_lo, s4
	v_mov_b32_e32 v4, s19
	s_mov_b32 s4, exec_lo
	s_clause 0x3
	buffer_load_dword v1, v4, s[0:3], 0 offen
	buffer_load_dword v2, v4, s[0:3], 0 offen offset:4
	buffer_load_dword v3, v4, s[0:3], 0 offen offset:8
	;; [unrolled: 1-line block ×3, first 2 shown]
	s_waitcnt vmcnt(0)
	ds_write_b128 v106, v[1:4]
	s_waitcnt lgkmcnt(0)
	s_waitcnt_vscnt null, 0x0
	s_barrier
	buffer_gl0_inv
	v_cmpx_gt_u32_e32 38, v0
	s_cbranch_execz .LBB113_695
; %bb.688:
	ds_read_b128 v[1:4], v106
	v_cmp_ne_u32_e32 vcc_lo, 1, v107
	s_cbranch_vccnz .LBB113_690
; %bb.689:
	s_clause 0x3
	buffer_load_dword v108, v105, s[0:3], 0 offen offset:8
	buffer_load_dword v109, v105, s[0:3], 0 offen offset:12
	buffer_load_dword v112, v105, s[0:3], 0 offen
	buffer_load_dword v113, v105, s[0:3], 0 offen offset:4
	s_waitcnt vmcnt(2) lgkmcnt(0)
	v_mul_f64 v[114:115], v[3:4], v[108:109]
	v_mul_f64 v[108:109], v[1:2], v[108:109]
	s_waitcnt vmcnt(0)
	v_fma_f64 v[1:2], v[1:2], v[112:113], -v[114:115]
	v_fma_f64 v[3:4], v[3:4], v[112:113], v[108:109]
.LBB113_690:
	s_mov_b32 s6, exec_lo
	v_cmpx_ne_u32_e32 37, v0
	s_cbranch_execz .LBB113_694
; %bb.691:
	v_add_nc_u32_e32 v108, 0x330, v111
	v_add3_u32 v109, 0, v111, 16
	v_mov_b32_e32 v110, v0
	s_mov_b32 s8, 0
	.p2align	6
.LBB113_692:                            ; =>This Inner Loop Header: Depth=1
	s_clause 0x3
	buffer_load_dword v116, v109, s[0:3], 0 offen offset:8
	buffer_load_dword v117, v109, s[0:3], 0 offen offset:12
	buffer_load_dword v118, v109, s[0:3], 0 offen
	buffer_load_dword v119, v109, s[0:3], 0 offen offset:4
	ds_read_b128 v[112:115], v108
	v_add_nc_u32_e32 v110, 1, v110
	v_add_nc_u32_e32 v108, 16, v108
	;; [unrolled: 1-line block ×3, first 2 shown]
	v_cmp_lt_u32_e32 vcc_lo, 36, v110
	s_or_b32 s8, vcc_lo, s8
	s_waitcnt vmcnt(2) lgkmcnt(0)
	v_mul_f64 v[120:121], v[114:115], v[116:117]
	v_mul_f64 v[116:117], v[112:113], v[116:117]
	s_waitcnt vmcnt(0)
	v_fma_f64 v[112:113], v[112:113], v[118:119], -v[120:121]
	v_fma_f64 v[114:115], v[114:115], v[118:119], v[116:117]
	v_add_f64 v[1:2], v[1:2], v[112:113]
	v_add_f64 v[3:4], v[3:4], v[114:115]
	s_andn2_b32 exec_lo, exec_lo, s8
	s_cbranch_execnz .LBB113_692
; %bb.693:
	s_or_b32 exec_lo, exec_lo, s8
.LBB113_694:
	s_or_b32 exec_lo, exec_lo, s6
	v_mov_b32_e32 v108, 0
	ds_read_b128 v[112:115], v108 offset:608
	s_waitcnt lgkmcnt(0)
	v_mul_f64 v[108:109], v[3:4], v[114:115]
	v_mul_f64 v[114:115], v[1:2], v[114:115]
	v_fma_f64 v[1:2], v[1:2], v[112:113], -v[108:109]
	v_fma_f64 v[3:4], v[3:4], v[112:113], v[114:115]
	buffer_store_dword v2, off, s[0:3], 0 offset:612
	buffer_store_dword v1, off, s[0:3], 0 offset:608
	;; [unrolled: 1-line block ×4, first 2 shown]
.LBB113_695:
	s_or_b32 exec_lo, exec_lo, s4
	v_mov_b32_e32 v4, s18
	s_mov_b32 s4, exec_lo
	s_clause 0x3
	buffer_load_dword v1, v4, s[0:3], 0 offen
	buffer_load_dword v2, v4, s[0:3], 0 offen offset:4
	buffer_load_dword v3, v4, s[0:3], 0 offen offset:8
	;; [unrolled: 1-line block ×3, first 2 shown]
	s_waitcnt vmcnt(0)
	ds_write_b128 v106, v[1:4]
	s_waitcnt lgkmcnt(0)
	s_waitcnt_vscnt null, 0x0
	s_barrier
	buffer_gl0_inv
	v_cmpx_gt_u32_e32 39, v0
	s_cbranch_execz .LBB113_703
; %bb.696:
	ds_read_b128 v[1:4], v106
	v_cmp_ne_u32_e32 vcc_lo, 1, v107
	s_cbranch_vccnz .LBB113_698
; %bb.697:
	s_clause 0x3
	buffer_load_dword v108, v105, s[0:3], 0 offen offset:8
	buffer_load_dword v109, v105, s[0:3], 0 offen offset:12
	buffer_load_dword v112, v105, s[0:3], 0 offen
	buffer_load_dword v113, v105, s[0:3], 0 offen offset:4
	s_waitcnt vmcnt(2) lgkmcnt(0)
	v_mul_f64 v[114:115], v[3:4], v[108:109]
	v_mul_f64 v[108:109], v[1:2], v[108:109]
	s_waitcnt vmcnt(0)
	v_fma_f64 v[1:2], v[1:2], v[112:113], -v[114:115]
	v_fma_f64 v[3:4], v[3:4], v[112:113], v[108:109]
.LBB113_698:
	s_mov_b32 s6, exec_lo
	v_cmpx_ne_u32_e32 38, v0
	s_cbranch_execz .LBB113_702
; %bb.699:
	v_add_nc_u32_e32 v108, 0x330, v111
	v_add3_u32 v109, 0, v111, 16
	v_mov_b32_e32 v110, v0
	s_mov_b32 s8, 0
	.p2align	6
.LBB113_700:                            ; =>This Inner Loop Header: Depth=1
	s_clause 0x3
	buffer_load_dword v116, v109, s[0:3], 0 offen offset:8
	buffer_load_dword v117, v109, s[0:3], 0 offen offset:12
	buffer_load_dword v118, v109, s[0:3], 0 offen
	buffer_load_dword v119, v109, s[0:3], 0 offen offset:4
	ds_read_b128 v[112:115], v108
	v_add_nc_u32_e32 v110, 1, v110
	v_add_nc_u32_e32 v108, 16, v108
	;; [unrolled: 1-line block ×3, first 2 shown]
	v_cmp_lt_u32_e32 vcc_lo, 37, v110
	s_or_b32 s8, vcc_lo, s8
	s_waitcnt vmcnt(2) lgkmcnt(0)
	v_mul_f64 v[120:121], v[114:115], v[116:117]
	v_mul_f64 v[116:117], v[112:113], v[116:117]
	s_waitcnt vmcnt(0)
	v_fma_f64 v[112:113], v[112:113], v[118:119], -v[120:121]
	v_fma_f64 v[114:115], v[114:115], v[118:119], v[116:117]
	v_add_f64 v[1:2], v[1:2], v[112:113]
	v_add_f64 v[3:4], v[3:4], v[114:115]
	s_andn2_b32 exec_lo, exec_lo, s8
	s_cbranch_execnz .LBB113_700
; %bb.701:
	s_or_b32 exec_lo, exec_lo, s8
.LBB113_702:
	s_or_b32 exec_lo, exec_lo, s6
	v_mov_b32_e32 v108, 0
	ds_read_b128 v[112:115], v108 offset:624
	s_waitcnt lgkmcnt(0)
	v_mul_f64 v[108:109], v[3:4], v[114:115]
	v_mul_f64 v[114:115], v[1:2], v[114:115]
	v_fma_f64 v[1:2], v[1:2], v[112:113], -v[108:109]
	v_fma_f64 v[3:4], v[3:4], v[112:113], v[114:115]
	buffer_store_dword v2, off, s[0:3], 0 offset:628
	buffer_store_dword v1, off, s[0:3], 0 offset:624
	;; [unrolled: 1-line block ×4, first 2 shown]
.LBB113_703:
	s_or_b32 exec_lo, exec_lo, s4
	v_mov_b32_e32 v4, s17
	s_mov_b32 s4, exec_lo
	s_clause 0x3
	buffer_load_dword v1, v4, s[0:3], 0 offen
	buffer_load_dword v2, v4, s[0:3], 0 offen offset:4
	buffer_load_dword v3, v4, s[0:3], 0 offen offset:8
	;; [unrolled: 1-line block ×3, first 2 shown]
	s_waitcnt vmcnt(0)
	ds_write_b128 v106, v[1:4]
	s_waitcnt lgkmcnt(0)
	s_waitcnt_vscnt null, 0x0
	s_barrier
	buffer_gl0_inv
	v_cmpx_gt_u32_e32 40, v0
	s_cbranch_execz .LBB113_711
; %bb.704:
	ds_read_b128 v[1:4], v106
	v_cmp_ne_u32_e32 vcc_lo, 1, v107
	s_cbranch_vccnz .LBB113_706
; %bb.705:
	s_clause 0x3
	buffer_load_dword v108, v105, s[0:3], 0 offen offset:8
	buffer_load_dword v109, v105, s[0:3], 0 offen offset:12
	buffer_load_dword v112, v105, s[0:3], 0 offen
	buffer_load_dword v113, v105, s[0:3], 0 offen offset:4
	s_waitcnt vmcnt(2) lgkmcnt(0)
	v_mul_f64 v[114:115], v[3:4], v[108:109]
	v_mul_f64 v[108:109], v[1:2], v[108:109]
	s_waitcnt vmcnt(0)
	v_fma_f64 v[1:2], v[1:2], v[112:113], -v[114:115]
	v_fma_f64 v[3:4], v[3:4], v[112:113], v[108:109]
.LBB113_706:
	s_mov_b32 s6, exec_lo
	v_cmpx_ne_u32_e32 39, v0
	s_cbranch_execz .LBB113_710
; %bb.707:
	v_add_nc_u32_e32 v108, 0x330, v111
	v_add3_u32 v109, 0, v111, 16
	v_mov_b32_e32 v110, v0
	s_mov_b32 s8, 0
	.p2align	6
.LBB113_708:                            ; =>This Inner Loop Header: Depth=1
	s_clause 0x3
	buffer_load_dword v116, v109, s[0:3], 0 offen offset:8
	buffer_load_dword v117, v109, s[0:3], 0 offen offset:12
	buffer_load_dword v118, v109, s[0:3], 0 offen
	buffer_load_dword v119, v109, s[0:3], 0 offen offset:4
	ds_read_b128 v[112:115], v108
	v_add_nc_u32_e32 v110, 1, v110
	v_add_nc_u32_e32 v108, 16, v108
	;; [unrolled: 1-line block ×3, first 2 shown]
	v_cmp_lt_u32_e32 vcc_lo, 38, v110
	s_or_b32 s8, vcc_lo, s8
	s_waitcnt vmcnt(2) lgkmcnt(0)
	v_mul_f64 v[120:121], v[114:115], v[116:117]
	v_mul_f64 v[116:117], v[112:113], v[116:117]
	s_waitcnt vmcnt(0)
	v_fma_f64 v[112:113], v[112:113], v[118:119], -v[120:121]
	v_fma_f64 v[114:115], v[114:115], v[118:119], v[116:117]
	v_add_f64 v[1:2], v[1:2], v[112:113]
	v_add_f64 v[3:4], v[3:4], v[114:115]
	s_andn2_b32 exec_lo, exec_lo, s8
	s_cbranch_execnz .LBB113_708
; %bb.709:
	s_or_b32 exec_lo, exec_lo, s8
.LBB113_710:
	s_or_b32 exec_lo, exec_lo, s6
	v_mov_b32_e32 v108, 0
	ds_read_b128 v[112:115], v108 offset:640
	s_waitcnt lgkmcnt(0)
	v_mul_f64 v[108:109], v[3:4], v[114:115]
	v_mul_f64 v[114:115], v[1:2], v[114:115]
	v_fma_f64 v[1:2], v[1:2], v[112:113], -v[108:109]
	v_fma_f64 v[3:4], v[3:4], v[112:113], v[114:115]
	buffer_store_dword v2, off, s[0:3], 0 offset:644
	buffer_store_dword v1, off, s[0:3], 0 offset:640
	;; [unrolled: 1-line block ×4, first 2 shown]
.LBB113_711:
	s_or_b32 exec_lo, exec_lo, s4
	v_mov_b32_e32 v4, s16
	s_mov_b32 s4, exec_lo
	s_clause 0x3
	buffer_load_dword v1, v4, s[0:3], 0 offen
	buffer_load_dword v2, v4, s[0:3], 0 offen offset:4
	buffer_load_dword v3, v4, s[0:3], 0 offen offset:8
	;; [unrolled: 1-line block ×3, first 2 shown]
	s_waitcnt vmcnt(0)
	ds_write_b128 v106, v[1:4]
	s_waitcnt lgkmcnt(0)
	s_waitcnt_vscnt null, 0x0
	s_barrier
	buffer_gl0_inv
	v_cmpx_gt_u32_e32 41, v0
	s_cbranch_execz .LBB113_719
; %bb.712:
	ds_read_b128 v[1:4], v106
	v_cmp_ne_u32_e32 vcc_lo, 1, v107
	s_cbranch_vccnz .LBB113_714
; %bb.713:
	s_clause 0x3
	buffer_load_dword v108, v105, s[0:3], 0 offen offset:8
	buffer_load_dword v109, v105, s[0:3], 0 offen offset:12
	buffer_load_dword v112, v105, s[0:3], 0 offen
	buffer_load_dword v113, v105, s[0:3], 0 offen offset:4
	s_waitcnt vmcnt(2) lgkmcnt(0)
	v_mul_f64 v[114:115], v[3:4], v[108:109]
	v_mul_f64 v[108:109], v[1:2], v[108:109]
	s_waitcnt vmcnt(0)
	v_fma_f64 v[1:2], v[1:2], v[112:113], -v[114:115]
	v_fma_f64 v[3:4], v[3:4], v[112:113], v[108:109]
.LBB113_714:
	s_mov_b32 s6, exec_lo
	v_cmpx_ne_u32_e32 40, v0
	s_cbranch_execz .LBB113_718
; %bb.715:
	v_add_nc_u32_e32 v108, 0x330, v111
	v_add3_u32 v109, 0, v111, 16
	v_mov_b32_e32 v110, v0
	s_mov_b32 s8, 0
	.p2align	6
.LBB113_716:                            ; =>This Inner Loop Header: Depth=1
	s_clause 0x3
	buffer_load_dword v116, v109, s[0:3], 0 offen offset:8
	buffer_load_dword v117, v109, s[0:3], 0 offen offset:12
	buffer_load_dword v118, v109, s[0:3], 0 offen
	buffer_load_dword v119, v109, s[0:3], 0 offen offset:4
	ds_read_b128 v[112:115], v108
	v_add_nc_u32_e32 v110, 1, v110
	v_add_nc_u32_e32 v108, 16, v108
	v_add_nc_u32_e32 v109, 16, v109
	v_cmp_lt_u32_e32 vcc_lo, 39, v110
	s_or_b32 s8, vcc_lo, s8
	s_waitcnt vmcnt(2) lgkmcnt(0)
	v_mul_f64 v[120:121], v[114:115], v[116:117]
	v_mul_f64 v[116:117], v[112:113], v[116:117]
	s_waitcnt vmcnt(0)
	v_fma_f64 v[112:113], v[112:113], v[118:119], -v[120:121]
	v_fma_f64 v[114:115], v[114:115], v[118:119], v[116:117]
	v_add_f64 v[1:2], v[1:2], v[112:113]
	v_add_f64 v[3:4], v[3:4], v[114:115]
	s_andn2_b32 exec_lo, exec_lo, s8
	s_cbranch_execnz .LBB113_716
; %bb.717:
	s_or_b32 exec_lo, exec_lo, s8
.LBB113_718:
	s_or_b32 exec_lo, exec_lo, s6
	v_mov_b32_e32 v108, 0
	ds_read_b128 v[112:115], v108 offset:656
	s_waitcnt lgkmcnt(0)
	v_mul_f64 v[108:109], v[3:4], v[114:115]
	v_mul_f64 v[114:115], v[1:2], v[114:115]
	v_fma_f64 v[1:2], v[1:2], v[112:113], -v[108:109]
	v_fma_f64 v[3:4], v[3:4], v[112:113], v[114:115]
	buffer_store_dword v2, off, s[0:3], 0 offset:660
	buffer_store_dword v1, off, s[0:3], 0 offset:656
	;; [unrolled: 1-line block ×4, first 2 shown]
.LBB113_719:
	s_or_b32 exec_lo, exec_lo, s4
	v_mov_b32_e32 v4, s15
	s_mov_b32 s4, exec_lo
	s_clause 0x3
	buffer_load_dword v1, v4, s[0:3], 0 offen
	buffer_load_dword v2, v4, s[0:3], 0 offen offset:4
	buffer_load_dword v3, v4, s[0:3], 0 offen offset:8
	;; [unrolled: 1-line block ×3, first 2 shown]
	s_waitcnt vmcnt(0)
	ds_write_b128 v106, v[1:4]
	s_waitcnt lgkmcnt(0)
	s_waitcnt_vscnt null, 0x0
	s_barrier
	buffer_gl0_inv
	v_cmpx_gt_u32_e32 42, v0
	s_cbranch_execz .LBB113_727
; %bb.720:
	ds_read_b128 v[1:4], v106
	v_cmp_ne_u32_e32 vcc_lo, 1, v107
	s_cbranch_vccnz .LBB113_722
; %bb.721:
	s_clause 0x3
	buffer_load_dword v108, v105, s[0:3], 0 offen offset:8
	buffer_load_dword v109, v105, s[0:3], 0 offen offset:12
	buffer_load_dword v112, v105, s[0:3], 0 offen
	buffer_load_dword v113, v105, s[0:3], 0 offen offset:4
	s_waitcnt vmcnt(2) lgkmcnt(0)
	v_mul_f64 v[114:115], v[3:4], v[108:109]
	v_mul_f64 v[108:109], v[1:2], v[108:109]
	s_waitcnt vmcnt(0)
	v_fma_f64 v[1:2], v[1:2], v[112:113], -v[114:115]
	v_fma_f64 v[3:4], v[3:4], v[112:113], v[108:109]
.LBB113_722:
	s_mov_b32 s6, exec_lo
	v_cmpx_ne_u32_e32 41, v0
	s_cbranch_execz .LBB113_726
; %bb.723:
	v_add_nc_u32_e32 v108, 0x330, v111
	v_add3_u32 v109, 0, v111, 16
	v_mov_b32_e32 v110, v0
	s_mov_b32 s8, 0
	.p2align	6
.LBB113_724:                            ; =>This Inner Loop Header: Depth=1
	s_clause 0x3
	buffer_load_dword v116, v109, s[0:3], 0 offen offset:8
	buffer_load_dword v117, v109, s[0:3], 0 offen offset:12
	buffer_load_dword v118, v109, s[0:3], 0 offen
	buffer_load_dword v119, v109, s[0:3], 0 offen offset:4
	ds_read_b128 v[112:115], v108
	v_add_nc_u32_e32 v110, 1, v110
	v_add_nc_u32_e32 v108, 16, v108
	;; [unrolled: 1-line block ×3, first 2 shown]
	v_cmp_lt_u32_e32 vcc_lo, 40, v110
	s_or_b32 s8, vcc_lo, s8
	s_waitcnt vmcnt(2) lgkmcnt(0)
	v_mul_f64 v[120:121], v[114:115], v[116:117]
	v_mul_f64 v[116:117], v[112:113], v[116:117]
	s_waitcnt vmcnt(0)
	v_fma_f64 v[112:113], v[112:113], v[118:119], -v[120:121]
	v_fma_f64 v[114:115], v[114:115], v[118:119], v[116:117]
	v_add_f64 v[1:2], v[1:2], v[112:113]
	v_add_f64 v[3:4], v[3:4], v[114:115]
	s_andn2_b32 exec_lo, exec_lo, s8
	s_cbranch_execnz .LBB113_724
; %bb.725:
	s_or_b32 exec_lo, exec_lo, s8
.LBB113_726:
	s_or_b32 exec_lo, exec_lo, s6
	v_mov_b32_e32 v108, 0
	ds_read_b128 v[112:115], v108 offset:672
	s_waitcnt lgkmcnt(0)
	v_mul_f64 v[108:109], v[3:4], v[114:115]
	v_mul_f64 v[114:115], v[1:2], v[114:115]
	v_fma_f64 v[1:2], v[1:2], v[112:113], -v[108:109]
	v_fma_f64 v[3:4], v[3:4], v[112:113], v[114:115]
	buffer_store_dword v2, off, s[0:3], 0 offset:676
	buffer_store_dword v1, off, s[0:3], 0 offset:672
	;; [unrolled: 1-line block ×4, first 2 shown]
.LBB113_727:
	s_or_b32 exec_lo, exec_lo, s4
	v_mov_b32_e32 v4, s14
	s_mov_b32 s4, exec_lo
	s_clause 0x3
	buffer_load_dword v1, v4, s[0:3], 0 offen
	buffer_load_dword v2, v4, s[0:3], 0 offen offset:4
	buffer_load_dword v3, v4, s[0:3], 0 offen offset:8
	;; [unrolled: 1-line block ×3, first 2 shown]
	s_waitcnt vmcnt(0)
	ds_write_b128 v106, v[1:4]
	s_waitcnt lgkmcnt(0)
	s_waitcnt_vscnt null, 0x0
	s_barrier
	buffer_gl0_inv
	v_cmpx_gt_u32_e32 43, v0
	s_cbranch_execz .LBB113_735
; %bb.728:
	ds_read_b128 v[1:4], v106
	v_cmp_ne_u32_e32 vcc_lo, 1, v107
	s_cbranch_vccnz .LBB113_730
; %bb.729:
	s_clause 0x3
	buffer_load_dword v108, v105, s[0:3], 0 offen offset:8
	buffer_load_dword v109, v105, s[0:3], 0 offen offset:12
	buffer_load_dword v112, v105, s[0:3], 0 offen
	buffer_load_dword v113, v105, s[0:3], 0 offen offset:4
	s_waitcnt vmcnt(2) lgkmcnt(0)
	v_mul_f64 v[114:115], v[3:4], v[108:109]
	v_mul_f64 v[108:109], v[1:2], v[108:109]
	s_waitcnt vmcnt(0)
	v_fma_f64 v[1:2], v[1:2], v[112:113], -v[114:115]
	v_fma_f64 v[3:4], v[3:4], v[112:113], v[108:109]
.LBB113_730:
	s_mov_b32 s6, exec_lo
	v_cmpx_ne_u32_e32 42, v0
	s_cbranch_execz .LBB113_734
; %bb.731:
	v_add_nc_u32_e32 v108, 0x330, v111
	v_add3_u32 v109, 0, v111, 16
	v_mov_b32_e32 v110, v0
	s_mov_b32 s8, 0
	.p2align	6
.LBB113_732:                            ; =>This Inner Loop Header: Depth=1
	s_clause 0x3
	buffer_load_dword v116, v109, s[0:3], 0 offen offset:8
	buffer_load_dword v117, v109, s[0:3], 0 offen offset:12
	buffer_load_dword v118, v109, s[0:3], 0 offen
	buffer_load_dword v119, v109, s[0:3], 0 offen offset:4
	ds_read_b128 v[112:115], v108
	v_add_nc_u32_e32 v110, 1, v110
	v_add_nc_u32_e32 v108, 16, v108
	;; [unrolled: 1-line block ×3, first 2 shown]
	v_cmp_lt_u32_e32 vcc_lo, 41, v110
	s_or_b32 s8, vcc_lo, s8
	s_waitcnt vmcnt(2) lgkmcnt(0)
	v_mul_f64 v[120:121], v[114:115], v[116:117]
	v_mul_f64 v[116:117], v[112:113], v[116:117]
	s_waitcnt vmcnt(0)
	v_fma_f64 v[112:113], v[112:113], v[118:119], -v[120:121]
	v_fma_f64 v[114:115], v[114:115], v[118:119], v[116:117]
	v_add_f64 v[1:2], v[1:2], v[112:113]
	v_add_f64 v[3:4], v[3:4], v[114:115]
	s_andn2_b32 exec_lo, exec_lo, s8
	s_cbranch_execnz .LBB113_732
; %bb.733:
	s_or_b32 exec_lo, exec_lo, s8
.LBB113_734:
	s_or_b32 exec_lo, exec_lo, s6
	v_mov_b32_e32 v108, 0
	ds_read_b128 v[112:115], v108 offset:688
	s_waitcnt lgkmcnt(0)
	v_mul_f64 v[108:109], v[3:4], v[114:115]
	v_mul_f64 v[114:115], v[1:2], v[114:115]
	v_fma_f64 v[1:2], v[1:2], v[112:113], -v[108:109]
	v_fma_f64 v[3:4], v[3:4], v[112:113], v[114:115]
	buffer_store_dword v2, off, s[0:3], 0 offset:692
	buffer_store_dword v1, off, s[0:3], 0 offset:688
	;; [unrolled: 1-line block ×4, first 2 shown]
.LBB113_735:
	s_or_b32 exec_lo, exec_lo, s4
	v_mov_b32_e32 v4, s13
	s_mov_b32 s4, exec_lo
	s_clause 0x3
	buffer_load_dword v1, v4, s[0:3], 0 offen
	buffer_load_dword v2, v4, s[0:3], 0 offen offset:4
	buffer_load_dword v3, v4, s[0:3], 0 offen offset:8
	;; [unrolled: 1-line block ×3, first 2 shown]
	s_waitcnt vmcnt(0)
	ds_write_b128 v106, v[1:4]
	s_waitcnt lgkmcnt(0)
	s_waitcnt_vscnt null, 0x0
	s_barrier
	buffer_gl0_inv
	v_cmpx_gt_u32_e32 44, v0
	s_cbranch_execz .LBB113_743
; %bb.736:
	ds_read_b128 v[1:4], v106
	v_cmp_ne_u32_e32 vcc_lo, 1, v107
	s_cbranch_vccnz .LBB113_738
; %bb.737:
	s_clause 0x3
	buffer_load_dword v108, v105, s[0:3], 0 offen offset:8
	buffer_load_dword v109, v105, s[0:3], 0 offen offset:12
	buffer_load_dword v112, v105, s[0:3], 0 offen
	buffer_load_dword v113, v105, s[0:3], 0 offen offset:4
	s_waitcnt vmcnt(2) lgkmcnt(0)
	v_mul_f64 v[114:115], v[3:4], v[108:109]
	v_mul_f64 v[108:109], v[1:2], v[108:109]
	s_waitcnt vmcnt(0)
	v_fma_f64 v[1:2], v[1:2], v[112:113], -v[114:115]
	v_fma_f64 v[3:4], v[3:4], v[112:113], v[108:109]
.LBB113_738:
	s_mov_b32 s6, exec_lo
	v_cmpx_ne_u32_e32 43, v0
	s_cbranch_execz .LBB113_742
; %bb.739:
	v_add_nc_u32_e32 v108, 0x330, v111
	v_add3_u32 v109, 0, v111, 16
	v_mov_b32_e32 v110, v0
	s_mov_b32 s8, 0
	.p2align	6
.LBB113_740:                            ; =>This Inner Loop Header: Depth=1
	s_clause 0x3
	buffer_load_dword v116, v109, s[0:3], 0 offen offset:8
	buffer_load_dword v117, v109, s[0:3], 0 offen offset:12
	buffer_load_dword v118, v109, s[0:3], 0 offen
	buffer_load_dword v119, v109, s[0:3], 0 offen offset:4
	ds_read_b128 v[112:115], v108
	v_add_nc_u32_e32 v110, 1, v110
	v_add_nc_u32_e32 v108, 16, v108
	;; [unrolled: 1-line block ×3, first 2 shown]
	v_cmp_lt_u32_e32 vcc_lo, 42, v110
	s_or_b32 s8, vcc_lo, s8
	s_waitcnt vmcnt(2) lgkmcnt(0)
	v_mul_f64 v[120:121], v[114:115], v[116:117]
	v_mul_f64 v[116:117], v[112:113], v[116:117]
	s_waitcnt vmcnt(0)
	v_fma_f64 v[112:113], v[112:113], v[118:119], -v[120:121]
	v_fma_f64 v[114:115], v[114:115], v[118:119], v[116:117]
	v_add_f64 v[1:2], v[1:2], v[112:113]
	v_add_f64 v[3:4], v[3:4], v[114:115]
	s_andn2_b32 exec_lo, exec_lo, s8
	s_cbranch_execnz .LBB113_740
; %bb.741:
	s_or_b32 exec_lo, exec_lo, s8
.LBB113_742:
	s_or_b32 exec_lo, exec_lo, s6
	v_mov_b32_e32 v108, 0
	ds_read_b128 v[112:115], v108 offset:704
	s_waitcnt lgkmcnt(0)
	v_mul_f64 v[108:109], v[3:4], v[114:115]
	v_mul_f64 v[114:115], v[1:2], v[114:115]
	v_fma_f64 v[1:2], v[1:2], v[112:113], -v[108:109]
	v_fma_f64 v[3:4], v[3:4], v[112:113], v[114:115]
	buffer_store_dword v2, off, s[0:3], 0 offset:708
	buffer_store_dword v1, off, s[0:3], 0 offset:704
	;; [unrolled: 1-line block ×4, first 2 shown]
.LBB113_743:
	s_or_b32 exec_lo, exec_lo, s4
	v_mov_b32_e32 v4, s12
	s_mov_b32 s4, exec_lo
	s_clause 0x3
	buffer_load_dword v1, v4, s[0:3], 0 offen
	buffer_load_dword v2, v4, s[0:3], 0 offen offset:4
	buffer_load_dword v3, v4, s[0:3], 0 offen offset:8
	;; [unrolled: 1-line block ×3, first 2 shown]
	s_waitcnt vmcnt(0)
	ds_write_b128 v106, v[1:4]
	s_waitcnt lgkmcnt(0)
	s_waitcnt_vscnt null, 0x0
	s_barrier
	buffer_gl0_inv
	v_cmpx_gt_u32_e32 45, v0
	s_cbranch_execz .LBB113_751
; %bb.744:
	ds_read_b128 v[1:4], v106
	v_cmp_ne_u32_e32 vcc_lo, 1, v107
	s_cbranch_vccnz .LBB113_746
; %bb.745:
	s_clause 0x3
	buffer_load_dword v108, v105, s[0:3], 0 offen offset:8
	buffer_load_dword v109, v105, s[0:3], 0 offen offset:12
	buffer_load_dword v112, v105, s[0:3], 0 offen
	buffer_load_dword v113, v105, s[0:3], 0 offen offset:4
	s_waitcnt vmcnt(2) lgkmcnt(0)
	v_mul_f64 v[114:115], v[3:4], v[108:109]
	v_mul_f64 v[108:109], v[1:2], v[108:109]
	s_waitcnt vmcnt(0)
	v_fma_f64 v[1:2], v[1:2], v[112:113], -v[114:115]
	v_fma_f64 v[3:4], v[3:4], v[112:113], v[108:109]
.LBB113_746:
	s_mov_b32 s6, exec_lo
	v_cmpx_ne_u32_e32 44, v0
	s_cbranch_execz .LBB113_750
; %bb.747:
	v_add_nc_u32_e32 v108, 0x330, v111
	v_add3_u32 v109, 0, v111, 16
	v_mov_b32_e32 v110, v0
	s_mov_b32 s8, 0
	.p2align	6
.LBB113_748:                            ; =>This Inner Loop Header: Depth=1
	s_clause 0x3
	buffer_load_dword v116, v109, s[0:3], 0 offen offset:8
	buffer_load_dword v117, v109, s[0:3], 0 offen offset:12
	buffer_load_dword v118, v109, s[0:3], 0 offen
	buffer_load_dword v119, v109, s[0:3], 0 offen offset:4
	ds_read_b128 v[112:115], v108
	v_add_nc_u32_e32 v110, 1, v110
	v_add_nc_u32_e32 v108, 16, v108
	;; [unrolled: 1-line block ×3, first 2 shown]
	v_cmp_lt_u32_e32 vcc_lo, 43, v110
	s_or_b32 s8, vcc_lo, s8
	s_waitcnt vmcnt(2) lgkmcnt(0)
	v_mul_f64 v[120:121], v[114:115], v[116:117]
	v_mul_f64 v[116:117], v[112:113], v[116:117]
	s_waitcnt vmcnt(0)
	v_fma_f64 v[112:113], v[112:113], v[118:119], -v[120:121]
	v_fma_f64 v[114:115], v[114:115], v[118:119], v[116:117]
	v_add_f64 v[1:2], v[1:2], v[112:113]
	v_add_f64 v[3:4], v[3:4], v[114:115]
	s_andn2_b32 exec_lo, exec_lo, s8
	s_cbranch_execnz .LBB113_748
; %bb.749:
	s_or_b32 exec_lo, exec_lo, s8
.LBB113_750:
	s_or_b32 exec_lo, exec_lo, s6
	v_mov_b32_e32 v108, 0
	ds_read_b128 v[112:115], v108 offset:720
	s_waitcnt lgkmcnt(0)
	v_mul_f64 v[108:109], v[3:4], v[114:115]
	v_mul_f64 v[114:115], v[1:2], v[114:115]
	v_fma_f64 v[1:2], v[1:2], v[112:113], -v[108:109]
	v_fma_f64 v[3:4], v[3:4], v[112:113], v[114:115]
	buffer_store_dword v2, off, s[0:3], 0 offset:724
	buffer_store_dword v1, off, s[0:3], 0 offset:720
	;; [unrolled: 1-line block ×4, first 2 shown]
.LBB113_751:
	s_or_b32 exec_lo, exec_lo, s4
	v_mov_b32_e32 v4, s11
	s_mov_b32 s4, exec_lo
	s_clause 0x3
	buffer_load_dword v1, v4, s[0:3], 0 offen
	buffer_load_dword v2, v4, s[0:3], 0 offen offset:4
	buffer_load_dword v3, v4, s[0:3], 0 offen offset:8
	buffer_load_dword v4, v4, s[0:3], 0 offen offset:12
	s_waitcnt vmcnt(0)
	ds_write_b128 v106, v[1:4]
	s_waitcnt lgkmcnt(0)
	s_waitcnt_vscnt null, 0x0
	s_barrier
	buffer_gl0_inv
	v_cmpx_gt_u32_e32 46, v0
	s_cbranch_execz .LBB113_759
; %bb.752:
	ds_read_b128 v[1:4], v106
	v_cmp_ne_u32_e32 vcc_lo, 1, v107
	s_cbranch_vccnz .LBB113_754
; %bb.753:
	s_clause 0x3
	buffer_load_dword v108, v105, s[0:3], 0 offen offset:8
	buffer_load_dword v109, v105, s[0:3], 0 offen offset:12
	buffer_load_dword v112, v105, s[0:3], 0 offen
	buffer_load_dword v113, v105, s[0:3], 0 offen offset:4
	s_waitcnt vmcnt(2) lgkmcnt(0)
	v_mul_f64 v[114:115], v[3:4], v[108:109]
	v_mul_f64 v[108:109], v[1:2], v[108:109]
	s_waitcnt vmcnt(0)
	v_fma_f64 v[1:2], v[1:2], v[112:113], -v[114:115]
	v_fma_f64 v[3:4], v[3:4], v[112:113], v[108:109]
.LBB113_754:
	s_mov_b32 s6, exec_lo
	v_cmpx_ne_u32_e32 45, v0
	s_cbranch_execz .LBB113_758
; %bb.755:
	v_add_nc_u32_e32 v108, 0x330, v111
	v_add3_u32 v109, 0, v111, 16
	v_mov_b32_e32 v110, v0
	s_mov_b32 s8, 0
	.p2align	6
.LBB113_756:                            ; =>This Inner Loop Header: Depth=1
	s_clause 0x3
	buffer_load_dword v116, v109, s[0:3], 0 offen offset:8
	buffer_load_dword v117, v109, s[0:3], 0 offen offset:12
	buffer_load_dword v118, v109, s[0:3], 0 offen
	buffer_load_dword v119, v109, s[0:3], 0 offen offset:4
	ds_read_b128 v[112:115], v108
	v_add_nc_u32_e32 v110, 1, v110
	v_add_nc_u32_e32 v108, 16, v108
	;; [unrolled: 1-line block ×3, first 2 shown]
	v_cmp_lt_u32_e32 vcc_lo, 44, v110
	s_or_b32 s8, vcc_lo, s8
	s_waitcnt vmcnt(2) lgkmcnt(0)
	v_mul_f64 v[120:121], v[114:115], v[116:117]
	v_mul_f64 v[116:117], v[112:113], v[116:117]
	s_waitcnt vmcnt(0)
	v_fma_f64 v[112:113], v[112:113], v[118:119], -v[120:121]
	v_fma_f64 v[114:115], v[114:115], v[118:119], v[116:117]
	v_add_f64 v[1:2], v[1:2], v[112:113]
	v_add_f64 v[3:4], v[3:4], v[114:115]
	s_andn2_b32 exec_lo, exec_lo, s8
	s_cbranch_execnz .LBB113_756
; %bb.757:
	s_or_b32 exec_lo, exec_lo, s8
.LBB113_758:
	s_or_b32 exec_lo, exec_lo, s6
	v_mov_b32_e32 v108, 0
	ds_read_b128 v[112:115], v108 offset:736
	s_waitcnt lgkmcnt(0)
	v_mul_f64 v[108:109], v[3:4], v[114:115]
	v_mul_f64 v[114:115], v[1:2], v[114:115]
	v_fma_f64 v[1:2], v[1:2], v[112:113], -v[108:109]
	v_fma_f64 v[3:4], v[3:4], v[112:113], v[114:115]
	buffer_store_dword v2, off, s[0:3], 0 offset:740
	buffer_store_dword v1, off, s[0:3], 0 offset:736
	;; [unrolled: 1-line block ×4, first 2 shown]
.LBB113_759:
	s_or_b32 exec_lo, exec_lo, s4
	v_mov_b32_e32 v4, s10
	s_mov_b32 s4, exec_lo
	s_clause 0x3
	buffer_load_dword v1, v4, s[0:3], 0 offen
	buffer_load_dword v2, v4, s[0:3], 0 offen offset:4
	buffer_load_dword v3, v4, s[0:3], 0 offen offset:8
	;; [unrolled: 1-line block ×3, first 2 shown]
	s_waitcnt vmcnt(0)
	ds_write_b128 v106, v[1:4]
	s_waitcnt lgkmcnt(0)
	s_waitcnt_vscnt null, 0x0
	s_barrier
	buffer_gl0_inv
	v_cmpx_gt_u32_e32 47, v0
	s_cbranch_execz .LBB113_767
; %bb.760:
	ds_read_b128 v[1:4], v106
	v_cmp_ne_u32_e32 vcc_lo, 1, v107
	s_cbranch_vccnz .LBB113_762
; %bb.761:
	s_clause 0x3
	buffer_load_dword v108, v105, s[0:3], 0 offen offset:8
	buffer_load_dword v109, v105, s[0:3], 0 offen offset:12
	buffer_load_dword v112, v105, s[0:3], 0 offen
	buffer_load_dword v113, v105, s[0:3], 0 offen offset:4
	s_waitcnt vmcnt(2) lgkmcnt(0)
	v_mul_f64 v[114:115], v[3:4], v[108:109]
	v_mul_f64 v[108:109], v[1:2], v[108:109]
	s_waitcnt vmcnt(0)
	v_fma_f64 v[1:2], v[1:2], v[112:113], -v[114:115]
	v_fma_f64 v[3:4], v[3:4], v[112:113], v[108:109]
.LBB113_762:
	s_mov_b32 s6, exec_lo
	v_cmpx_ne_u32_e32 46, v0
	s_cbranch_execz .LBB113_766
; %bb.763:
	v_add_nc_u32_e32 v108, 0x330, v111
	v_add3_u32 v109, 0, v111, 16
	v_mov_b32_e32 v110, v0
	s_mov_b32 s8, 0
	.p2align	6
.LBB113_764:                            ; =>This Inner Loop Header: Depth=1
	s_clause 0x3
	buffer_load_dword v116, v109, s[0:3], 0 offen offset:8
	buffer_load_dword v117, v109, s[0:3], 0 offen offset:12
	buffer_load_dword v118, v109, s[0:3], 0 offen
	buffer_load_dword v119, v109, s[0:3], 0 offen offset:4
	ds_read_b128 v[112:115], v108
	v_add_nc_u32_e32 v110, 1, v110
	v_add_nc_u32_e32 v108, 16, v108
	v_add_nc_u32_e32 v109, 16, v109
	v_cmp_lt_u32_e32 vcc_lo, 45, v110
	s_or_b32 s8, vcc_lo, s8
	s_waitcnt vmcnt(2) lgkmcnt(0)
	v_mul_f64 v[120:121], v[114:115], v[116:117]
	v_mul_f64 v[116:117], v[112:113], v[116:117]
	s_waitcnt vmcnt(0)
	v_fma_f64 v[112:113], v[112:113], v[118:119], -v[120:121]
	v_fma_f64 v[114:115], v[114:115], v[118:119], v[116:117]
	v_add_f64 v[1:2], v[1:2], v[112:113]
	v_add_f64 v[3:4], v[3:4], v[114:115]
	s_andn2_b32 exec_lo, exec_lo, s8
	s_cbranch_execnz .LBB113_764
; %bb.765:
	s_or_b32 exec_lo, exec_lo, s8
.LBB113_766:
	s_or_b32 exec_lo, exec_lo, s6
	v_mov_b32_e32 v108, 0
	ds_read_b128 v[112:115], v108 offset:752
	s_waitcnt lgkmcnt(0)
	v_mul_f64 v[108:109], v[3:4], v[114:115]
	v_mul_f64 v[114:115], v[1:2], v[114:115]
	v_fma_f64 v[1:2], v[1:2], v[112:113], -v[108:109]
	v_fma_f64 v[3:4], v[3:4], v[112:113], v[114:115]
	buffer_store_dword v2, off, s[0:3], 0 offset:756
	buffer_store_dword v1, off, s[0:3], 0 offset:752
	buffer_store_dword v4, off, s[0:3], 0 offset:764
	buffer_store_dword v3, off, s[0:3], 0 offset:760
.LBB113_767:
	s_or_b32 exec_lo, exec_lo, s4
	v_mov_b32_e32 v4, s9
	v_cmp_gt_u32_e64 s4, 48, v0
	s_clause 0x3
	buffer_load_dword v1, v4, s[0:3], 0 offen
	buffer_load_dword v2, v4, s[0:3], 0 offen offset:4
	buffer_load_dword v3, v4, s[0:3], 0 offen offset:8
	;; [unrolled: 1-line block ×3, first 2 shown]
	s_waitcnt vmcnt(0)
	ds_write_b128 v106, v[1:4]
	s_waitcnt lgkmcnt(0)
	s_waitcnt_vscnt null, 0x0
	s_barrier
	buffer_gl0_inv
	s_and_saveexec_b32 s6, s4
	s_cbranch_execz .LBB113_775
; %bb.768:
	ds_read_b128 v[1:4], v106
	v_cmp_ne_u32_e32 vcc_lo, 1, v107
	s_cbranch_vccnz .LBB113_770
; %bb.769:
	s_clause 0x3
	buffer_load_dword v108, v105, s[0:3], 0 offen offset:8
	buffer_load_dword v109, v105, s[0:3], 0 offen offset:12
	buffer_load_dword v112, v105, s[0:3], 0 offen
	buffer_load_dword v113, v105, s[0:3], 0 offen offset:4
	s_waitcnt vmcnt(2) lgkmcnt(0)
	v_mul_f64 v[114:115], v[3:4], v[108:109]
	v_mul_f64 v[108:109], v[1:2], v[108:109]
	s_waitcnt vmcnt(0)
	v_fma_f64 v[1:2], v[1:2], v[112:113], -v[114:115]
	v_fma_f64 v[3:4], v[3:4], v[112:113], v[108:109]
.LBB113_770:
	s_mov_b32 s8, exec_lo
	v_cmpx_ne_u32_e32 47, v0
	s_cbranch_execz .LBB113_774
; %bb.771:
	v_add_nc_u32_e32 v108, 0x330, v111
	v_add3_u32 v109, 0, v111, 16
	v_mov_b32_e32 v110, v0
	s_mov_b32 s58, 0
	.p2align	6
.LBB113_772:                            ; =>This Inner Loop Header: Depth=1
	s_clause 0x3
	buffer_load_dword v116, v109, s[0:3], 0 offen offset:8
	buffer_load_dword v117, v109, s[0:3], 0 offen offset:12
	buffer_load_dword v118, v109, s[0:3], 0 offen
	buffer_load_dword v119, v109, s[0:3], 0 offen offset:4
	ds_read_b128 v[112:115], v108
	v_add_nc_u32_e32 v110, 1, v110
	v_add_nc_u32_e32 v108, 16, v108
	;; [unrolled: 1-line block ×3, first 2 shown]
	v_cmp_lt_u32_e32 vcc_lo, 46, v110
	s_or_b32 s58, vcc_lo, s58
	s_waitcnt vmcnt(2) lgkmcnt(0)
	v_mul_f64 v[120:121], v[114:115], v[116:117]
	v_mul_f64 v[116:117], v[112:113], v[116:117]
	s_waitcnt vmcnt(0)
	v_fma_f64 v[112:113], v[112:113], v[118:119], -v[120:121]
	v_fma_f64 v[114:115], v[114:115], v[118:119], v[116:117]
	v_add_f64 v[1:2], v[1:2], v[112:113]
	v_add_f64 v[3:4], v[3:4], v[114:115]
	s_andn2_b32 exec_lo, exec_lo, s58
	s_cbranch_execnz .LBB113_772
; %bb.773:
	s_or_b32 exec_lo, exec_lo, s58
.LBB113_774:
	s_or_b32 exec_lo, exec_lo, s8
	v_mov_b32_e32 v108, 0
	ds_read_b128 v[112:115], v108 offset:768
	s_waitcnt lgkmcnt(0)
	v_mul_f64 v[108:109], v[3:4], v[114:115]
	v_mul_f64 v[114:115], v[1:2], v[114:115]
	v_fma_f64 v[1:2], v[1:2], v[112:113], -v[108:109]
	v_fma_f64 v[3:4], v[3:4], v[112:113], v[114:115]
	buffer_store_dword v2, off, s[0:3], 0 offset:772
	buffer_store_dword v1, off, s[0:3], 0 offset:768
	;; [unrolled: 1-line block ×4, first 2 shown]
.LBB113_775:
	s_or_b32 exec_lo, exec_lo, s6
	v_mov_b32_e32 v4, s7
	s_mov_b32 s6, exec_lo
                                        ; implicit-def: $sgpr59
	s_clause 0x3
	buffer_load_dword v1, v4, s[0:3], 0 offen
	buffer_load_dword v2, v4, s[0:3], 0 offen offset:4
	buffer_load_dword v3, v4, s[0:3], 0 offen offset:8
	;; [unrolled: 1-line block ×3, first 2 shown]
	s_waitcnt vmcnt(0)
	ds_write_b128 v106, v[1:4]
	s_waitcnt lgkmcnt(0)
	s_waitcnt_vscnt null, 0x0
	s_barrier
	buffer_gl0_inv
                                        ; implicit-def: $vgpr1_vgpr2
	v_cmpx_ne_u32_e32 49, v0
	s_cbranch_execz .LBB113_783
; %bb.776:
	ds_read_b128 v[1:4], v106
	v_cmp_ne_u32_e32 vcc_lo, 1, v107
	s_cbranch_vccnz .LBB113_778
; %bb.777:
	s_clause 0x3
	buffer_load_dword v106, v105, s[0:3], 0 offen offset:8
	buffer_load_dword v107, v105, s[0:3], 0 offen offset:12
	buffer_load_dword v108, v105, s[0:3], 0 offen
	buffer_load_dword v109, v105, s[0:3], 0 offen offset:4
	s_waitcnt vmcnt(2) lgkmcnt(0)
	v_mul_f64 v[112:113], v[3:4], v[106:107]
	v_mul_f64 v[105:106], v[1:2], v[106:107]
	s_waitcnt vmcnt(0)
	v_fma_f64 v[1:2], v[1:2], v[108:109], -v[112:113]
	v_fma_f64 v[3:4], v[3:4], v[108:109], v[105:106]
.LBB113_778:
	s_and_saveexec_b32 s8, s4
	s_cbranch_execz .LBB113_782
; %bb.779:
	v_add_nc_u32_e32 v105, 0x330, v111
	v_add3_u32 v106, 0, v111, 16
	s_mov_b32 s4, 0
	.p2align	6
.LBB113_780:                            ; =>This Inner Loop Header: Depth=1
	s_clause 0x3
	buffer_load_dword v111, v106, s[0:3], 0 offen offset:8
	buffer_load_dword v112, v106, s[0:3], 0 offen offset:12
	buffer_load_dword v113, v106, s[0:3], 0 offen
	buffer_load_dword v114, v106, s[0:3], 0 offen offset:4
	ds_read_b128 v[107:110], v105
	v_add_nc_u32_e32 v0, 1, v0
	v_add_nc_u32_e32 v105, 16, v105
	;; [unrolled: 1-line block ×3, first 2 shown]
	v_cmp_lt_u32_e32 vcc_lo, 47, v0
	s_or_b32 s4, vcc_lo, s4
	s_waitcnt vmcnt(2) lgkmcnt(0)
	v_mul_f64 v[115:116], v[109:110], v[111:112]
	v_mul_f64 v[111:112], v[107:108], v[111:112]
	s_waitcnt vmcnt(0)
	v_fma_f64 v[107:108], v[107:108], v[113:114], -v[115:116]
	v_fma_f64 v[109:110], v[109:110], v[113:114], v[111:112]
	v_add_f64 v[1:2], v[1:2], v[107:108]
	v_add_f64 v[3:4], v[3:4], v[109:110]
	s_andn2_b32 exec_lo, exec_lo, s4
	s_cbranch_execnz .LBB113_780
; %bb.781:
	s_or_b32 exec_lo, exec_lo, s4
.LBB113_782:
	s_or_b32 exec_lo, exec_lo, s8
	v_mov_b32_e32 v0, 0
	s_movk_i32 s59, 0x318
	s_or_b32 s5, s5, exec_lo
	ds_read_b128 v[105:108], v0 offset:784
	s_waitcnt lgkmcnt(0)
	v_mul_f64 v[109:110], v[3:4], v[107:108]
	v_mul_f64 v[107:108], v[1:2], v[107:108]
	v_fma_f64 v[109:110], v[1:2], v[105:106], -v[109:110]
	v_fma_f64 v[1:2], v[3:4], v[105:106], v[107:108]
	buffer_store_dword v110, off, s[0:3], 0 offset:788
	buffer_store_dword v109, off, s[0:3], 0 offset:784
.LBB113_783:
	s_or_b32 exec_lo, exec_lo, s6
.LBB113_784:
	s_and_saveexec_b32 s4, s5
	s_cbranch_execz .LBB113_786
; %bb.785:
	v_mov_b32_e32 v0, s59
	buffer_store_dword v2, v0, s[0:3], 0 offen offset:4
	buffer_store_dword v1, v0, s[0:3], 0 offen
.LBB113_786:
	s_or_b32 exec_lo, exec_lo, s4
	s_clause 0x3
	buffer_load_dword v0, off, s[0:3], 0
	buffer_load_dword v1, off, s[0:3], 0 offset:4
	buffer_load_dword v2, off, s[0:3], 0 offset:8
	buffer_load_dword v3, off, s[0:3], 0 offset:12
	v_mov_b32_e32 v4, s57
	s_waitcnt vmcnt(0)
	flat_store_dwordx4 v[5:6], v[0:3]
	s_clause 0x3
	buffer_load_dword v0, v4, s[0:3], 0 offen
	buffer_load_dword v1, v4, s[0:3], 0 offen offset:4
	buffer_load_dword v2, v4, s[0:3], 0 offen offset:8
	buffer_load_dword v3, v4, s[0:3], 0 offen offset:12
	v_mov_b32_e32 v4, s56
	s_waitcnt vmcnt(0)
	flat_store_dwordx4 v[59:60], v[0:3]
	s_clause 0x3
	buffer_load_dword v0, v4, s[0:3], 0 offen
	buffer_load_dword v1, v4, s[0:3], 0 offen offset:4
	buffer_load_dword v2, v4, s[0:3], 0 offen offset:8
	buffer_load_dword v3, v4, s[0:3], 0 offen offset:12
	;; [unrolled: 8-line block ×49, first 2 shown]
	s_waitcnt vmcnt(0)
	flat_store_dwordx4 v[103:104], v[0:3]
.LBB113_787:
	s_endpgm
	.section	.rodata,"a",@progbits
	.p2align	6, 0x0
	.amdhsa_kernel _ZN9rocsolver6v33100L18trti2_kernel_smallILi50E19rocblas_complex_numIdEPKPS3_EEv13rocblas_fill_17rocblas_diagonal_T1_iil
		.amdhsa_group_segment_fixed_size 1600
		.amdhsa_private_segment_fixed_size 816
		.amdhsa_kernarg_size 32
		.amdhsa_user_sgpr_count 6
		.amdhsa_user_sgpr_private_segment_buffer 1
		.amdhsa_user_sgpr_dispatch_ptr 0
		.amdhsa_user_sgpr_queue_ptr 0
		.amdhsa_user_sgpr_kernarg_segment_ptr 1
		.amdhsa_user_sgpr_dispatch_id 0
		.amdhsa_user_sgpr_flat_scratch_init 0
		.amdhsa_user_sgpr_private_segment_size 0
		.amdhsa_wavefront_size32 1
		.amdhsa_uses_dynamic_stack 0
		.amdhsa_system_sgpr_private_segment_wavefront_offset 1
		.amdhsa_system_sgpr_workgroup_id_x 1
		.amdhsa_system_sgpr_workgroup_id_y 0
		.amdhsa_system_sgpr_workgroup_id_z 0
		.amdhsa_system_sgpr_workgroup_info 0
		.amdhsa_system_vgpr_workitem_id 0
		.amdhsa_next_free_vgpr 122
		.amdhsa_next_free_sgpr 80
		.amdhsa_reserve_vcc 1
		.amdhsa_reserve_flat_scratch 0
		.amdhsa_float_round_mode_32 0
		.amdhsa_float_round_mode_16_64 0
		.amdhsa_float_denorm_mode_32 3
		.amdhsa_float_denorm_mode_16_64 3
		.amdhsa_dx10_clamp 1
		.amdhsa_ieee_mode 1
		.amdhsa_fp16_overflow 0
		.amdhsa_workgroup_processor_mode 1
		.amdhsa_memory_ordered 1
		.amdhsa_forward_progress 1
		.amdhsa_shared_vgpr_count 0
		.amdhsa_exception_fp_ieee_invalid_op 0
		.amdhsa_exception_fp_denorm_src 0
		.amdhsa_exception_fp_ieee_div_zero 0
		.amdhsa_exception_fp_ieee_overflow 0
		.amdhsa_exception_fp_ieee_underflow 0
		.amdhsa_exception_fp_ieee_inexact 0
		.amdhsa_exception_int_div_zero 0
	.end_amdhsa_kernel
	.section	.text._ZN9rocsolver6v33100L18trti2_kernel_smallILi50E19rocblas_complex_numIdEPKPS3_EEv13rocblas_fill_17rocblas_diagonal_T1_iil,"axG",@progbits,_ZN9rocsolver6v33100L18trti2_kernel_smallILi50E19rocblas_complex_numIdEPKPS3_EEv13rocblas_fill_17rocblas_diagonal_T1_iil,comdat
.Lfunc_end113:
	.size	_ZN9rocsolver6v33100L18trti2_kernel_smallILi50E19rocblas_complex_numIdEPKPS3_EEv13rocblas_fill_17rocblas_diagonal_T1_iil, .Lfunc_end113-_ZN9rocsolver6v33100L18trti2_kernel_smallILi50E19rocblas_complex_numIdEPKPS3_EEv13rocblas_fill_17rocblas_diagonal_T1_iil
                                        ; -- End function
	.set _ZN9rocsolver6v33100L18trti2_kernel_smallILi50E19rocblas_complex_numIdEPKPS3_EEv13rocblas_fill_17rocblas_diagonal_T1_iil.num_vgpr, 122
	.set _ZN9rocsolver6v33100L18trti2_kernel_smallILi50E19rocblas_complex_numIdEPKPS3_EEv13rocblas_fill_17rocblas_diagonal_T1_iil.num_agpr, 0
	.set _ZN9rocsolver6v33100L18trti2_kernel_smallILi50E19rocblas_complex_numIdEPKPS3_EEv13rocblas_fill_17rocblas_diagonal_T1_iil.numbered_sgpr, 80
	.set _ZN9rocsolver6v33100L18trti2_kernel_smallILi50E19rocblas_complex_numIdEPKPS3_EEv13rocblas_fill_17rocblas_diagonal_T1_iil.num_named_barrier, 0
	.set _ZN9rocsolver6v33100L18trti2_kernel_smallILi50E19rocblas_complex_numIdEPKPS3_EEv13rocblas_fill_17rocblas_diagonal_T1_iil.private_seg_size, 816
	.set _ZN9rocsolver6v33100L18trti2_kernel_smallILi50E19rocblas_complex_numIdEPKPS3_EEv13rocblas_fill_17rocblas_diagonal_T1_iil.uses_vcc, 1
	.set _ZN9rocsolver6v33100L18trti2_kernel_smallILi50E19rocblas_complex_numIdEPKPS3_EEv13rocblas_fill_17rocblas_diagonal_T1_iil.uses_flat_scratch, 0
	.set _ZN9rocsolver6v33100L18trti2_kernel_smallILi50E19rocblas_complex_numIdEPKPS3_EEv13rocblas_fill_17rocblas_diagonal_T1_iil.has_dyn_sized_stack, 0
	.set _ZN9rocsolver6v33100L18trti2_kernel_smallILi50E19rocblas_complex_numIdEPKPS3_EEv13rocblas_fill_17rocblas_diagonal_T1_iil.has_recursion, 0
	.set _ZN9rocsolver6v33100L18trti2_kernel_smallILi50E19rocblas_complex_numIdEPKPS3_EEv13rocblas_fill_17rocblas_diagonal_T1_iil.has_indirect_call, 0
	.section	.AMDGPU.csdata,"",@progbits
; Kernel info:
; codeLenInByte = 50908
; TotalNumSgprs: 82
; NumVgprs: 122
; ScratchSize: 816
; MemoryBound: 0
; FloatMode: 240
; IeeeMode: 1
; LDSByteSize: 1600 bytes/workgroup (compile time only)
; SGPRBlocks: 0
; VGPRBlocks: 15
; NumSGPRsForWavesPerEU: 82
; NumVGPRsForWavesPerEU: 122
; Occupancy: 8
; WaveLimiterHint : 1
; COMPUTE_PGM_RSRC2:SCRATCH_EN: 1
; COMPUTE_PGM_RSRC2:USER_SGPR: 6
; COMPUTE_PGM_RSRC2:TRAP_HANDLER: 0
; COMPUTE_PGM_RSRC2:TGID_X_EN: 1
; COMPUTE_PGM_RSRC2:TGID_Y_EN: 0
; COMPUTE_PGM_RSRC2:TGID_Z_EN: 0
; COMPUTE_PGM_RSRC2:TIDIG_COMP_CNT: 0
	.section	.text._ZN9rocsolver6v33100L18trti2_kernel_smallILi51E19rocblas_complex_numIdEPKPS3_EEv13rocblas_fill_17rocblas_diagonal_T1_iil,"axG",@progbits,_ZN9rocsolver6v33100L18trti2_kernel_smallILi51E19rocblas_complex_numIdEPKPS3_EEv13rocblas_fill_17rocblas_diagonal_T1_iil,comdat
	.globl	_ZN9rocsolver6v33100L18trti2_kernel_smallILi51E19rocblas_complex_numIdEPKPS3_EEv13rocblas_fill_17rocblas_diagonal_T1_iil ; -- Begin function _ZN9rocsolver6v33100L18trti2_kernel_smallILi51E19rocblas_complex_numIdEPKPS3_EEv13rocblas_fill_17rocblas_diagonal_T1_iil
	.p2align	8
	.type	_ZN9rocsolver6v33100L18trti2_kernel_smallILi51E19rocblas_complex_numIdEPKPS3_EEv13rocblas_fill_17rocblas_diagonal_T1_iil,@function
_ZN9rocsolver6v33100L18trti2_kernel_smallILi51E19rocblas_complex_numIdEPKPS3_EEv13rocblas_fill_17rocblas_diagonal_T1_iil: ; @_ZN9rocsolver6v33100L18trti2_kernel_smallILi51E19rocblas_complex_numIdEPKPS3_EEv13rocblas_fill_17rocblas_diagonal_T1_iil
; %bb.0:
	s_add_u32 s0, s0, s7
	s_addc_u32 s1, s1, 0
	s_mov_b32 s7, exec_lo
	v_cmpx_gt_u32_e32 51, v0
	s_cbranch_execz .LBB114_803
; %bb.1:
	s_clause 0x1
	s_load_dwordx2 s[12:13], s[4:5], 0x10
	s_load_dwordx4 s[8:11], s[4:5], 0x0
	s_ashr_i32 s7, s6, 31
	v_lshlrev_b32_e32 v113, 4, v0
	s_lshl_b64 s[4:5], s[6:7], 3
	s_movk_i32 s14, 0xd0
	s_movk_i32 s15, 0xe0
	s_movk_i32 s16, 0xf0
	s_movk_i32 s17, 0x100
	s_movk_i32 s18, 0x110
	s_movk_i32 s19, 0x120
	s_movk_i32 s20, 0x130
	s_movk_i32 s21, 0x140
	s_movk_i32 s22, 0x150
	s_movk_i32 s23, 0x160
	s_movk_i32 s24, 0x170
	s_movk_i32 s25, 0x180
	s_movk_i32 s26, 0x190
	s_movk_i32 s27, 0x1a0
	s_movk_i32 s28, 0x1b0
	s_waitcnt lgkmcnt(0)
	s_ashr_i32 s7, s12, 31
	s_add_u32 s4, s10, s4
	s_addc_u32 s5, s11, s5
	s_mov_b32 s6, s12
	s_load_dwordx2 s[4:5], s[4:5], 0x0
	s_lshl_b64 s[6:7], s[6:7], 4
	v_add3_u32 v7, s13, s13, v0
	s_movk_i32 s10, 0x90
	s_movk_i32 s11, 0xa0
	;; [unrolled: 1-line block ×4, first 2 shown]
	v_ashrrev_i32_e32 v8, 31, v7
	s_movk_i32 s59, 0x1d0
	s_movk_i32 s60, 0x1e0
	;; [unrolled: 1-line block ×4, first 2 shown]
	v_lshlrev_b64 v[8:9], 4, v[7:8]
	v_add_nc_u32_e32 v7, s13, v7
	s_movk_i32 s63, 0x210
	s_movk_i32 s64, 0x220
	;; [unrolled: 1-line block ×6, first 2 shown]
	s_waitcnt lgkmcnt(0)
	s_add_u32 s6, s4, s6
	s_addc_u32 s7, s5, s7
	v_add_co_u32 v5, s4, s6, v113
	v_add_co_ci_u32_e64 v6, null, s7, 0, s4
	s_mov_b32 s4, s13
	s_ashr_i32 s5, s13, 31
	s_movk_i32 s69, 0x270
	flat_load_dwordx4 v[1:4], v[5:6]
	s_lshl_b64 s[4:5], s[4:5], 4
	s_cmpk_lg_i32 s9, 0x84
	v_add_co_u32 v59, vcc_lo, v5, s4
	v_add_co_ci_u32_e64 v60, null, s5, v6, vcc_lo
	v_add_co_u32 v57, vcc_lo, s6, v8
	v_add_co_ci_u32_e64 v58, null, s7, v9, vcc_lo
	v_ashrrev_i32_e32 v8, 31, v7
	s_movk_i32 s4, 0x50
	s_movk_i32 s5, 0x60
	;; [unrolled: 1-line block ×4, first 2 shown]
	v_lshlrev_b64 v[8:9], 4, v[7:8]
	v_add_nc_u32_e32 v7, s13, v7
	s_movk_i32 s72, 0x2a0
	s_movk_i32 s73, 0x2b0
	;; [unrolled: 1-line block ×4, first 2 shown]
	v_add_co_u32 v55, vcc_lo, s6, v8
	v_add_co_ci_u32_e64 v56, null, s7, v9, vcc_lo
	v_ashrrev_i32_e32 v8, 31, v7
	s_movk_i32 s76, 0x2e0
	s_movk_i32 s77, 0x2f0
	;; [unrolled: 1-line block ×4, first 2 shown]
	v_lshlrev_b64 v[8:9], 4, v[7:8]
	v_add_nc_u32_e32 v7, s13, v7
	s_movk_i32 s80, 0x320
	s_cselect_b32 s58, -1, 0
	s_cmpk_eq_i32 s9, 0x84
	s_waitcnt vmcnt(0) lgkmcnt(0)
	buffer_store_dword v4, off, s[0:3], 0 offset:12
	buffer_store_dword v3, off, s[0:3], 0 offset:8
	;; [unrolled: 1-line block ×3, first 2 shown]
	buffer_store_dword v1, off, s[0:3], 0
	flat_load_dwordx4 v[1:4], v[59:60]
	v_add_co_u32 v53, vcc_lo, s6, v8
	v_add_co_ci_u32_e64 v54, null, s7, v9, vcc_lo
	v_ashrrev_i32_e32 v8, 31, v7
	s_waitcnt vmcnt(0) lgkmcnt(0)
	buffer_store_dword v4, off, s[0:3], 0 offset:28
	buffer_store_dword v3, off, s[0:3], 0 offset:24
	buffer_store_dword v2, off, s[0:3], 0 offset:20
	buffer_store_dword v1, off, s[0:3], 0 offset:16
	flat_load_dwordx4 v[1:4], v[57:58]
	v_lshlrev_b64 v[8:9], 4, v[7:8]
	v_add_nc_u32_e32 v7, s13, v7
	s_waitcnt vmcnt(0) lgkmcnt(0)
	buffer_store_dword v4, off, s[0:3], 0 offset:44
	buffer_store_dword v3, off, s[0:3], 0 offset:40
	buffer_store_dword v2, off, s[0:3], 0 offset:36
	buffer_store_dword v1, off, s[0:3], 0 offset:32
	flat_load_dwordx4 v[1:4], v[55:56]
	v_add_co_u32 v49, vcc_lo, s6, v8
	v_add_co_ci_u32_e64 v50, null, s7, v9, vcc_lo
	v_ashrrev_i32_e32 v8, 31, v7
	s_waitcnt vmcnt(0) lgkmcnt(0)
	buffer_store_dword v4, off, s[0:3], 0 offset:60
	buffer_store_dword v3, off, s[0:3], 0 offset:56
	buffer_store_dword v2, off, s[0:3], 0 offset:52
	buffer_store_dword v1, off, s[0:3], 0 offset:48
	flat_load_dwordx4 v[1:4], v[53:54]
	v_lshlrev_b64 v[8:9], 4, v[7:8]
	v_add_nc_u32_e32 v7, s13, v7
	s_waitcnt vmcnt(0) lgkmcnt(0)
	buffer_store_dword v4, off, s[0:3], 0 offset:76
	buffer_store_dword v3, off, s[0:3], 0 offset:72
	buffer_store_dword v2, off, s[0:3], 0 offset:68
	buffer_store_dword v1, off, s[0:3], 0 offset:64
	flat_load_dwordx4 v[1:4], v[49:50]
	v_add_co_u32 v47, vcc_lo, s6, v8
	v_add_co_ci_u32_e64 v48, null, s7, v9, vcc_lo
	v_ashrrev_i32_e32 v8, 31, v7
	s_waitcnt vmcnt(0) lgkmcnt(0)
	buffer_store_dword v4, off, s[0:3], 0 offset:92
	buffer_store_dword v3, off, s[0:3], 0 offset:88
	buffer_store_dword v2, off, s[0:3], 0 offset:84
	buffer_store_dword v1, off, s[0:3], 0 offset:80
	flat_load_dwordx4 v[1:4], v[47:48]
	v_lshlrev_b64 v[8:9], 4, v[7:8]
	v_add_nc_u32_e32 v7, s13, v7
	s_waitcnt vmcnt(0) lgkmcnt(0)
	buffer_store_dword v4, off, s[0:3], 0 offset:108
	buffer_store_dword v3, off, s[0:3], 0 offset:104
	buffer_store_dword v2, off, s[0:3], 0 offset:100
	buffer_store_dword v1, off, s[0:3], 0 offset:96
	v_add_co_u32 v45, vcc_lo, s6, v8
	v_add_co_ci_u32_e64 v46, null, s7, v9, vcc_lo
	v_ashrrev_i32_e32 v8, 31, v7
	flat_load_dwordx4 v[1:4], v[45:46]
	s_waitcnt vmcnt(0) lgkmcnt(0)
	buffer_store_dword v4, off, s[0:3], 0 offset:124
	buffer_store_dword v3, off, s[0:3], 0 offset:120
	buffer_store_dword v2, off, s[0:3], 0 offset:116
	buffer_store_dword v1, off, s[0:3], 0 offset:112
	v_lshlrev_b64 v[8:9], 4, v[7:8]
	v_add_nc_u32_e32 v7, s13, v7
	v_add_co_u32 v43, vcc_lo, s6, v8
	v_add_co_ci_u32_e64 v44, null, s7, v9, vcc_lo
	v_ashrrev_i32_e32 v8, 31, v7
	flat_load_dwordx4 v[1:4], v[43:44]
	s_waitcnt vmcnt(0) lgkmcnt(0)
	buffer_store_dword v4, off, s[0:3], 0 offset:140
	buffer_store_dword v3, off, s[0:3], 0 offset:136
	buffer_store_dword v2, off, s[0:3], 0 offset:132
	buffer_store_dword v1, off, s[0:3], 0 offset:128
	v_lshlrev_b64 v[8:9], 4, v[7:8]
	v_add_nc_u32_e32 v7, s13, v7
	;; [unrolled: 11-line block ×16, first 2 shown]
	v_add_co_u32 v11, vcc_lo, s6, v8
	v_add_co_ci_u32_e64 v12, null, s7, v9, vcc_lo
	v_ashrrev_i32_e32 v8, 31, v7
	v_add_nc_u32_e32 v33, s13, v7
	flat_load_dwordx4 v[1:4], v[11:12]
	s_waitcnt vmcnt(0) lgkmcnt(0)
	buffer_store_dword v4, off, s[0:3], 0 offset:380
	buffer_store_dword v3, off, s[0:3], 0 offset:376
	;; [unrolled: 1-line block ×4, first 2 shown]
	v_lshlrev_b64 v[9:10], 4, v[7:8]
	v_ashrrev_i32_e32 v34, 31, v33
	v_add_nc_u32_e32 v51, s13, v33
	v_add_co_u32 v9, vcc_lo, s6, v9
	v_add_co_ci_u32_e64 v10, null, s7, v10, vcc_lo
	v_lshlrev_b64 v[7:8], 4, v[33:34]
	v_ashrrev_i32_e32 v52, 31, v51
	v_add_nc_u32_e32 v61, s13, v51
	flat_load_dwordx4 v[1:4], v[9:10]
	s_waitcnt vmcnt(0) lgkmcnt(0)
	buffer_store_dword v4, off, s[0:3], 0 offset:396
	buffer_store_dword v3, off, s[0:3], 0 offset:392
	buffer_store_dword v2, off, s[0:3], 0 offset:388
	buffer_store_dword v1, off, s[0:3], 0 offset:384
	v_add_co_u32 v7, vcc_lo, s6, v7
	v_add_co_ci_u32_e64 v8, null, s7, v8, vcc_lo
	v_lshlrev_b64 v[33:34], 4, v[51:52]
	v_ashrrev_i32_e32 v62, 31, v61
	v_add_nc_u32_e32 v63, s13, v61
	flat_load_dwordx4 v[1:4], v[7:8]
	s_waitcnt vmcnt(0) lgkmcnt(0)
	buffer_store_dword v4, off, s[0:3], 0 offset:412
	buffer_store_dword v3, off, s[0:3], 0 offset:408
	buffer_store_dword v2, off, s[0:3], 0 offset:404
	buffer_store_dword v1, off, s[0:3], 0 offset:400
	;; [unrolled: 11-line block ×23, first 2 shown]
	v_add_co_u32 v99, vcc_lo, s6, v99
	v_add_co_ci_u32_e64 v100, null, s7, v100, vcc_lo
	v_lshlrev_b64 v[101:102], 4, v[103:104]
	v_ashrrev_i32_e32 v106, 31, v105
	flat_load_dwordx4 v[1:4], v[99:100]
	s_waitcnt vmcnt(0) lgkmcnt(0)
	buffer_store_dword v4, off, s[0:3], 0 offset:764
	buffer_store_dword v3, off, s[0:3], 0 offset:760
	buffer_store_dword v2, off, s[0:3], 0 offset:756
	buffer_store_dword v1, off, s[0:3], 0 offset:752
	v_add_co_u32 v101, vcc_lo, s6, v101
	v_add_co_ci_u32_e64 v102, null, s7, v102, vcc_lo
	v_lshlrev_b64 v[103:104], 4, v[105:106]
	v_add_nc_u32_e32 v105, s13, v105
	s_movk_i32 s13, 0xc0
	flat_load_dwordx4 v[1:4], v[101:102]
	s_waitcnt vmcnt(0) lgkmcnt(0)
	buffer_store_dword v4, off, s[0:3], 0 offset:780
	buffer_store_dword v3, off, s[0:3], 0 offset:776
	;; [unrolled: 1-line block ×4, first 2 shown]
	v_add_co_u32 v103, vcc_lo, s6, v103
	v_add_co_ci_u32_e64 v104, null, s7, v104, vcc_lo
	v_ashrrev_i32_e32 v106, 31, v105
	flat_load_dwordx4 v[1:4], v[103:104]
	s_waitcnt vmcnt(0) lgkmcnt(0)
	buffer_store_dword v4, off, s[0:3], 0 offset:796
	buffer_store_dword v3, off, s[0:3], 0 offset:792
	;; [unrolled: 1-line block ×4, first 2 shown]
	v_lshlrev_b64 v[105:106], 4, v[105:106]
	v_add_co_u32 v105, vcc_lo, s6, v105
	v_add_co_ci_u32_e64 v106, null, s7, v106, vcc_lo
	s_movk_i32 s6, 0x70
	s_movk_i32 s7, 0x80
	flat_load_dwordx4 v[1:4], v[105:106]
	s_waitcnt vmcnt(0) lgkmcnt(0)
	buffer_store_dword v4, off, s[0:3], 0 offset:812
	buffer_store_dword v3, off, s[0:3], 0 offset:808
	;; [unrolled: 1-line block ×4, first 2 shown]
	s_cbranch_scc1 .LBB114_7
; %bb.2:
	v_lshl_add_u32 v114, v0, 4, 0
                                        ; implicit-def: $vgpr109_vgpr110
                                        ; implicit-def: $vgpr3_vgpr4
	s_clause 0x3
	buffer_load_dword v107, v114, s[0:3], 0 offen
	buffer_load_dword v108, v114, s[0:3], 0 offen offset:4
	buffer_load_dword v111, v114, s[0:3], 0 offen offset:8
	;; [unrolled: 1-line block ×3, first 2 shown]
	s_waitcnt vmcnt(0)
	v_cmp_ngt_f64_e64 s9, |v[107:108]|, |v[111:112]|
	s_and_saveexec_b32 s30, s9
	s_xor_b32 s9, exec_lo, s30
	s_cbranch_execz .LBB114_4
; %bb.3:
	v_div_scale_f64 v[1:2], null, v[111:112], v[111:112], v[107:108]
	v_div_scale_f64 v[115:116], vcc_lo, v[107:108], v[111:112], v[107:108]
	v_rcp_f64_e32 v[3:4], v[1:2]
	v_fma_f64 v[109:110], -v[1:2], v[3:4], 1.0
	v_fma_f64 v[3:4], v[3:4], v[109:110], v[3:4]
	v_fma_f64 v[109:110], -v[1:2], v[3:4], 1.0
	v_fma_f64 v[3:4], v[3:4], v[109:110], v[3:4]
	v_mul_f64 v[109:110], v[115:116], v[3:4]
	v_fma_f64 v[1:2], -v[1:2], v[109:110], v[115:116]
	v_div_fmas_f64 v[1:2], v[1:2], v[3:4], v[109:110]
	v_div_fixup_f64 v[1:2], v[1:2], v[111:112], v[107:108]
	v_fma_f64 v[3:4], v[107:108], v[1:2], v[111:112]
	v_div_scale_f64 v[107:108], null, v[3:4], v[3:4], 1.0
	v_div_scale_f64 v[115:116], vcc_lo, 1.0, v[3:4], 1.0
	v_rcp_f64_e32 v[109:110], v[107:108]
	v_fma_f64 v[111:112], -v[107:108], v[109:110], 1.0
	v_fma_f64 v[109:110], v[109:110], v[111:112], v[109:110]
	v_fma_f64 v[111:112], -v[107:108], v[109:110], 1.0
	v_fma_f64 v[109:110], v[109:110], v[111:112], v[109:110]
	v_mul_f64 v[111:112], v[115:116], v[109:110]
	v_fma_f64 v[107:108], -v[107:108], v[111:112], v[115:116]
	v_div_fmas_f64 v[107:108], v[107:108], v[109:110], v[111:112]
                                        ; implicit-def: $vgpr111_vgpr112
	v_div_fixup_f64 v[3:4], v[107:108], v[3:4], 1.0
                                        ; implicit-def: $vgpr107_vgpr108
	v_mul_f64 v[109:110], v[1:2], v[3:4]
	v_xor_b32_e32 v4, 0x80000000, v4
	v_xor_b32_e32 v2, 0x80000000, v110
	v_mov_b32_e32 v1, v109
.LBB114_4:
	s_andn2_saveexec_b32 s9, s9
	s_cbranch_execz .LBB114_6
; %bb.5:
	v_div_scale_f64 v[1:2], null, v[107:108], v[107:108], v[111:112]
	v_div_scale_f64 v[115:116], vcc_lo, v[111:112], v[107:108], v[111:112]
	v_rcp_f64_e32 v[3:4], v[1:2]
	v_fma_f64 v[109:110], -v[1:2], v[3:4], 1.0
	v_fma_f64 v[3:4], v[3:4], v[109:110], v[3:4]
	v_fma_f64 v[109:110], -v[1:2], v[3:4], 1.0
	v_fma_f64 v[3:4], v[3:4], v[109:110], v[3:4]
	v_mul_f64 v[109:110], v[115:116], v[3:4]
	v_fma_f64 v[1:2], -v[1:2], v[109:110], v[115:116]
	v_div_fmas_f64 v[1:2], v[1:2], v[3:4], v[109:110]
	v_div_fixup_f64 v[1:2], v[1:2], v[107:108], v[111:112]
	v_fma_f64 v[3:4], v[111:112], v[1:2], v[107:108]
	v_div_scale_f64 v[107:108], null, v[3:4], v[3:4], 1.0
	v_rcp_f64_e32 v[109:110], v[107:108]
	v_fma_f64 v[111:112], -v[107:108], v[109:110], 1.0
	v_fma_f64 v[109:110], v[109:110], v[111:112], v[109:110]
	v_fma_f64 v[111:112], -v[107:108], v[109:110], 1.0
	v_fma_f64 v[109:110], v[109:110], v[111:112], v[109:110]
	v_div_scale_f64 v[111:112], vcc_lo, 1.0, v[3:4], 1.0
	v_mul_f64 v[115:116], v[111:112], v[109:110]
	v_fma_f64 v[107:108], -v[107:108], v[115:116], v[111:112]
	v_div_fmas_f64 v[107:108], v[107:108], v[109:110], v[115:116]
	v_div_fixup_f64 v[109:110], v[107:108], v[3:4], 1.0
	v_mul_f64 v[3:4], v[1:2], -v[109:110]
	v_xor_b32_e32 v2, 0x80000000, v110
	v_mov_b32_e32 v1, v109
.LBB114_6:
	s_or_b32 exec_lo, exec_lo, s9
	buffer_store_dword v4, v114, s[0:3], 0 offen offset:12
	v_xor_b32_e32 v4, 0x80000000, v4
	buffer_store_dword v110, v114, s[0:3], 0 offen offset:4
	buffer_store_dword v109, v114, s[0:3], 0 offen
	buffer_store_dword v3, v114, s[0:3], 0 offen offset:8
	s_branch .LBB114_8
.LBB114_7:
	v_mov_b32_e32 v1, 0
	v_mov_b32_e32 v3, 0
	;; [unrolled: 1-line block ×4, first 2 shown]
.LBB114_8:
	v_add_nc_u32_e32 v108, 0x330, v113
	v_mov_b32_e32 v107, v113
	s_mov_b32 s57, 16
	s_mov_b32 s56, 32
	;; [unrolled: 1-line block ×49, first 2 shown]
	s_cmpk_eq_i32 s8, 0x79
	ds_write_b128 v113, v[1:4]
	s_cbranch_scc1 .LBB114_404
; %bb.9:
	v_mov_b32_e32 v4, s7
	v_cmp_eq_u32_e64 s4, 50, v0
	s_clause 0x3
	buffer_load_dword v1, v4, s[0:3], 0 offen
	buffer_load_dword v2, v4, s[0:3], 0 offen offset:4
	buffer_load_dword v3, v4, s[0:3], 0 offen offset:8
	;; [unrolled: 1-line block ×3, first 2 shown]
	s_waitcnt vmcnt(0)
	ds_write_b128 v108, v[1:4]
	s_waitcnt lgkmcnt(0)
	s_waitcnt_vscnt null, 0x0
	s_barrier
	buffer_gl0_inv
	s_and_saveexec_b32 s5, s4
	s_cbranch_execz .LBB114_13
; %bb.10:
	ds_read_b128 v[1:4], v108
	s_andn2_b32 vcc_lo, exec_lo, s58
	s_cbranch_vccnz .LBB114_12
; %bb.11:
	s_clause 0x3
	buffer_load_dword v109, v107, s[0:3], 0 offen offset:8
	buffer_load_dword v110, v107, s[0:3], 0 offen offset:12
	buffer_load_dword v111, v107, s[0:3], 0 offen
	buffer_load_dword v112, v107, s[0:3], 0 offen offset:4
	s_waitcnt vmcnt(2) lgkmcnt(0)
	v_mul_f64 v[114:115], v[3:4], v[109:110]
	v_mul_f64 v[109:110], v[1:2], v[109:110]
	s_waitcnt vmcnt(0)
	v_fma_f64 v[1:2], v[1:2], v[111:112], -v[114:115]
	v_fma_f64 v[3:4], v[3:4], v[111:112], v[109:110]
.LBB114_12:
	v_mov_b32_e32 v109, 0
	ds_read_b128 v[109:112], v109 offset:784
	s_waitcnt lgkmcnt(0)
	v_mul_f64 v[114:115], v[3:4], v[111:112]
	v_mul_f64 v[111:112], v[1:2], v[111:112]
	v_fma_f64 v[1:2], v[1:2], v[109:110], -v[114:115]
	v_fma_f64 v[3:4], v[3:4], v[109:110], v[111:112]
	buffer_store_dword v2, off, s[0:3], 0 offset:788
	buffer_store_dword v1, off, s[0:3], 0 offset:784
	;; [unrolled: 1-line block ×4, first 2 shown]
.LBB114_13:
	s_or_b32 exec_lo, exec_lo, s5
	v_mov_b32_e32 v4, s9
	v_cmp_lt_u32_e64 s5, 48, v0
	s_clause 0x3
	buffer_load_dword v1, v4, s[0:3], 0 offen
	buffer_load_dword v2, v4, s[0:3], 0 offen offset:4
	buffer_load_dword v3, v4, s[0:3], 0 offen offset:8
	;; [unrolled: 1-line block ×3, first 2 shown]
	s_waitcnt vmcnt(0)
	ds_write_b128 v108, v[1:4]
	s_waitcnt lgkmcnt(0)
	s_waitcnt_vscnt null, 0x0
	s_barrier
	buffer_gl0_inv
	s_and_saveexec_b32 s8, s5
	s_cbranch_execz .LBB114_19
; %bb.14:
	ds_read_b128 v[1:4], v108
	s_andn2_b32 vcc_lo, exec_lo, s58
	s_cbranch_vccnz .LBB114_16
; %bb.15:
	s_clause 0x3
	buffer_load_dword v109, v107, s[0:3], 0 offen offset:8
	buffer_load_dword v110, v107, s[0:3], 0 offen offset:12
	buffer_load_dword v111, v107, s[0:3], 0 offen
	buffer_load_dword v112, v107, s[0:3], 0 offen offset:4
	s_waitcnt vmcnt(2) lgkmcnt(0)
	v_mul_f64 v[114:115], v[3:4], v[109:110]
	v_mul_f64 v[109:110], v[1:2], v[109:110]
	s_waitcnt vmcnt(0)
	v_fma_f64 v[1:2], v[1:2], v[111:112], -v[114:115]
	v_fma_f64 v[3:4], v[3:4], v[111:112], v[109:110]
.LBB114_16:
	s_and_saveexec_b32 s59, s4
	s_cbranch_execz .LBB114_18
; %bb.17:
	s_clause 0x3
	buffer_load_dword v114, off, s[0:3], 0 offset:792
	buffer_load_dword v115, off, s[0:3], 0 offset:796
	;; [unrolled: 1-line block ×4, first 2 shown]
	v_mov_b32_e32 v109, 0
	ds_read_b128 v[109:112], v109 offset:1600
	s_waitcnt vmcnt(2) lgkmcnt(0)
	v_mul_f64 v[118:119], v[109:110], v[114:115]
	v_mul_f64 v[114:115], v[111:112], v[114:115]
	s_waitcnt vmcnt(0)
	v_fma_f64 v[111:112], v[111:112], v[116:117], v[118:119]
	v_fma_f64 v[109:110], v[109:110], v[116:117], -v[114:115]
	v_add_f64 v[3:4], v[3:4], v[111:112]
	v_add_f64 v[1:2], v[1:2], v[109:110]
.LBB114_18:
	s_or_b32 exec_lo, exec_lo, s59
	v_mov_b32_e32 v109, 0
	ds_read_b128 v[109:112], v109 offset:768
	s_waitcnt lgkmcnt(0)
	v_mul_f64 v[114:115], v[3:4], v[111:112]
	v_mul_f64 v[111:112], v[1:2], v[111:112]
	v_fma_f64 v[1:2], v[1:2], v[109:110], -v[114:115]
	v_fma_f64 v[3:4], v[3:4], v[109:110], v[111:112]
	buffer_store_dword v2, off, s[0:3], 0 offset:772
	buffer_store_dword v1, off, s[0:3], 0 offset:768
	;; [unrolled: 1-line block ×4, first 2 shown]
.LBB114_19:
	s_or_b32 exec_lo, exec_lo, s8
	v_mov_b32_e32 v4, s10
	v_cmp_lt_u32_e64 s4, 47, v0
	s_clause 0x3
	buffer_load_dword v1, v4, s[0:3], 0 offen
	buffer_load_dword v2, v4, s[0:3], 0 offen offset:4
	buffer_load_dword v3, v4, s[0:3], 0 offen offset:8
	;; [unrolled: 1-line block ×3, first 2 shown]
	s_waitcnt vmcnt(0)
	ds_write_b128 v108, v[1:4]
	s_waitcnt lgkmcnt(0)
	s_waitcnt_vscnt null, 0x0
	s_barrier
	buffer_gl0_inv
	s_and_saveexec_b32 s8, s4
	s_cbranch_execz .LBB114_27
; %bb.20:
	ds_read_b128 v[1:4], v108
	s_andn2_b32 vcc_lo, exec_lo, s58
	s_cbranch_vccnz .LBB114_22
; %bb.21:
	s_clause 0x3
	buffer_load_dword v109, v107, s[0:3], 0 offen offset:8
	buffer_load_dword v110, v107, s[0:3], 0 offen offset:12
	buffer_load_dword v111, v107, s[0:3], 0 offen
	buffer_load_dword v112, v107, s[0:3], 0 offen offset:4
	s_waitcnt vmcnt(2) lgkmcnt(0)
	v_mul_f64 v[114:115], v[3:4], v[109:110]
	v_mul_f64 v[109:110], v[1:2], v[109:110]
	s_waitcnt vmcnt(0)
	v_fma_f64 v[1:2], v[1:2], v[111:112], -v[114:115]
	v_fma_f64 v[3:4], v[3:4], v[111:112], v[109:110]
.LBB114_22:
	s_and_saveexec_b32 s59, s5
	s_cbranch_execz .LBB114_26
; %bb.23:
	v_subrev_nc_u32_e32 v109, 48, v0
	s_movk_i32 s60, 0x630
	s_mov_b32 s5, 0
	s_mov_b32 s61, s9
	.p2align	6
.LBB114_24:                             ; =>This Inner Loop Header: Depth=1
	v_mov_b32_e32 v112, s61
	v_add_nc_u32_e32 v109, -1, v109
	s_add_i32 s61, s61, 16
	s_clause 0x3
	buffer_load_dword v110, v112, s[0:3], 0 offen offset:8
	buffer_load_dword v111, v112, s[0:3], 0 offen offset:12
	buffer_load_dword v118, v112, s[0:3], 0 offen
	buffer_load_dword v119, v112, s[0:3], 0 offen offset:4
	v_mov_b32_e32 v112, s60
	v_cmp_eq_u32_e32 vcc_lo, 0, v109
	s_add_i32 s60, s60, 16
	ds_read_b128 v[114:117], v112
	s_or_b32 s5, vcc_lo, s5
	s_waitcnt vmcnt(2) lgkmcnt(0)
	v_mul_f64 v[120:121], v[116:117], v[110:111]
	v_mul_f64 v[110:111], v[114:115], v[110:111]
	s_waitcnt vmcnt(0)
	v_fma_f64 v[114:115], v[114:115], v[118:119], -v[120:121]
	v_fma_f64 v[110:111], v[116:117], v[118:119], v[110:111]
	v_add_f64 v[1:2], v[1:2], v[114:115]
	v_add_f64 v[3:4], v[3:4], v[110:111]
	s_andn2_b32 exec_lo, exec_lo, s5
	s_cbranch_execnz .LBB114_24
; %bb.25:
	s_or_b32 exec_lo, exec_lo, s5
.LBB114_26:
	s_or_b32 exec_lo, exec_lo, s59
	v_mov_b32_e32 v109, 0
	ds_read_b128 v[109:112], v109 offset:752
	s_waitcnt lgkmcnt(0)
	v_mul_f64 v[114:115], v[3:4], v[111:112]
	v_mul_f64 v[111:112], v[1:2], v[111:112]
	v_fma_f64 v[1:2], v[1:2], v[109:110], -v[114:115]
	v_fma_f64 v[3:4], v[3:4], v[109:110], v[111:112]
	buffer_store_dword v2, off, s[0:3], 0 offset:756
	buffer_store_dword v1, off, s[0:3], 0 offset:752
	buffer_store_dword v4, off, s[0:3], 0 offset:764
	buffer_store_dword v3, off, s[0:3], 0 offset:760
.LBB114_27:
	s_or_b32 exec_lo, exec_lo, s8
	v_mov_b32_e32 v4, s11
	v_cmp_lt_u32_e64 s5, 46, v0
	s_clause 0x3
	buffer_load_dword v1, v4, s[0:3], 0 offen
	buffer_load_dword v2, v4, s[0:3], 0 offen offset:4
	buffer_load_dword v3, v4, s[0:3], 0 offen offset:8
	;; [unrolled: 1-line block ×3, first 2 shown]
	s_waitcnt vmcnt(0)
	ds_write_b128 v108, v[1:4]
	s_waitcnt lgkmcnt(0)
	s_waitcnt_vscnt null, 0x0
	s_barrier
	buffer_gl0_inv
	s_and_saveexec_b32 s8, s5
	s_cbranch_execz .LBB114_35
; %bb.28:
	ds_read_b128 v[1:4], v108
	s_andn2_b32 vcc_lo, exec_lo, s58
	s_cbranch_vccnz .LBB114_30
; %bb.29:
	s_clause 0x3
	buffer_load_dword v109, v107, s[0:3], 0 offen offset:8
	buffer_load_dword v110, v107, s[0:3], 0 offen offset:12
	buffer_load_dword v111, v107, s[0:3], 0 offen
	buffer_load_dword v112, v107, s[0:3], 0 offen offset:4
	s_waitcnt vmcnt(2) lgkmcnt(0)
	v_mul_f64 v[114:115], v[3:4], v[109:110]
	v_mul_f64 v[109:110], v[1:2], v[109:110]
	s_waitcnt vmcnt(0)
	v_fma_f64 v[1:2], v[1:2], v[111:112], -v[114:115]
	v_fma_f64 v[3:4], v[3:4], v[111:112], v[109:110]
.LBB114_30:
	s_and_saveexec_b32 s59, s4
	s_cbranch_execz .LBB114_34
; %bb.31:
	v_subrev_nc_u32_e32 v109, 47, v0
	s_movk_i32 s60, 0x620
	s_mov_b32 s4, 0
	s_mov_b32 s61, s10
	.p2align	6
.LBB114_32:                             ; =>This Inner Loop Header: Depth=1
	v_mov_b32_e32 v112, s61
	v_add_nc_u32_e32 v109, -1, v109
	s_add_i32 s61, s61, 16
	s_clause 0x3
	buffer_load_dword v110, v112, s[0:3], 0 offen offset:8
	buffer_load_dword v111, v112, s[0:3], 0 offen offset:12
	buffer_load_dword v118, v112, s[0:3], 0 offen
	buffer_load_dword v119, v112, s[0:3], 0 offen offset:4
	v_mov_b32_e32 v112, s60
	v_cmp_eq_u32_e32 vcc_lo, 0, v109
	s_add_i32 s60, s60, 16
	ds_read_b128 v[114:117], v112
	s_or_b32 s4, vcc_lo, s4
	s_waitcnt vmcnt(2) lgkmcnt(0)
	v_mul_f64 v[120:121], v[116:117], v[110:111]
	v_mul_f64 v[110:111], v[114:115], v[110:111]
	s_waitcnt vmcnt(0)
	v_fma_f64 v[114:115], v[114:115], v[118:119], -v[120:121]
	v_fma_f64 v[110:111], v[116:117], v[118:119], v[110:111]
	v_add_f64 v[1:2], v[1:2], v[114:115]
	v_add_f64 v[3:4], v[3:4], v[110:111]
	s_andn2_b32 exec_lo, exec_lo, s4
	s_cbranch_execnz .LBB114_32
; %bb.33:
	s_or_b32 exec_lo, exec_lo, s4
.LBB114_34:
	s_or_b32 exec_lo, exec_lo, s59
	v_mov_b32_e32 v109, 0
	ds_read_b128 v[109:112], v109 offset:736
	s_waitcnt lgkmcnt(0)
	v_mul_f64 v[114:115], v[3:4], v[111:112]
	v_mul_f64 v[111:112], v[1:2], v[111:112]
	v_fma_f64 v[1:2], v[1:2], v[109:110], -v[114:115]
	v_fma_f64 v[3:4], v[3:4], v[109:110], v[111:112]
	buffer_store_dword v2, off, s[0:3], 0 offset:740
	buffer_store_dword v1, off, s[0:3], 0 offset:736
	;; [unrolled: 1-line block ×4, first 2 shown]
.LBB114_35:
	s_or_b32 exec_lo, exec_lo, s8
	v_mov_b32_e32 v4, s12
	v_cmp_lt_u32_e64 s4, 45, v0
	s_clause 0x3
	buffer_load_dword v1, v4, s[0:3], 0 offen
	buffer_load_dword v2, v4, s[0:3], 0 offen offset:4
	buffer_load_dword v3, v4, s[0:3], 0 offen offset:8
	;; [unrolled: 1-line block ×3, first 2 shown]
	s_waitcnt vmcnt(0)
	ds_write_b128 v108, v[1:4]
	s_waitcnt lgkmcnt(0)
	s_waitcnt_vscnt null, 0x0
	s_barrier
	buffer_gl0_inv
	s_and_saveexec_b32 s8, s4
	s_cbranch_execz .LBB114_43
; %bb.36:
	ds_read_b128 v[1:4], v108
	s_andn2_b32 vcc_lo, exec_lo, s58
	s_cbranch_vccnz .LBB114_38
; %bb.37:
	s_clause 0x3
	buffer_load_dword v109, v107, s[0:3], 0 offen offset:8
	buffer_load_dword v110, v107, s[0:3], 0 offen offset:12
	buffer_load_dword v111, v107, s[0:3], 0 offen
	buffer_load_dword v112, v107, s[0:3], 0 offen offset:4
	s_waitcnt vmcnt(2) lgkmcnt(0)
	v_mul_f64 v[114:115], v[3:4], v[109:110]
	v_mul_f64 v[109:110], v[1:2], v[109:110]
	s_waitcnt vmcnt(0)
	v_fma_f64 v[1:2], v[1:2], v[111:112], -v[114:115]
	v_fma_f64 v[3:4], v[3:4], v[111:112], v[109:110]
.LBB114_38:
	s_and_saveexec_b32 s59, s5
	s_cbranch_execz .LBB114_42
; %bb.39:
	v_subrev_nc_u32_e32 v109, 46, v0
	s_movk_i32 s60, 0x610
	s_mov_b32 s5, 0
	s_mov_b32 s61, s11
	.p2align	6
.LBB114_40:                             ; =>This Inner Loop Header: Depth=1
	v_mov_b32_e32 v112, s61
	v_add_nc_u32_e32 v109, -1, v109
	s_add_i32 s61, s61, 16
	s_clause 0x3
	buffer_load_dword v110, v112, s[0:3], 0 offen offset:8
	buffer_load_dword v111, v112, s[0:3], 0 offen offset:12
	buffer_load_dword v118, v112, s[0:3], 0 offen
	buffer_load_dword v119, v112, s[0:3], 0 offen offset:4
	v_mov_b32_e32 v112, s60
	v_cmp_eq_u32_e32 vcc_lo, 0, v109
	s_add_i32 s60, s60, 16
	ds_read_b128 v[114:117], v112
	s_or_b32 s5, vcc_lo, s5
	s_waitcnt vmcnt(2) lgkmcnt(0)
	v_mul_f64 v[120:121], v[116:117], v[110:111]
	v_mul_f64 v[110:111], v[114:115], v[110:111]
	s_waitcnt vmcnt(0)
	v_fma_f64 v[114:115], v[114:115], v[118:119], -v[120:121]
	v_fma_f64 v[110:111], v[116:117], v[118:119], v[110:111]
	v_add_f64 v[1:2], v[1:2], v[114:115]
	v_add_f64 v[3:4], v[3:4], v[110:111]
	s_andn2_b32 exec_lo, exec_lo, s5
	s_cbranch_execnz .LBB114_40
; %bb.41:
	s_or_b32 exec_lo, exec_lo, s5
.LBB114_42:
	s_or_b32 exec_lo, exec_lo, s59
	v_mov_b32_e32 v109, 0
	ds_read_b128 v[109:112], v109 offset:720
	s_waitcnt lgkmcnt(0)
	v_mul_f64 v[114:115], v[3:4], v[111:112]
	v_mul_f64 v[111:112], v[1:2], v[111:112]
	v_fma_f64 v[1:2], v[1:2], v[109:110], -v[114:115]
	v_fma_f64 v[3:4], v[3:4], v[109:110], v[111:112]
	buffer_store_dword v2, off, s[0:3], 0 offset:724
	buffer_store_dword v1, off, s[0:3], 0 offset:720
	;; [unrolled: 1-line block ×4, first 2 shown]
.LBB114_43:
	s_or_b32 exec_lo, exec_lo, s8
	v_mov_b32_e32 v4, s13
	v_cmp_lt_u32_e64 s5, 44, v0
	s_clause 0x3
	buffer_load_dword v1, v4, s[0:3], 0 offen
	buffer_load_dword v2, v4, s[0:3], 0 offen offset:4
	buffer_load_dword v3, v4, s[0:3], 0 offen offset:8
	buffer_load_dword v4, v4, s[0:3], 0 offen offset:12
	s_waitcnt vmcnt(0)
	ds_write_b128 v108, v[1:4]
	s_waitcnt lgkmcnt(0)
	s_waitcnt_vscnt null, 0x0
	s_barrier
	buffer_gl0_inv
	s_and_saveexec_b32 s8, s5
	s_cbranch_execz .LBB114_51
; %bb.44:
	ds_read_b128 v[1:4], v108
	s_andn2_b32 vcc_lo, exec_lo, s58
	s_cbranch_vccnz .LBB114_46
; %bb.45:
	s_clause 0x3
	buffer_load_dword v109, v107, s[0:3], 0 offen offset:8
	buffer_load_dword v110, v107, s[0:3], 0 offen offset:12
	buffer_load_dword v111, v107, s[0:3], 0 offen
	buffer_load_dword v112, v107, s[0:3], 0 offen offset:4
	s_waitcnt vmcnt(2) lgkmcnt(0)
	v_mul_f64 v[114:115], v[3:4], v[109:110]
	v_mul_f64 v[109:110], v[1:2], v[109:110]
	s_waitcnt vmcnt(0)
	v_fma_f64 v[1:2], v[1:2], v[111:112], -v[114:115]
	v_fma_f64 v[3:4], v[3:4], v[111:112], v[109:110]
.LBB114_46:
	s_and_saveexec_b32 s59, s4
	s_cbranch_execz .LBB114_50
; %bb.47:
	v_subrev_nc_u32_e32 v109, 45, v0
	s_movk_i32 s60, 0x600
	s_mov_b32 s4, 0
	s_mov_b32 s61, s12
	.p2align	6
.LBB114_48:                             ; =>This Inner Loop Header: Depth=1
	v_mov_b32_e32 v112, s61
	v_add_nc_u32_e32 v109, -1, v109
	s_add_i32 s61, s61, 16
	s_clause 0x3
	buffer_load_dword v110, v112, s[0:3], 0 offen offset:8
	buffer_load_dword v111, v112, s[0:3], 0 offen offset:12
	buffer_load_dword v118, v112, s[0:3], 0 offen
	buffer_load_dword v119, v112, s[0:3], 0 offen offset:4
	v_mov_b32_e32 v112, s60
	v_cmp_eq_u32_e32 vcc_lo, 0, v109
	s_add_i32 s60, s60, 16
	ds_read_b128 v[114:117], v112
	s_or_b32 s4, vcc_lo, s4
	s_waitcnt vmcnt(2) lgkmcnt(0)
	v_mul_f64 v[120:121], v[116:117], v[110:111]
	v_mul_f64 v[110:111], v[114:115], v[110:111]
	s_waitcnt vmcnt(0)
	v_fma_f64 v[114:115], v[114:115], v[118:119], -v[120:121]
	v_fma_f64 v[110:111], v[116:117], v[118:119], v[110:111]
	v_add_f64 v[1:2], v[1:2], v[114:115]
	v_add_f64 v[3:4], v[3:4], v[110:111]
	s_andn2_b32 exec_lo, exec_lo, s4
	s_cbranch_execnz .LBB114_48
; %bb.49:
	s_or_b32 exec_lo, exec_lo, s4
.LBB114_50:
	s_or_b32 exec_lo, exec_lo, s59
	v_mov_b32_e32 v109, 0
	ds_read_b128 v[109:112], v109 offset:704
	s_waitcnt lgkmcnt(0)
	v_mul_f64 v[114:115], v[3:4], v[111:112]
	v_mul_f64 v[111:112], v[1:2], v[111:112]
	v_fma_f64 v[1:2], v[1:2], v[109:110], -v[114:115]
	v_fma_f64 v[3:4], v[3:4], v[109:110], v[111:112]
	buffer_store_dword v2, off, s[0:3], 0 offset:708
	buffer_store_dword v1, off, s[0:3], 0 offset:704
	;; [unrolled: 1-line block ×4, first 2 shown]
.LBB114_51:
	s_or_b32 exec_lo, exec_lo, s8
	v_mov_b32_e32 v4, s14
	v_cmp_lt_u32_e64 s4, 43, v0
	s_clause 0x3
	buffer_load_dword v1, v4, s[0:3], 0 offen
	buffer_load_dword v2, v4, s[0:3], 0 offen offset:4
	buffer_load_dword v3, v4, s[0:3], 0 offen offset:8
	;; [unrolled: 1-line block ×3, first 2 shown]
	s_waitcnt vmcnt(0)
	ds_write_b128 v108, v[1:4]
	s_waitcnt lgkmcnt(0)
	s_waitcnt_vscnt null, 0x0
	s_barrier
	buffer_gl0_inv
	s_and_saveexec_b32 s8, s4
	s_cbranch_execz .LBB114_59
; %bb.52:
	ds_read_b128 v[1:4], v108
	s_andn2_b32 vcc_lo, exec_lo, s58
	s_cbranch_vccnz .LBB114_54
; %bb.53:
	s_clause 0x3
	buffer_load_dword v109, v107, s[0:3], 0 offen offset:8
	buffer_load_dword v110, v107, s[0:3], 0 offen offset:12
	buffer_load_dword v111, v107, s[0:3], 0 offen
	buffer_load_dword v112, v107, s[0:3], 0 offen offset:4
	s_waitcnt vmcnt(2) lgkmcnt(0)
	v_mul_f64 v[114:115], v[3:4], v[109:110]
	v_mul_f64 v[109:110], v[1:2], v[109:110]
	s_waitcnt vmcnt(0)
	v_fma_f64 v[1:2], v[1:2], v[111:112], -v[114:115]
	v_fma_f64 v[3:4], v[3:4], v[111:112], v[109:110]
.LBB114_54:
	s_and_saveexec_b32 s59, s5
	s_cbranch_execz .LBB114_58
; %bb.55:
	v_subrev_nc_u32_e32 v109, 44, v0
	s_movk_i32 s60, 0x5f0
	s_mov_b32 s5, 0
	s_mov_b32 s61, s13
	.p2align	6
.LBB114_56:                             ; =>This Inner Loop Header: Depth=1
	v_mov_b32_e32 v112, s61
	v_add_nc_u32_e32 v109, -1, v109
	s_add_i32 s61, s61, 16
	s_clause 0x3
	buffer_load_dword v110, v112, s[0:3], 0 offen offset:8
	buffer_load_dword v111, v112, s[0:3], 0 offen offset:12
	buffer_load_dword v118, v112, s[0:3], 0 offen
	buffer_load_dword v119, v112, s[0:3], 0 offen offset:4
	v_mov_b32_e32 v112, s60
	v_cmp_eq_u32_e32 vcc_lo, 0, v109
	s_add_i32 s60, s60, 16
	ds_read_b128 v[114:117], v112
	s_or_b32 s5, vcc_lo, s5
	s_waitcnt vmcnt(2) lgkmcnt(0)
	v_mul_f64 v[120:121], v[116:117], v[110:111]
	v_mul_f64 v[110:111], v[114:115], v[110:111]
	s_waitcnt vmcnt(0)
	v_fma_f64 v[114:115], v[114:115], v[118:119], -v[120:121]
	v_fma_f64 v[110:111], v[116:117], v[118:119], v[110:111]
	v_add_f64 v[1:2], v[1:2], v[114:115]
	v_add_f64 v[3:4], v[3:4], v[110:111]
	s_andn2_b32 exec_lo, exec_lo, s5
	s_cbranch_execnz .LBB114_56
; %bb.57:
	s_or_b32 exec_lo, exec_lo, s5
.LBB114_58:
	s_or_b32 exec_lo, exec_lo, s59
	v_mov_b32_e32 v109, 0
	ds_read_b128 v[109:112], v109 offset:688
	s_waitcnt lgkmcnt(0)
	v_mul_f64 v[114:115], v[3:4], v[111:112]
	v_mul_f64 v[111:112], v[1:2], v[111:112]
	v_fma_f64 v[1:2], v[1:2], v[109:110], -v[114:115]
	v_fma_f64 v[3:4], v[3:4], v[109:110], v[111:112]
	buffer_store_dword v2, off, s[0:3], 0 offset:692
	buffer_store_dword v1, off, s[0:3], 0 offset:688
	;; [unrolled: 1-line block ×4, first 2 shown]
.LBB114_59:
	s_or_b32 exec_lo, exec_lo, s8
	v_mov_b32_e32 v4, s15
	v_cmp_lt_u32_e64 s5, 42, v0
	s_clause 0x3
	buffer_load_dword v1, v4, s[0:3], 0 offen
	buffer_load_dword v2, v4, s[0:3], 0 offen offset:4
	buffer_load_dword v3, v4, s[0:3], 0 offen offset:8
	;; [unrolled: 1-line block ×3, first 2 shown]
	s_waitcnt vmcnt(0)
	ds_write_b128 v108, v[1:4]
	s_waitcnt lgkmcnt(0)
	s_waitcnt_vscnt null, 0x0
	s_barrier
	buffer_gl0_inv
	s_and_saveexec_b32 s8, s5
	s_cbranch_execz .LBB114_67
; %bb.60:
	ds_read_b128 v[1:4], v108
	s_andn2_b32 vcc_lo, exec_lo, s58
	s_cbranch_vccnz .LBB114_62
; %bb.61:
	s_clause 0x3
	buffer_load_dword v109, v107, s[0:3], 0 offen offset:8
	buffer_load_dword v110, v107, s[0:3], 0 offen offset:12
	buffer_load_dword v111, v107, s[0:3], 0 offen
	buffer_load_dword v112, v107, s[0:3], 0 offen offset:4
	s_waitcnt vmcnt(2) lgkmcnt(0)
	v_mul_f64 v[114:115], v[3:4], v[109:110]
	v_mul_f64 v[109:110], v[1:2], v[109:110]
	s_waitcnt vmcnt(0)
	v_fma_f64 v[1:2], v[1:2], v[111:112], -v[114:115]
	v_fma_f64 v[3:4], v[3:4], v[111:112], v[109:110]
.LBB114_62:
	s_and_saveexec_b32 s59, s4
	s_cbranch_execz .LBB114_66
; %bb.63:
	v_subrev_nc_u32_e32 v109, 43, v0
	s_movk_i32 s60, 0x5e0
	s_mov_b32 s4, 0
	s_mov_b32 s61, s14
	.p2align	6
.LBB114_64:                             ; =>This Inner Loop Header: Depth=1
	v_mov_b32_e32 v112, s61
	v_add_nc_u32_e32 v109, -1, v109
	s_add_i32 s61, s61, 16
	s_clause 0x3
	buffer_load_dword v110, v112, s[0:3], 0 offen offset:8
	buffer_load_dword v111, v112, s[0:3], 0 offen offset:12
	buffer_load_dword v118, v112, s[0:3], 0 offen
	buffer_load_dword v119, v112, s[0:3], 0 offen offset:4
	v_mov_b32_e32 v112, s60
	v_cmp_eq_u32_e32 vcc_lo, 0, v109
	s_add_i32 s60, s60, 16
	ds_read_b128 v[114:117], v112
	s_or_b32 s4, vcc_lo, s4
	s_waitcnt vmcnt(2) lgkmcnt(0)
	v_mul_f64 v[120:121], v[116:117], v[110:111]
	v_mul_f64 v[110:111], v[114:115], v[110:111]
	s_waitcnt vmcnt(0)
	v_fma_f64 v[114:115], v[114:115], v[118:119], -v[120:121]
	v_fma_f64 v[110:111], v[116:117], v[118:119], v[110:111]
	v_add_f64 v[1:2], v[1:2], v[114:115]
	v_add_f64 v[3:4], v[3:4], v[110:111]
	s_andn2_b32 exec_lo, exec_lo, s4
	s_cbranch_execnz .LBB114_64
; %bb.65:
	s_or_b32 exec_lo, exec_lo, s4
.LBB114_66:
	s_or_b32 exec_lo, exec_lo, s59
	v_mov_b32_e32 v109, 0
	ds_read_b128 v[109:112], v109 offset:672
	s_waitcnt lgkmcnt(0)
	v_mul_f64 v[114:115], v[3:4], v[111:112]
	v_mul_f64 v[111:112], v[1:2], v[111:112]
	v_fma_f64 v[1:2], v[1:2], v[109:110], -v[114:115]
	v_fma_f64 v[3:4], v[3:4], v[109:110], v[111:112]
	buffer_store_dword v2, off, s[0:3], 0 offset:676
	buffer_store_dword v1, off, s[0:3], 0 offset:672
	;; [unrolled: 1-line block ×4, first 2 shown]
.LBB114_67:
	s_or_b32 exec_lo, exec_lo, s8
	v_mov_b32_e32 v4, s16
	v_cmp_lt_u32_e64 s4, 41, v0
	s_clause 0x3
	buffer_load_dword v1, v4, s[0:3], 0 offen
	buffer_load_dword v2, v4, s[0:3], 0 offen offset:4
	buffer_load_dword v3, v4, s[0:3], 0 offen offset:8
	;; [unrolled: 1-line block ×3, first 2 shown]
	s_waitcnt vmcnt(0)
	ds_write_b128 v108, v[1:4]
	s_waitcnt lgkmcnt(0)
	s_waitcnt_vscnt null, 0x0
	s_barrier
	buffer_gl0_inv
	s_and_saveexec_b32 s8, s4
	s_cbranch_execz .LBB114_75
; %bb.68:
	ds_read_b128 v[1:4], v108
	s_andn2_b32 vcc_lo, exec_lo, s58
	s_cbranch_vccnz .LBB114_70
; %bb.69:
	s_clause 0x3
	buffer_load_dword v109, v107, s[0:3], 0 offen offset:8
	buffer_load_dword v110, v107, s[0:3], 0 offen offset:12
	buffer_load_dword v111, v107, s[0:3], 0 offen
	buffer_load_dword v112, v107, s[0:3], 0 offen offset:4
	s_waitcnt vmcnt(2) lgkmcnt(0)
	v_mul_f64 v[114:115], v[3:4], v[109:110]
	v_mul_f64 v[109:110], v[1:2], v[109:110]
	s_waitcnt vmcnt(0)
	v_fma_f64 v[1:2], v[1:2], v[111:112], -v[114:115]
	v_fma_f64 v[3:4], v[3:4], v[111:112], v[109:110]
.LBB114_70:
	s_and_saveexec_b32 s59, s5
	s_cbranch_execz .LBB114_74
; %bb.71:
	v_subrev_nc_u32_e32 v109, 42, v0
	s_movk_i32 s60, 0x5d0
	s_mov_b32 s5, 0
	s_mov_b32 s61, s15
	.p2align	6
.LBB114_72:                             ; =>This Inner Loop Header: Depth=1
	v_mov_b32_e32 v112, s61
	v_add_nc_u32_e32 v109, -1, v109
	s_add_i32 s61, s61, 16
	s_clause 0x3
	buffer_load_dword v110, v112, s[0:3], 0 offen offset:8
	buffer_load_dword v111, v112, s[0:3], 0 offen offset:12
	buffer_load_dword v118, v112, s[0:3], 0 offen
	buffer_load_dword v119, v112, s[0:3], 0 offen offset:4
	v_mov_b32_e32 v112, s60
	v_cmp_eq_u32_e32 vcc_lo, 0, v109
	s_add_i32 s60, s60, 16
	ds_read_b128 v[114:117], v112
	s_or_b32 s5, vcc_lo, s5
	s_waitcnt vmcnt(2) lgkmcnt(0)
	v_mul_f64 v[120:121], v[116:117], v[110:111]
	v_mul_f64 v[110:111], v[114:115], v[110:111]
	s_waitcnt vmcnt(0)
	v_fma_f64 v[114:115], v[114:115], v[118:119], -v[120:121]
	v_fma_f64 v[110:111], v[116:117], v[118:119], v[110:111]
	v_add_f64 v[1:2], v[1:2], v[114:115]
	v_add_f64 v[3:4], v[3:4], v[110:111]
	s_andn2_b32 exec_lo, exec_lo, s5
	s_cbranch_execnz .LBB114_72
; %bb.73:
	s_or_b32 exec_lo, exec_lo, s5
.LBB114_74:
	s_or_b32 exec_lo, exec_lo, s59
	v_mov_b32_e32 v109, 0
	ds_read_b128 v[109:112], v109 offset:656
	s_waitcnt lgkmcnt(0)
	v_mul_f64 v[114:115], v[3:4], v[111:112]
	v_mul_f64 v[111:112], v[1:2], v[111:112]
	v_fma_f64 v[1:2], v[1:2], v[109:110], -v[114:115]
	v_fma_f64 v[3:4], v[3:4], v[109:110], v[111:112]
	buffer_store_dword v2, off, s[0:3], 0 offset:660
	buffer_store_dword v1, off, s[0:3], 0 offset:656
	;; [unrolled: 1-line block ×4, first 2 shown]
.LBB114_75:
	s_or_b32 exec_lo, exec_lo, s8
	v_mov_b32_e32 v4, s17
	v_cmp_lt_u32_e64 s5, 40, v0
	s_clause 0x3
	buffer_load_dword v1, v4, s[0:3], 0 offen
	buffer_load_dword v2, v4, s[0:3], 0 offen offset:4
	buffer_load_dword v3, v4, s[0:3], 0 offen offset:8
	;; [unrolled: 1-line block ×3, first 2 shown]
	s_waitcnt vmcnt(0)
	ds_write_b128 v108, v[1:4]
	s_waitcnt lgkmcnt(0)
	s_waitcnt_vscnt null, 0x0
	s_barrier
	buffer_gl0_inv
	s_and_saveexec_b32 s8, s5
	s_cbranch_execz .LBB114_83
; %bb.76:
	ds_read_b128 v[1:4], v108
	s_andn2_b32 vcc_lo, exec_lo, s58
	s_cbranch_vccnz .LBB114_78
; %bb.77:
	s_clause 0x3
	buffer_load_dword v109, v107, s[0:3], 0 offen offset:8
	buffer_load_dword v110, v107, s[0:3], 0 offen offset:12
	buffer_load_dword v111, v107, s[0:3], 0 offen
	buffer_load_dword v112, v107, s[0:3], 0 offen offset:4
	s_waitcnt vmcnt(2) lgkmcnt(0)
	v_mul_f64 v[114:115], v[3:4], v[109:110]
	v_mul_f64 v[109:110], v[1:2], v[109:110]
	s_waitcnt vmcnt(0)
	v_fma_f64 v[1:2], v[1:2], v[111:112], -v[114:115]
	v_fma_f64 v[3:4], v[3:4], v[111:112], v[109:110]
.LBB114_78:
	s_and_saveexec_b32 s59, s4
	s_cbranch_execz .LBB114_82
; %bb.79:
	v_subrev_nc_u32_e32 v109, 41, v0
	s_movk_i32 s60, 0x5c0
	s_mov_b32 s4, 0
	s_mov_b32 s61, s16
	.p2align	6
.LBB114_80:                             ; =>This Inner Loop Header: Depth=1
	v_mov_b32_e32 v112, s61
	v_add_nc_u32_e32 v109, -1, v109
	s_add_i32 s61, s61, 16
	s_clause 0x3
	buffer_load_dword v110, v112, s[0:3], 0 offen offset:8
	buffer_load_dword v111, v112, s[0:3], 0 offen offset:12
	buffer_load_dword v118, v112, s[0:3], 0 offen
	buffer_load_dword v119, v112, s[0:3], 0 offen offset:4
	v_mov_b32_e32 v112, s60
	v_cmp_eq_u32_e32 vcc_lo, 0, v109
	s_add_i32 s60, s60, 16
	ds_read_b128 v[114:117], v112
	s_or_b32 s4, vcc_lo, s4
	s_waitcnt vmcnt(2) lgkmcnt(0)
	v_mul_f64 v[120:121], v[116:117], v[110:111]
	v_mul_f64 v[110:111], v[114:115], v[110:111]
	s_waitcnt vmcnt(0)
	v_fma_f64 v[114:115], v[114:115], v[118:119], -v[120:121]
	v_fma_f64 v[110:111], v[116:117], v[118:119], v[110:111]
	v_add_f64 v[1:2], v[1:2], v[114:115]
	v_add_f64 v[3:4], v[3:4], v[110:111]
	s_andn2_b32 exec_lo, exec_lo, s4
	s_cbranch_execnz .LBB114_80
; %bb.81:
	s_or_b32 exec_lo, exec_lo, s4
.LBB114_82:
	s_or_b32 exec_lo, exec_lo, s59
	v_mov_b32_e32 v109, 0
	ds_read_b128 v[109:112], v109 offset:640
	s_waitcnt lgkmcnt(0)
	v_mul_f64 v[114:115], v[3:4], v[111:112]
	v_mul_f64 v[111:112], v[1:2], v[111:112]
	v_fma_f64 v[1:2], v[1:2], v[109:110], -v[114:115]
	v_fma_f64 v[3:4], v[3:4], v[109:110], v[111:112]
	buffer_store_dword v2, off, s[0:3], 0 offset:644
	buffer_store_dword v1, off, s[0:3], 0 offset:640
	;; [unrolled: 1-line block ×4, first 2 shown]
.LBB114_83:
	s_or_b32 exec_lo, exec_lo, s8
	v_mov_b32_e32 v4, s18
	v_cmp_lt_u32_e64 s4, 39, v0
	s_clause 0x3
	buffer_load_dword v1, v4, s[0:3], 0 offen
	buffer_load_dword v2, v4, s[0:3], 0 offen offset:4
	buffer_load_dword v3, v4, s[0:3], 0 offen offset:8
	;; [unrolled: 1-line block ×3, first 2 shown]
	s_waitcnt vmcnt(0)
	ds_write_b128 v108, v[1:4]
	s_waitcnt lgkmcnt(0)
	s_waitcnt_vscnt null, 0x0
	s_barrier
	buffer_gl0_inv
	s_and_saveexec_b32 s8, s4
	s_cbranch_execz .LBB114_91
; %bb.84:
	ds_read_b128 v[1:4], v108
	s_andn2_b32 vcc_lo, exec_lo, s58
	s_cbranch_vccnz .LBB114_86
; %bb.85:
	s_clause 0x3
	buffer_load_dword v109, v107, s[0:3], 0 offen offset:8
	buffer_load_dword v110, v107, s[0:3], 0 offen offset:12
	buffer_load_dword v111, v107, s[0:3], 0 offen
	buffer_load_dword v112, v107, s[0:3], 0 offen offset:4
	s_waitcnt vmcnt(2) lgkmcnt(0)
	v_mul_f64 v[114:115], v[3:4], v[109:110]
	v_mul_f64 v[109:110], v[1:2], v[109:110]
	s_waitcnt vmcnt(0)
	v_fma_f64 v[1:2], v[1:2], v[111:112], -v[114:115]
	v_fma_f64 v[3:4], v[3:4], v[111:112], v[109:110]
.LBB114_86:
	s_and_saveexec_b32 s59, s5
	s_cbranch_execz .LBB114_90
; %bb.87:
	v_subrev_nc_u32_e32 v109, 40, v0
	s_movk_i32 s60, 0x5b0
	s_mov_b32 s5, 0
	s_mov_b32 s61, s17
	.p2align	6
.LBB114_88:                             ; =>This Inner Loop Header: Depth=1
	v_mov_b32_e32 v112, s61
	v_add_nc_u32_e32 v109, -1, v109
	s_add_i32 s61, s61, 16
	s_clause 0x3
	buffer_load_dword v110, v112, s[0:3], 0 offen offset:8
	buffer_load_dword v111, v112, s[0:3], 0 offen offset:12
	buffer_load_dword v118, v112, s[0:3], 0 offen
	buffer_load_dword v119, v112, s[0:3], 0 offen offset:4
	v_mov_b32_e32 v112, s60
	v_cmp_eq_u32_e32 vcc_lo, 0, v109
	s_add_i32 s60, s60, 16
	ds_read_b128 v[114:117], v112
	s_or_b32 s5, vcc_lo, s5
	s_waitcnt vmcnt(2) lgkmcnt(0)
	v_mul_f64 v[120:121], v[116:117], v[110:111]
	v_mul_f64 v[110:111], v[114:115], v[110:111]
	s_waitcnt vmcnt(0)
	v_fma_f64 v[114:115], v[114:115], v[118:119], -v[120:121]
	v_fma_f64 v[110:111], v[116:117], v[118:119], v[110:111]
	v_add_f64 v[1:2], v[1:2], v[114:115]
	v_add_f64 v[3:4], v[3:4], v[110:111]
	s_andn2_b32 exec_lo, exec_lo, s5
	s_cbranch_execnz .LBB114_88
; %bb.89:
	s_or_b32 exec_lo, exec_lo, s5
.LBB114_90:
	s_or_b32 exec_lo, exec_lo, s59
	v_mov_b32_e32 v109, 0
	ds_read_b128 v[109:112], v109 offset:624
	s_waitcnt lgkmcnt(0)
	v_mul_f64 v[114:115], v[3:4], v[111:112]
	v_mul_f64 v[111:112], v[1:2], v[111:112]
	v_fma_f64 v[1:2], v[1:2], v[109:110], -v[114:115]
	v_fma_f64 v[3:4], v[3:4], v[109:110], v[111:112]
	buffer_store_dword v2, off, s[0:3], 0 offset:628
	buffer_store_dword v1, off, s[0:3], 0 offset:624
	;; [unrolled: 1-line block ×4, first 2 shown]
.LBB114_91:
	s_or_b32 exec_lo, exec_lo, s8
	v_mov_b32_e32 v4, s19
	v_cmp_lt_u32_e64 s5, 38, v0
	s_clause 0x3
	buffer_load_dword v1, v4, s[0:3], 0 offen
	buffer_load_dword v2, v4, s[0:3], 0 offen offset:4
	buffer_load_dword v3, v4, s[0:3], 0 offen offset:8
	;; [unrolled: 1-line block ×3, first 2 shown]
	s_waitcnt vmcnt(0)
	ds_write_b128 v108, v[1:4]
	s_waitcnt lgkmcnt(0)
	s_waitcnt_vscnt null, 0x0
	s_barrier
	buffer_gl0_inv
	s_and_saveexec_b32 s8, s5
	s_cbranch_execz .LBB114_99
; %bb.92:
	ds_read_b128 v[1:4], v108
	s_andn2_b32 vcc_lo, exec_lo, s58
	s_cbranch_vccnz .LBB114_94
; %bb.93:
	s_clause 0x3
	buffer_load_dword v109, v107, s[0:3], 0 offen offset:8
	buffer_load_dword v110, v107, s[0:3], 0 offen offset:12
	buffer_load_dword v111, v107, s[0:3], 0 offen
	buffer_load_dword v112, v107, s[0:3], 0 offen offset:4
	s_waitcnt vmcnt(2) lgkmcnt(0)
	v_mul_f64 v[114:115], v[3:4], v[109:110]
	v_mul_f64 v[109:110], v[1:2], v[109:110]
	s_waitcnt vmcnt(0)
	v_fma_f64 v[1:2], v[1:2], v[111:112], -v[114:115]
	v_fma_f64 v[3:4], v[3:4], v[111:112], v[109:110]
.LBB114_94:
	s_and_saveexec_b32 s59, s4
	s_cbranch_execz .LBB114_98
; %bb.95:
	v_subrev_nc_u32_e32 v109, 39, v0
	s_movk_i32 s60, 0x5a0
	s_mov_b32 s4, 0
	s_mov_b32 s61, s18
	.p2align	6
.LBB114_96:                             ; =>This Inner Loop Header: Depth=1
	v_mov_b32_e32 v112, s61
	v_add_nc_u32_e32 v109, -1, v109
	s_add_i32 s61, s61, 16
	s_clause 0x3
	buffer_load_dword v110, v112, s[0:3], 0 offen offset:8
	buffer_load_dword v111, v112, s[0:3], 0 offen offset:12
	buffer_load_dword v118, v112, s[0:3], 0 offen
	buffer_load_dword v119, v112, s[0:3], 0 offen offset:4
	v_mov_b32_e32 v112, s60
	v_cmp_eq_u32_e32 vcc_lo, 0, v109
	s_add_i32 s60, s60, 16
	ds_read_b128 v[114:117], v112
	s_or_b32 s4, vcc_lo, s4
	s_waitcnt vmcnt(2) lgkmcnt(0)
	v_mul_f64 v[120:121], v[116:117], v[110:111]
	v_mul_f64 v[110:111], v[114:115], v[110:111]
	s_waitcnt vmcnt(0)
	v_fma_f64 v[114:115], v[114:115], v[118:119], -v[120:121]
	v_fma_f64 v[110:111], v[116:117], v[118:119], v[110:111]
	v_add_f64 v[1:2], v[1:2], v[114:115]
	v_add_f64 v[3:4], v[3:4], v[110:111]
	s_andn2_b32 exec_lo, exec_lo, s4
	s_cbranch_execnz .LBB114_96
; %bb.97:
	s_or_b32 exec_lo, exec_lo, s4
.LBB114_98:
	s_or_b32 exec_lo, exec_lo, s59
	v_mov_b32_e32 v109, 0
	ds_read_b128 v[109:112], v109 offset:608
	s_waitcnt lgkmcnt(0)
	v_mul_f64 v[114:115], v[3:4], v[111:112]
	v_mul_f64 v[111:112], v[1:2], v[111:112]
	v_fma_f64 v[1:2], v[1:2], v[109:110], -v[114:115]
	v_fma_f64 v[3:4], v[3:4], v[109:110], v[111:112]
	buffer_store_dword v2, off, s[0:3], 0 offset:612
	buffer_store_dword v1, off, s[0:3], 0 offset:608
	;; [unrolled: 1-line block ×4, first 2 shown]
.LBB114_99:
	s_or_b32 exec_lo, exec_lo, s8
	v_mov_b32_e32 v4, s20
	v_cmp_lt_u32_e64 s4, 37, v0
	s_clause 0x3
	buffer_load_dword v1, v4, s[0:3], 0 offen
	buffer_load_dword v2, v4, s[0:3], 0 offen offset:4
	buffer_load_dword v3, v4, s[0:3], 0 offen offset:8
	;; [unrolled: 1-line block ×3, first 2 shown]
	s_waitcnt vmcnt(0)
	ds_write_b128 v108, v[1:4]
	s_waitcnt lgkmcnt(0)
	s_waitcnt_vscnt null, 0x0
	s_barrier
	buffer_gl0_inv
	s_and_saveexec_b32 s8, s4
	s_cbranch_execz .LBB114_107
; %bb.100:
	ds_read_b128 v[1:4], v108
	s_andn2_b32 vcc_lo, exec_lo, s58
	s_cbranch_vccnz .LBB114_102
; %bb.101:
	s_clause 0x3
	buffer_load_dword v109, v107, s[0:3], 0 offen offset:8
	buffer_load_dword v110, v107, s[0:3], 0 offen offset:12
	buffer_load_dword v111, v107, s[0:3], 0 offen
	buffer_load_dword v112, v107, s[0:3], 0 offen offset:4
	s_waitcnt vmcnt(2) lgkmcnt(0)
	v_mul_f64 v[114:115], v[3:4], v[109:110]
	v_mul_f64 v[109:110], v[1:2], v[109:110]
	s_waitcnt vmcnt(0)
	v_fma_f64 v[1:2], v[1:2], v[111:112], -v[114:115]
	v_fma_f64 v[3:4], v[3:4], v[111:112], v[109:110]
.LBB114_102:
	s_and_saveexec_b32 s59, s5
	s_cbranch_execz .LBB114_106
; %bb.103:
	v_subrev_nc_u32_e32 v109, 38, v0
	s_movk_i32 s60, 0x590
	s_mov_b32 s5, 0
	s_mov_b32 s61, s19
	.p2align	6
.LBB114_104:                            ; =>This Inner Loop Header: Depth=1
	v_mov_b32_e32 v112, s61
	v_add_nc_u32_e32 v109, -1, v109
	s_add_i32 s61, s61, 16
	s_clause 0x3
	buffer_load_dword v110, v112, s[0:3], 0 offen offset:8
	buffer_load_dword v111, v112, s[0:3], 0 offen offset:12
	buffer_load_dword v118, v112, s[0:3], 0 offen
	buffer_load_dword v119, v112, s[0:3], 0 offen offset:4
	v_mov_b32_e32 v112, s60
	v_cmp_eq_u32_e32 vcc_lo, 0, v109
	s_add_i32 s60, s60, 16
	ds_read_b128 v[114:117], v112
	s_or_b32 s5, vcc_lo, s5
	s_waitcnt vmcnt(2) lgkmcnt(0)
	v_mul_f64 v[120:121], v[116:117], v[110:111]
	v_mul_f64 v[110:111], v[114:115], v[110:111]
	s_waitcnt vmcnt(0)
	v_fma_f64 v[114:115], v[114:115], v[118:119], -v[120:121]
	v_fma_f64 v[110:111], v[116:117], v[118:119], v[110:111]
	v_add_f64 v[1:2], v[1:2], v[114:115]
	v_add_f64 v[3:4], v[3:4], v[110:111]
	s_andn2_b32 exec_lo, exec_lo, s5
	s_cbranch_execnz .LBB114_104
; %bb.105:
	s_or_b32 exec_lo, exec_lo, s5
.LBB114_106:
	s_or_b32 exec_lo, exec_lo, s59
	v_mov_b32_e32 v109, 0
	ds_read_b128 v[109:112], v109 offset:592
	s_waitcnt lgkmcnt(0)
	v_mul_f64 v[114:115], v[3:4], v[111:112]
	v_mul_f64 v[111:112], v[1:2], v[111:112]
	v_fma_f64 v[1:2], v[1:2], v[109:110], -v[114:115]
	v_fma_f64 v[3:4], v[3:4], v[109:110], v[111:112]
	buffer_store_dword v2, off, s[0:3], 0 offset:596
	buffer_store_dword v1, off, s[0:3], 0 offset:592
	;; [unrolled: 1-line block ×4, first 2 shown]
.LBB114_107:
	s_or_b32 exec_lo, exec_lo, s8
	v_mov_b32_e32 v4, s21
	v_cmp_lt_u32_e64 s5, 36, v0
	s_clause 0x3
	buffer_load_dword v1, v4, s[0:3], 0 offen
	buffer_load_dword v2, v4, s[0:3], 0 offen offset:4
	buffer_load_dword v3, v4, s[0:3], 0 offen offset:8
	;; [unrolled: 1-line block ×3, first 2 shown]
	s_waitcnt vmcnt(0)
	ds_write_b128 v108, v[1:4]
	s_waitcnt lgkmcnt(0)
	s_waitcnt_vscnt null, 0x0
	s_barrier
	buffer_gl0_inv
	s_and_saveexec_b32 s8, s5
	s_cbranch_execz .LBB114_115
; %bb.108:
	ds_read_b128 v[1:4], v108
	s_andn2_b32 vcc_lo, exec_lo, s58
	s_cbranch_vccnz .LBB114_110
; %bb.109:
	s_clause 0x3
	buffer_load_dword v109, v107, s[0:3], 0 offen offset:8
	buffer_load_dword v110, v107, s[0:3], 0 offen offset:12
	buffer_load_dword v111, v107, s[0:3], 0 offen
	buffer_load_dword v112, v107, s[0:3], 0 offen offset:4
	s_waitcnt vmcnt(2) lgkmcnt(0)
	v_mul_f64 v[114:115], v[3:4], v[109:110]
	v_mul_f64 v[109:110], v[1:2], v[109:110]
	s_waitcnt vmcnt(0)
	v_fma_f64 v[1:2], v[1:2], v[111:112], -v[114:115]
	v_fma_f64 v[3:4], v[3:4], v[111:112], v[109:110]
.LBB114_110:
	s_and_saveexec_b32 s59, s4
	s_cbranch_execz .LBB114_114
; %bb.111:
	v_subrev_nc_u32_e32 v109, 37, v0
	s_movk_i32 s60, 0x580
	s_mov_b32 s4, 0
	s_mov_b32 s61, s20
	.p2align	6
.LBB114_112:                            ; =>This Inner Loop Header: Depth=1
	v_mov_b32_e32 v112, s61
	v_add_nc_u32_e32 v109, -1, v109
	s_add_i32 s61, s61, 16
	s_clause 0x3
	buffer_load_dword v110, v112, s[0:3], 0 offen offset:8
	buffer_load_dword v111, v112, s[0:3], 0 offen offset:12
	buffer_load_dword v118, v112, s[0:3], 0 offen
	buffer_load_dword v119, v112, s[0:3], 0 offen offset:4
	v_mov_b32_e32 v112, s60
	v_cmp_eq_u32_e32 vcc_lo, 0, v109
	s_add_i32 s60, s60, 16
	ds_read_b128 v[114:117], v112
	s_or_b32 s4, vcc_lo, s4
	s_waitcnt vmcnt(2) lgkmcnt(0)
	v_mul_f64 v[120:121], v[116:117], v[110:111]
	v_mul_f64 v[110:111], v[114:115], v[110:111]
	s_waitcnt vmcnt(0)
	v_fma_f64 v[114:115], v[114:115], v[118:119], -v[120:121]
	v_fma_f64 v[110:111], v[116:117], v[118:119], v[110:111]
	v_add_f64 v[1:2], v[1:2], v[114:115]
	v_add_f64 v[3:4], v[3:4], v[110:111]
	s_andn2_b32 exec_lo, exec_lo, s4
	s_cbranch_execnz .LBB114_112
; %bb.113:
	s_or_b32 exec_lo, exec_lo, s4
.LBB114_114:
	s_or_b32 exec_lo, exec_lo, s59
	v_mov_b32_e32 v109, 0
	ds_read_b128 v[109:112], v109 offset:576
	s_waitcnt lgkmcnt(0)
	v_mul_f64 v[114:115], v[3:4], v[111:112]
	v_mul_f64 v[111:112], v[1:2], v[111:112]
	v_fma_f64 v[1:2], v[1:2], v[109:110], -v[114:115]
	v_fma_f64 v[3:4], v[3:4], v[109:110], v[111:112]
	buffer_store_dword v2, off, s[0:3], 0 offset:580
	buffer_store_dword v1, off, s[0:3], 0 offset:576
	;; [unrolled: 1-line block ×4, first 2 shown]
.LBB114_115:
	s_or_b32 exec_lo, exec_lo, s8
	v_mov_b32_e32 v4, s22
	v_cmp_lt_u32_e64 s4, 35, v0
	s_clause 0x3
	buffer_load_dword v1, v4, s[0:3], 0 offen
	buffer_load_dword v2, v4, s[0:3], 0 offen offset:4
	buffer_load_dword v3, v4, s[0:3], 0 offen offset:8
	;; [unrolled: 1-line block ×3, first 2 shown]
	s_waitcnt vmcnt(0)
	ds_write_b128 v108, v[1:4]
	s_waitcnt lgkmcnt(0)
	s_waitcnt_vscnt null, 0x0
	s_barrier
	buffer_gl0_inv
	s_and_saveexec_b32 s8, s4
	s_cbranch_execz .LBB114_123
; %bb.116:
	ds_read_b128 v[1:4], v108
	s_andn2_b32 vcc_lo, exec_lo, s58
	s_cbranch_vccnz .LBB114_118
; %bb.117:
	s_clause 0x3
	buffer_load_dword v109, v107, s[0:3], 0 offen offset:8
	buffer_load_dword v110, v107, s[0:3], 0 offen offset:12
	buffer_load_dword v111, v107, s[0:3], 0 offen
	buffer_load_dword v112, v107, s[0:3], 0 offen offset:4
	s_waitcnt vmcnt(2) lgkmcnt(0)
	v_mul_f64 v[114:115], v[3:4], v[109:110]
	v_mul_f64 v[109:110], v[1:2], v[109:110]
	s_waitcnt vmcnt(0)
	v_fma_f64 v[1:2], v[1:2], v[111:112], -v[114:115]
	v_fma_f64 v[3:4], v[3:4], v[111:112], v[109:110]
.LBB114_118:
	s_and_saveexec_b32 s59, s5
	s_cbranch_execz .LBB114_122
; %bb.119:
	v_subrev_nc_u32_e32 v109, 36, v0
	s_movk_i32 s60, 0x570
	s_mov_b32 s5, 0
	s_mov_b32 s61, s21
	.p2align	6
.LBB114_120:                            ; =>This Inner Loop Header: Depth=1
	v_mov_b32_e32 v112, s61
	v_add_nc_u32_e32 v109, -1, v109
	s_add_i32 s61, s61, 16
	s_clause 0x3
	buffer_load_dword v110, v112, s[0:3], 0 offen offset:8
	buffer_load_dword v111, v112, s[0:3], 0 offen offset:12
	buffer_load_dword v118, v112, s[0:3], 0 offen
	buffer_load_dword v119, v112, s[0:3], 0 offen offset:4
	v_mov_b32_e32 v112, s60
	v_cmp_eq_u32_e32 vcc_lo, 0, v109
	s_add_i32 s60, s60, 16
	ds_read_b128 v[114:117], v112
	s_or_b32 s5, vcc_lo, s5
	s_waitcnt vmcnt(2) lgkmcnt(0)
	v_mul_f64 v[120:121], v[116:117], v[110:111]
	v_mul_f64 v[110:111], v[114:115], v[110:111]
	s_waitcnt vmcnt(0)
	v_fma_f64 v[114:115], v[114:115], v[118:119], -v[120:121]
	v_fma_f64 v[110:111], v[116:117], v[118:119], v[110:111]
	v_add_f64 v[1:2], v[1:2], v[114:115]
	v_add_f64 v[3:4], v[3:4], v[110:111]
	s_andn2_b32 exec_lo, exec_lo, s5
	s_cbranch_execnz .LBB114_120
; %bb.121:
	s_or_b32 exec_lo, exec_lo, s5
.LBB114_122:
	s_or_b32 exec_lo, exec_lo, s59
	v_mov_b32_e32 v109, 0
	ds_read_b128 v[109:112], v109 offset:560
	s_waitcnt lgkmcnt(0)
	v_mul_f64 v[114:115], v[3:4], v[111:112]
	v_mul_f64 v[111:112], v[1:2], v[111:112]
	v_fma_f64 v[1:2], v[1:2], v[109:110], -v[114:115]
	v_fma_f64 v[3:4], v[3:4], v[109:110], v[111:112]
	buffer_store_dword v2, off, s[0:3], 0 offset:564
	buffer_store_dword v1, off, s[0:3], 0 offset:560
	;; [unrolled: 1-line block ×4, first 2 shown]
.LBB114_123:
	s_or_b32 exec_lo, exec_lo, s8
	v_mov_b32_e32 v4, s23
	v_cmp_lt_u32_e64 s5, 34, v0
	s_clause 0x3
	buffer_load_dword v1, v4, s[0:3], 0 offen
	buffer_load_dword v2, v4, s[0:3], 0 offen offset:4
	buffer_load_dword v3, v4, s[0:3], 0 offen offset:8
	;; [unrolled: 1-line block ×3, first 2 shown]
	s_waitcnt vmcnt(0)
	ds_write_b128 v108, v[1:4]
	s_waitcnt lgkmcnt(0)
	s_waitcnt_vscnt null, 0x0
	s_barrier
	buffer_gl0_inv
	s_and_saveexec_b32 s8, s5
	s_cbranch_execz .LBB114_131
; %bb.124:
	ds_read_b128 v[1:4], v108
	s_andn2_b32 vcc_lo, exec_lo, s58
	s_cbranch_vccnz .LBB114_126
; %bb.125:
	s_clause 0x3
	buffer_load_dword v109, v107, s[0:3], 0 offen offset:8
	buffer_load_dword v110, v107, s[0:3], 0 offen offset:12
	buffer_load_dword v111, v107, s[0:3], 0 offen
	buffer_load_dword v112, v107, s[0:3], 0 offen offset:4
	s_waitcnt vmcnt(2) lgkmcnt(0)
	v_mul_f64 v[114:115], v[3:4], v[109:110]
	v_mul_f64 v[109:110], v[1:2], v[109:110]
	s_waitcnt vmcnt(0)
	v_fma_f64 v[1:2], v[1:2], v[111:112], -v[114:115]
	v_fma_f64 v[3:4], v[3:4], v[111:112], v[109:110]
.LBB114_126:
	s_and_saveexec_b32 s59, s4
	s_cbranch_execz .LBB114_130
; %bb.127:
	v_subrev_nc_u32_e32 v109, 35, v0
	s_movk_i32 s60, 0x560
	s_mov_b32 s4, 0
	s_mov_b32 s61, s22
	.p2align	6
.LBB114_128:                            ; =>This Inner Loop Header: Depth=1
	v_mov_b32_e32 v112, s61
	v_add_nc_u32_e32 v109, -1, v109
	s_add_i32 s61, s61, 16
	s_clause 0x3
	buffer_load_dword v110, v112, s[0:3], 0 offen offset:8
	buffer_load_dword v111, v112, s[0:3], 0 offen offset:12
	buffer_load_dword v118, v112, s[0:3], 0 offen
	buffer_load_dword v119, v112, s[0:3], 0 offen offset:4
	v_mov_b32_e32 v112, s60
	v_cmp_eq_u32_e32 vcc_lo, 0, v109
	s_add_i32 s60, s60, 16
	ds_read_b128 v[114:117], v112
	s_or_b32 s4, vcc_lo, s4
	s_waitcnt vmcnt(2) lgkmcnt(0)
	v_mul_f64 v[120:121], v[116:117], v[110:111]
	v_mul_f64 v[110:111], v[114:115], v[110:111]
	s_waitcnt vmcnt(0)
	v_fma_f64 v[114:115], v[114:115], v[118:119], -v[120:121]
	v_fma_f64 v[110:111], v[116:117], v[118:119], v[110:111]
	v_add_f64 v[1:2], v[1:2], v[114:115]
	v_add_f64 v[3:4], v[3:4], v[110:111]
	s_andn2_b32 exec_lo, exec_lo, s4
	s_cbranch_execnz .LBB114_128
; %bb.129:
	s_or_b32 exec_lo, exec_lo, s4
.LBB114_130:
	s_or_b32 exec_lo, exec_lo, s59
	v_mov_b32_e32 v109, 0
	ds_read_b128 v[109:112], v109 offset:544
	s_waitcnt lgkmcnt(0)
	v_mul_f64 v[114:115], v[3:4], v[111:112]
	v_mul_f64 v[111:112], v[1:2], v[111:112]
	v_fma_f64 v[1:2], v[1:2], v[109:110], -v[114:115]
	v_fma_f64 v[3:4], v[3:4], v[109:110], v[111:112]
	buffer_store_dword v2, off, s[0:3], 0 offset:548
	buffer_store_dword v1, off, s[0:3], 0 offset:544
	;; [unrolled: 1-line block ×4, first 2 shown]
.LBB114_131:
	s_or_b32 exec_lo, exec_lo, s8
	v_mov_b32_e32 v4, s24
	v_cmp_lt_u32_e64 s4, 33, v0
	s_clause 0x3
	buffer_load_dword v1, v4, s[0:3], 0 offen
	buffer_load_dword v2, v4, s[0:3], 0 offen offset:4
	buffer_load_dword v3, v4, s[0:3], 0 offen offset:8
	;; [unrolled: 1-line block ×3, first 2 shown]
	s_waitcnt vmcnt(0)
	ds_write_b128 v108, v[1:4]
	s_waitcnt lgkmcnt(0)
	s_waitcnt_vscnt null, 0x0
	s_barrier
	buffer_gl0_inv
	s_and_saveexec_b32 s8, s4
	s_cbranch_execz .LBB114_139
; %bb.132:
	ds_read_b128 v[1:4], v108
	s_andn2_b32 vcc_lo, exec_lo, s58
	s_cbranch_vccnz .LBB114_134
; %bb.133:
	s_clause 0x3
	buffer_load_dword v109, v107, s[0:3], 0 offen offset:8
	buffer_load_dword v110, v107, s[0:3], 0 offen offset:12
	buffer_load_dword v111, v107, s[0:3], 0 offen
	buffer_load_dword v112, v107, s[0:3], 0 offen offset:4
	s_waitcnt vmcnt(2) lgkmcnt(0)
	v_mul_f64 v[114:115], v[3:4], v[109:110]
	v_mul_f64 v[109:110], v[1:2], v[109:110]
	s_waitcnt vmcnt(0)
	v_fma_f64 v[1:2], v[1:2], v[111:112], -v[114:115]
	v_fma_f64 v[3:4], v[3:4], v[111:112], v[109:110]
.LBB114_134:
	s_and_saveexec_b32 s59, s5
	s_cbranch_execz .LBB114_138
; %bb.135:
	v_subrev_nc_u32_e32 v109, 34, v0
	s_movk_i32 s60, 0x550
	s_mov_b32 s5, 0
	s_mov_b32 s61, s23
	.p2align	6
.LBB114_136:                            ; =>This Inner Loop Header: Depth=1
	v_mov_b32_e32 v112, s61
	v_add_nc_u32_e32 v109, -1, v109
	s_add_i32 s61, s61, 16
	s_clause 0x3
	buffer_load_dword v110, v112, s[0:3], 0 offen offset:8
	buffer_load_dword v111, v112, s[0:3], 0 offen offset:12
	buffer_load_dword v118, v112, s[0:3], 0 offen
	buffer_load_dword v119, v112, s[0:3], 0 offen offset:4
	v_mov_b32_e32 v112, s60
	v_cmp_eq_u32_e32 vcc_lo, 0, v109
	s_add_i32 s60, s60, 16
	ds_read_b128 v[114:117], v112
	s_or_b32 s5, vcc_lo, s5
	s_waitcnt vmcnt(2) lgkmcnt(0)
	v_mul_f64 v[120:121], v[116:117], v[110:111]
	v_mul_f64 v[110:111], v[114:115], v[110:111]
	s_waitcnt vmcnt(0)
	v_fma_f64 v[114:115], v[114:115], v[118:119], -v[120:121]
	v_fma_f64 v[110:111], v[116:117], v[118:119], v[110:111]
	v_add_f64 v[1:2], v[1:2], v[114:115]
	v_add_f64 v[3:4], v[3:4], v[110:111]
	s_andn2_b32 exec_lo, exec_lo, s5
	s_cbranch_execnz .LBB114_136
; %bb.137:
	s_or_b32 exec_lo, exec_lo, s5
.LBB114_138:
	s_or_b32 exec_lo, exec_lo, s59
	v_mov_b32_e32 v109, 0
	ds_read_b128 v[109:112], v109 offset:528
	s_waitcnt lgkmcnt(0)
	v_mul_f64 v[114:115], v[3:4], v[111:112]
	v_mul_f64 v[111:112], v[1:2], v[111:112]
	v_fma_f64 v[1:2], v[1:2], v[109:110], -v[114:115]
	v_fma_f64 v[3:4], v[3:4], v[109:110], v[111:112]
	buffer_store_dword v2, off, s[0:3], 0 offset:532
	buffer_store_dword v1, off, s[0:3], 0 offset:528
	;; [unrolled: 1-line block ×4, first 2 shown]
.LBB114_139:
	s_or_b32 exec_lo, exec_lo, s8
	v_mov_b32_e32 v4, s25
	v_cmp_lt_u32_e64 s5, 32, v0
	s_clause 0x3
	buffer_load_dword v1, v4, s[0:3], 0 offen
	buffer_load_dword v2, v4, s[0:3], 0 offen offset:4
	buffer_load_dword v3, v4, s[0:3], 0 offen offset:8
	;; [unrolled: 1-line block ×3, first 2 shown]
	s_waitcnt vmcnt(0)
	ds_write_b128 v108, v[1:4]
	s_waitcnt lgkmcnt(0)
	s_waitcnt_vscnt null, 0x0
	s_barrier
	buffer_gl0_inv
	s_and_saveexec_b32 s8, s5
	s_cbranch_execz .LBB114_147
; %bb.140:
	ds_read_b128 v[1:4], v108
	s_andn2_b32 vcc_lo, exec_lo, s58
	s_cbranch_vccnz .LBB114_142
; %bb.141:
	s_clause 0x3
	buffer_load_dword v109, v107, s[0:3], 0 offen offset:8
	buffer_load_dword v110, v107, s[0:3], 0 offen offset:12
	buffer_load_dword v111, v107, s[0:3], 0 offen
	buffer_load_dword v112, v107, s[0:3], 0 offen offset:4
	s_waitcnt vmcnt(2) lgkmcnt(0)
	v_mul_f64 v[114:115], v[3:4], v[109:110]
	v_mul_f64 v[109:110], v[1:2], v[109:110]
	s_waitcnt vmcnt(0)
	v_fma_f64 v[1:2], v[1:2], v[111:112], -v[114:115]
	v_fma_f64 v[3:4], v[3:4], v[111:112], v[109:110]
.LBB114_142:
	s_and_saveexec_b32 s59, s4
	s_cbranch_execz .LBB114_146
; %bb.143:
	v_subrev_nc_u32_e32 v109, 33, v0
	s_movk_i32 s60, 0x540
	s_mov_b32 s4, 0
	s_mov_b32 s61, s24
	.p2align	6
.LBB114_144:                            ; =>This Inner Loop Header: Depth=1
	v_mov_b32_e32 v112, s61
	v_add_nc_u32_e32 v109, -1, v109
	s_add_i32 s61, s61, 16
	s_clause 0x3
	buffer_load_dword v110, v112, s[0:3], 0 offen offset:8
	buffer_load_dword v111, v112, s[0:3], 0 offen offset:12
	buffer_load_dword v118, v112, s[0:3], 0 offen
	buffer_load_dword v119, v112, s[0:3], 0 offen offset:4
	v_mov_b32_e32 v112, s60
	v_cmp_eq_u32_e32 vcc_lo, 0, v109
	s_add_i32 s60, s60, 16
	ds_read_b128 v[114:117], v112
	s_or_b32 s4, vcc_lo, s4
	s_waitcnt vmcnt(2) lgkmcnt(0)
	v_mul_f64 v[120:121], v[116:117], v[110:111]
	v_mul_f64 v[110:111], v[114:115], v[110:111]
	s_waitcnt vmcnt(0)
	v_fma_f64 v[114:115], v[114:115], v[118:119], -v[120:121]
	v_fma_f64 v[110:111], v[116:117], v[118:119], v[110:111]
	v_add_f64 v[1:2], v[1:2], v[114:115]
	v_add_f64 v[3:4], v[3:4], v[110:111]
	s_andn2_b32 exec_lo, exec_lo, s4
	s_cbranch_execnz .LBB114_144
; %bb.145:
	s_or_b32 exec_lo, exec_lo, s4
.LBB114_146:
	s_or_b32 exec_lo, exec_lo, s59
	v_mov_b32_e32 v109, 0
	ds_read_b128 v[109:112], v109 offset:512
	s_waitcnt lgkmcnt(0)
	v_mul_f64 v[114:115], v[3:4], v[111:112]
	v_mul_f64 v[111:112], v[1:2], v[111:112]
	v_fma_f64 v[1:2], v[1:2], v[109:110], -v[114:115]
	v_fma_f64 v[3:4], v[3:4], v[109:110], v[111:112]
	buffer_store_dword v2, off, s[0:3], 0 offset:516
	buffer_store_dword v1, off, s[0:3], 0 offset:512
	;; [unrolled: 1-line block ×4, first 2 shown]
.LBB114_147:
	s_or_b32 exec_lo, exec_lo, s8
	v_mov_b32_e32 v4, s26
	v_cmp_lt_u32_e64 s4, 31, v0
	s_clause 0x3
	buffer_load_dword v1, v4, s[0:3], 0 offen
	buffer_load_dword v2, v4, s[0:3], 0 offen offset:4
	buffer_load_dword v3, v4, s[0:3], 0 offen offset:8
	;; [unrolled: 1-line block ×3, first 2 shown]
	s_waitcnt vmcnt(0)
	ds_write_b128 v108, v[1:4]
	s_waitcnt lgkmcnt(0)
	s_waitcnt_vscnt null, 0x0
	s_barrier
	buffer_gl0_inv
	s_and_saveexec_b32 s8, s4
	s_cbranch_execz .LBB114_155
; %bb.148:
	ds_read_b128 v[1:4], v108
	s_andn2_b32 vcc_lo, exec_lo, s58
	s_cbranch_vccnz .LBB114_150
; %bb.149:
	s_clause 0x3
	buffer_load_dword v109, v107, s[0:3], 0 offen offset:8
	buffer_load_dword v110, v107, s[0:3], 0 offen offset:12
	buffer_load_dword v111, v107, s[0:3], 0 offen
	buffer_load_dword v112, v107, s[0:3], 0 offen offset:4
	s_waitcnt vmcnt(2) lgkmcnt(0)
	v_mul_f64 v[114:115], v[3:4], v[109:110]
	v_mul_f64 v[109:110], v[1:2], v[109:110]
	s_waitcnt vmcnt(0)
	v_fma_f64 v[1:2], v[1:2], v[111:112], -v[114:115]
	v_fma_f64 v[3:4], v[3:4], v[111:112], v[109:110]
.LBB114_150:
	s_and_saveexec_b32 s59, s5
	s_cbranch_execz .LBB114_154
; %bb.151:
	v_subrev_nc_u32_e32 v109, 32, v0
	s_movk_i32 s60, 0x530
	s_mov_b32 s5, 0
	s_mov_b32 s61, s25
	.p2align	6
.LBB114_152:                            ; =>This Inner Loop Header: Depth=1
	v_mov_b32_e32 v112, s61
	v_add_nc_u32_e32 v109, -1, v109
	s_add_i32 s61, s61, 16
	s_clause 0x3
	buffer_load_dword v110, v112, s[0:3], 0 offen offset:8
	buffer_load_dword v111, v112, s[0:3], 0 offen offset:12
	buffer_load_dword v118, v112, s[0:3], 0 offen
	buffer_load_dword v119, v112, s[0:3], 0 offen offset:4
	v_mov_b32_e32 v112, s60
	v_cmp_eq_u32_e32 vcc_lo, 0, v109
	s_add_i32 s60, s60, 16
	ds_read_b128 v[114:117], v112
	s_or_b32 s5, vcc_lo, s5
	s_waitcnt vmcnt(2) lgkmcnt(0)
	v_mul_f64 v[120:121], v[116:117], v[110:111]
	v_mul_f64 v[110:111], v[114:115], v[110:111]
	s_waitcnt vmcnt(0)
	v_fma_f64 v[114:115], v[114:115], v[118:119], -v[120:121]
	v_fma_f64 v[110:111], v[116:117], v[118:119], v[110:111]
	v_add_f64 v[1:2], v[1:2], v[114:115]
	v_add_f64 v[3:4], v[3:4], v[110:111]
	s_andn2_b32 exec_lo, exec_lo, s5
	s_cbranch_execnz .LBB114_152
; %bb.153:
	s_or_b32 exec_lo, exec_lo, s5
.LBB114_154:
	s_or_b32 exec_lo, exec_lo, s59
	v_mov_b32_e32 v109, 0
	ds_read_b128 v[109:112], v109 offset:496
	s_waitcnt lgkmcnt(0)
	v_mul_f64 v[114:115], v[3:4], v[111:112]
	v_mul_f64 v[111:112], v[1:2], v[111:112]
	v_fma_f64 v[1:2], v[1:2], v[109:110], -v[114:115]
	v_fma_f64 v[3:4], v[3:4], v[109:110], v[111:112]
	buffer_store_dword v2, off, s[0:3], 0 offset:500
	buffer_store_dword v1, off, s[0:3], 0 offset:496
	buffer_store_dword v4, off, s[0:3], 0 offset:508
	buffer_store_dword v3, off, s[0:3], 0 offset:504
.LBB114_155:
	s_or_b32 exec_lo, exec_lo, s8
	v_mov_b32_e32 v4, s27
	v_cmp_lt_u32_e64 s5, 30, v0
	s_clause 0x3
	buffer_load_dword v1, v4, s[0:3], 0 offen
	buffer_load_dword v2, v4, s[0:3], 0 offen offset:4
	buffer_load_dword v3, v4, s[0:3], 0 offen offset:8
	;; [unrolled: 1-line block ×3, first 2 shown]
	s_waitcnt vmcnt(0)
	ds_write_b128 v108, v[1:4]
	s_waitcnt lgkmcnt(0)
	s_waitcnt_vscnt null, 0x0
	s_barrier
	buffer_gl0_inv
	s_and_saveexec_b32 s8, s5
	s_cbranch_execz .LBB114_163
; %bb.156:
	ds_read_b128 v[1:4], v108
	s_andn2_b32 vcc_lo, exec_lo, s58
	s_cbranch_vccnz .LBB114_158
; %bb.157:
	s_clause 0x3
	buffer_load_dword v109, v107, s[0:3], 0 offen offset:8
	buffer_load_dword v110, v107, s[0:3], 0 offen offset:12
	buffer_load_dword v111, v107, s[0:3], 0 offen
	buffer_load_dword v112, v107, s[0:3], 0 offen offset:4
	s_waitcnt vmcnt(2) lgkmcnt(0)
	v_mul_f64 v[114:115], v[3:4], v[109:110]
	v_mul_f64 v[109:110], v[1:2], v[109:110]
	s_waitcnt vmcnt(0)
	v_fma_f64 v[1:2], v[1:2], v[111:112], -v[114:115]
	v_fma_f64 v[3:4], v[3:4], v[111:112], v[109:110]
.LBB114_158:
	s_and_saveexec_b32 s59, s4
	s_cbranch_execz .LBB114_162
; %bb.159:
	v_subrev_nc_u32_e32 v109, 31, v0
	s_movk_i32 s60, 0x520
	s_mov_b32 s4, 0
	s_mov_b32 s61, s26
	.p2align	6
.LBB114_160:                            ; =>This Inner Loop Header: Depth=1
	v_mov_b32_e32 v112, s61
	v_add_nc_u32_e32 v109, -1, v109
	s_add_i32 s61, s61, 16
	s_clause 0x3
	buffer_load_dword v110, v112, s[0:3], 0 offen offset:8
	buffer_load_dword v111, v112, s[0:3], 0 offen offset:12
	buffer_load_dword v118, v112, s[0:3], 0 offen
	buffer_load_dword v119, v112, s[0:3], 0 offen offset:4
	v_mov_b32_e32 v112, s60
	v_cmp_eq_u32_e32 vcc_lo, 0, v109
	s_add_i32 s60, s60, 16
	ds_read_b128 v[114:117], v112
	s_or_b32 s4, vcc_lo, s4
	s_waitcnt vmcnt(2) lgkmcnt(0)
	v_mul_f64 v[120:121], v[116:117], v[110:111]
	v_mul_f64 v[110:111], v[114:115], v[110:111]
	s_waitcnt vmcnt(0)
	v_fma_f64 v[114:115], v[114:115], v[118:119], -v[120:121]
	v_fma_f64 v[110:111], v[116:117], v[118:119], v[110:111]
	v_add_f64 v[1:2], v[1:2], v[114:115]
	v_add_f64 v[3:4], v[3:4], v[110:111]
	s_andn2_b32 exec_lo, exec_lo, s4
	s_cbranch_execnz .LBB114_160
; %bb.161:
	s_or_b32 exec_lo, exec_lo, s4
.LBB114_162:
	s_or_b32 exec_lo, exec_lo, s59
	v_mov_b32_e32 v109, 0
	ds_read_b128 v[109:112], v109 offset:480
	s_waitcnt lgkmcnt(0)
	v_mul_f64 v[114:115], v[3:4], v[111:112]
	v_mul_f64 v[111:112], v[1:2], v[111:112]
	v_fma_f64 v[1:2], v[1:2], v[109:110], -v[114:115]
	v_fma_f64 v[3:4], v[3:4], v[109:110], v[111:112]
	buffer_store_dword v2, off, s[0:3], 0 offset:484
	buffer_store_dword v1, off, s[0:3], 0 offset:480
	;; [unrolled: 1-line block ×4, first 2 shown]
.LBB114_163:
	s_or_b32 exec_lo, exec_lo, s8
	v_mov_b32_e32 v4, s28
	v_cmp_lt_u32_e64 s4, 29, v0
	s_clause 0x3
	buffer_load_dword v1, v4, s[0:3], 0 offen
	buffer_load_dword v2, v4, s[0:3], 0 offen offset:4
	buffer_load_dword v3, v4, s[0:3], 0 offen offset:8
	;; [unrolled: 1-line block ×3, first 2 shown]
	s_waitcnt vmcnt(0)
	ds_write_b128 v108, v[1:4]
	s_waitcnt lgkmcnt(0)
	s_waitcnt_vscnt null, 0x0
	s_barrier
	buffer_gl0_inv
	s_and_saveexec_b32 s8, s4
	s_cbranch_execz .LBB114_171
; %bb.164:
	ds_read_b128 v[1:4], v108
	s_andn2_b32 vcc_lo, exec_lo, s58
	s_cbranch_vccnz .LBB114_166
; %bb.165:
	s_clause 0x3
	buffer_load_dword v109, v107, s[0:3], 0 offen offset:8
	buffer_load_dword v110, v107, s[0:3], 0 offen offset:12
	buffer_load_dword v111, v107, s[0:3], 0 offen
	buffer_load_dword v112, v107, s[0:3], 0 offen offset:4
	s_waitcnt vmcnt(2) lgkmcnt(0)
	v_mul_f64 v[114:115], v[3:4], v[109:110]
	v_mul_f64 v[109:110], v[1:2], v[109:110]
	s_waitcnt vmcnt(0)
	v_fma_f64 v[1:2], v[1:2], v[111:112], -v[114:115]
	v_fma_f64 v[3:4], v[3:4], v[111:112], v[109:110]
.LBB114_166:
	s_and_saveexec_b32 s59, s5
	s_cbranch_execz .LBB114_170
; %bb.167:
	v_subrev_nc_u32_e32 v109, 30, v0
	s_movk_i32 s60, 0x510
	s_mov_b32 s5, 0
	s_mov_b32 s61, s27
	.p2align	6
.LBB114_168:                            ; =>This Inner Loop Header: Depth=1
	v_mov_b32_e32 v112, s61
	v_add_nc_u32_e32 v109, -1, v109
	s_add_i32 s61, s61, 16
	s_clause 0x3
	buffer_load_dword v110, v112, s[0:3], 0 offen offset:8
	buffer_load_dword v111, v112, s[0:3], 0 offen offset:12
	buffer_load_dword v118, v112, s[0:3], 0 offen
	buffer_load_dword v119, v112, s[0:3], 0 offen offset:4
	v_mov_b32_e32 v112, s60
	v_cmp_eq_u32_e32 vcc_lo, 0, v109
	s_add_i32 s60, s60, 16
	ds_read_b128 v[114:117], v112
	s_or_b32 s5, vcc_lo, s5
	s_waitcnt vmcnt(2) lgkmcnt(0)
	v_mul_f64 v[120:121], v[116:117], v[110:111]
	v_mul_f64 v[110:111], v[114:115], v[110:111]
	s_waitcnt vmcnt(0)
	v_fma_f64 v[114:115], v[114:115], v[118:119], -v[120:121]
	v_fma_f64 v[110:111], v[116:117], v[118:119], v[110:111]
	v_add_f64 v[1:2], v[1:2], v[114:115]
	v_add_f64 v[3:4], v[3:4], v[110:111]
	s_andn2_b32 exec_lo, exec_lo, s5
	s_cbranch_execnz .LBB114_168
; %bb.169:
	s_or_b32 exec_lo, exec_lo, s5
.LBB114_170:
	s_or_b32 exec_lo, exec_lo, s59
	v_mov_b32_e32 v109, 0
	ds_read_b128 v[109:112], v109 offset:464
	s_waitcnt lgkmcnt(0)
	v_mul_f64 v[114:115], v[3:4], v[111:112]
	v_mul_f64 v[111:112], v[1:2], v[111:112]
	v_fma_f64 v[1:2], v[1:2], v[109:110], -v[114:115]
	v_fma_f64 v[3:4], v[3:4], v[109:110], v[111:112]
	buffer_store_dword v2, off, s[0:3], 0 offset:468
	buffer_store_dword v1, off, s[0:3], 0 offset:464
	;; [unrolled: 1-line block ×4, first 2 shown]
.LBB114_171:
	s_or_b32 exec_lo, exec_lo, s8
	v_mov_b32_e32 v4, s29
	v_cmp_lt_u32_e64 s5, 28, v0
	s_clause 0x3
	buffer_load_dword v1, v4, s[0:3], 0 offen
	buffer_load_dword v2, v4, s[0:3], 0 offen offset:4
	buffer_load_dword v3, v4, s[0:3], 0 offen offset:8
	;; [unrolled: 1-line block ×3, first 2 shown]
	s_waitcnt vmcnt(0)
	ds_write_b128 v108, v[1:4]
	s_waitcnt lgkmcnt(0)
	s_waitcnt_vscnt null, 0x0
	s_barrier
	buffer_gl0_inv
	s_and_saveexec_b32 s8, s5
	s_cbranch_execz .LBB114_179
; %bb.172:
	ds_read_b128 v[1:4], v108
	s_andn2_b32 vcc_lo, exec_lo, s58
	s_cbranch_vccnz .LBB114_174
; %bb.173:
	s_clause 0x3
	buffer_load_dword v109, v107, s[0:3], 0 offen offset:8
	buffer_load_dword v110, v107, s[0:3], 0 offen offset:12
	buffer_load_dword v111, v107, s[0:3], 0 offen
	buffer_load_dword v112, v107, s[0:3], 0 offen offset:4
	s_waitcnt vmcnt(2) lgkmcnt(0)
	v_mul_f64 v[114:115], v[3:4], v[109:110]
	v_mul_f64 v[109:110], v[1:2], v[109:110]
	s_waitcnt vmcnt(0)
	v_fma_f64 v[1:2], v[1:2], v[111:112], -v[114:115]
	v_fma_f64 v[3:4], v[3:4], v[111:112], v[109:110]
.LBB114_174:
	s_and_saveexec_b32 s59, s4
	s_cbranch_execz .LBB114_178
; %bb.175:
	v_subrev_nc_u32_e32 v109, 29, v0
	s_movk_i32 s60, 0x500
	s_mov_b32 s4, 0
	s_mov_b32 s61, s28
	.p2align	6
.LBB114_176:                            ; =>This Inner Loop Header: Depth=1
	v_mov_b32_e32 v112, s61
	v_add_nc_u32_e32 v109, -1, v109
	s_add_i32 s61, s61, 16
	s_clause 0x3
	buffer_load_dword v110, v112, s[0:3], 0 offen offset:8
	buffer_load_dword v111, v112, s[0:3], 0 offen offset:12
	buffer_load_dword v118, v112, s[0:3], 0 offen
	buffer_load_dword v119, v112, s[0:3], 0 offen offset:4
	v_mov_b32_e32 v112, s60
	v_cmp_eq_u32_e32 vcc_lo, 0, v109
	s_add_i32 s60, s60, 16
	ds_read_b128 v[114:117], v112
	s_or_b32 s4, vcc_lo, s4
	s_waitcnt vmcnt(2) lgkmcnt(0)
	v_mul_f64 v[120:121], v[116:117], v[110:111]
	v_mul_f64 v[110:111], v[114:115], v[110:111]
	s_waitcnt vmcnt(0)
	v_fma_f64 v[114:115], v[114:115], v[118:119], -v[120:121]
	v_fma_f64 v[110:111], v[116:117], v[118:119], v[110:111]
	v_add_f64 v[1:2], v[1:2], v[114:115]
	v_add_f64 v[3:4], v[3:4], v[110:111]
	s_andn2_b32 exec_lo, exec_lo, s4
	s_cbranch_execnz .LBB114_176
; %bb.177:
	s_or_b32 exec_lo, exec_lo, s4
.LBB114_178:
	s_or_b32 exec_lo, exec_lo, s59
	v_mov_b32_e32 v109, 0
	ds_read_b128 v[109:112], v109 offset:448
	s_waitcnt lgkmcnt(0)
	v_mul_f64 v[114:115], v[3:4], v[111:112]
	v_mul_f64 v[111:112], v[1:2], v[111:112]
	v_fma_f64 v[1:2], v[1:2], v[109:110], -v[114:115]
	v_fma_f64 v[3:4], v[3:4], v[109:110], v[111:112]
	buffer_store_dword v2, off, s[0:3], 0 offset:452
	buffer_store_dword v1, off, s[0:3], 0 offset:448
	;; [unrolled: 1-line block ×4, first 2 shown]
.LBB114_179:
	s_or_b32 exec_lo, exec_lo, s8
	v_mov_b32_e32 v4, s30
	v_cmp_lt_u32_e64 s4, 27, v0
	s_clause 0x3
	buffer_load_dword v1, v4, s[0:3], 0 offen
	buffer_load_dword v2, v4, s[0:3], 0 offen offset:4
	buffer_load_dword v3, v4, s[0:3], 0 offen offset:8
	;; [unrolled: 1-line block ×3, first 2 shown]
	s_waitcnt vmcnt(0)
	ds_write_b128 v108, v[1:4]
	s_waitcnt lgkmcnt(0)
	s_waitcnt_vscnt null, 0x0
	s_barrier
	buffer_gl0_inv
	s_and_saveexec_b32 s8, s4
	s_cbranch_execz .LBB114_187
; %bb.180:
	ds_read_b128 v[1:4], v108
	s_andn2_b32 vcc_lo, exec_lo, s58
	s_cbranch_vccnz .LBB114_182
; %bb.181:
	s_clause 0x3
	buffer_load_dword v109, v107, s[0:3], 0 offen offset:8
	buffer_load_dword v110, v107, s[0:3], 0 offen offset:12
	buffer_load_dword v111, v107, s[0:3], 0 offen
	buffer_load_dword v112, v107, s[0:3], 0 offen offset:4
	s_waitcnt vmcnt(2) lgkmcnt(0)
	v_mul_f64 v[114:115], v[3:4], v[109:110]
	v_mul_f64 v[109:110], v[1:2], v[109:110]
	s_waitcnt vmcnt(0)
	v_fma_f64 v[1:2], v[1:2], v[111:112], -v[114:115]
	v_fma_f64 v[3:4], v[3:4], v[111:112], v[109:110]
.LBB114_182:
	s_and_saveexec_b32 s59, s5
	s_cbranch_execz .LBB114_186
; %bb.183:
	v_subrev_nc_u32_e32 v109, 28, v0
	s_movk_i32 s60, 0x4f0
	s_mov_b32 s5, 0
	s_mov_b32 s61, s29
	.p2align	6
.LBB114_184:                            ; =>This Inner Loop Header: Depth=1
	v_mov_b32_e32 v112, s61
	v_add_nc_u32_e32 v109, -1, v109
	s_add_i32 s61, s61, 16
	s_clause 0x3
	buffer_load_dword v110, v112, s[0:3], 0 offen offset:8
	buffer_load_dword v111, v112, s[0:3], 0 offen offset:12
	buffer_load_dword v118, v112, s[0:3], 0 offen
	buffer_load_dword v119, v112, s[0:3], 0 offen offset:4
	v_mov_b32_e32 v112, s60
	v_cmp_eq_u32_e32 vcc_lo, 0, v109
	s_add_i32 s60, s60, 16
	ds_read_b128 v[114:117], v112
	s_or_b32 s5, vcc_lo, s5
	s_waitcnt vmcnt(2) lgkmcnt(0)
	v_mul_f64 v[120:121], v[116:117], v[110:111]
	v_mul_f64 v[110:111], v[114:115], v[110:111]
	s_waitcnt vmcnt(0)
	v_fma_f64 v[114:115], v[114:115], v[118:119], -v[120:121]
	v_fma_f64 v[110:111], v[116:117], v[118:119], v[110:111]
	v_add_f64 v[1:2], v[1:2], v[114:115]
	v_add_f64 v[3:4], v[3:4], v[110:111]
	s_andn2_b32 exec_lo, exec_lo, s5
	s_cbranch_execnz .LBB114_184
; %bb.185:
	s_or_b32 exec_lo, exec_lo, s5
.LBB114_186:
	s_or_b32 exec_lo, exec_lo, s59
	v_mov_b32_e32 v109, 0
	ds_read_b128 v[109:112], v109 offset:432
	s_waitcnt lgkmcnt(0)
	v_mul_f64 v[114:115], v[3:4], v[111:112]
	v_mul_f64 v[111:112], v[1:2], v[111:112]
	v_fma_f64 v[1:2], v[1:2], v[109:110], -v[114:115]
	v_fma_f64 v[3:4], v[3:4], v[109:110], v[111:112]
	buffer_store_dword v2, off, s[0:3], 0 offset:436
	buffer_store_dword v1, off, s[0:3], 0 offset:432
	;; [unrolled: 1-line block ×4, first 2 shown]
.LBB114_187:
	s_or_b32 exec_lo, exec_lo, s8
	v_mov_b32_e32 v4, s31
	v_cmp_lt_u32_e64 s5, 26, v0
	s_clause 0x3
	buffer_load_dword v1, v4, s[0:3], 0 offen
	buffer_load_dword v2, v4, s[0:3], 0 offen offset:4
	buffer_load_dword v3, v4, s[0:3], 0 offen offset:8
	;; [unrolled: 1-line block ×3, first 2 shown]
	s_waitcnt vmcnt(0)
	ds_write_b128 v108, v[1:4]
	s_waitcnt lgkmcnt(0)
	s_waitcnt_vscnt null, 0x0
	s_barrier
	buffer_gl0_inv
	s_and_saveexec_b32 s8, s5
	s_cbranch_execz .LBB114_195
; %bb.188:
	ds_read_b128 v[1:4], v108
	s_andn2_b32 vcc_lo, exec_lo, s58
	s_cbranch_vccnz .LBB114_190
; %bb.189:
	s_clause 0x3
	buffer_load_dword v109, v107, s[0:3], 0 offen offset:8
	buffer_load_dword v110, v107, s[0:3], 0 offen offset:12
	buffer_load_dword v111, v107, s[0:3], 0 offen
	buffer_load_dword v112, v107, s[0:3], 0 offen offset:4
	s_waitcnt vmcnt(2) lgkmcnt(0)
	v_mul_f64 v[114:115], v[3:4], v[109:110]
	v_mul_f64 v[109:110], v[1:2], v[109:110]
	s_waitcnt vmcnt(0)
	v_fma_f64 v[1:2], v[1:2], v[111:112], -v[114:115]
	v_fma_f64 v[3:4], v[3:4], v[111:112], v[109:110]
.LBB114_190:
	s_and_saveexec_b32 s59, s4
	s_cbranch_execz .LBB114_194
; %bb.191:
	v_subrev_nc_u32_e32 v109, 27, v0
	s_movk_i32 s60, 0x4e0
	s_mov_b32 s4, 0
	s_mov_b32 s61, s30
	.p2align	6
.LBB114_192:                            ; =>This Inner Loop Header: Depth=1
	v_mov_b32_e32 v112, s61
	v_add_nc_u32_e32 v109, -1, v109
	s_add_i32 s61, s61, 16
	s_clause 0x3
	buffer_load_dword v110, v112, s[0:3], 0 offen offset:8
	buffer_load_dword v111, v112, s[0:3], 0 offen offset:12
	buffer_load_dword v118, v112, s[0:3], 0 offen
	buffer_load_dword v119, v112, s[0:3], 0 offen offset:4
	v_mov_b32_e32 v112, s60
	v_cmp_eq_u32_e32 vcc_lo, 0, v109
	s_add_i32 s60, s60, 16
	ds_read_b128 v[114:117], v112
	s_or_b32 s4, vcc_lo, s4
	s_waitcnt vmcnt(2) lgkmcnt(0)
	v_mul_f64 v[120:121], v[116:117], v[110:111]
	v_mul_f64 v[110:111], v[114:115], v[110:111]
	s_waitcnt vmcnt(0)
	v_fma_f64 v[114:115], v[114:115], v[118:119], -v[120:121]
	v_fma_f64 v[110:111], v[116:117], v[118:119], v[110:111]
	v_add_f64 v[1:2], v[1:2], v[114:115]
	v_add_f64 v[3:4], v[3:4], v[110:111]
	s_andn2_b32 exec_lo, exec_lo, s4
	s_cbranch_execnz .LBB114_192
; %bb.193:
	s_or_b32 exec_lo, exec_lo, s4
.LBB114_194:
	s_or_b32 exec_lo, exec_lo, s59
	v_mov_b32_e32 v109, 0
	ds_read_b128 v[109:112], v109 offset:416
	s_waitcnt lgkmcnt(0)
	v_mul_f64 v[114:115], v[3:4], v[111:112]
	v_mul_f64 v[111:112], v[1:2], v[111:112]
	v_fma_f64 v[1:2], v[1:2], v[109:110], -v[114:115]
	v_fma_f64 v[3:4], v[3:4], v[109:110], v[111:112]
	buffer_store_dword v2, off, s[0:3], 0 offset:420
	buffer_store_dword v1, off, s[0:3], 0 offset:416
	;; [unrolled: 1-line block ×4, first 2 shown]
.LBB114_195:
	s_or_b32 exec_lo, exec_lo, s8
	v_mov_b32_e32 v4, s33
	v_cmp_lt_u32_e64 s4, 25, v0
	s_clause 0x3
	buffer_load_dword v1, v4, s[0:3], 0 offen
	buffer_load_dword v2, v4, s[0:3], 0 offen offset:4
	buffer_load_dword v3, v4, s[0:3], 0 offen offset:8
	;; [unrolled: 1-line block ×3, first 2 shown]
	s_waitcnt vmcnt(0)
	ds_write_b128 v108, v[1:4]
	s_waitcnt lgkmcnt(0)
	s_waitcnt_vscnt null, 0x0
	s_barrier
	buffer_gl0_inv
	s_and_saveexec_b32 s8, s4
	s_cbranch_execz .LBB114_203
; %bb.196:
	ds_read_b128 v[1:4], v108
	s_andn2_b32 vcc_lo, exec_lo, s58
	s_cbranch_vccnz .LBB114_198
; %bb.197:
	s_clause 0x3
	buffer_load_dword v109, v107, s[0:3], 0 offen offset:8
	buffer_load_dword v110, v107, s[0:3], 0 offen offset:12
	buffer_load_dword v111, v107, s[0:3], 0 offen
	buffer_load_dword v112, v107, s[0:3], 0 offen offset:4
	s_waitcnt vmcnt(2) lgkmcnt(0)
	v_mul_f64 v[114:115], v[3:4], v[109:110]
	v_mul_f64 v[109:110], v[1:2], v[109:110]
	s_waitcnt vmcnt(0)
	v_fma_f64 v[1:2], v[1:2], v[111:112], -v[114:115]
	v_fma_f64 v[3:4], v[3:4], v[111:112], v[109:110]
.LBB114_198:
	s_and_saveexec_b32 s59, s5
	s_cbranch_execz .LBB114_202
; %bb.199:
	v_subrev_nc_u32_e32 v109, 26, v0
	s_movk_i32 s60, 0x4d0
	s_mov_b32 s5, 0
	s_mov_b32 s61, s31
	.p2align	6
.LBB114_200:                            ; =>This Inner Loop Header: Depth=1
	v_mov_b32_e32 v112, s61
	v_add_nc_u32_e32 v109, -1, v109
	s_add_i32 s61, s61, 16
	s_clause 0x3
	buffer_load_dword v110, v112, s[0:3], 0 offen offset:8
	buffer_load_dword v111, v112, s[0:3], 0 offen offset:12
	buffer_load_dword v118, v112, s[0:3], 0 offen
	buffer_load_dword v119, v112, s[0:3], 0 offen offset:4
	v_mov_b32_e32 v112, s60
	v_cmp_eq_u32_e32 vcc_lo, 0, v109
	s_add_i32 s60, s60, 16
	ds_read_b128 v[114:117], v112
	s_or_b32 s5, vcc_lo, s5
	s_waitcnt vmcnt(2) lgkmcnt(0)
	v_mul_f64 v[120:121], v[116:117], v[110:111]
	v_mul_f64 v[110:111], v[114:115], v[110:111]
	s_waitcnt vmcnt(0)
	v_fma_f64 v[114:115], v[114:115], v[118:119], -v[120:121]
	v_fma_f64 v[110:111], v[116:117], v[118:119], v[110:111]
	v_add_f64 v[1:2], v[1:2], v[114:115]
	v_add_f64 v[3:4], v[3:4], v[110:111]
	s_andn2_b32 exec_lo, exec_lo, s5
	s_cbranch_execnz .LBB114_200
; %bb.201:
	s_or_b32 exec_lo, exec_lo, s5
.LBB114_202:
	s_or_b32 exec_lo, exec_lo, s59
	v_mov_b32_e32 v109, 0
	ds_read_b128 v[109:112], v109 offset:400
	s_waitcnt lgkmcnt(0)
	v_mul_f64 v[114:115], v[3:4], v[111:112]
	v_mul_f64 v[111:112], v[1:2], v[111:112]
	v_fma_f64 v[1:2], v[1:2], v[109:110], -v[114:115]
	v_fma_f64 v[3:4], v[3:4], v[109:110], v[111:112]
	buffer_store_dword v2, off, s[0:3], 0 offset:404
	buffer_store_dword v1, off, s[0:3], 0 offset:400
	;; [unrolled: 1-line block ×4, first 2 shown]
.LBB114_203:
	s_or_b32 exec_lo, exec_lo, s8
	v_mov_b32_e32 v4, s34
	v_cmp_lt_u32_e64 s5, 24, v0
	s_clause 0x3
	buffer_load_dword v1, v4, s[0:3], 0 offen
	buffer_load_dword v2, v4, s[0:3], 0 offen offset:4
	buffer_load_dword v3, v4, s[0:3], 0 offen offset:8
	;; [unrolled: 1-line block ×3, first 2 shown]
	s_waitcnt vmcnt(0)
	ds_write_b128 v108, v[1:4]
	s_waitcnt lgkmcnt(0)
	s_waitcnt_vscnt null, 0x0
	s_barrier
	buffer_gl0_inv
	s_and_saveexec_b32 s8, s5
	s_cbranch_execz .LBB114_211
; %bb.204:
	ds_read_b128 v[1:4], v108
	s_andn2_b32 vcc_lo, exec_lo, s58
	s_cbranch_vccnz .LBB114_206
; %bb.205:
	s_clause 0x3
	buffer_load_dword v109, v107, s[0:3], 0 offen offset:8
	buffer_load_dword v110, v107, s[0:3], 0 offen offset:12
	buffer_load_dword v111, v107, s[0:3], 0 offen
	buffer_load_dword v112, v107, s[0:3], 0 offen offset:4
	s_waitcnt vmcnt(2) lgkmcnt(0)
	v_mul_f64 v[114:115], v[3:4], v[109:110]
	v_mul_f64 v[109:110], v[1:2], v[109:110]
	s_waitcnt vmcnt(0)
	v_fma_f64 v[1:2], v[1:2], v[111:112], -v[114:115]
	v_fma_f64 v[3:4], v[3:4], v[111:112], v[109:110]
.LBB114_206:
	s_and_saveexec_b32 s59, s4
	s_cbranch_execz .LBB114_210
; %bb.207:
	v_subrev_nc_u32_e32 v109, 25, v0
	s_movk_i32 s60, 0x4c0
	s_mov_b32 s4, 0
	s_mov_b32 s61, s33
	.p2align	6
.LBB114_208:                            ; =>This Inner Loop Header: Depth=1
	v_mov_b32_e32 v112, s61
	v_add_nc_u32_e32 v109, -1, v109
	s_add_i32 s61, s61, 16
	s_clause 0x3
	buffer_load_dword v110, v112, s[0:3], 0 offen offset:8
	buffer_load_dword v111, v112, s[0:3], 0 offen offset:12
	buffer_load_dword v118, v112, s[0:3], 0 offen
	buffer_load_dword v119, v112, s[0:3], 0 offen offset:4
	v_mov_b32_e32 v112, s60
	v_cmp_eq_u32_e32 vcc_lo, 0, v109
	s_add_i32 s60, s60, 16
	ds_read_b128 v[114:117], v112
	s_or_b32 s4, vcc_lo, s4
	s_waitcnt vmcnt(2) lgkmcnt(0)
	v_mul_f64 v[120:121], v[116:117], v[110:111]
	v_mul_f64 v[110:111], v[114:115], v[110:111]
	s_waitcnt vmcnt(0)
	v_fma_f64 v[114:115], v[114:115], v[118:119], -v[120:121]
	v_fma_f64 v[110:111], v[116:117], v[118:119], v[110:111]
	v_add_f64 v[1:2], v[1:2], v[114:115]
	v_add_f64 v[3:4], v[3:4], v[110:111]
	s_andn2_b32 exec_lo, exec_lo, s4
	s_cbranch_execnz .LBB114_208
; %bb.209:
	s_or_b32 exec_lo, exec_lo, s4
.LBB114_210:
	s_or_b32 exec_lo, exec_lo, s59
	v_mov_b32_e32 v109, 0
	ds_read_b128 v[109:112], v109 offset:384
	s_waitcnt lgkmcnt(0)
	v_mul_f64 v[114:115], v[3:4], v[111:112]
	v_mul_f64 v[111:112], v[1:2], v[111:112]
	v_fma_f64 v[1:2], v[1:2], v[109:110], -v[114:115]
	v_fma_f64 v[3:4], v[3:4], v[109:110], v[111:112]
	buffer_store_dword v2, off, s[0:3], 0 offset:388
	buffer_store_dword v1, off, s[0:3], 0 offset:384
	;; [unrolled: 1-line block ×4, first 2 shown]
.LBB114_211:
	s_or_b32 exec_lo, exec_lo, s8
	v_mov_b32_e32 v4, s35
	v_cmp_lt_u32_e64 s4, 23, v0
	s_clause 0x3
	buffer_load_dword v1, v4, s[0:3], 0 offen
	buffer_load_dword v2, v4, s[0:3], 0 offen offset:4
	buffer_load_dword v3, v4, s[0:3], 0 offen offset:8
	;; [unrolled: 1-line block ×3, first 2 shown]
	s_waitcnt vmcnt(0)
	ds_write_b128 v108, v[1:4]
	s_waitcnt lgkmcnt(0)
	s_waitcnt_vscnt null, 0x0
	s_barrier
	buffer_gl0_inv
	s_and_saveexec_b32 s8, s4
	s_cbranch_execz .LBB114_219
; %bb.212:
	ds_read_b128 v[1:4], v108
	s_andn2_b32 vcc_lo, exec_lo, s58
	s_cbranch_vccnz .LBB114_214
; %bb.213:
	s_clause 0x3
	buffer_load_dword v109, v107, s[0:3], 0 offen offset:8
	buffer_load_dword v110, v107, s[0:3], 0 offen offset:12
	buffer_load_dword v111, v107, s[0:3], 0 offen
	buffer_load_dword v112, v107, s[0:3], 0 offen offset:4
	s_waitcnt vmcnt(2) lgkmcnt(0)
	v_mul_f64 v[114:115], v[3:4], v[109:110]
	v_mul_f64 v[109:110], v[1:2], v[109:110]
	s_waitcnt vmcnt(0)
	v_fma_f64 v[1:2], v[1:2], v[111:112], -v[114:115]
	v_fma_f64 v[3:4], v[3:4], v[111:112], v[109:110]
.LBB114_214:
	s_and_saveexec_b32 s59, s5
	s_cbranch_execz .LBB114_218
; %bb.215:
	v_subrev_nc_u32_e32 v109, 24, v0
	s_movk_i32 s60, 0x4b0
	s_mov_b32 s5, 0
	s_mov_b32 s61, s34
	.p2align	6
.LBB114_216:                            ; =>This Inner Loop Header: Depth=1
	v_mov_b32_e32 v112, s61
	v_add_nc_u32_e32 v109, -1, v109
	s_add_i32 s61, s61, 16
	s_clause 0x3
	buffer_load_dword v110, v112, s[0:3], 0 offen offset:8
	buffer_load_dword v111, v112, s[0:3], 0 offen offset:12
	buffer_load_dword v118, v112, s[0:3], 0 offen
	buffer_load_dword v119, v112, s[0:3], 0 offen offset:4
	v_mov_b32_e32 v112, s60
	v_cmp_eq_u32_e32 vcc_lo, 0, v109
	s_add_i32 s60, s60, 16
	ds_read_b128 v[114:117], v112
	s_or_b32 s5, vcc_lo, s5
	s_waitcnt vmcnt(2) lgkmcnt(0)
	v_mul_f64 v[120:121], v[116:117], v[110:111]
	v_mul_f64 v[110:111], v[114:115], v[110:111]
	s_waitcnt vmcnt(0)
	v_fma_f64 v[114:115], v[114:115], v[118:119], -v[120:121]
	v_fma_f64 v[110:111], v[116:117], v[118:119], v[110:111]
	v_add_f64 v[1:2], v[1:2], v[114:115]
	v_add_f64 v[3:4], v[3:4], v[110:111]
	s_andn2_b32 exec_lo, exec_lo, s5
	s_cbranch_execnz .LBB114_216
; %bb.217:
	s_or_b32 exec_lo, exec_lo, s5
.LBB114_218:
	s_or_b32 exec_lo, exec_lo, s59
	v_mov_b32_e32 v109, 0
	ds_read_b128 v[109:112], v109 offset:368
	s_waitcnt lgkmcnt(0)
	v_mul_f64 v[114:115], v[3:4], v[111:112]
	v_mul_f64 v[111:112], v[1:2], v[111:112]
	v_fma_f64 v[1:2], v[1:2], v[109:110], -v[114:115]
	v_fma_f64 v[3:4], v[3:4], v[109:110], v[111:112]
	buffer_store_dword v2, off, s[0:3], 0 offset:372
	buffer_store_dword v1, off, s[0:3], 0 offset:368
	;; [unrolled: 1-line block ×4, first 2 shown]
.LBB114_219:
	s_or_b32 exec_lo, exec_lo, s8
	v_mov_b32_e32 v4, s36
	v_cmp_lt_u32_e64 s5, 22, v0
	s_clause 0x3
	buffer_load_dword v1, v4, s[0:3], 0 offen
	buffer_load_dword v2, v4, s[0:3], 0 offen offset:4
	buffer_load_dword v3, v4, s[0:3], 0 offen offset:8
	;; [unrolled: 1-line block ×3, first 2 shown]
	s_waitcnt vmcnt(0)
	ds_write_b128 v108, v[1:4]
	s_waitcnt lgkmcnt(0)
	s_waitcnt_vscnt null, 0x0
	s_barrier
	buffer_gl0_inv
	s_and_saveexec_b32 s8, s5
	s_cbranch_execz .LBB114_227
; %bb.220:
	ds_read_b128 v[1:4], v108
	s_andn2_b32 vcc_lo, exec_lo, s58
	s_cbranch_vccnz .LBB114_222
; %bb.221:
	s_clause 0x3
	buffer_load_dword v109, v107, s[0:3], 0 offen offset:8
	buffer_load_dword v110, v107, s[0:3], 0 offen offset:12
	buffer_load_dword v111, v107, s[0:3], 0 offen
	buffer_load_dword v112, v107, s[0:3], 0 offen offset:4
	s_waitcnt vmcnt(2) lgkmcnt(0)
	v_mul_f64 v[114:115], v[3:4], v[109:110]
	v_mul_f64 v[109:110], v[1:2], v[109:110]
	s_waitcnt vmcnt(0)
	v_fma_f64 v[1:2], v[1:2], v[111:112], -v[114:115]
	v_fma_f64 v[3:4], v[3:4], v[111:112], v[109:110]
.LBB114_222:
	s_and_saveexec_b32 s59, s4
	s_cbranch_execz .LBB114_226
; %bb.223:
	v_subrev_nc_u32_e32 v109, 23, v0
	s_movk_i32 s60, 0x4a0
	s_mov_b32 s4, 0
	s_mov_b32 s61, s35
	.p2align	6
.LBB114_224:                            ; =>This Inner Loop Header: Depth=1
	v_mov_b32_e32 v112, s61
	v_add_nc_u32_e32 v109, -1, v109
	s_add_i32 s61, s61, 16
	s_clause 0x3
	buffer_load_dword v110, v112, s[0:3], 0 offen offset:8
	buffer_load_dword v111, v112, s[0:3], 0 offen offset:12
	buffer_load_dword v118, v112, s[0:3], 0 offen
	buffer_load_dword v119, v112, s[0:3], 0 offen offset:4
	v_mov_b32_e32 v112, s60
	v_cmp_eq_u32_e32 vcc_lo, 0, v109
	s_add_i32 s60, s60, 16
	ds_read_b128 v[114:117], v112
	s_or_b32 s4, vcc_lo, s4
	s_waitcnt vmcnt(2) lgkmcnt(0)
	v_mul_f64 v[120:121], v[116:117], v[110:111]
	v_mul_f64 v[110:111], v[114:115], v[110:111]
	s_waitcnt vmcnt(0)
	v_fma_f64 v[114:115], v[114:115], v[118:119], -v[120:121]
	v_fma_f64 v[110:111], v[116:117], v[118:119], v[110:111]
	v_add_f64 v[1:2], v[1:2], v[114:115]
	v_add_f64 v[3:4], v[3:4], v[110:111]
	s_andn2_b32 exec_lo, exec_lo, s4
	s_cbranch_execnz .LBB114_224
; %bb.225:
	s_or_b32 exec_lo, exec_lo, s4
.LBB114_226:
	s_or_b32 exec_lo, exec_lo, s59
	v_mov_b32_e32 v109, 0
	ds_read_b128 v[109:112], v109 offset:352
	s_waitcnt lgkmcnt(0)
	v_mul_f64 v[114:115], v[3:4], v[111:112]
	v_mul_f64 v[111:112], v[1:2], v[111:112]
	v_fma_f64 v[1:2], v[1:2], v[109:110], -v[114:115]
	v_fma_f64 v[3:4], v[3:4], v[109:110], v[111:112]
	buffer_store_dword v2, off, s[0:3], 0 offset:356
	buffer_store_dword v1, off, s[0:3], 0 offset:352
	;; [unrolled: 1-line block ×4, first 2 shown]
.LBB114_227:
	s_or_b32 exec_lo, exec_lo, s8
	v_mov_b32_e32 v4, s37
	v_cmp_lt_u32_e64 s4, 21, v0
	s_clause 0x3
	buffer_load_dword v1, v4, s[0:3], 0 offen
	buffer_load_dword v2, v4, s[0:3], 0 offen offset:4
	buffer_load_dword v3, v4, s[0:3], 0 offen offset:8
	;; [unrolled: 1-line block ×3, first 2 shown]
	s_waitcnt vmcnt(0)
	ds_write_b128 v108, v[1:4]
	s_waitcnt lgkmcnt(0)
	s_waitcnt_vscnt null, 0x0
	s_barrier
	buffer_gl0_inv
	s_and_saveexec_b32 s8, s4
	s_cbranch_execz .LBB114_235
; %bb.228:
	ds_read_b128 v[1:4], v108
	s_andn2_b32 vcc_lo, exec_lo, s58
	s_cbranch_vccnz .LBB114_230
; %bb.229:
	s_clause 0x3
	buffer_load_dword v109, v107, s[0:3], 0 offen offset:8
	buffer_load_dword v110, v107, s[0:3], 0 offen offset:12
	buffer_load_dword v111, v107, s[0:3], 0 offen
	buffer_load_dword v112, v107, s[0:3], 0 offen offset:4
	s_waitcnt vmcnt(2) lgkmcnt(0)
	v_mul_f64 v[114:115], v[3:4], v[109:110]
	v_mul_f64 v[109:110], v[1:2], v[109:110]
	s_waitcnt vmcnt(0)
	v_fma_f64 v[1:2], v[1:2], v[111:112], -v[114:115]
	v_fma_f64 v[3:4], v[3:4], v[111:112], v[109:110]
.LBB114_230:
	s_and_saveexec_b32 s59, s5
	s_cbranch_execz .LBB114_234
; %bb.231:
	v_subrev_nc_u32_e32 v109, 22, v0
	s_movk_i32 s60, 0x490
	s_mov_b32 s5, 0
	s_mov_b32 s61, s36
	.p2align	6
.LBB114_232:                            ; =>This Inner Loop Header: Depth=1
	v_mov_b32_e32 v112, s61
	v_add_nc_u32_e32 v109, -1, v109
	s_add_i32 s61, s61, 16
	s_clause 0x3
	buffer_load_dword v110, v112, s[0:3], 0 offen offset:8
	buffer_load_dword v111, v112, s[0:3], 0 offen offset:12
	buffer_load_dword v118, v112, s[0:3], 0 offen
	buffer_load_dword v119, v112, s[0:3], 0 offen offset:4
	v_mov_b32_e32 v112, s60
	v_cmp_eq_u32_e32 vcc_lo, 0, v109
	s_add_i32 s60, s60, 16
	ds_read_b128 v[114:117], v112
	s_or_b32 s5, vcc_lo, s5
	s_waitcnt vmcnt(2) lgkmcnt(0)
	v_mul_f64 v[120:121], v[116:117], v[110:111]
	v_mul_f64 v[110:111], v[114:115], v[110:111]
	s_waitcnt vmcnt(0)
	v_fma_f64 v[114:115], v[114:115], v[118:119], -v[120:121]
	v_fma_f64 v[110:111], v[116:117], v[118:119], v[110:111]
	v_add_f64 v[1:2], v[1:2], v[114:115]
	v_add_f64 v[3:4], v[3:4], v[110:111]
	s_andn2_b32 exec_lo, exec_lo, s5
	s_cbranch_execnz .LBB114_232
; %bb.233:
	s_or_b32 exec_lo, exec_lo, s5
.LBB114_234:
	s_or_b32 exec_lo, exec_lo, s59
	v_mov_b32_e32 v109, 0
	ds_read_b128 v[109:112], v109 offset:336
	s_waitcnt lgkmcnt(0)
	v_mul_f64 v[114:115], v[3:4], v[111:112]
	v_mul_f64 v[111:112], v[1:2], v[111:112]
	v_fma_f64 v[1:2], v[1:2], v[109:110], -v[114:115]
	v_fma_f64 v[3:4], v[3:4], v[109:110], v[111:112]
	buffer_store_dword v2, off, s[0:3], 0 offset:340
	buffer_store_dword v1, off, s[0:3], 0 offset:336
	;; [unrolled: 1-line block ×4, first 2 shown]
.LBB114_235:
	s_or_b32 exec_lo, exec_lo, s8
	v_mov_b32_e32 v4, s38
	v_cmp_lt_u32_e64 s5, 20, v0
	s_clause 0x3
	buffer_load_dword v1, v4, s[0:3], 0 offen
	buffer_load_dword v2, v4, s[0:3], 0 offen offset:4
	buffer_load_dword v3, v4, s[0:3], 0 offen offset:8
	;; [unrolled: 1-line block ×3, first 2 shown]
	s_waitcnt vmcnt(0)
	ds_write_b128 v108, v[1:4]
	s_waitcnt lgkmcnt(0)
	s_waitcnt_vscnt null, 0x0
	s_barrier
	buffer_gl0_inv
	s_and_saveexec_b32 s8, s5
	s_cbranch_execz .LBB114_243
; %bb.236:
	ds_read_b128 v[1:4], v108
	s_andn2_b32 vcc_lo, exec_lo, s58
	s_cbranch_vccnz .LBB114_238
; %bb.237:
	s_clause 0x3
	buffer_load_dword v109, v107, s[0:3], 0 offen offset:8
	buffer_load_dword v110, v107, s[0:3], 0 offen offset:12
	buffer_load_dword v111, v107, s[0:3], 0 offen
	buffer_load_dword v112, v107, s[0:3], 0 offen offset:4
	s_waitcnt vmcnt(2) lgkmcnt(0)
	v_mul_f64 v[114:115], v[3:4], v[109:110]
	v_mul_f64 v[109:110], v[1:2], v[109:110]
	s_waitcnt vmcnt(0)
	v_fma_f64 v[1:2], v[1:2], v[111:112], -v[114:115]
	v_fma_f64 v[3:4], v[3:4], v[111:112], v[109:110]
.LBB114_238:
	s_and_saveexec_b32 s59, s4
	s_cbranch_execz .LBB114_242
; %bb.239:
	v_subrev_nc_u32_e32 v109, 21, v0
	s_movk_i32 s60, 0x480
	s_mov_b32 s4, 0
	s_mov_b32 s61, s37
	.p2align	6
.LBB114_240:                            ; =>This Inner Loop Header: Depth=1
	v_mov_b32_e32 v112, s61
	v_add_nc_u32_e32 v109, -1, v109
	s_add_i32 s61, s61, 16
	s_clause 0x3
	buffer_load_dword v110, v112, s[0:3], 0 offen offset:8
	buffer_load_dword v111, v112, s[0:3], 0 offen offset:12
	buffer_load_dword v118, v112, s[0:3], 0 offen
	buffer_load_dword v119, v112, s[0:3], 0 offen offset:4
	v_mov_b32_e32 v112, s60
	v_cmp_eq_u32_e32 vcc_lo, 0, v109
	s_add_i32 s60, s60, 16
	ds_read_b128 v[114:117], v112
	s_or_b32 s4, vcc_lo, s4
	s_waitcnt vmcnt(2) lgkmcnt(0)
	v_mul_f64 v[120:121], v[116:117], v[110:111]
	v_mul_f64 v[110:111], v[114:115], v[110:111]
	s_waitcnt vmcnt(0)
	v_fma_f64 v[114:115], v[114:115], v[118:119], -v[120:121]
	v_fma_f64 v[110:111], v[116:117], v[118:119], v[110:111]
	v_add_f64 v[1:2], v[1:2], v[114:115]
	v_add_f64 v[3:4], v[3:4], v[110:111]
	s_andn2_b32 exec_lo, exec_lo, s4
	s_cbranch_execnz .LBB114_240
; %bb.241:
	s_or_b32 exec_lo, exec_lo, s4
.LBB114_242:
	s_or_b32 exec_lo, exec_lo, s59
	v_mov_b32_e32 v109, 0
	ds_read_b128 v[109:112], v109 offset:320
	s_waitcnt lgkmcnt(0)
	v_mul_f64 v[114:115], v[3:4], v[111:112]
	v_mul_f64 v[111:112], v[1:2], v[111:112]
	v_fma_f64 v[1:2], v[1:2], v[109:110], -v[114:115]
	v_fma_f64 v[3:4], v[3:4], v[109:110], v[111:112]
	buffer_store_dword v2, off, s[0:3], 0 offset:324
	buffer_store_dword v1, off, s[0:3], 0 offset:320
	;; [unrolled: 1-line block ×4, first 2 shown]
.LBB114_243:
	s_or_b32 exec_lo, exec_lo, s8
	v_mov_b32_e32 v4, s39
	v_cmp_lt_u32_e64 s4, 19, v0
	s_clause 0x3
	buffer_load_dword v1, v4, s[0:3], 0 offen
	buffer_load_dword v2, v4, s[0:3], 0 offen offset:4
	buffer_load_dword v3, v4, s[0:3], 0 offen offset:8
	;; [unrolled: 1-line block ×3, first 2 shown]
	s_waitcnt vmcnt(0)
	ds_write_b128 v108, v[1:4]
	s_waitcnt lgkmcnt(0)
	s_waitcnt_vscnt null, 0x0
	s_barrier
	buffer_gl0_inv
	s_and_saveexec_b32 s8, s4
	s_cbranch_execz .LBB114_251
; %bb.244:
	ds_read_b128 v[1:4], v108
	s_andn2_b32 vcc_lo, exec_lo, s58
	s_cbranch_vccnz .LBB114_246
; %bb.245:
	s_clause 0x3
	buffer_load_dword v109, v107, s[0:3], 0 offen offset:8
	buffer_load_dword v110, v107, s[0:3], 0 offen offset:12
	buffer_load_dword v111, v107, s[0:3], 0 offen
	buffer_load_dword v112, v107, s[0:3], 0 offen offset:4
	s_waitcnt vmcnt(2) lgkmcnt(0)
	v_mul_f64 v[114:115], v[3:4], v[109:110]
	v_mul_f64 v[109:110], v[1:2], v[109:110]
	s_waitcnt vmcnt(0)
	v_fma_f64 v[1:2], v[1:2], v[111:112], -v[114:115]
	v_fma_f64 v[3:4], v[3:4], v[111:112], v[109:110]
.LBB114_246:
	s_and_saveexec_b32 s59, s5
	s_cbranch_execz .LBB114_250
; %bb.247:
	v_subrev_nc_u32_e32 v109, 20, v0
	s_movk_i32 s60, 0x470
	s_mov_b32 s5, 0
	s_mov_b32 s61, s38
	.p2align	6
.LBB114_248:                            ; =>This Inner Loop Header: Depth=1
	v_mov_b32_e32 v112, s61
	v_add_nc_u32_e32 v109, -1, v109
	s_add_i32 s61, s61, 16
	s_clause 0x3
	buffer_load_dword v110, v112, s[0:3], 0 offen offset:8
	buffer_load_dword v111, v112, s[0:3], 0 offen offset:12
	buffer_load_dword v118, v112, s[0:3], 0 offen
	buffer_load_dword v119, v112, s[0:3], 0 offen offset:4
	v_mov_b32_e32 v112, s60
	v_cmp_eq_u32_e32 vcc_lo, 0, v109
	s_add_i32 s60, s60, 16
	ds_read_b128 v[114:117], v112
	s_or_b32 s5, vcc_lo, s5
	s_waitcnt vmcnt(2) lgkmcnt(0)
	v_mul_f64 v[120:121], v[116:117], v[110:111]
	v_mul_f64 v[110:111], v[114:115], v[110:111]
	s_waitcnt vmcnt(0)
	v_fma_f64 v[114:115], v[114:115], v[118:119], -v[120:121]
	v_fma_f64 v[110:111], v[116:117], v[118:119], v[110:111]
	v_add_f64 v[1:2], v[1:2], v[114:115]
	v_add_f64 v[3:4], v[3:4], v[110:111]
	s_andn2_b32 exec_lo, exec_lo, s5
	s_cbranch_execnz .LBB114_248
; %bb.249:
	s_or_b32 exec_lo, exec_lo, s5
.LBB114_250:
	s_or_b32 exec_lo, exec_lo, s59
	v_mov_b32_e32 v109, 0
	ds_read_b128 v[109:112], v109 offset:304
	s_waitcnt lgkmcnt(0)
	v_mul_f64 v[114:115], v[3:4], v[111:112]
	v_mul_f64 v[111:112], v[1:2], v[111:112]
	v_fma_f64 v[1:2], v[1:2], v[109:110], -v[114:115]
	v_fma_f64 v[3:4], v[3:4], v[109:110], v[111:112]
	buffer_store_dword v2, off, s[0:3], 0 offset:308
	buffer_store_dword v1, off, s[0:3], 0 offset:304
	;; [unrolled: 1-line block ×4, first 2 shown]
.LBB114_251:
	s_or_b32 exec_lo, exec_lo, s8
	v_mov_b32_e32 v4, s40
	v_cmp_lt_u32_e64 s5, 18, v0
	s_clause 0x3
	buffer_load_dword v1, v4, s[0:3], 0 offen
	buffer_load_dword v2, v4, s[0:3], 0 offen offset:4
	buffer_load_dword v3, v4, s[0:3], 0 offen offset:8
	;; [unrolled: 1-line block ×3, first 2 shown]
	s_waitcnt vmcnt(0)
	ds_write_b128 v108, v[1:4]
	s_waitcnt lgkmcnt(0)
	s_waitcnt_vscnt null, 0x0
	s_barrier
	buffer_gl0_inv
	s_and_saveexec_b32 s8, s5
	s_cbranch_execz .LBB114_259
; %bb.252:
	ds_read_b128 v[1:4], v108
	s_andn2_b32 vcc_lo, exec_lo, s58
	s_cbranch_vccnz .LBB114_254
; %bb.253:
	s_clause 0x3
	buffer_load_dword v109, v107, s[0:3], 0 offen offset:8
	buffer_load_dword v110, v107, s[0:3], 0 offen offset:12
	buffer_load_dword v111, v107, s[0:3], 0 offen
	buffer_load_dword v112, v107, s[0:3], 0 offen offset:4
	s_waitcnt vmcnt(2) lgkmcnt(0)
	v_mul_f64 v[114:115], v[3:4], v[109:110]
	v_mul_f64 v[109:110], v[1:2], v[109:110]
	s_waitcnt vmcnt(0)
	v_fma_f64 v[1:2], v[1:2], v[111:112], -v[114:115]
	v_fma_f64 v[3:4], v[3:4], v[111:112], v[109:110]
.LBB114_254:
	s_and_saveexec_b32 s59, s4
	s_cbranch_execz .LBB114_258
; %bb.255:
	v_subrev_nc_u32_e32 v109, 19, v0
	s_movk_i32 s60, 0x460
	s_mov_b32 s4, 0
	s_mov_b32 s61, s39
	.p2align	6
.LBB114_256:                            ; =>This Inner Loop Header: Depth=1
	v_mov_b32_e32 v112, s61
	v_add_nc_u32_e32 v109, -1, v109
	s_add_i32 s61, s61, 16
	s_clause 0x3
	buffer_load_dword v110, v112, s[0:3], 0 offen offset:8
	buffer_load_dword v111, v112, s[0:3], 0 offen offset:12
	buffer_load_dword v118, v112, s[0:3], 0 offen
	buffer_load_dword v119, v112, s[0:3], 0 offen offset:4
	v_mov_b32_e32 v112, s60
	v_cmp_eq_u32_e32 vcc_lo, 0, v109
	s_add_i32 s60, s60, 16
	ds_read_b128 v[114:117], v112
	s_or_b32 s4, vcc_lo, s4
	s_waitcnt vmcnt(2) lgkmcnt(0)
	v_mul_f64 v[120:121], v[116:117], v[110:111]
	v_mul_f64 v[110:111], v[114:115], v[110:111]
	s_waitcnt vmcnt(0)
	v_fma_f64 v[114:115], v[114:115], v[118:119], -v[120:121]
	v_fma_f64 v[110:111], v[116:117], v[118:119], v[110:111]
	v_add_f64 v[1:2], v[1:2], v[114:115]
	v_add_f64 v[3:4], v[3:4], v[110:111]
	s_andn2_b32 exec_lo, exec_lo, s4
	s_cbranch_execnz .LBB114_256
; %bb.257:
	s_or_b32 exec_lo, exec_lo, s4
.LBB114_258:
	s_or_b32 exec_lo, exec_lo, s59
	v_mov_b32_e32 v109, 0
	ds_read_b128 v[109:112], v109 offset:288
	s_waitcnt lgkmcnt(0)
	v_mul_f64 v[114:115], v[3:4], v[111:112]
	v_mul_f64 v[111:112], v[1:2], v[111:112]
	v_fma_f64 v[1:2], v[1:2], v[109:110], -v[114:115]
	v_fma_f64 v[3:4], v[3:4], v[109:110], v[111:112]
	buffer_store_dword v2, off, s[0:3], 0 offset:292
	buffer_store_dword v1, off, s[0:3], 0 offset:288
	;; [unrolled: 1-line block ×4, first 2 shown]
.LBB114_259:
	s_or_b32 exec_lo, exec_lo, s8
	v_mov_b32_e32 v4, s41
	v_cmp_lt_u32_e64 s4, 17, v0
	s_clause 0x3
	buffer_load_dword v1, v4, s[0:3], 0 offen
	buffer_load_dword v2, v4, s[0:3], 0 offen offset:4
	buffer_load_dword v3, v4, s[0:3], 0 offen offset:8
	buffer_load_dword v4, v4, s[0:3], 0 offen offset:12
	s_waitcnt vmcnt(0)
	ds_write_b128 v108, v[1:4]
	s_waitcnt lgkmcnt(0)
	s_waitcnt_vscnt null, 0x0
	s_barrier
	buffer_gl0_inv
	s_and_saveexec_b32 s8, s4
	s_cbranch_execz .LBB114_267
; %bb.260:
	ds_read_b128 v[1:4], v108
	s_andn2_b32 vcc_lo, exec_lo, s58
	s_cbranch_vccnz .LBB114_262
; %bb.261:
	s_clause 0x3
	buffer_load_dword v109, v107, s[0:3], 0 offen offset:8
	buffer_load_dword v110, v107, s[0:3], 0 offen offset:12
	buffer_load_dword v111, v107, s[0:3], 0 offen
	buffer_load_dword v112, v107, s[0:3], 0 offen offset:4
	s_waitcnt vmcnt(2) lgkmcnt(0)
	v_mul_f64 v[114:115], v[3:4], v[109:110]
	v_mul_f64 v[109:110], v[1:2], v[109:110]
	s_waitcnt vmcnt(0)
	v_fma_f64 v[1:2], v[1:2], v[111:112], -v[114:115]
	v_fma_f64 v[3:4], v[3:4], v[111:112], v[109:110]
.LBB114_262:
	s_and_saveexec_b32 s59, s5
	s_cbranch_execz .LBB114_266
; %bb.263:
	v_subrev_nc_u32_e32 v109, 18, v0
	s_movk_i32 s60, 0x450
	s_mov_b32 s5, 0
	s_mov_b32 s61, s40
	.p2align	6
.LBB114_264:                            ; =>This Inner Loop Header: Depth=1
	v_mov_b32_e32 v112, s61
	v_add_nc_u32_e32 v109, -1, v109
	s_add_i32 s61, s61, 16
	s_clause 0x3
	buffer_load_dword v110, v112, s[0:3], 0 offen offset:8
	buffer_load_dword v111, v112, s[0:3], 0 offen offset:12
	buffer_load_dword v118, v112, s[0:3], 0 offen
	buffer_load_dword v119, v112, s[0:3], 0 offen offset:4
	v_mov_b32_e32 v112, s60
	v_cmp_eq_u32_e32 vcc_lo, 0, v109
	s_add_i32 s60, s60, 16
	ds_read_b128 v[114:117], v112
	s_or_b32 s5, vcc_lo, s5
	s_waitcnt vmcnt(2) lgkmcnt(0)
	v_mul_f64 v[120:121], v[116:117], v[110:111]
	v_mul_f64 v[110:111], v[114:115], v[110:111]
	s_waitcnt vmcnt(0)
	v_fma_f64 v[114:115], v[114:115], v[118:119], -v[120:121]
	v_fma_f64 v[110:111], v[116:117], v[118:119], v[110:111]
	v_add_f64 v[1:2], v[1:2], v[114:115]
	v_add_f64 v[3:4], v[3:4], v[110:111]
	s_andn2_b32 exec_lo, exec_lo, s5
	s_cbranch_execnz .LBB114_264
; %bb.265:
	s_or_b32 exec_lo, exec_lo, s5
.LBB114_266:
	s_or_b32 exec_lo, exec_lo, s59
	v_mov_b32_e32 v109, 0
	ds_read_b128 v[109:112], v109 offset:272
	s_waitcnt lgkmcnt(0)
	v_mul_f64 v[114:115], v[3:4], v[111:112]
	v_mul_f64 v[111:112], v[1:2], v[111:112]
	v_fma_f64 v[1:2], v[1:2], v[109:110], -v[114:115]
	v_fma_f64 v[3:4], v[3:4], v[109:110], v[111:112]
	buffer_store_dword v2, off, s[0:3], 0 offset:276
	buffer_store_dword v1, off, s[0:3], 0 offset:272
	;; [unrolled: 1-line block ×4, first 2 shown]
.LBB114_267:
	s_or_b32 exec_lo, exec_lo, s8
	v_mov_b32_e32 v4, s42
	v_cmp_lt_u32_e64 s5, 16, v0
	s_clause 0x3
	buffer_load_dword v1, v4, s[0:3], 0 offen
	buffer_load_dword v2, v4, s[0:3], 0 offen offset:4
	buffer_load_dword v3, v4, s[0:3], 0 offen offset:8
	;; [unrolled: 1-line block ×3, first 2 shown]
	s_waitcnt vmcnt(0)
	ds_write_b128 v108, v[1:4]
	s_waitcnt lgkmcnt(0)
	s_waitcnt_vscnt null, 0x0
	s_barrier
	buffer_gl0_inv
	s_and_saveexec_b32 s8, s5
	s_cbranch_execz .LBB114_275
; %bb.268:
	ds_read_b128 v[1:4], v108
	s_andn2_b32 vcc_lo, exec_lo, s58
	s_cbranch_vccnz .LBB114_270
; %bb.269:
	s_clause 0x3
	buffer_load_dword v109, v107, s[0:3], 0 offen offset:8
	buffer_load_dword v110, v107, s[0:3], 0 offen offset:12
	buffer_load_dword v111, v107, s[0:3], 0 offen
	buffer_load_dword v112, v107, s[0:3], 0 offen offset:4
	s_waitcnt vmcnt(2) lgkmcnt(0)
	v_mul_f64 v[114:115], v[3:4], v[109:110]
	v_mul_f64 v[109:110], v[1:2], v[109:110]
	s_waitcnt vmcnt(0)
	v_fma_f64 v[1:2], v[1:2], v[111:112], -v[114:115]
	v_fma_f64 v[3:4], v[3:4], v[111:112], v[109:110]
.LBB114_270:
	s_and_saveexec_b32 s59, s4
	s_cbranch_execz .LBB114_274
; %bb.271:
	v_subrev_nc_u32_e32 v109, 17, v0
	s_movk_i32 s60, 0x440
	s_mov_b32 s4, 0
	s_mov_b32 s61, s41
	.p2align	6
.LBB114_272:                            ; =>This Inner Loop Header: Depth=1
	v_mov_b32_e32 v112, s61
	v_add_nc_u32_e32 v109, -1, v109
	s_add_i32 s61, s61, 16
	s_clause 0x3
	buffer_load_dword v110, v112, s[0:3], 0 offen offset:8
	buffer_load_dword v111, v112, s[0:3], 0 offen offset:12
	buffer_load_dword v118, v112, s[0:3], 0 offen
	buffer_load_dword v119, v112, s[0:3], 0 offen offset:4
	v_mov_b32_e32 v112, s60
	v_cmp_eq_u32_e32 vcc_lo, 0, v109
	s_add_i32 s60, s60, 16
	ds_read_b128 v[114:117], v112
	s_or_b32 s4, vcc_lo, s4
	s_waitcnt vmcnt(2) lgkmcnt(0)
	v_mul_f64 v[120:121], v[116:117], v[110:111]
	v_mul_f64 v[110:111], v[114:115], v[110:111]
	s_waitcnt vmcnt(0)
	v_fma_f64 v[114:115], v[114:115], v[118:119], -v[120:121]
	v_fma_f64 v[110:111], v[116:117], v[118:119], v[110:111]
	v_add_f64 v[1:2], v[1:2], v[114:115]
	v_add_f64 v[3:4], v[3:4], v[110:111]
	s_andn2_b32 exec_lo, exec_lo, s4
	s_cbranch_execnz .LBB114_272
; %bb.273:
	s_or_b32 exec_lo, exec_lo, s4
.LBB114_274:
	s_or_b32 exec_lo, exec_lo, s59
	v_mov_b32_e32 v109, 0
	ds_read_b128 v[109:112], v109 offset:256
	s_waitcnt lgkmcnt(0)
	v_mul_f64 v[114:115], v[3:4], v[111:112]
	v_mul_f64 v[111:112], v[1:2], v[111:112]
	v_fma_f64 v[1:2], v[1:2], v[109:110], -v[114:115]
	v_fma_f64 v[3:4], v[3:4], v[109:110], v[111:112]
	buffer_store_dword v2, off, s[0:3], 0 offset:260
	buffer_store_dword v1, off, s[0:3], 0 offset:256
	;; [unrolled: 1-line block ×4, first 2 shown]
.LBB114_275:
	s_or_b32 exec_lo, exec_lo, s8
	v_mov_b32_e32 v4, s43
	v_cmp_lt_u32_e64 s4, 15, v0
	s_clause 0x3
	buffer_load_dword v1, v4, s[0:3], 0 offen
	buffer_load_dword v2, v4, s[0:3], 0 offen offset:4
	buffer_load_dword v3, v4, s[0:3], 0 offen offset:8
	;; [unrolled: 1-line block ×3, first 2 shown]
	s_waitcnt vmcnt(0)
	ds_write_b128 v108, v[1:4]
	s_waitcnt lgkmcnt(0)
	s_waitcnt_vscnt null, 0x0
	s_barrier
	buffer_gl0_inv
	s_and_saveexec_b32 s8, s4
	s_cbranch_execz .LBB114_283
; %bb.276:
	ds_read_b128 v[1:4], v108
	s_andn2_b32 vcc_lo, exec_lo, s58
	s_cbranch_vccnz .LBB114_278
; %bb.277:
	s_clause 0x3
	buffer_load_dword v109, v107, s[0:3], 0 offen offset:8
	buffer_load_dword v110, v107, s[0:3], 0 offen offset:12
	buffer_load_dword v111, v107, s[0:3], 0 offen
	buffer_load_dword v112, v107, s[0:3], 0 offen offset:4
	s_waitcnt vmcnt(2) lgkmcnt(0)
	v_mul_f64 v[114:115], v[3:4], v[109:110]
	v_mul_f64 v[109:110], v[1:2], v[109:110]
	s_waitcnt vmcnt(0)
	v_fma_f64 v[1:2], v[1:2], v[111:112], -v[114:115]
	v_fma_f64 v[3:4], v[3:4], v[111:112], v[109:110]
.LBB114_278:
	s_and_saveexec_b32 s59, s5
	s_cbranch_execz .LBB114_282
; %bb.279:
	v_add_nc_u32_e32 v109, -16, v0
	s_movk_i32 s60, 0x430
	s_mov_b32 s5, 0
	s_mov_b32 s61, s42
	.p2align	6
.LBB114_280:                            ; =>This Inner Loop Header: Depth=1
	v_mov_b32_e32 v112, s61
	v_add_nc_u32_e32 v109, -1, v109
	s_add_i32 s61, s61, 16
	s_clause 0x3
	buffer_load_dword v110, v112, s[0:3], 0 offen offset:8
	buffer_load_dword v111, v112, s[0:3], 0 offen offset:12
	buffer_load_dword v118, v112, s[0:3], 0 offen
	buffer_load_dword v119, v112, s[0:3], 0 offen offset:4
	v_mov_b32_e32 v112, s60
	v_cmp_eq_u32_e32 vcc_lo, 0, v109
	s_add_i32 s60, s60, 16
	ds_read_b128 v[114:117], v112
	s_or_b32 s5, vcc_lo, s5
	s_waitcnt vmcnt(2) lgkmcnt(0)
	v_mul_f64 v[120:121], v[116:117], v[110:111]
	v_mul_f64 v[110:111], v[114:115], v[110:111]
	s_waitcnt vmcnt(0)
	v_fma_f64 v[114:115], v[114:115], v[118:119], -v[120:121]
	v_fma_f64 v[110:111], v[116:117], v[118:119], v[110:111]
	v_add_f64 v[1:2], v[1:2], v[114:115]
	v_add_f64 v[3:4], v[3:4], v[110:111]
	s_andn2_b32 exec_lo, exec_lo, s5
	s_cbranch_execnz .LBB114_280
; %bb.281:
	s_or_b32 exec_lo, exec_lo, s5
.LBB114_282:
	s_or_b32 exec_lo, exec_lo, s59
	v_mov_b32_e32 v109, 0
	ds_read_b128 v[109:112], v109 offset:240
	s_waitcnt lgkmcnt(0)
	v_mul_f64 v[114:115], v[3:4], v[111:112]
	v_mul_f64 v[111:112], v[1:2], v[111:112]
	v_fma_f64 v[1:2], v[1:2], v[109:110], -v[114:115]
	v_fma_f64 v[3:4], v[3:4], v[109:110], v[111:112]
	buffer_store_dword v2, off, s[0:3], 0 offset:244
	buffer_store_dword v1, off, s[0:3], 0 offset:240
	;; [unrolled: 1-line block ×4, first 2 shown]
.LBB114_283:
	s_or_b32 exec_lo, exec_lo, s8
	v_mov_b32_e32 v4, s44
	v_cmp_lt_u32_e64 s5, 14, v0
	s_clause 0x3
	buffer_load_dword v1, v4, s[0:3], 0 offen
	buffer_load_dword v2, v4, s[0:3], 0 offen offset:4
	buffer_load_dword v3, v4, s[0:3], 0 offen offset:8
	;; [unrolled: 1-line block ×3, first 2 shown]
	s_waitcnt vmcnt(0)
	ds_write_b128 v108, v[1:4]
	s_waitcnt lgkmcnt(0)
	s_waitcnt_vscnt null, 0x0
	s_barrier
	buffer_gl0_inv
	s_and_saveexec_b32 s8, s5
	s_cbranch_execz .LBB114_291
; %bb.284:
	ds_read_b128 v[1:4], v108
	s_andn2_b32 vcc_lo, exec_lo, s58
	s_cbranch_vccnz .LBB114_286
; %bb.285:
	s_clause 0x3
	buffer_load_dword v109, v107, s[0:3], 0 offen offset:8
	buffer_load_dword v110, v107, s[0:3], 0 offen offset:12
	buffer_load_dword v111, v107, s[0:3], 0 offen
	buffer_load_dword v112, v107, s[0:3], 0 offen offset:4
	s_waitcnt vmcnt(2) lgkmcnt(0)
	v_mul_f64 v[114:115], v[3:4], v[109:110]
	v_mul_f64 v[109:110], v[1:2], v[109:110]
	s_waitcnt vmcnt(0)
	v_fma_f64 v[1:2], v[1:2], v[111:112], -v[114:115]
	v_fma_f64 v[3:4], v[3:4], v[111:112], v[109:110]
.LBB114_286:
	s_and_saveexec_b32 s59, s4
	s_cbranch_execz .LBB114_290
; %bb.287:
	v_add_nc_u32_e32 v109, -15, v0
	s_movk_i32 s60, 0x420
	s_mov_b32 s4, 0
	s_mov_b32 s61, s43
	.p2align	6
.LBB114_288:                            ; =>This Inner Loop Header: Depth=1
	v_mov_b32_e32 v112, s61
	v_add_nc_u32_e32 v109, -1, v109
	s_add_i32 s61, s61, 16
	s_clause 0x3
	buffer_load_dword v110, v112, s[0:3], 0 offen offset:8
	buffer_load_dword v111, v112, s[0:3], 0 offen offset:12
	buffer_load_dword v118, v112, s[0:3], 0 offen
	buffer_load_dword v119, v112, s[0:3], 0 offen offset:4
	v_mov_b32_e32 v112, s60
	v_cmp_eq_u32_e32 vcc_lo, 0, v109
	s_add_i32 s60, s60, 16
	ds_read_b128 v[114:117], v112
	s_or_b32 s4, vcc_lo, s4
	s_waitcnt vmcnt(2) lgkmcnt(0)
	v_mul_f64 v[120:121], v[116:117], v[110:111]
	v_mul_f64 v[110:111], v[114:115], v[110:111]
	s_waitcnt vmcnt(0)
	v_fma_f64 v[114:115], v[114:115], v[118:119], -v[120:121]
	v_fma_f64 v[110:111], v[116:117], v[118:119], v[110:111]
	v_add_f64 v[1:2], v[1:2], v[114:115]
	v_add_f64 v[3:4], v[3:4], v[110:111]
	s_andn2_b32 exec_lo, exec_lo, s4
	s_cbranch_execnz .LBB114_288
; %bb.289:
	s_or_b32 exec_lo, exec_lo, s4
.LBB114_290:
	s_or_b32 exec_lo, exec_lo, s59
	v_mov_b32_e32 v109, 0
	ds_read_b128 v[109:112], v109 offset:224
	s_waitcnt lgkmcnt(0)
	v_mul_f64 v[114:115], v[3:4], v[111:112]
	v_mul_f64 v[111:112], v[1:2], v[111:112]
	v_fma_f64 v[1:2], v[1:2], v[109:110], -v[114:115]
	v_fma_f64 v[3:4], v[3:4], v[109:110], v[111:112]
	buffer_store_dword v2, off, s[0:3], 0 offset:228
	buffer_store_dword v1, off, s[0:3], 0 offset:224
	;; [unrolled: 1-line block ×4, first 2 shown]
.LBB114_291:
	s_or_b32 exec_lo, exec_lo, s8
	v_mov_b32_e32 v4, s45
	v_cmp_lt_u32_e64 s4, 13, v0
	s_clause 0x3
	buffer_load_dword v1, v4, s[0:3], 0 offen
	buffer_load_dword v2, v4, s[0:3], 0 offen offset:4
	buffer_load_dword v3, v4, s[0:3], 0 offen offset:8
	;; [unrolled: 1-line block ×3, first 2 shown]
	s_waitcnt vmcnt(0)
	ds_write_b128 v108, v[1:4]
	s_waitcnt lgkmcnt(0)
	s_waitcnt_vscnt null, 0x0
	s_barrier
	buffer_gl0_inv
	s_and_saveexec_b32 s8, s4
	s_cbranch_execz .LBB114_299
; %bb.292:
	ds_read_b128 v[1:4], v108
	s_andn2_b32 vcc_lo, exec_lo, s58
	s_cbranch_vccnz .LBB114_294
; %bb.293:
	s_clause 0x3
	buffer_load_dword v109, v107, s[0:3], 0 offen offset:8
	buffer_load_dword v110, v107, s[0:3], 0 offen offset:12
	buffer_load_dword v111, v107, s[0:3], 0 offen
	buffer_load_dword v112, v107, s[0:3], 0 offen offset:4
	s_waitcnt vmcnt(2) lgkmcnt(0)
	v_mul_f64 v[114:115], v[3:4], v[109:110]
	v_mul_f64 v[109:110], v[1:2], v[109:110]
	s_waitcnt vmcnt(0)
	v_fma_f64 v[1:2], v[1:2], v[111:112], -v[114:115]
	v_fma_f64 v[3:4], v[3:4], v[111:112], v[109:110]
.LBB114_294:
	s_and_saveexec_b32 s59, s5
	s_cbranch_execz .LBB114_298
; %bb.295:
	v_add_nc_u32_e32 v109, -14, v0
	s_movk_i32 s60, 0x410
	s_mov_b32 s5, 0
	s_mov_b32 s61, s44
	.p2align	6
.LBB114_296:                            ; =>This Inner Loop Header: Depth=1
	v_mov_b32_e32 v112, s61
	v_add_nc_u32_e32 v109, -1, v109
	s_add_i32 s61, s61, 16
	s_clause 0x3
	buffer_load_dword v110, v112, s[0:3], 0 offen offset:8
	buffer_load_dword v111, v112, s[0:3], 0 offen offset:12
	buffer_load_dword v118, v112, s[0:3], 0 offen
	buffer_load_dword v119, v112, s[0:3], 0 offen offset:4
	v_mov_b32_e32 v112, s60
	v_cmp_eq_u32_e32 vcc_lo, 0, v109
	s_add_i32 s60, s60, 16
	ds_read_b128 v[114:117], v112
	s_or_b32 s5, vcc_lo, s5
	s_waitcnt vmcnt(2) lgkmcnt(0)
	v_mul_f64 v[120:121], v[116:117], v[110:111]
	v_mul_f64 v[110:111], v[114:115], v[110:111]
	s_waitcnt vmcnt(0)
	v_fma_f64 v[114:115], v[114:115], v[118:119], -v[120:121]
	v_fma_f64 v[110:111], v[116:117], v[118:119], v[110:111]
	v_add_f64 v[1:2], v[1:2], v[114:115]
	v_add_f64 v[3:4], v[3:4], v[110:111]
	s_andn2_b32 exec_lo, exec_lo, s5
	s_cbranch_execnz .LBB114_296
; %bb.297:
	s_or_b32 exec_lo, exec_lo, s5
.LBB114_298:
	s_or_b32 exec_lo, exec_lo, s59
	v_mov_b32_e32 v109, 0
	ds_read_b128 v[109:112], v109 offset:208
	s_waitcnt lgkmcnt(0)
	v_mul_f64 v[114:115], v[3:4], v[111:112]
	v_mul_f64 v[111:112], v[1:2], v[111:112]
	v_fma_f64 v[1:2], v[1:2], v[109:110], -v[114:115]
	v_fma_f64 v[3:4], v[3:4], v[109:110], v[111:112]
	buffer_store_dword v2, off, s[0:3], 0 offset:212
	buffer_store_dword v1, off, s[0:3], 0 offset:208
	;; [unrolled: 1-line block ×4, first 2 shown]
.LBB114_299:
	s_or_b32 exec_lo, exec_lo, s8
	v_mov_b32_e32 v4, s46
	v_cmp_lt_u32_e64 s5, 12, v0
	s_clause 0x3
	buffer_load_dword v1, v4, s[0:3], 0 offen
	buffer_load_dword v2, v4, s[0:3], 0 offen offset:4
	buffer_load_dword v3, v4, s[0:3], 0 offen offset:8
	;; [unrolled: 1-line block ×3, first 2 shown]
	s_waitcnt vmcnt(0)
	ds_write_b128 v108, v[1:4]
	s_waitcnt lgkmcnt(0)
	s_waitcnt_vscnt null, 0x0
	s_barrier
	buffer_gl0_inv
	s_and_saveexec_b32 s8, s5
	s_cbranch_execz .LBB114_307
; %bb.300:
	ds_read_b128 v[1:4], v108
	s_andn2_b32 vcc_lo, exec_lo, s58
	s_cbranch_vccnz .LBB114_302
; %bb.301:
	s_clause 0x3
	buffer_load_dword v109, v107, s[0:3], 0 offen offset:8
	buffer_load_dword v110, v107, s[0:3], 0 offen offset:12
	buffer_load_dword v111, v107, s[0:3], 0 offen
	buffer_load_dword v112, v107, s[0:3], 0 offen offset:4
	s_waitcnt vmcnt(2) lgkmcnt(0)
	v_mul_f64 v[114:115], v[3:4], v[109:110]
	v_mul_f64 v[109:110], v[1:2], v[109:110]
	s_waitcnt vmcnt(0)
	v_fma_f64 v[1:2], v[1:2], v[111:112], -v[114:115]
	v_fma_f64 v[3:4], v[3:4], v[111:112], v[109:110]
.LBB114_302:
	s_and_saveexec_b32 s59, s4
	s_cbranch_execz .LBB114_306
; %bb.303:
	v_add_nc_u32_e32 v109, -13, v0
	s_movk_i32 s60, 0x400
	s_mov_b32 s4, 0
	s_mov_b32 s61, s45
	.p2align	6
.LBB114_304:                            ; =>This Inner Loop Header: Depth=1
	v_mov_b32_e32 v112, s61
	v_add_nc_u32_e32 v109, -1, v109
	s_add_i32 s61, s61, 16
	s_clause 0x3
	buffer_load_dword v110, v112, s[0:3], 0 offen offset:8
	buffer_load_dword v111, v112, s[0:3], 0 offen offset:12
	buffer_load_dword v118, v112, s[0:3], 0 offen
	buffer_load_dword v119, v112, s[0:3], 0 offen offset:4
	v_mov_b32_e32 v112, s60
	v_cmp_eq_u32_e32 vcc_lo, 0, v109
	s_add_i32 s60, s60, 16
	ds_read_b128 v[114:117], v112
	s_or_b32 s4, vcc_lo, s4
	s_waitcnt vmcnt(2) lgkmcnt(0)
	v_mul_f64 v[120:121], v[116:117], v[110:111]
	v_mul_f64 v[110:111], v[114:115], v[110:111]
	s_waitcnt vmcnt(0)
	v_fma_f64 v[114:115], v[114:115], v[118:119], -v[120:121]
	v_fma_f64 v[110:111], v[116:117], v[118:119], v[110:111]
	v_add_f64 v[1:2], v[1:2], v[114:115]
	v_add_f64 v[3:4], v[3:4], v[110:111]
	s_andn2_b32 exec_lo, exec_lo, s4
	s_cbranch_execnz .LBB114_304
; %bb.305:
	s_or_b32 exec_lo, exec_lo, s4
.LBB114_306:
	s_or_b32 exec_lo, exec_lo, s59
	v_mov_b32_e32 v109, 0
	ds_read_b128 v[109:112], v109 offset:192
	s_waitcnt lgkmcnt(0)
	v_mul_f64 v[114:115], v[3:4], v[111:112]
	v_mul_f64 v[111:112], v[1:2], v[111:112]
	v_fma_f64 v[1:2], v[1:2], v[109:110], -v[114:115]
	v_fma_f64 v[3:4], v[3:4], v[109:110], v[111:112]
	buffer_store_dword v2, off, s[0:3], 0 offset:196
	buffer_store_dword v1, off, s[0:3], 0 offset:192
	;; [unrolled: 1-line block ×4, first 2 shown]
.LBB114_307:
	s_or_b32 exec_lo, exec_lo, s8
	v_mov_b32_e32 v4, s47
	v_cmp_lt_u32_e64 s4, 11, v0
	s_clause 0x3
	buffer_load_dword v1, v4, s[0:3], 0 offen
	buffer_load_dword v2, v4, s[0:3], 0 offen offset:4
	buffer_load_dword v3, v4, s[0:3], 0 offen offset:8
	buffer_load_dword v4, v4, s[0:3], 0 offen offset:12
	s_waitcnt vmcnt(0)
	ds_write_b128 v108, v[1:4]
	s_waitcnt lgkmcnt(0)
	s_waitcnt_vscnt null, 0x0
	s_barrier
	buffer_gl0_inv
	s_and_saveexec_b32 s8, s4
	s_cbranch_execz .LBB114_315
; %bb.308:
	ds_read_b128 v[1:4], v108
	s_andn2_b32 vcc_lo, exec_lo, s58
	s_cbranch_vccnz .LBB114_310
; %bb.309:
	s_clause 0x3
	buffer_load_dword v109, v107, s[0:3], 0 offen offset:8
	buffer_load_dword v110, v107, s[0:3], 0 offen offset:12
	buffer_load_dword v111, v107, s[0:3], 0 offen
	buffer_load_dword v112, v107, s[0:3], 0 offen offset:4
	s_waitcnt vmcnt(2) lgkmcnt(0)
	v_mul_f64 v[114:115], v[3:4], v[109:110]
	v_mul_f64 v[109:110], v[1:2], v[109:110]
	s_waitcnt vmcnt(0)
	v_fma_f64 v[1:2], v[1:2], v[111:112], -v[114:115]
	v_fma_f64 v[3:4], v[3:4], v[111:112], v[109:110]
.LBB114_310:
	s_and_saveexec_b32 s59, s5
	s_cbranch_execz .LBB114_314
; %bb.311:
	v_add_nc_u32_e32 v109, -12, v0
	s_movk_i32 s60, 0x3f0
	s_mov_b32 s5, 0
	s_mov_b32 s61, s46
	.p2align	6
.LBB114_312:                            ; =>This Inner Loop Header: Depth=1
	v_mov_b32_e32 v112, s61
	v_add_nc_u32_e32 v109, -1, v109
	s_add_i32 s61, s61, 16
	s_clause 0x3
	buffer_load_dword v110, v112, s[0:3], 0 offen offset:8
	buffer_load_dword v111, v112, s[0:3], 0 offen offset:12
	buffer_load_dword v118, v112, s[0:3], 0 offen
	buffer_load_dword v119, v112, s[0:3], 0 offen offset:4
	v_mov_b32_e32 v112, s60
	v_cmp_eq_u32_e32 vcc_lo, 0, v109
	s_add_i32 s60, s60, 16
	ds_read_b128 v[114:117], v112
	s_or_b32 s5, vcc_lo, s5
	s_waitcnt vmcnt(2) lgkmcnt(0)
	v_mul_f64 v[120:121], v[116:117], v[110:111]
	v_mul_f64 v[110:111], v[114:115], v[110:111]
	s_waitcnt vmcnt(0)
	v_fma_f64 v[114:115], v[114:115], v[118:119], -v[120:121]
	v_fma_f64 v[110:111], v[116:117], v[118:119], v[110:111]
	v_add_f64 v[1:2], v[1:2], v[114:115]
	v_add_f64 v[3:4], v[3:4], v[110:111]
	s_andn2_b32 exec_lo, exec_lo, s5
	s_cbranch_execnz .LBB114_312
; %bb.313:
	s_or_b32 exec_lo, exec_lo, s5
.LBB114_314:
	s_or_b32 exec_lo, exec_lo, s59
	v_mov_b32_e32 v109, 0
	ds_read_b128 v[109:112], v109 offset:176
	s_waitcnt lgkmcnt(0)
	v_mul_f64 v[114:115], v[3:4], v[111:112]
	v_mul_f64 v[111:112], v[1:2], v[111:112]
	v_fma_f64 v[1:2], v[1:2], v[109:110], -v[114:115]
	v_fma_f64 v[3:4], v[3:4], v[109:110], v[111:112]
	buffer_store_dword v2, off, s[0:3], 0 offset:180
	buffer_store_dword v1, off, s[0:3], 0 offset:176
	;; [unrolled: 1-line block ×4, first 2 shown]
.LBB114_315:
	s_or_b32 exec_lo, exec_lo, s8
	v_mov_b32_e32 v4, s48
	v_cmp_lt_u32_e64 s5, 10, v0
	s_clause 0x3
	buffer_load_dword v1, v4, s[0:3], 0 offen
	buffer_load_dword v2, v4, s[0:3], 0 offen offset:4
	buffer_load_dword v3, v4, s[0:3], 0 offen offset:8
	;; [unrolled: 1-line block ×3, first 2 shown]
	s_waitcnt vmcnt(0)
	ds_write_b128 v108, v[1:4]
	s_waitcnt lgkmcnt(0)
	s_waitcnt_vscnt null, 0x0
	s_barrier
	buffer_gl0_inv
	s_and_saveexec_b32 s8, s5
	s_cbranch_execz .LBB114_323
; %bb.316:
	ds_read_b128 v[1:4], v108
	s_andn2_b32 vcc_lo, exec_lo, s58
	s_cbranch_vccnz .LBB114_318
; %bb.317:
	s_clause 0x3
	buffer_load_dword v109, v107, s[0:3], 0 offen offset:8
	buffer_load_dword v110, v107, s[0:3], 0 offen offset:12
	buffer_load_dword v111, v107, s[0:3], 0 offen
	buffer_load_dword v112, v107, s[0:3], 0 offen offset:4
	s_waitcnt vmcnt(2) lgkmcnt(0)
	v_mul_f64 v[114:115], v[3:4], v[109:110]
	v_mul_f64 v[109:110], v[1:2], v[109:110]
	s_waitcnt vmcnt(0)
	v_fma_f64 v[1:2], v[1:2], v[111:112], -v[114:115]
	v_fma_f64 v[3:4], v[3:4], v[111:112], v[109:110]
.LBB114_318:
	s_and_saveexec_b32 s59, s4
	s_cbranch_execz .LBB114_322
; %bb.319:
	v_add_nc_u32_e32 v109, -11, v0
	s_movk_i32 s60, 0x3e0
	s_mov_b32 s4, 0
	s_mov_b32 s61, s47
	.p2align	6
.LBB114_320:                            ; =>This Inner Loop Header: Depth=1
	v_mov_b32_e32 v112, s61
	v_add_nc_u32_e32 v109, -1, v109
	s_add_i32 s61, s61, 16
	s_clause 0x3
	buffer_load_dword v110, v112, s[0:3], 0 offen offset:8
	buffer_load_dword v111, v112, s[0:3], 0 offen offset:12
	buffer_load_dword v118, v112, s[0:3], 0 offen
	buffer_load_dword v119, v112, s[0:3], 0 offen offset:4
	v_mov_b32_e32 v112, s60
	v_cmp_eq_u32_e32 vcc_lo, 0, v109
	s_add_i32 s60, s60, 16
	ds_read_b128 v[114:117], v112
	s_or_b32 s4, vcc_lo, s4
	s_waitcnt vmcnt(2) lgkmcnt(0)
	v_mul_f64 v[120:121], v[116:117], v[110:111]
	v_mul_f64 v[110:111], v[114:115], v[110:111]
	s_waitcnt vmcnt(0)
	v_fma_f64 v[114:115], v[114:115], v[118:119], -v[120:121]
	v_fma_f64 v[110:111], v[116:117], v[118:119], v[110:111]
	v_add_f64 v[1:2], v[1:2], v[114:115]
	v_add_f64 v[3:4], v[3:4], v[110:111]
	s_andn2_b32 exec_lo, exec_lo, s4
	s_cbranch_execnz .LBB114_320
; %bb.321:
	s_or_b32 exec_lo, exec_lo, s4
.LBB114_322:
	s_or_b32 exec_lo, exec_lo, s59
	v_mov_b32_e32 v109, 0
	ds_read_b128 v[109:112], v109 offset:160
	s_waitcnt lgkmcnt(0)
	v_mul_f64 v[114:115], v[3:4], v[111:112]
	v_mul_f64 v[111:112], v[1:2], v[111:112]
	v_fma_f64 v[1:2], v[1:2], v[109:110], -v[114:115]
	v_fma_f64 v[3:4], v[3:4], v[109:110], v[111:112]
	buffer_store_dword v2, off, s[0:3], 0 offset:164
	buffer_store_dword v1, off, s[0:3], 0 offset:160
	;; [unrolled: 1-line block ×4, first 2 shown]
.LBB114_323:
	s_or_b32 exec_lo, exec_lo, s8
	v_mov_b32_e32 v4, s49
	v_cmp_lt_u32_e64 s4, 9, v0
	s_clause 0x3
	buffer_load_dword v1, v4, s[0:3], 0 offen
	buffer_load_dword v2, v4, s[0:3], 0 offen offset:4
	buffer_load_dword v3, v4, s[0:3], 0 offen offset:8
	;; [unrolled: 1-line block ×3, first 2 shown]
	s_waitcnt vmcnt(0)
	ds_write_b128 v108, v[1:4]
	s_waitcnt lgkmcnt(0)
	s_waitcnt_vscnt null, 0x0
	s_barrier
	buffer_gl0_inv
	s_and_saveexec_b32 s8, s4
	s_cbranch_execz .LBB114_331
; %bb.324:
	ds_read_b128 v[1:4], v108
	s_andn2_b32 vcc_lo, exec_lo, s58
	s_cbranch_vccnz .LBB114_326
; %bb.325:
	s_clause 0x3
	buffer_load_dword v109, v107, s[0:3], 0 offen offset:8
	buffer_load_dword v110, v107, s[0:3], 0 offen offset:12
	buffer_load_dword v111, v107, s[0:3], 0 offen
	buffer_load_dword v112, v107, s[0:3], 0 offen offset:4
	s_waitcnt vmcnt(2) lgkmcnt(0)
	v_mul_f64 v[114:115], v[3:4], v[109:110]
	v_mul_f64 v[109:110], v[1:2], v[109:110]
	s_waitcnt vmcnt(0)
	v_fma_f64 v[1:2], v[1:2], v[111:112], -v[114:115]
	v_fma_f64 v[3:4], v[3:4], v[111:112], v[109:110]
.LBB114_326:
	s_and_saveexec_b32 s59, s5
	s_cbranch_execz .LBB114_330
; %bb.327:
	v_add_nc_u32_e32 v109, -10, v0
	s_movk_i32 s60, 0x3d0
	s_mov_b32 s5, 0
	s_mov_b32 s61, s48
	.p2align	6
.LBB114_328:                            ; =>This Inner Loop Header: Depth=1
	v_mov_b32_e32 v112, s61
	v_add_nc_u32_e32 v109, -1, v109
	s_add_i32 s61, s61, 16
	s_clause 0x3
	buffer_load_dword v110, v112, s[0:3], 0 offen offset:8
	buffer_load_dword v111, v112, s[0:3], 0 offen offset:12
	buffer_load_dword v118, v112, s[0:3], 0 offen
	buffer_load_dword v119, v112, s[0:3], 0 offen offset:4
	v_mov_b32_e32 v112, s60
	v_cmp_eq_u32_e32 vcc_lo, 0, v109
	s_add_i32 s60, s60, 16
	ds_read_b128 v[114:117], v112
	s_or_b32 s5, vcc_lo, s5
	s_waitcnt vmcnt(2) lgkmcnt(0)
	v_mul_f64 v[120:121], v[116:117], v[110:111]
	v_mul_f64 v[110:111], v[114:115], v[110:111]
	s_waitcnt vmcnt(0)
	v_fma_f64 v[114:115], v[114:115], v[118:119], -v[120:121]
	v_fma_f64 v[110:111], v[116:117], v[118:119], v[110:111]
	v_add_f64 v[1:2], v[1:2], v[114:115]
	v_add_f64 v[3:4], v[3:4], v[110:111]
	s_andn2_b32 exec_lo, exec_lo, s5
	s_cbranch_execnz .LBB114_328
; %bb.329:
	s_or_b32 exec_lo, exec_lo, s5
.LBB114_330:
	s_or_b32 exec_lo, exec_lo, s59
	v_mov_b32_e32 v109, 0
	ds_read_b128 v[109:112], v109 offset:144
	s_waitcnt lgkmcnt(0)
	v_mul_f64 v[114:115], v[3:4], v[111:112]
	v_mul_f64 v[111:112], v[1:2], v[111:112]
	v_fma_f64 v[1:2], v[1:2], v[109:110], -v[114:115]
	v_fma_f64 v[3:4], v[3:4], v[109:110], v[111:112]
	buffer_store_dword v2, off, s[0:3], 0 offset:148
	buffer_store_dword v1, off, s[0:3], 0 offset:144
	;; [unrolled: 1-line block ×4, first 2 shown]
.LBB114_331:
	s_or_b32 exec_lo, exec_lo, s8
	v_mov_b32_e32 v4, s50
	v_cmp_lt_u32_e64 s5, 8, v0
	s_clause 0x3
	buffer_load_dword v1, v4, s[0:3], 0 offen
	buffer_load_dword v2, v4, s[0:3], 0 offen offset:4
	buffer_load_dword v3, v4, s[0:3], 0 offen offset:8
	;; [unrolled: 1-line block ×3, first 2 shown]
	s_waitcnt vmcnt(0)
	ds_write_b128 v108, v[1:4]
	s_waitcnt lgkmcnt(0)
	s_waitcnt_vscnt null, 0x0
	s_barrier
	buffer_gl0_inv
	s_and_saveexec_b32 s8, s5
	s_cbranch_execz .LBB114_339
; %bb.332:
	ds_read_b128 v[1:4], v108
	s_andn2_b32 vcc_lo, exec_lo, s58
	s_cbranch_vccnz .LBB114_334
; %bb.333:
	s_clause 0x3
	buffer_load_dword v109, v107, s[0:3], 0 offen offset:8
	buffer_load_dword v110, v107, s[0:3], 0 offen offset:12
	buffer_load_dword v111, v107, s[0:3], 0 offen
	buffer_load_dword v112, v107, s[0:3], 0 offen offset:4
	s_waitcnt vmcnt(2) lgkmcnt(0)
	v_mul_f64 v[114:115], v[3:4], v[109:110]
	v_mul_f64 v[109:110], v[1:2], v[109:110]
	s_waitcnt vmcnt(0)
	v_fma_f64 v[1:2], v[1:2], v[111:112], -v[114:115]
	v_fma_f64 v[3:4], v[3:4], v[111:112], v[109:110]
.LBB114_334:
	s_and_saveexec_b32 s59, s4
	s_cbranch_execz .LBB114_338
; %bb.335:
	v_add_nc_u32_e32 v109, -9, v0
	s_movk_i32 s60, 0x3c0
	s_mov_b32 s4, 0
	s_mov_b32 s61, s49
	.p2align	6
.LBB114_336:                            ; =>This Inner Loop Header: Depth=1
	v_mov_b32_e32 v112, s61
	v_add_nc_u32_e32 v109, -1, v109
	s_add_i32 s61, s61, 16
	s_clause 0x3
	buffer_load_dword v110, v112, s[0:3], 0 offen offset:8
	buffer_load_dword v111, v112, s[0:3], 0 offen offset:12
	buffer_load_dword v118, v112, s[0:3], 0 offen
	buffer_load_dword v119, v112, s[0:3], 0 offen offset:4
	v_mov_b32_e32 v112, s60
	v_cmp_eq_u32_e32 vcc_lo, 0, v109
	s_add_i32 s60, s60, 16
	ds_read_b128 v[114:117], v112
	s_or_b32 s4, vcc_lo, s4
	s_waitcnt vmcnt(2) lgkmcnt(0)
	v_mul_f64 v[120:121], v[116:117], v[110:111]
	v_mul_f64 v[110:111], v[114:115], v[110:111]
	s_waitcnt vmcnt(0)
	v_fma_f64 v[114:115], v[114:115], v[118:119], -v[120:121]
	v_fma_f64 v[110:111], v[116:117], v[118:119], v[110:111]
	v_add_f64 v[1:2], v[1:2], v[114:115]
	v_add_f64 v[3:4], v[3:4], v[110:111]
	s_andn2_b32 exec_lo, exec_lo, s4
	s_cbranch_execnz .LBB114_336
; %bb.337:
	s_or_b32 exec_lo, exec_lo, s4
.LBB114_338:
	s_or_b32 exec_lo, exec_lo, s59
	v_mov_b32_e32 v109, 0
	ds_read_b128 v[109:112], v109 offset:128
	s_waitcnt lgkmcnt(0)
	v_mul_f64 v[114:115], v[3:4], v[111:112]
	v_mul_f64 v[111:112], v[1:2], v[111:112]
	v_fma_f64 v[1:2], v[1:2], v[109:110], -v[114:115]
	v_fma_f64 v[3:4], v[3:4], v[109:110], v[111:112]
	buffer_store_dword v2, off, s[0:3], 0 offset:132
	buffer_store_dword v1, off, s[0:3], 0 offset:128
	;; [unrolled: 1-line block ×4, first 2 shown]
.LBB114_339:
	s_or_b32 exec_lo, exec_lo, s8
	v_mov_b32_e32 v4, s51
	v_cmp_lt_u32_e64 s4, 7, v0
	s_clause 0x3
	buffer_load_dword v1, v4, s[0:3], 0 offen
	buffer_load_dword v2, v4, s[0:3], 0 offen offset:4
	buffer_load_dword v3, v4, s[0:3], 0 offen offset:8
	;; [unrolled: 1-line block ×3, first 2 shown]
	s_waitcnt vmcnt(0)
	ds_write_b128 v108, v[1:4]
	s_waitcnt lgkmcnt(0)
	s_waitcnt_vscnt null, 0x0
	s_barrier
	buffer_gl0_inv
	s_and_saveexec_b32 s8, s4
	s_cbranch_execz .LBB114_347
; %bb.340:
	ds_read_b128 v[1:4], v108
	s_andn2_b32 vcc_lo, exec_lo, s58
	s_cbranch_vccnz .LBB114_342
; %bb.341:
	s_clause 0x3
	buffer_load_dword v109, v107, s[0:3], 0 offen offset:8
	buffer_load_dword v110, v107, s[0:3], 0 offen offset:12
	buffer_load_dword v111, v107, s[0:3], 0 offen
	buffer_load_dword v112, v107, s[0:3], 0 offen offset:4
	s_waitcnt vmcnt(2) lgkmcnt(0)
	v_mul_f64 v[114:115], v[3:4], v[109:110]
	v_mul_f64 v[109:110], v[1:2], v[109:110]
	s_waitcnt vmcnt(0)
	v_fma_f64 v[1:2], v[1:2], v[111:112], -v[114:115]
	v_fma_f64 v[3:4], v[3:4], v[111:112], v[109:110]
.LBB114_342:
	s_and_saveexec_b32 s59, s5
	s_cbranch_execz .LBB114_346
; %bb.343:
	v_add_nc_u32_e32 v109, -8, v0
	s_movk_i32 s60, 0x3b0
	s_mov_b32 s5, 0
	s_mov_b32 s61, s50
	.p2align	6
.LBB114_344:                            ; =>This Inner Loop Header: Depth=1
	v_mov_b32_e32 v112, s61
	v_add_nc_u32_e32 v109, -1, v109
	s_add_i32 s61, s61, 16
	s_clause 0x3
	buffer_load_dword v110, v112, s[0:3], 0 offen offset:8
	buffer_load_dword v111, v112, s[0:3], 0 offen offset:12
	buffer_load_dword v118, v112, s[0:3], 0 offen
	buffer_load_dword v119, v112, s[0:3], 0 offen offset:4
	v_mov_b32_e32 v112, s60
	v_cmp_eq_u32_e32 vcc_lo, 0, v109
	s_add_i32 s60, s60, 16
	ds_read_b128 v[114:117], v112
	s_or_b32 s5, vcc_lo, s5
	s_waitcnt vmcnt(2) lgkmcnt(0)
	v_mul_f64 v[120:121], v[116:117], v[110:111]
	v_mul_f64 v[110:111], v[114:115], v[110:111]
	s_waitcnt vmcnt(0)
	v_fma_f64 v[114:115], v[114:115], v[118:119], -v[120:121]
	v_fma_f64 v[110:111], v[116:117], v[118:119], v[110:111]
	v_add_f64 v[1:2], v[1:2], v[114:115]
	v_add_f64 v[3:4], v[3:4], v[110:111]
	s_andn2_b32 exec_lo, exec_lo, s5
	s_cbranch_execnz .LBB114_344
; %bb.345:
	s_or_b32 exec_lo, exec_lo, s5
.LBB114_346:
	s_or_b32 exec_lo, exec_lo, s59
	v_mov_b32_e32 v109, 0
	ds_read_b128 v[109:112], v109 offset:112
	s_waitcnt lgkmcnt(0)
	v_mul_f64 v[114:115], v[3:4], v[111:112]
	v_mul_f64 v[111:112], v[1:2], v[111:112]
	v_fma_f64 v[1:2], v[1:2], v[109:110], -v[114:115]
	v_fma_f64 v[3:4], v[3:4], v[109:110], v[111:112]
	buffer_store_dword v2, off, s[0:3], 0 offset:116
	buffer_store_dword v1, off, s[0:3], 0 offset:112
	;; [unrolled: 1-line block ×4, first 2 shown]
.LBB114_347:
	s_or_b32 exec_lo, exec_lo, s8
	v_mov_b32_e32 v4, s52
	v_cmp_lt_u32_e64 s5, 6, v0
	s_clause 0x3
	buffer_load_dword v1, v4, s[0:3], 0 offen
	buffer_load_dword v2, v4, s[0:3], 0 offen offset:4
	buffer_load_dword v3, v4, s[0:3], 0 offen offset:8
	;; [unrolled: 1-line block ×3, first 2 shown]
	s_waitcnt vmcnt(0)
	ds_write_b128 v108, v[1:4]
	s_waitcnt lgkmcnt(0)
	s_waitcnt_vscnt null, 0x0
	s_barrier
	buffer_gl0_inv
	s_and_saveexec_b32 s8, s5
	s_cbranch_execz .LBB114_355
; %bb.348:
	ds_read_b128 v[1:4], v108
	s_andn2_b32 vcc_lo, exec_lo, s58
	s_cbranch_vccnz .LBB114_350
; %bb.349:
	s_clause 0x3
	buffer_load_dword v109, v107, s[0:3], 0 offen offset:8
	buffer_load_dword v110, v107, s[0:3], 0 offen offset:12
	buffer_load_dword v111, v107, s[0:3], 0 offen
	buffer_load_dword v112, v107, s[0:3], 0 offen offset:4
	s_waitcnt vmcnt(2) lgkmcnt(0)
	v_mul_f64 v[114:115], v[3:4], v[109:110]
	v_mul_f64 v[109:110], v[1:2], v[109:110]
	s_waitcnt vmcnt(0)
	v_fma_f64 v[1:2], v[1:2], v[111:112], -v[114:115]
	v_fma_f64 v[3:4], v[3:4], v[111:112], v[109:110]
.LBB114_350:
	s_and_saveexec_b32 s59, s4
	s_cbranch_execz .LBB114_354
; %bb.351:
	v_add_nc_u32_e32 v109, -7, v0
	s_movk_i32 s60, 0x3a0
	s_mov_b32 s4, 0
	s_mov_b32 s61, s51
	.p2align	6
.LBB114_352:                            ; =>This Inner Loop Header: Depth=1
	v_mov_b32_e32 v112, s61
	v_add_nc_u32_e32 v109, -1, v109
	s_add_i32 s61, s61, 16
	s_clause 0x3
	buffer_load_dword v110, v112, s[0:3], 0 offen offset:8
	buffer_load_dword v111, v112, s[0:3], 0 offen offset:12
	buffer_load_dword v118, v112, s[0:3], 0 offen
	buffer_load_dword v119, v112, s[0:3], 0 offen offset:4
	v_mov_b32_e32 v112, s60
	v_cmp_eq_u32_e32 vcc_lo, 0, v109
	s_add_i32 s60, s60, 16
	ds_read_b128 v[114:117], v112
	s_or_b32 s4, vcc_lo, s4
	s_waitcnt vmcnt(2) lgkmcnt(0)
	v_mul_f64 v[120:121], v[116:117], v[110:111]
	v_mul_f64 v[110:111], v[114:115], v[110:111]
	s_waitcnt vmcnt(0)
	v_fma_f64 v[114:115], v[114:115], v[118:119], -v[120:121]
	v_fma_f64 v[110:111], v[116:117], v[118:119], v[110:111]
	v_add_f64 v[1:2], v[1:2], v[114:115]
	v_add_f64 v[3:4], v[3:4], v[110:111]
	s_andn2_b32 exec_lo, exec_lo, s4
	s_cbranch_execnz .LBB114_352
; %bb.353:
	s_or_b32 exec_lo, exec_lo, s4
.LBB114_354:
	s_or_b32 exec_lo, exec_lo, s59
	v_mov_b32_e32 v109, 0
	ds_read_b128 v[109:112], v109 offset:96
	s_waitcnt lgkmcnt(0)
	v_mul_f64 v[114:115], v[3:4], v[111:112]
	v_mul_f64 v[111:112], v[1:2], v[111:112]
	v_fma_f64 v[1:2], v[1:2], v[109:110], -v[114:115]
	v_fma_f64 v[3:4], v[3:4], v[109:110], v[111:112]
	buffer_store_dword v2, off, s[0:3], 0 offset:100
	buffer_store_dword v1, off, s[0:3], 0 offset:96
	;; [unrolled: 1-line block ×4, first 2 shown]
.LBB114_355:
	s_or_b32 exec_lo, exec_lo, s8
	v_mov_b32_e32 v4, s53
	v_cmp_lt_u32_e64 s4, 5, v0
	s_clause 0x3
	buffer_load_dword v1, v4, s[0:3], 0 offen
	buffer_load_dword v2, v4, s[0:3], 0 offen offset:4
	buffer_load_dword v3, v4, s[0:3], 0 offen offset:8
	;; [unrolled: 1-line block ×3, first 2 shown]
	s_waitcnt vmcnt(0)
	ds_write_b128 v108, v[1:4]
	s_waitcnt lgkmcnt(0)
	s_waitcnt_vscnt null, 0x0
	s_barrier
	buffer_gl0_inv
	s_and_saveexec_b32 s8, s4
	s_cbranch_execz .LBB114_363
; %bb.356:
	ds_read_b128 v[1:4], v108
	s_andn2_b32 vcc_lo, exec_lo, s58
	s_cbranch_vccnz .LBB114_358
; %bb.357:
	s_clause 0x3
	buffer_load_dword v109, v107, s[0:3], 0 offen offset:8
	buffer_load_dword v110, v107, s[0:3], 0 offen offset:12
	buffer_load_dword v111, v107, s[0:3], 0 offen
	buffer_load_dword v112, v107, s[0:3], 0 offen offset:4
	s_waitcnt vmcnt(2) lgkmcnt(0)
	v_mul_f64 v[114:115], v[3:4], v[109:110]
	v_mul_f64 v[109:110], v[1:2], v[109:110]
	s_waitcnt vmcnt(0)
	v_fma_f64 v[1:2], v[1:2], v[111:112], -v[114:115]
	v_fma_f64 v[3:4], v[3:4], v[111:112], v[109:110]
.LBB114_358:
	s_and_saveexec_b32 s59, s5
	s_cbranch_execz .LBB114_362
; %bb.359:
	v_add_nc_u32_e32 v109, -6, v0
	s_movk_i32 s60, 0x390
	s_mov_b32 s5, 0
	s_mov_b32 s61, s52
	.p2align	6
.LBB114_360:                            ; =>This Inner Loop Header: Depth=1
	v_mov_b32_e32 v112, s61
	v_add_nc_u32_e32 v109, -1, v109
	s_add_i32 s61, s61, 16
	s_clause 0x3
	buffer_load_dword v110, v112, s[0:3], 0 offen offset:8
	buffer_load_dword v111, v112, s[0:3], 0 offen offset:12
	buffer_load_dword v118, v112, s[0:3], 0 offen
	buffer_load_dword v119, v112, s[0:3], 0 offen offset:4
	v_mov_b32_e32 v112, s60
	v_cmp_eq_u32_e32 vcc_lo, 0, v109
	s_add_i32 s60, s60, 16
	ds_read_b128 v[114:117], v112
	s_or_b32 s5, vcc_lo, s5
	s_waitcnt vmcnt(2) lgkmcnt(0)
	v_mul_f64 v[120:121], v[116:117], v[110:111]
	v_mul_f64 v[110:111], v[114:115], v[110:111]
	s_waitcnt vmcnt(0)
	v_fma_f64 v[114:115], v[114:115], v[118:119], -v[120:121]
	v_fma_f64 v[110:111], v[116:117], v[118:119], v[110:111]
	v_add_f64 v[1:2], v[1:2], v[114:115]
	v_add_f64 v[3:4], v[3:4], v[110:111]
	s_andn2_b32 exec_lo, exec_lo, s5
	s_cbranch_execnz .LBB114_360
; %bb.361:
	s_or_b32 exec_lo, exec_lo, s5
.LBB114_362:
	s_or_b32 exec_lo, exec_lo, s59
	v_mov_b32_e32 v109, 0
	ds_read_b128 v[109:112], v109 offset:80
	s_waitcnt lgkmcnt(0)
	v_mul_f64 v[114:115], v[3:4], v[111:112]
	v_mul_f64 v[111:112], v[1:2], v[111:112]
	v_fma_f64 v[1:2], v[1:2], v[109:110], -v[114:115]
	v_fma_f64 v[3:4], v[3:4], v[109:110], v[111:112]
	buffer_store_dword v2, off, s[0:3], 0 offset:84
	buffer_store_dword v1, off, s[0:3], 0 offset:80
	buffer_store_dword v4, off, s[0:3], 0 offset:92
	buffer_store_dword v3, off, s[0:3], 0 offset:88
.LBB114_363:
	s_or_b32 exec_lo, exec_lo, s8
	v_mov_b32_e32 v4, s54
	v_cmp_lt_u32_e64 s5, 4, v0
	s_clause 0x3
	buffer_load_dword v1, v4, s[0:3], 0 offen
	buffer_load_dword v2, v4, s[0:3], 0 offen offset:4
	buffer_load_dword v3, v4, s[0:3], 0 offen offset:8
	;; [unrolled: 1-line block ×3, first 2 shown]
	s_waitcnt vmcnt(0)
	ds_write_b128 v108, v[1:4]
	s_waitcnt lgkmcnt(0)
	s_waitcnt_vscnt null, 0x0
	s_barrier
	buffer_gl0_inv
	s_and_saveexec_b32 s8, s5
	s_cbranch_execz .LBB114_371
; %bb.364:
	ds_read_b128 v[1:4], v108
	s_andn2_b32 vcc_lo, exec_lo, s58
	s_cbranch_vccnz .LBB114_366
; %bb.365:
	s_clause 0x3
	buffer_load_dword v109, v107, s[0:3], 0 offen offset:8
	buffer_load_dword v110, v107, s[0:3], 0 offen offset:12
	buffer_load_dword v111, v107, s[0:3], 0 offen
	buffer_load_dword v112, v107, s[0:3], 0 offen offset:4
	s_waitcnt vmcnt(2) lgkmcnt(0)
	v_mul_f64 v[114:115], v[3:4], v[109:110]
	v_mul_f64 v[109:110], v[1:2], v[109:110]
	s_waitcnt vmcnt(0)
	v_fma_f64 v[1:2], v[1:2], v[111:112], -v[114:115]
	v_fma_f64 v[3:4], v[3:4], v[111:112], v[109:110]
.LBB114_366:
	s_and_saveexec_b32 s59, s4
	s_cbranch_execz .LBB114_370
; %bb.367:
	v_add_nc_u32_e32 v109, -5, v0
	s_movk_i32 s60, 0x380
	s_mov_b32 s4, 0
	s_mov_b32 s61, s53
	.p2align	6
.LBB114_368:                            ; =>This Inner Loop Header: Depth=1
	v_mov_b32_e32 v112, s61
	v_add_nc_u32_e32 v109, -1, v109
	s_add_i32 s61, s61, 16
	s_clause 0x3
	buffer_load_dword v110, v112, s[0:3], 0 offen offset:8
	buffer_load_dword v111, v112, s[0:3], 0 offen offset:12
	buffer_load_dword v118, v112, s[0:3], 0 offen
	buffer_load_dword v119, v112, s[0:3], 0 offen offset:4
	v_mov_b32_e32 v112, s60
	v_cmp_eq_u32_e32 vcc_lo, 0, v109
	s_add_i32 s60, s60, 16
	ds_read_b128 v[114:117], v112
	s_or_b32 s4, vcc_lo, s4
	s_waitcnt vmcnt(2) lgkmcnt(0)
	v_mul_f64 v[120:121], v[116:117], v[110:111]
	v_mul_f64 v[110:111], v[114:115], v[110:111]
	s_waitcnt vmcnt(0)
	v_fma_f64 v[114:115], v[114:115], v[118:119], -v[120:121]
	v_fma_f64 v[110:111], v[116:117], v[118:119], v[110:111]
	v_add_f64 v[1:2], v[1:2], v[114:115]
	v_add_f64 v[3:4], v[3:4], v[110:111]
	s_andn2_b32 exec_lo, exec_lo, s4
	s_cbranch_execnz .LBB114_368
; %bb.369:
	s_or_b32 exec_lo, exec_lo, s4
.LBB114_370:
	s_or_b32 exec_lo, exec_lo, s59
	v_mov_b32_e32 v109, 0
	ds_read_b128 v[109:112], v109 offset:64
	s_waitcnt lgkmcnt(0)
	v_mul_f64 v[114:115], v[3:4], v[111:112]
	v_mul_f64 v[111:112], v[1:2], v[111:112]
	v_fma_f64 v[1:2], v[1:2], v[109:110], -v[114:115]
	v_fma_f64 v[3:4], v[3:4], v[109:110], v[111:112]
	buffer_store_dword v2, off, s[0:3], 0 offset:68
	buffer_store_dword v1, off, s[0:3], 0 offset:64
	;; [unrolled: 1-line block ×4, first 2 shown]
.LBB114_371:
	s_or_b32 exec_lo, exec_lo, s8
	v_mov_b32_e32 v4, s55
	v_cmp_lt_u32_e64 s4, 3, v0
	s_clause 0x3
	buffer_load_dword v1, v4, s[0:3], 0 offen
	buffer_load_dword v2, v4, s[0:3], 0 offen offset:4
	buffer_load_dword v3, v4, s[0:3], 0 offen offset:8
	buffer_load_dword v4, v4, s[0:3], 0 offen offset:12
	s_waitcnt vmcnt(0)
	ds_write_b128 v108, v[1:4]
	s_waitcnt lgkmcnt(0)
	s_waitcnt_vscnt null, 0x0
	s_barrier
	buffer_gl0_inv
	s_and_saveexec_b32 s8, s4
	s_cbranch_execz .LBB114_379
; %bb.372:
	ds_read_b128 v[1:4], v108
	s_andn2_b32 vcc_lo, exec_lo, s58
	s_cbranch_vccnz .LBB114_374
; %bb.373:
	s_clause 0x3
	buffer_load_dword v109, v107, s[0:3], 0 offen offset:8
	buffer_load_dword v110, v107, s[0:3], 0 offen offset:12
	buffer_load_dword v111, v107, s[0:3], 0 offen
	buffer_load_dword v112, v107, s[0:3], 0 offen offset:4
	s_waitcnt vmcnt(2) lgkmcnt(0)
	v_mul_f64 v[114:115], v[3:4], v[109:110]
	v_mul_f64 v[109:110], v[1:2], v[109:110]
	s_waitcnt vmcnt(0)
	v_fma_f64 v[1:2], v[1:2], v[111:112], -v[114:115]
	v_fma_f64 v[3:4], v[3:4], v[111:112], v[109:110]
.LBB114_374:
	s_and_saveexec_b32 s59, s5
	s_cbranch_execz .LBB114_378
; %bb.375:
	v_add_nc_u32_e32 v109, -4, v0
	s_movk_i32 s60, 0x370
	s_mov_b32 s5, 0
	s_mov_b32 s61, s54
	.p2align	6
.LBB114_376:                            ; =>This Inner Loop Header: Depth=1
	v_mov_b32_e32 v112, s61
	v_add_nc_u32_e32 v109, -1, v109
	s_add_i32 s61, s61, 16
	s_clause 0x3
	buffer_load_dword v110, v112, s[0:3], 0 offen offset:8
	buffer_load_dword v111, v112, s[0:3], 0 offen offset:12
	buffer_load_dword v118, v112, s[0:3], 0 offen
	buffer_load_dword v119, v112, s[0:3], 0 offen offset:4
	v_mov_b32_e32 v112, s60
	v_cmp_eq_u32_e32 vcc_lo, 0, v109
	s_add_i32 s60, s60, 16
	ds_read_b128 v[114:117], v112
	s_or_b32 s5, vcc_lo, s5
	s_waitcnt vmcnt(2) lgkmcnt(0)
	v_mul_f64 v[120:121], v[116:117], v[110:111]
	v_mul_f64 v[110:111], v[114:115], v[110:111]
	s_waitcnt vmcnt(0)
	v_fma_f64 v[114:115], v[114:115], v[118:119], -v[120:121]
	v_fma_f64 v[110:111], v[116:117], v[118:119], v[110:111]
	v_add_f64 v[1:2], v[1:2], v[114:115]
	v_add_f64 v[3:4], v[3:4], v[110:111]
	s_andn2_b32 exec_lo, exec_lo, s5
	s_cbranch_execnz .LBB114_376
; %bb.377:
	s_or_b32 exec_lo, exec_lo, s5
.LBB114_378:
	s_or_b32 exec_lo, exec_lo, s59
	v_mov_b32_e32 v109, 0
	ds_read_b128 v[109:112], v109 offset:48
	s_waitcnt lgkmcnt(0)
	v_mul_f64 v[114:115], v[3:4], v[111:112]
	v_mul_f64 v[111:112], v[1:2], v[111:112]
	v_fma_f64 v[1:2], v[1:2], v[109:110], -v[114:115]
	v_fma_f64 v[3:4], v[3:4], v[109:110], v[111:112]
	buffer_store_dword v2, off, s[0:3], 0 offset:52
	buffer_store_dword v1, off, s[0:3], 0 offset:48
	;; [unrolled: 1-line block ×4, first 2 shown]
.LBB114_379:
	s_or_b32 exec_lo, exec_lo, s8
	v_mov_b32_e32 v4, s56
	v_cmp_lt_u32_e64 s5, 2, v0
	s_clause 0x3
	buffer_load_dword v1, v4, s[0:3], 0 offen
	buffer_load_dword v2, v4, s[0:3], 0 offen offset:4
	buffer_load_dword v3, v4, s[0:3], 0 offen offset:8
	;; [unrolled: 1-line block ×3, first 2 shown]
	s_waitcnt vmcnt(0)
	ds_write_b128 v108, v[1:4]
	s_waitcnt lgkmcnt(0)
	s_waitcnt_vscnt null, 0x0
	s_barrier
	buffer_gl0_inv
	s_and_saveexec_b32 s8, s5
	s_cbranch_execz .LBB114_387
; %bb.380:
	ds_read_b128 v[1:4], v108
	s_andn2_b32 vcc_lo, exec_lo, s58
	s_cbranch_vccnz .LBB114_382
; %bb.381:
	s_clause 0x3
	buffer_load_dword v109, v107, s[0:3], 0 offen offset:8
	buffer_load_dword v110, v107, s[0:3], 0 offen offset:12
	buffer_load_dword v111, v107, s[0:3], 0 offen
	buffer_load_dword v112, v107, s[0:3], 0 offen offset:4
	s_waitcnt vmcnt(2) lgkmcnt(0)
	v_mul_f64 v[114:115], v[3:4], v[109:110]
	v_mul_f64 v[109:110], v[1:2], v[109:110]
	s_waitcnt vmcnt(0)
	v_fma_f64 v[1:2], v[1:2], v[111:112], -v[114:115]
	v_fma_f64 v[3:4], v[3:4], v[111:112], v[109:110]
.LBB114_382:
	s_and_saveexec_b32 s59, s4
	s_cbranch_execz .LBB114_386
; %bb.383:
	v_add_nc_u32_e32 v109, -3, v0
	s_movk_i32 s60, 0x360
	s_mov_b32 s4, 0
	s_mov_b32 s61, s55
	.p2align	6
.LBB114_384:                            ; =>This Inner Loop Header: Depth=1
	v_mov_b32_e32 v112, s61
	v_add_nc_u32_e32 v109, -1, v109
	s_add_i32 s61, s61, 16
	s_clause 0x3
	buffer_load_dword v110, v112, s[0:3], 0 offen offset:8
	buffer_load_dword v111, v112, s[0:3], 0 offen offset:12
	buffer_load_dword v118, v112, s[0:3], 0 offen
	buffer_load_dword v119, v112, s[0:3], 0 offen offset:4
	v_mov_b32_e32 v112, s60
	v_cmp_eq_u32_e32 vcc_lo, 0, v109
	s_add_i32 s60, s60, 16
	ds_read_b128 v[114:117], v112
	s_or_b32 s4, vcc_lo, s4
	s_waitcnt vmcnt(2) lgkmcnt(0)
	v_mul_f64 v[120:121], v[116:117], v[110:111]
	v_mul_f64 v[110:111], v[114:115], v[110:111]
	s_waitcnt vmcnt(0)
	v_fma_f64 v[114:115], v[114:115], v[118:119], -v[120:121]
	v_fma_f64 v[110:111], v[116:117], v[118:119], v[110:111]
	v_add_f64 v[1:2], v[1:2], v[114:115]
	v_add_f64 v[3:4], v[3:4], v[110:111]
	s_andn2_b32 exec_lo, exec_lo, s4
	s_cbranch_execnz .LBB114_384
; %bb.385:
	s_or_b32 exec_lo, exec_lo, s4
.LBB114_386:
	s_or_b32 exec_lo, exec_lo, s59
	v_mov_b32_e32 v109, 0
	ds_read_b128 v[109:112], v109 offset:32
	s_waitcnt lgkmcnt(0)
	v_mul_f64 v[114:115], v[3:4], v[111:112]
	v_mul_f64 v[111:112], v[1:2], v[111:112]
	v_fma_f64 v[1:2], v[1:2], v[109:110], -v[114:115]
	v_fma_f64 v[3:4], v[3:4], v[109:110], v[111:112]
	buffer_store_dword v2, off, s[0:3], 0 offset:36
	buffer_store_dword v1, off, s[0:3], 0 offset:32
	;; [unrolled: 1-line block ×4, first 2 shown]
.LBB114_387:
	s_or_b32 exec_lo, exec_lo, s8
	v_mov_b32_e32 v4, s57
	v_cmp_lt_u32_e64 s4, 1, v0
	s_clause 0x3
	buffer_load_dword v1, v4, s[0:3], 0 offen
	buffer_load_dword v2, v4, s[0:3], 0 offen offset:4
	buffer_load_dword v3, v4, s[0:3], 0 offen offset:8
	;; [unrolled: 1-line block ×3, first 2 shown]
	s_waitcnt vmcnt(0)
	ds_write_b128 v108, v[1:4]
	s_waitcnt lgkmcnt(0)
	s_waitcnt_vscnt null, 0x0
	s_barrier
	buffer_gl0_inv
	s_and_saveexec_b32 s8, s4
	s_cbranch_execz .LBB114_395
; %bb.388:
	ds_read_b128 v[1:4], v108
	s_andn2_b32 vcc_lo, exec_lo, s58
	s_cbranch_vccnz .LBB114_390
; %bb.389:
	s_clause 0x3
	buffer_load_dword v109, v107, s[0:3], 0 offen offset:8
	buffer_load_dword v110, v107, s[0:3], 0 offen offset:12
	buffer_load_dword v111, v107, s[0:3], 0 offen
	buffer_load_dword v112, v107, s[0:3], 0 offen offset:4
	s_waitcnt vmcnt(2) lgkmcnt(0)
	v_mul_f64 v[114:115], v[3:4], v[109:110]
	v_mul_f64 v[109:110], v[1:2], v[109:110]
	s_waitcnt vmcnt(0)
	v_fma_f64 v[1:2], v[1:2], v[111:112], -v[114:115]
	v_fma_f64 v[3:4], v[3:4], v[111:112], v[109:110]
.LBB114_390:
	s_and_saveexec_b32 s59, s5
	s_cbranch_execz .LBB114_394
; %bb.391:
	v_add_nc_u32_e32 v109, -2, v0
	s_movk_i32 s60, 0x350
	s_mov_b32 s5, 0
	s_mov_b32 s61, s56
	.p2align	6
.LBB114_392:                            ; =>This Inner Loop Header: Depth=1
	v_mov_b32_e32 v112, s61
	v_add_nc_u32_e32 v109, -1, v109
	s_add_i32 s61, s61, 16
	s_clause 0x3
	buffer_load_dword v110, v112, s[0:3], 0 offen offset:8
	buffer_load_dword v111, v112, s[0:3], 0 offen offset:12
	buffer_load_dword v118, v112, s[0:3], 0 offen
	buffer_load_dword v119, v112, s[0:3], 0 offen offset:4
	v_mov_b32_e32 v112, s60
	v_cmp_eq_u32_e32 vcc_lo, 0, v109
	s_add_i32 s60, s60, 16
	ds_read_b128 v[114:117], v112
	s_or_b32 s5, vcc_lo, s5
	s_waitcnt vmcnt(2) lgkmcnt(0)
	v_mul_f64 v[120:121], v[116:117], v[110:111]
	v_mul_f64 v[110:111], v[114:115], v[110:111]
	s_waitcnt vmcnt(0)
	v_fma_f64 v[114:115], v[114:115], v[118:119], -v[120:121]
	v_fma_f64 v[110:111], v[116:117], v[118:119], v[110:111]
	v_add_f64 v[1:2], v[1:2], v[114:115]
	v_add_f64 v[3:4], v[3:4], v[110:111]
	s_andn2_b32 exec_lo, exec_lo, s5
	s_cbranch_execnz .LBB114_392
; %bb.393:
	s_or_b32 exec_lo, exec_lo, s5
.LBB114_394:
	s_or_b32 exec_lo, exec_lo, s59
	v_mov_b32_e32 v109, 0
	ds_read_b128 v[109:112], v109 offset:16
	s_waitcnt lgkmcnt(0)
	v_mul_f64 v[114:115], v[3:4], v[111:112]
	v_mul_f64 v[111:112], v[1:2], v[111:112]
	v_fma_f64 v[1:2], v[1:2], v[109:110], -v[114:115]
	v_fma_f64 v[3:4], v[3:4], v[109:110], v[111:112]
	buffer_store_dword v2, off, s[0:3], 0 offset:20
	buffer_store_dword v1, off, s[0:3], 0 offset:16
	;; [unrolled: 1-line block ×4, first 2 shown]
.LBB114_395:
	s_or_b32 exec_lo, exec_lo, s8
	s_clause 0x3
	buffer_load_dword v1, off, s[0:3], 0
	buffer_load_dword v2, off, s[0:3], 0 offset:4
	buffer_load_dword v3, off, s[0:3], 0 offset:8
	;; [unrolled: 1-line block ×3, first 2 shown]
	s_mov_b32 s8, 0
	s_mov_b32 s5, 0
	s_mov_b32 s59, exec_lo
                                        ; implicit-def: $sgpr60
	s_waitcnt vmcnt(0)
	ds_write_b128 v108, v[1:4]
	s_waitcnt lgkmcnt(0)
	s_waitcnt_vscnt null, 0x0
	s_barrier
	buffer_gl0_inv
                                        ; implicit-def: $vgpr1_vgpr2
	v_cmpx_ne_u32_e32 0, v0
	s_cbranch_execz .LBB114_403
; %bb.396:
	ds_read_b128 v[1:4], v108
	s_andn2_b32 vcc_lo, exec_lo, s58
	s_cbranch_vccnz .LBB114_398
; %bb.397:
	s_clause 0x3
	buffer_load_dword v109, v107, s[0:3], 0 offen offset:8
	buffer_load_dword v110, v107, s[0:3], 0 offen offset:12
	buffer_load_dword v111, v107, s[0:3], 0 offen
	buffer_load_dword v112, v107, s[0:3], 0 offen offset:4
	s_waitcnt vmcnt(2) lgkmcnt(0)
	v_mul_f64 v[114:115], v[3:4], v[109:110]
	v_mul_f64 v[109:110], v[1:2], v[109:110]
	s_waitcnt vmcnt(0)
	v_fma_f64 v[1:2], v[1:2], v[111:112], -v[114:115]
	v_fma_f64 v[3:4], v[3:4], v[111:112], v[109:110]
.LBB114_398:
	s_and_saveexec_b32 s5, s4
	s_cbranch_execz .LBB114_402
; %bb.399:
	v_add_nc_u32_e32 v109, -1, v0
	s_movk_i32 s60, 0x340
	s_mov_b32 s4, 0
	s_mov_b32 s61, s57
	.p2align	6
.LBB114_400:                            ; =>This Inner Loop Header: Depth=1
	v_mov_b32_e32 v112, s61
	v_add_nc_u32_e32 v109, -1, v109
	s_add_i32 s61, s61, 16
	s_clause 0x3
	buffer_load_dword v110, v112, s[0:3], 0 offen offset:8
	buffer_load_dword v111, v112, s[0:3], 0 offen offset:12
	buffer_load_dword v118, v112, s[0:3], 0 offen
	buffer_load_dword v119, v112, s[0:3], 0 offen offset:4
	v_mov_b32_e32 v112, s60
	v_cmp_eq_u32_e32 vcc_lo, 0, v109
	s_add_i32 s60, s60, 16
	ds_read_b128 v[114:117], v112
	s_or_b32 s4, vcc_lo, s4
	s_waitcnt vmcnt(2) lgkmcnt(0)
	v_mul_f64 v[120:121], v[116:117], v[110:111]
	v_mul_f64 v[110:111], v[114:115], v[110:111]
	s_waitcnt vmcnt(0)
	v_fma_f64 v[114:115], v[114:115], v[118:119], -v[120:121]
	v_fma_f64 v[110:111], v[116:117], v[118:119], v[110:111]
	v_add_f64 v[1:2], v[1:2], v[114:115]
	v_add_f64 v[3:4], v[3:4], v[110:111]
	s_andn2_b32 exec_lo, exec_lo, s4
	s_cbranch_execnz .LBB114_400
; %bb.401:
	s_or_b32 exec_lo, exec_lo, s4
.LBB114_402:
	s_or_b32 exec_lo, exec_lo, s5
	v_mov_b32_e32 v109, 0
	s_mov_b32 s5, exec_lo
	s_or_b32 s60, 0, 8
	ds_read_b128 v[109:112], v109
	s_waitcnt lgkmcnt(0)
	v_mul_f64 v[114:115], v[3:4], v[111:112]
	v_mul_f64 v[111:112], v[1:2], v[111:112]
	v_fma_f64 v[114:115], v[1:2], v[109:110], -v[114:115]
	v_fma_f64 v[1:2], v[3:4], v[109:110], v[111:112]
	buffer_store_dword v115, off, s[0:3], 0 offset:4
	buffer_store_dword v114, off, s[0:3], 0
.LBB114_403:
	s_or_b32 exec_lo, exec_lo, s59
	s_and_b32 vcc_lo, exec_lo, s8
	s_cbranch_vccnz .LBB114_405
	s_branch .LBB114_800
.LBB114_404:
	s_mov_b32 s5, 0
                                        ; implicit-def: $vgpr1_vgpr2
                                        ; implicit-def: $sgpr60
	s_cbranch_execz .LBB114_800
.LBB114_405:
	v_mov_b32_e32 v4, s57
	v_cmp_eq_u32_e64 s4, 0, v0
	v_cndmask_b32_e64 v109, 0, 1, s58
	s_clause 0x3
	buffer_load_dword v1, v4, s[0:3], 0 offen
	buffer_load_dword v2, v4, s[0:3], 0 offen offset:4
	buffer_load_dword v3, v4, s[0:3], 0 offen offset:8
	;; [unrolled: 1-line block ×3, first 2 shown]
	s_waitcnt vmcnt(0)
	ds_write_b128 v108, v[1:4]
	s_waitcnt lgkmcnt(0)
	s_waitcnt_vscnt null, 0x0
	s_barrier
	buffer_gl0_inv
	s_and_saveexec_b32 s8, s4
	s_cbranch_execz .LBB114_409
; %bb.406:
	ds_read_b128 v[1:4], v108
	s_andn2_b32 vcc_lo, exec_lo, s58
	s_cbranch_vccnz .LBB114_408
; %bb.407:
	s_clause 0x3
	buffer_load_dword v110, v107, s[0:3], 0 offen offset:8
	buffer_load_dword v111, v107, s[0:3], 0 offen offset:12
	buffer_load_dword v114, v107, s[0:3], 0 offen
	buffer_load_dword v115, v107, s[0:3], 0 offen offset:4
	s_waitcnt vmcnt(2) lgkmcnt(0)
	v_mul_f64 v[116:117], v[3:4], v[110:111]
	v_mul_f64 v[110:111], v[1:2], v[110:111]
	s_waitcnt vmcnt(0)
	v_fma_f64 v[1:2], v[1:2], v[114:115], -v[116:117]
	v_fma_f64 v[3:4], v[3:4], v[114:115], v[110:111]
.LBB114_408:
	v_mov_b32_e32 v110, 0
	ds_read_b128 v[114:117], v110 offset:16
	s_waitcnt lgkmcnt(0)
	v_mul_f64 v[110:111], v[3:4], v[116:117]
	v_mul_f64 v[116:117], v[1:2], v[116:117]
	v_fma_f64 v[1:2], v[1:2], v[114:115], -v[110:111]
	v_fma_f64 v[3:4], v[3:4], v[114:115], v[116:117]
	buffer_store_dword v2, off, s[0:3], 0 offset:20
	buffer_store_dword v1, off, s[0:3], 0 offset:16
	;; [unrolled: 1-line block ×4, first 2 shown]
.LBB114_409:
	s_or_b32 exec_lo, exec_lo, s8
	v_mov_b32_e32 v4, s56
	s_mov_b32 s8, exec_lo
	s_clause 0x3
	buffer_load_dword v1, v4, s[0:3], 0 offen
	buffer_load_dword v2, v4, s[0:3], 0 offen offset:4
	buffer_load_dword v3, v4, s[0:3], 0 offen offset:8
	;; [unrolled: 1-line block ×3, first 2 shown]
	s_waitcnt vmcnt(0)
	ds_write_b128 v108, v[1:4]
	s_waitcnt lgkmcnt(0)
	s_waitcnt_vscnt null, 0x0
	s_barrier
	buffer_gl0_inv
	v_cmpx_gt_u32_e32 2, v0
	s_cbranch_execz .LBB114_415
; %bb.410:
	ds_read_b128 v[1:4], v108
	v_cmp_ne_u32_e32 vcc_lo, 1, v109
	s_cbranch_vccnz .LBB114_412
; %bb.411:
	s_clause 0x3
	buffer_load_dword v110, v107, s[0:3], 0 offen offset:8
	buffer_load_dword v111, v107, s[0:3], 0 offen offset:12
	buffer_load_dword v114, v107, s[0:3], 0 offen
	buffer_load_dword v115, v107, s[0:3], 0 offen offset:4
	s_waitcnt vmcnt(2) lgkmcnt(0)
	v_mul_f64 v[116:117], v[3:4], v[110:111]
	v_mul_f64 v[110:111], v[1:2], v[110:111]
	s_waitcnt vmcnt(0)
	v_fma_f64 v[1:2], v[1:2], v[114:115], -v[116:117]
	v_fma_f64 v[3:4], v[3:4], v[114:115], v[110:111]
.LBB114_412:
	s_and_saveexec_b32 s58, s4
	s_cbranch_execz .LBB114_414
; %bb.413:
	s_clause 0x3
	buffer_load_dword v110, off, s[0:3], 0 offset:24
	buffer_load_dword v111, off, s[0:3], 0 offset:28
	buffer_load_dword v118, off, s[0:3], 0 offset:16
	buffer_load_dword v119, off, s[0:3], 0 offset:20
	v_mov_b32_e32 v112, 0
	ds_read_b128 v[114:117], v112 offset:832
	s_waitcnt vmcnt(2) lgkmcnt(0)
	v_mul_f64 v[120:121], v[116:117], v[110:111]
	v_mul_f64 v[110:111], v[114:115], v[110:111]
	s_waitcnt vmcnt(0)
	v_fma_f64 v[114:115], v[114:115], v[118:119], -v[120:121]
	v_fma_f64 v[110:111], v[116:117], v[118:119], v[110:111]
	v_add_f64 v[1:2], v[1:2], v[114:115]
	v_add_f64 v[3:4], v[3:4], v[110:111]
.LBB114_414:
	s_or_b32 exec_lo, exec_lo, s58
	v_mov_b32_e32 v110, 0
	ds_read_b128 v[114:117], v110 offset:32
	s_waitcnt lgkmcnt(0)
	v_mul_f64 v[110:111], v[3:4], v[116:117]
	v_mul_f64 v[116:117], v[1:2], v[116:117]
	v_fma_f64 v[1:2], v[1:2], v[114:115], -v[110:111]
	v_fma_f64 v[3:4], v[3:4], v[114:115], v[116:117]
	buffer_store_dword v2, off, s[0:3], 0 offset:36
	buffer_store_dword v1, off, s[0:3], 0 offset:32
	;; [unrolled: 1-line block ×4, first 2 shown]
.LBB114_415:
	s_or_b32 exec_lo, exec_lo, s8
	v_mov_b32_e32 v4, s55
	s_mov_b32 s8, exec_lo
	s_clause 0x3
	buffer_load_dword v1, v4, s[0:3], 0 offen
	buffer_load_dword v2, v4, s[0:3], 0 offen offset:4
	buffer_load_dword v3, v4, s[0:3], 0 offen offset:8
	;; [unrolled: 1-line block ×3, first 2 shown]
	s_waitcnt vmcnt(0)
	ds_write_b128 v108, v[1:4]
	s_waitcnt lgkmcnt(0)
	s_waitcnt_vscnt null, 0x0
	s_barrier
	buffer_gl0_inv
	v_cmpx_gt_u32_e32 3, v0
	s_cbranch_execz .LBB114_423
; %bb.416:
	ds_read_b128 v[1:4], v108
	v_cmp_ne_u32_e32 vcc_lo, 1, v109
	s_cbranch_vccnz .LBB114_418
; %bb.417:
	s_clause 0x3
	buffer_load_dword v110, v107, s[0:3], 0 offen offset:8
	buffer_load_dword v111, v107, s[0:3], 0 offen offset:12
	buffer_load_dword v114, v107, s[0:3], 0 offen
	buffer_load_dword v115, v107, s[0:3], 0 offen offset:4
	s_waitcnt vmcnt(2) lgkmcnt(0)
	v_mul_f64 v[116:117], v[3:4], v[110:111]
	v_mul_f64 v[110:111], v[1:2], v[110:111]
	s_waitcnt vmcnt(0)
	v_fma_f64 v[1:2], v[1:2], v[114:115], -v[116:117]
	v_fma_f64 v[3:4], v[3:4], v[114:115], v[110:111]
.LBB114_418:
	s_mov_b32 s58, exec_lo
	v_cmpx_ne_u32_e32 2, v0
	s_cbranch_execz .LBB114_422
; %bb.419:
	s_clause 0x3
	buffer_load_dword v110, v107, s[0:3], 0 offen offset:24
	buffer_load_dword v111, v107, s[0:3], 0 offen offset:28
	buffer_load_dword v118, v107, s[0:3], 0 offen offset:16
	buffer_load_dword v119, v107, s[0:3], 0 offen offset:20
	ds_read_b128 v[114:117], v108 offset:16
	s_waitcnt vmcnt(2) lgkmcnt(0)
	v_mul_f64 v[120:121], v[116:117], v[110:111]
	v_mul_f64 v[110:111], v[114:115], v[110:111]
	s_waitcnt vmcnt(0)
	v_fma_f64 v[114:115], v[114:115], v[118:119], -v[120:121]
	v_fma_f64 v[110:111], v[116:117], v[118:119], v[110:111]
	v_add_f64 v[1:2], v[1:2], v[114:115]
	v_add_f64 v[3:4], v[3:4], v[110:111]
	s_and_saveexec_b32 s59, s4
	s_cbranch_execz .LBB114_421
; %bb.420:
	s_clause 0x3
	buffer_load_dword v110, off, s[0:3], 0 offset:40
	buffer_load_dword v111, off, s[0:3], 0 offset:44
	;; [unrolled: 1-line block ×4, first 2 shown]
	v_mov_b32_e32 v112, 0
	ds_read_b128 v[114:117], v112 offset:848
	s_waitcnt vmcnt(2) lgkmcnt(0)
	v_mul_f64 v[120:121], v[114:115], v[110:111]
	v_mul_f64 v[110:111], v[116:117], v[110:111]
	s_waitcnt vmcnt(0)
	v_fma_f64 v[116:117], v[116:117], v[118:119], v[120:121]
	v_fma_f64 v[110:111], v[114:115], v[118:119], -v[110:111]
	v_add_f64 v[3:4], v[3:4], v[116:117]
	v_add_f64 v[1:2], v[1:2], v[110:111]
.LBB114_421:
	s_or_b32 exec_lo, exec_lo, s59
.LBB114_422:
	s_or_b32 exec_lo, exec_lo, s58
	v_mov_b32_e32 v110, 0
	ds_read_b128 v[114:117], v110 offset:48
	s_waitcnt lgkmcnt(0)
	v_mul_f64 v[110:111], v[3:4], v[116:117]
	v_mul_f64 v[116:117], v[1:2], v[116:117]
	v_fma_f64 v[1:2], v[1:2], v[114:115], -v[110:111]
	v_fma_f64 v[3:4], v[3:4], v[114:115], v[116:117]
	buffer_store_dword v2, off, s[0:3], 0 offset:52
	buffer_store_dword v1, off, s[0:3], 0 offset:48
	;; [unrolled: 1-line block ×4, first 2 shown]
.LBB114_423:
	s_or_b32 exec_lo, exec_lo, s8
	v_mov_b32_e32 v4, s54
	s_mov_b32 s4, exec_lo
	s_clause 0x3
	buffer_load_dword v1, v4, s[0:3], 0 offen
	buffer_load_dword v2, v4, s[0:3], 0 offen offset:4
	buffer_load_dword v3, v4, s[0:3], 0 offen offset:8
	;; [unrolled: 1-line block ×3, first 2 shown]
	s_waitcnt vmcnt(0)
	ds_write_b128 v108, v[1:4]
	s_waitcnt lgkmcnt(0)
	s_waitcnt_vscnt null, 0x0
	s_barrier
	buffer_gl0_inv
	v_cmpx_gt_u32_e32 4, v0
	s_cbranch_execz .LBB114_431
; %bb.424:
	ds_read_b128 v[1:4], v108
	v_cmp_ne_u32_e32 vcc_lo, 1, v109
	s_cbranch_vccnz .LBB114_426
; %bb.425:
	s_clause 0x3
	buffer_load_dword v110, v107, s[0:3], 0 offen offset:8
	buffer_load_dword v111, v107, s[0:3], 0 offen offset:12
	buffer_load_dword v114, v107, s[0:3], 0 offen
	buffer_load_dword v115, v107, s[0:3], 0 offen offset:4
	s_waitcnt vmcnt(2) lgkmcnt(0)
	v_mul_f64 v[116:117], v[3:4], v[110:111]
	v_mul_f64 v[110:111], v[1:2], v[110:111]
	s_waitcnt vmcnt(0)
	v_fma_f64 v[1:2], v[1:2], v[114:115], -v[116:117]
	v_fma_f64 v[3:4], v[3:4], v[114:115], v[110:111]
.LBB114_426:
	s_mov_b32 s8, exec_lo
	v_cmpx_ne_u32_e32 3, v0
	s_cbranch_execz .LBB114_430
; %bb.427:
	v_add_nc_u32_e32 v110, 0x340, v113
	v_add3_u32 v111, 0, v113, 16
	v_mov_b32_e32 v112, v0
	s_mov_b32 s58, 0
	.p2align	6
.LBB114_428:                            ; =>This Inner Loop Header: Depth=1
	s_clause 0x3
	buffer_load_dword v118, v111, s[0:3], 0 offen offset:8
	buffer_load_dword v119, v111, s[0:3], 0 offen offset:12
	buffer_load_dword v120, v111, s[0:3], 0 offen
	buffer_load_dword v121, v111, s[0:3], 0 offen offset:4
	ds_read_b128 v[114:117], v110
	v_add_nc_u32_e32 v112, 1, v112
	v_add_nc_u32_e32 v110, 16, v110
	;; [unrolled: 1-line block ×3, first 2 shown]
	v_cmp_lt_u32_e32 vcc_lo, 2, v112
	s_or_b32 s58, vcc_lo, s58
	s_waitcnt vmcnt(2) lgkmcnt(0)
	v_mul_f64 v[122:123], v[116:117], v[118:119]
	v_mul_f64 v[118:119], v[114:115], v[118:119]
	s_waitcnt vmcnt(0)
	v_fma_f64 v[114:115], v[114:115], v[120:121], -v[122:123]
	v_fma_f64 v[116:117], v[116:117], v[120:121], v[118:119]
	v_add_f64 v[1:2], v[1:2], v[114:115]
	v_add_f64 v[3:4], v[3:4], v[116:117]
	s_andn2_b32 exec_lo, exec_lo, s58
	s_cbranch_execnz .LBB114_428
; %bb.429:
	s_or_b32 exec_lo, exec_lo, s58
.LBB114_430:
	s_or_b32 exec_lo, exec_lo, s8
	v_mov_b32_e32 v110, 0
	ds_read_b128 v[114:117], v110 offset:64
	s_waitcnt lgkmcnt(0)
	v_mul_f64 v[110:111], v[3:4], v[116:117]
	v_mul_f64 v[116:117], v[1:2], v[116:117]
	v_fma_f64 v[1:2], v[1:2], v[114:115], -v[110:111]
	v_fma_f64 v[3:4], v[3:4], v[114:115], v[116:117]
	buffer_store_dword v2, off, s[0:3], 0 offset:68
	buffer_store_dword v1, off, s[0:3], 0 offset:64
	;; [unrolled: 1-line block ×4, first 2 shown]
.LBB114_431:
	s_or_b32 exec_lo, exec_lo, s4
	v_mov_b32_e32 v4, s53
	s_mov_b32 s4, exec_lo
	s_clause 0x3
	buffer_load_dword v1, v4, s[0:3], 0 offen
	buffer_load_dword v2, v4, s[0:3], 0 offen offset:4
	buffer_load_dword v3, v4, s[0:3], 0 offen offset:8
	;; [unrolled: 1-line block ×3, first 2 shown]
	s_waitcnt vmcnt(0)
	ds_write_b128 v108, v[1:4]
	s_waitcnt lgkmcnt(0)
	s_waitcnt_vscnt null, 0x0
	s_barrier
	buffer_gl0_inv
	v_cmpx_gt_u32_e32 5, v0
	s_cbranch_execz .LBB114_439
; %bb.432:
	ds_read_b128 v[1:4], v108
	v_cmp_ne_u32_e32 vcc_lo, 1, v109
	s_cbranch_vccnz .LBB114_434
; %bb.433:
	s_clause 0x3
	buffer_load_dword v110, v107, s[0:3], 0 offen offset:8
	buffer_load_dword v111, v107, s[0:3], 0 offen offset:12
	buffer_load_dword v114, v107, s[0:3], 0 offen
	buffer_load_dword v115, v107, s[0:3], 0 offen offset:4
	s_waitcnt vmcnt(2) lgkmcnt(0)
	v_mul_f64 v[116:117], v[3:4], v[110:111]
	v_mul_f64 v[110:111], v[1:2], v[110:111]
	s_waitcnt vmcnt(0)
	v_fma_f64 v[1:2], v[1:2], v[114:115], -v[116:117]
	v_fma_f64 v[3:4], v[3:4], v[114:115], v[110:111]
.LBB114_434:
	s_mov_b32 s8, exec_lo
	v_cmpx_ne_u32_e32 4, v0
	s_cbranch_execz .LBB114_438
; %bb.435:
	v_add_nc_u32_e32 v110, 0x340, v113
	v_add3_u32 v111, 0, v113, 16
	v_mov_b32_e32 v112, v0
	s_mov_b32 s58, 0
	.p2align	6
.LBB114_436:                            ; =>This Inner Loop Header: Depth=1
	s_clause 0x3
	buffer_load_dword v118, v111, s[0:3], 0 offen offset:8
	buffer_load_dword v119, v111, s[0:3], 0 offen offset:12
	buffer_load_dword v120, v111, s[0:3], 0 offen
	buffer_load_dword v121, v111, s[0:3], 0 offen offset:4
	ds_read_b128 v[114:117], v110
	v_add_nc_u32_e32 v112, 1, v112
	v_add_nc_u32_e32 v110, 16, v110
	;; [unrolled: 1-line block ×3, first 2 shown]
	v_cmp_lt_u32_e32 vcc_lo, 3, v112
	s_or_b32 s58, vcc_lo, s58
	s_waitcnt vmcnt(2) lgkmcnt(0)
	v_mul_f64 v[122:123], v[116:117], v[118:119]
	v_mul_f64 v[118:119], v[114:115], v[118:119]
	s_waitcnt vmcnt(0)
	v_fma_f64 v[114:115], v[114:115], v[120:121], -v[122:123]
	v_fma_f64 v[116:117], v[116:117], v[120:121], v[118:119]
	v_add_f64 v[1:2], v[1:2], v[114:115]
	v_add_f64 v[3:4], v[3:4], v[116:117]
	s_andn2_b32 exec_lo, exec_lo, s58
	s_cbranch_execnz .LBB114_436
; %bb.437:
	s_or_b32 exec_lo, exec_lo, s58
.LBB114_438:
	s_or_b32 exec_lo, exec_lo, s8
	v_mov_b32_e32 v110, 0
	ds_read_b128 v[114:117], v110 offset:80
	s_waitcnt lgkmcnt(0)
	v_mul_f64 v[110:111], v[3:4], v[116:117]
	v_mul_f64 v[116:117], v[1:2], v[116:117]
	v_fma_f64 v[1:2], v[1:2], v[114:115], -v[110:111]
	v_fma_f64 v[3:4], v[3:4], v[114:115], v[116:117]
	buffer_store_dword v2, off, s[0:3], 0 offset:84
	buffer_store_dword v1, off, s[0:3], 0 offset:80
	;; [unrolled: 1-line block ×4, first 2 shown]
.LBB114_439:
	s_or_b32 exec_lo, exec_lo, s4
	v_mov_b32_e32 v4, s52
	s_mov_b32 s4, exec_lo
	s_clause 0x3
	buffer_load_dword v1, v4, s[0:3], 0 offen
	buffer_load_dword v2, v4, s[0:3], 0 offen offset:4
	buffer_load_dword v3, v4, s[0:3], 0 offen offset:8
	;; [unrolled: 1-line block ×3, first 2 shown]
	s_waitcnt vmcnt(0)
	ds_write_b128 v108, v[1:4]
	s_waitcnt lgkmcnt(0)
	s_waitcnt_vscnt null, 0x0
	s_barrier
	buffer_gl0_inv
	v_cmpx_gt_u32_e32 6, v0
	s_cbranch_execz .LBB114_447
; %bb.440:
	ds_read_b128 v[1:4], v108
	v_cmp_ne_u32_e32 vcc_lo, 1, v109
	s_cbranch_vccnz .LBB114_442
; %bb.441:
	s_clause 0x3
	buffer_load_dword v110, v107, s[0:3], 0 offen offset:8
	buffer_load_dword v111, v107, s[0:3], 0 offen offset:12
	buffer_load_dword v114, v107, s[0:3], 0 offen
	buffer_load_dword v115, v107, s[0:3], 0 offen offset:4
	s_waitcnt vmcnt(2) lgkmcnt(0)
	v_mul_f64 v[116:117], v[3:4], v[110:111]
	v_mul_f64 v[110:111], v[1:2], v[110:111]
	s_waitcnt vmcnt(0)
	v_fma_f64 v[1:2], v[1:2], v[114:115], -v[116:117]
	v_fma_f64 v[3:4], v[3:4], v[114:115], v[110:111]
.LBB114_442:
	s_mov_b32 s8, exec_lo
	v_cmpx_ne_u32_e32 5, v0
	s_cbranch_execz .LBB114_446
; %bb.443:
	v_add_nc_u32_e32 v110, 0x340, v113
	v_add3_u32 v111, 0, v113, 16
	v_mov_b32_e32 v112, v0
	s_mov_b32 s58, 0
	.p2align	6
.LBB114_444:                            ; =>This Inner Loop Header: Depth=1
	s_clause 0x3
	buffer_load_dword v118, v111, s[0:3], 0 offen offset:8
	buffer_load_dword v119, v111, s[0:3], 0 offen offset:12
	buffer_load_dword v120, v111, s[0:3], 0 offen
	buffer_load_dword v121, v111, s[0:3], 0 offen offset:4
	ds_read_b128 v[114:117], v110
	v_add_nc_u32_e32 v112, 1, v112
	v_add_nc_u32_e32 v110, 16, v110
	v_add_nc_u32_e32 v111, 16, v111
	v_cmp_lt_u32_e32 vcc_lo, 4, v112
	s_or_b32 s58, vcc_lo, s58
	s_waitcnt vmcnt(2) lgkmcnt(0)
	v_mul_f64 v[122:123], v[116:117], v[118:119]
	v_mul_f64 v[118:119], v[114:115], v[118:119]
	s_waitcnt vmcnt(0)
	v_fma_f64 v[114:115], v[114:115], v[120:121], -v[122:123]
	v_fma_f64 v[116:117], v[116:117], v[120:121], v[118:119]
	v_add_f64 v[1:2], v[1:2], v[114:115]
	v_add_f64 v[3:4], v[3:4], v[116:117]
	s_andn2_b32 exec_lo, exec_lo, s58
	s_cbranch_execnz .LBB114_444
; %bb.445:
	s_or_b32 exec_lo, exec_lo, s58
.LBB114_446:
	s_or_b32 exec_lo, exec_lo, s8
	v_mov_b32_e32 v110, 0
	ds_read_b128 v[114:117], v110 offset:96
	s_waitcnt lgkmcnt(0)
	v_mul_f64 v[110:111], v[3:4], v[116:117]
	v_mul_f64 v[116:117], v[1:2], v[116:117]
	v_fma_f64 v[1:2], v[1:2], v[114:115], -v[110:111]
	v_fma_f64 v[3:4], v[3:4], v[114:115], v[116:117]
	buffer_store_dword v2, off, s[0:3], 0 offset:100
	buffer_store_dword v1, off, s[0:3], 0 offset:96
	buffer_store_dword v4, off, s[0:3], 0 offset:108
	buffer_store_dword v3, off, s[0:3], 0 offset:104
.LBB114_447:
	s_or_b32 exec_lo, exec_lo, s4
	v_mov_b32_e32 v4, s51
	s_mov_b32 s4, exec_lo
	s_clause 0x3
	buffer_load_dword v1, v4, s[0:3], 0 offen
	buffer_load_dword v2, v4, s[0:3], 0 offen offset:4
	buffer_load_dword v3, v4, s[0:3], 0 offen offset:8
	;; [unrolled: 1-line block ×3, first 2 shown]
	s_waitcnt vmcnt(0)
	ds_write_b128 v108, v[1:4]
	s_waitcnt lgkmcnt(0)
	s_waitcnt_vscnt null, 0x0
	s_barrier
	buffer_gl0_inv
	v_cmpx_gt_u32_e32 7, v0
	s_cbranch_execz .LBB114_455
; %bb.448:
	ds_read_b128 v[1:4], v108
	v_cmp_ne_u32_e32 vcc_lo, 1, v109
	s_cbranch_vccnz .LBB114_450
; %bb.449:
	s_clause 0x3
	buffer_load_dword v110, v107, s[0:3], 0 offen offset:8
	buffer_load_dword v111, v107, s[0:3], 0 offen offset:12
	buffer_load_dword v114, v107, s[0:3], 0 offen
	buffer_load_dword v115, v107, s[0:3], 0 offen offset:4
	s_waitcnt vmcnt(2) lgkmcnt(0)
	v_mul_f64 v[116:117], v[3:4], v[110:111]
	v_mul_f64 v[110:111], v[1:2], v[110:111]
	s_waitcnt vmcnt(0)
	v_fma_f64 v[1:2], v[1:2], v[114:115], -v[116:117]
	v_fma_f64 v[3:4], v[3:4], v[114:115], v[110:111]
.LBB114_450:
	s_mov_b32 s8, exec_lo
	v_cmpx_ne_u32_e32 6, v0
	s_cbranch_execz .LBB114_454
; %bb.451:
	v_add_nc_u32_e32 v110, 0x340, v113
	v_add3_u32 v111, 0, v113, 16
	v_mov_b32_e32 v112, v0
	s_mov_b32 s58, 0
	.p2align	6
.LBB114_452:                            ; =>This Inner Loop Header: Depth=1
	s_clause 0x3
	buffer_load_dword v118, v111, s[0:3], 0 offen offset:8
	buffer_load_dword v119, v111, s[0:3], 0 offen offset:12
	buffer_load_dword v120, v111, s[0:3], 0 offen
	buffer_load_dword v121, v111, s[0:3], 0 offen offset:4
	ds_read_b128 v[114:117], v110
	v_add_nc_u32_e32 v112, 1, v112
	v_add_nc_u32_e32 v110, 16, v110
	;; [unrolled: 1-line block ×3, first 2 shown]
	v_cmp_lt_u32_e32 vcc_lo, 5, v112
	s_or_b32 s58, vcc_lo, s58
	s_waitcnt vmcnt(2) lgkmcnt(0)
	v_mul_f64 v[122:123], v[116:117], v[118:119]
	v_mul_f64 v[118:119], v[114:115], v[118:119]
	s_waitcnt vmcnt(0)
	v_fma_f64 v[114:115], v[114:115], v[120:121], -v[122:123]
	v_fma_f64 v[116:117], v[116:117], v[120:121], v[118:119]
	v_add_f64 v[1:2], v[1:2], v[114:115]
	v_add_f64 v[3:4], v[3:4], v[116:117]
	s_andn2_b32 exec_lo, exec_lo, s58
	s_cbranch_execnz .LBB114_452
; %bb.453:
	s_or_b32 exec_lo, exec_lo, s58
.LBB114_454:
	s_or_b32 exec_lo, exec_lo, s8
	v_mov_b32_e32 v110, 0
	ds_read_b128 v[114:117], v110 offset:112
	s_waitcnt lgkmcnt(0)
	v_mul_f64 v[110:111], v[3:4], v[116:117]
	v_mul_f64 v[116:117], v[1:2], v[116:117]
	v_fma_f64 v[1:2], v[1:2], v[114:115], -v[110:111]
	v_fma_f64 v[3:4], v[3:4], v[114:115], v[116:117]
	buffer_store_dword v2, off, s[0:3], 0 offset:116
	buffer_store_dword v1, off, s[0:3], 0 offset:112
	;; [unrolled: 1-line block ×4, first 2 shown]
.LBB114_455:
	s_or_b32 exec_lo, exec_lo, s4
	v_mov_b32_e32 v4, s50
	s_mov_b32 s4, exec_lo
	s_clause 0x3
	buffer_load_dword v1, v4, s[0:3], 0 offen
	buffer_load_dword v2, v4, s[0:3], 0 offen offset:4
	buffer_load_dword v3, v4, s[0:3], 0 offen offset:8
	;; [unrolled: 1-line block ×3, first 2 shown]
	s_waitcnt vmcnt(0)
	ds_write_b128 v108, v[1:4]
	s_waitcnt lgkmcnt(0)
	s_waitcnt_vscnt null, 0x0
	s_barrier
	buffer_gl0_inv
	v_cmpx_gt_u32_e32 8, v0
	s_cbranch_execz .LBB114_463
; %bb.456:
	ds_read_b128 v[1:4], v108
	v_cmp_ne_u32_e32 vcc_lo, 1, v109
	s_cbranch_vccnz .LBB114_458
; %bb.457:
	s_clause 0x3
	buffer_load_dword v110, v107, s[0:3], 0 offen offset:8
	buffer_load_dword v111, v107, s[0:3], 0 offen offset:12
	buffer_load_dword v114, v107, s[0:3], 0 offen
	buffer_load_dword v115, v107, s[0:3], 0 offen offset:4
	s_waitcnt vmcnt(2) lgkmcnt(0)
	v_mul_f64 v[116:117], v[3:4], v[110:111]
	v_mul_f64 v[110:111], v[1:2], v[110:111]
	s_waitcnt vmcnt(0)
	v_fma_f64 v[1:2], v[1:2], v[114:115], -v[116:117]
	v_fma_f64 v[3:4], v[3:4], v[114:115], v[110:111]
.LBB114_458:
	s_mov_b32 s8, exec_lo
	v_cmpx_ne_u32_e32 7, v0
	s_cbranch_execz .LBB114_462
; %bb.459:
	v_add_nc_u32_e32 v110, 0x340, v113
	v_add3_u32 v111, 0, v113, 16
	v_mov_b32_e32 v112, v0
	s_mov_b32 s58, 0
	.p2align	6
.LBB114_460:                            ; =>This Inner Loop Header: Depth=1
	s_clause 0x3
	buffer_load_dword v118, v111, s[0:3], 0 offen offset:8
	buffer_load_dword v119, v111, s[0:3], 0 offen offset:12
	buffer_load_dword v120, v111, s[0:3], 0 offen
	buffer_load_dword v121, v111, s[0:3], 0 offen offset:4
	ds_read_b128 v[114:117], v110
	v_add_nc_u32_e32 v112, 1, v112
	v_add_nc_u32_e32 v110, 16, v110
	;; [unrolled: 1-line block ×3, first 2 shown]
	v_cmp_lt_u32_e32 vcc_lo, 6, v112
	s_or_b32 s58, vcc_lo, s58
	s_waitcnt vmcnt(2) lgkmcnt(0)
	v_mul_f64 v[122:123], v[116:117], v[118:119]
	v_mul_f64 v[118:119], v[114:115], v[118:119]
	s_waitcnt vmcnt(0)
	v_fma_f64 v[114:115], v[114:115], v[120:121], -v[122:123]
	v_fma_f64 v[116:117], v[116:117], v[120:121], v[118:119]
	v_add_f64 v[1:2], v[1:2], v[114:115]
	v_add_f64 v[3:4], v[3:4], v[116:117]
	s_andn2_b32 exec_lo, exec_lo, s58
	s_cbranch_execnz .LBB114_460
; %bb.461:
	s_or_b32 exec_lo, exec_lo, s58
.LBB114_462:
	s_or_b32 exec_lo, exec_lo, s8
	v_mov_b32_e32 v110, 0
	ds_read_b128 v[114:117], v110 offset:128
	s_waitcnt lgkmcnt(0)
	v_mul_f64 v[110:111], v[3:4], v[116:117]
	v_mul_f64 v[116:117], v[1:2], v[116:117]
	v_fma_f64 v[1:2], v[1:2], v[114:115], -v[110:111]
	v_fma_f64 v[3:4], v[3:4], v[114:115], v[116:117]
	buffer_store_dword v2, off, s[0:3], 0 offset:132
	buffer_store_dword v1, off, s[0:3], 0 offset:128
	;; [unrolled: 1-line block ×4, first 2 shown]
.LBB114_463:
	s_or_b32 exec_lo, exec_lo, s4
	v_mov_b32_e32 v4, s49
	s_mov_b32 s4, exec_lo
	s_clause 0x3
	buffer_load_dword v1, v4, s[0:3], 0 offen
	buffer_load_dword v2, v4, s[0:3], 0 offen offset:4
	buffer_load_dword v3, v4, s[0:3], 0 offen offset:8
	;; [unrolled: 1-line block ×3, first 2 shown]
	s_waitcnt vmcnt(0)
	ds_write_b128 v108, v[1:4]
	s_waitcnt lgkmcnt(0)
	s_waitcnt_vscnt null, 0x0
	s_barrier
	buffer_gl0_inv
	v_cmpx_gt_u32_e32 9, v0
	s_cbranch_execz .LBB114_471
; %bb.464:
	ds_read_b128 v[1:4], v108
	v_cmp_ne_u32_e32 vcc_lo, 1, v109
	s_cbranch_vccnz .LBB114_466
; %bb.465:
	s_clause 0x3
	buffer_load_dword v110, v107, s[0:3], 0 offen offset:8
	buffer_load_dword v111, v107, s[0:3], 0 offen offset:12
	buffer_load_dword v114, v107, s[0:3], 0 offen
	buffer_load_dword v115, v107, s[0:3], 0 offen offset:4
	s_waitcnt vmcnt(2) lgkmcnt(0)
	v_mul_f64 v[116:117], v[3:4], v[110:111]
	v_mul_f64 v[110:111], v[1:2], v[110:111]
	s_waitcnt vmcnt(0)
	v_fma_f64 v[1:2], v[1:2], v[114:115], -v[116:117]
	v_fma_f64 v[3:4], v[3:4], v[114:115], v[110:111]
.LBB114_466:
	s_mov_b32 s8, exec_lo
	v_cmpx_ne_u32_e32 8, v0
	s_cbranch_execz .LBB114_470
; %bb.467:
	v_add_nc_u32_e32 v110, 0x340, v113
	v_add3_u32 v111, 0, v113, 16
	v_mov_b32_e32 v112, v0
	s_mov_b32 s58, 0
	.p2align	6
.LBB114_468:                            ; =>This Inner Loop Header: Depth=1
	s_clause 0x3
	buffer_load_dword v118, v111, s[0:3], 0 offen offset:8
	buffer_load_dword v119, v111, s[0:3], 0 offen offset:12
	buffer_load_dword v120, v111, s[0:3], 0 offen
	buffer_load_dword v121, v111, s[0:3], 0 offen offset:4
	ds_read_b128 v[114:117], v110
	v_add_nc_u32_e32 v112, 1, v112
	v_add_nc_u32_e32 v110, 16, v110
	;; [unrolled: 1-line block ×3, first 2 shown]
	v_cmp_lt_u32_e32 vcc_lo, 7, v112
	s_or_b32 s58, vcc_lo, s58
	s_waitcnt vmcnt(2) lgkmcnt(0)
	v_mul_f64 v[122:123], v[116:117], v[118:119]
	v_mul_f64 v[118:119], v[114:115], v[118:119]
	s_waitcnt vmcnt(0)
	v_fma_f64 v[114:115], v[114:115], v[120:121], -v[122:123]
	v_fma_f64 v[116:117], v[116:117], v[120:121], v[118:119]
	v_add_f64 v[1:2], v[1:2], v[114:115]
	v_add_f64 v[3:4], v[3:4], v[116:117]
	s_andn2_b32 exec_lo, exec_lo, s58
	s_cbranch_execnz .LBB114_468
; %bb.469:
	s_or_b32 exec_lo, exec_lo, s58
.LBB114_470:
	s_or_b32 exec_lo, exec_lo, s8
	v_mov_b32_e32 v110, 0
	ds_read_b128 v[114:117], v110 offset:144
	s_waitcnt lgkmcnt(0)
	v_mul_f64 v[110:111], v[3:4], v[116:117]
	v_mul_f64 v[116:117], v[1:2], v[116:117]
	v_fma_f64 v[1:2], v[1:2], v[114:115], -v[110:111]
	v_fma_f64 v[3:4], v[3:4], v[114:115], v[116:117]
	buffer_store_dword v2, off, s[0:3], 0 offset:148
	buffer_store_dword v1, off, s[0:3], 0 offset:144
	;; [unrolled: 1-line block ×4, first 2 shown]
.LBB114_471:
	s_or_b32 exec_lo, exec_lo, s4
	v_mov_b32_e32 v4, s48
	s_mov_b32 s4, exec_lo
	s_clause 0x3
	buffer_load_dword v1, v4, s[0:3], 0 offen
	buffer_load_dword v2, v4, s[0:3], 0 offen offset:4
	buffer_load_dword v3, v4, s[0:3], 0 offen offset:8
	;; [unrolled: 1-line block ×3, first 2 shown]
	s_waitcnt vmcnt(0)
	ds_write_b128 v108, v[1:4]
	s_waitcnt lgkmcnt(0)
	s_waitcnt_vscnt null, 0x0
	s_barrier
	buffer_gl0_inv
	v_cmpx_gt_u32_e32 10, v0
	s_cbranch_execz .LBB114_479
; %bb.472:
	ds_read_b128 v[1:4], v108
	v_cmp_ne_u32_e32 vcc_lo, 1, v109
	s_cbranch_vccnz .LBB114_474
; %bb.473:
	s_clause 0x3
	buffer_load_dword v110, v107, s[0:3], 0 offen offset:8
	buffer_load_dword v111, v107, s[0:3], 0 offen offset:12
	buffer_load_dword v114, v107, s[0:3], 0 offen
	buffer_load_dword v115, v107, s[0:3], 0 offen offset:4
	s_waitcnt vmcnt(2) lgkmcnt(0)
	v_mul_f64 v[116:117], v[3:4], v[110:111]
	v_mul_f64 v[110:111], v[1:2], v[110:111]
	s_waitcnt vmcnt(0)
	v_fma_f64 v[1:2], v[1:2], v[114:115], -v[116:117]
	v_fma_f64 v[3:4], v[3:4], v[114:115], v[110:111]
.LBB114_474:
	s_mov_b32 s8, exec_lo
	v_cmpx_ne_u32_e32 9, v0
	s_cbranch_execz .LBB114_478
; %bb.475:
	v_add_nc_u32_e32 v110, 0x340, v113
	v_add3_u32 v111, 0, v113, 16
	v_mov_b32_e32 v112, v0
	s_mov_b32 s58, 0
	.p2align	6
.LBB114_476:                            ; =>This Inner Loop Header: Depth=1
	s_clause 0x3
	buffer_load_dword v118, v111, s[0:3], 0 offen offset:8
	buffer_load_dword v119, v111, s[0:3], 0 offen offset:12
	buffer_load_dword v120, v111, s[0:3], 0 offen
	buffer_load_dword v121, v111, s[0:3], 0 offen offset:4
	ds_read_b128 v[114:117], v110
	v_add_nc_u32_e32 v112, 1, v112
	v_add_nc_u32_e32 v110, 16, v110
	;; [unrolled: 1-line block ×3, first 2 shown]
	v_cmp_lt_u32_e32 vcc_lo, 8, v112
	s_or_b32 s58, vcc_lo, s58
	s_waitcnt vmcnt(2) lgkmcnt(0)
	v_mul_f64 v[122:123], v[116:117], v[118:119]
	v_mul_f64 v[118:119], v[114:115], v[118:119]
	s_waitcnt vmcnt(0)
	v_fma_f64 v[114:115], v[114:115], v[120:121], -v[122:123]
	v_fma_f64 v[116:117], v[116:117], v[120:121], v[118:119]
	v_add_f64 v[1:2], v[1:2], v[114:115]
	v_add_f64 v[3:4], v[3:4], v[116:117]
	s_andn2_b32 exec_lo, exec_lo, s58
	s_cbranch_execnz .LBB114_476
; %bb.477:
	s_or_b32 exec_lo, exec_lo, s58
.LBB114_478:
	s_or_b32 exec_lo, exec_lo, s8
	v_mov_b32_e32 v110, 0
	ds_read_b128 v[114:117], v110 offset:160
	s_waitcnt lgkmcnt(0)
	v_mul_f64 v[110:111], v[3:4], v[116:117]
	v_mul_f64 v[116:117], v[1:2], v[116:117]
	v_fma_f64 v[1:2], v[1:2], v[114:115], -v[110:111]
	v_fma_f64 v[3:4], v[3:4], v[114:115], v[116:117]
	buffer_store_dword v2, off, s[0:3], 0 offset:164
	buffer_store_dword v1, off, s[0:3], 0 offset:160
	;; [unrolled: 1-line block ×4, first 2 shown]
.LBB114_479:
	s_or_b32 exec_lo, exec_lo, s4
	v_mov_b32_e32 v4, s47
	s_mov_b32 s4, exec_lo
	s_clause 0x3
	buffer_load_dword v1, v4, s[0:3], 0 offen
	buffer_load_dword v2, v4, s[0:3], 0 offen offset:4
	buffer_load_dword v3, v4, s[0:3], 0 offen offset:8
	;; [unrolled: 1-line block ×3, first 2 shown]
	s_waitcnt vmcnt(0)
	ds_write_b128 v108, v[1:4]
	s_waitcnt lgkmcnt(0)
	s_waitcnt_vscnt null, 0x0
	s_barrier
	buffer_gl0_inv
	v_cmpx_gt_u32_e32 11, v0
	s_cbranch_execz .LBB114_487
; %bb.480:
	ds_read_b128 v[1:4], v108
	v_cmp_ne_u32_e32 vcc_lo, 1, v109
	s_cbranch_vccnz .LBB114_482
; %bb.481:
	s_clause 0x3
	buffer_load_dword v110, v107, s[0:3], 0 offen offset:8
	buffer_load_dword v111, v107, s[0:3], 0 offen offset:12
	buffer_load_dword v114, v107, s[0:3], 0 offen
	buffer_load_dword v115, v107, s[0:3], 0 offen offset:4
	s_waitcnt vmcnt(2) lgkmcnt(0)
	v_mul_f64 v[116:117], v[3:4], v[110:111]
	v_mul_f64 v[110:111], v[1:2], v[110:111]
	s_waitcnt vmcnt(0)
	v_fma_f64 v[1:2], v[1:2], v[114:115], -v[116:117]
	v_fma_f64 v[3:4], v[3:4], v[114:115], v[110:111]
.LBB114_482:
	s_mov_b32 s8, exec_lo
	v_cmpx_ne_u32_e32 10, v0
	s_cbranch_execz .LBB114_486
; %bb.483:
	v_add_nc_u32_e32 v110, 0x340, v113
	v_add3_u32 v111, 0, v113, 16
	v_mov_b32_e32 v112, v0
	s_mov_b32 s58, 0
	.p2align	6
.LBB114_484:                            ; =>This Inner Loop Header: Depth=1
	s_clause 0x3
	buffer_load_dword v118, v111, s[0:3], 0 offen offset:8
	buffer_load_dword v119, v111, s[0:3], 0 offen offset:12
	buffer_load_dword v120, v111, s[0:3], 0 offen
	buffer_load_dword v121, v111, s[0:3], 0 offen offset:4
	ds_read_b128 v[114:117], v110
	v_add_nc_u32_e32 v112, 1, v112
	v_add_nc_u32_e32 v110, 16, v110
	;; [unrolled: 1-line block ×3, first 2 shown]
	v_cmp_lt_u32_e32 vcc_lo, 9, v112
	s_or_b32 s58, vcc_lo, s58
	s_waitcnt vmcnt(2) lgkmcnt(0)
	v_mul_f64 v[122:123], v[116:117], v[118:119]
	v_mul_f64 v[118:119], v[114:115], v[118:119]
	s_waitcnt vmcnt(0)
	v_fma_f64 v[114:115], v[114:115], v[120:121], -v[122:123]
	v_fma_f64 v[116:117], v[116:117], v[120:121], v[118:119]
	v_add_f64 v[1:2], v[1:2], v[114:115]
	v_add_f64 v[3:4], v[3:4], v[116:117]
	s_andn2_b32 exec_lo, exec_lo, s58
	s_cbranch_execnz .LBB114_484
; %bb.485:
	s_or_b32 exec_lo, exec_lo, s58
.LBB114_486:
	s_or_b32 exec_lo, exec_lo, s8
	v_mov_b32_e32 v110, 0
	ds_read_b128 v[114:117], v110 offset:176
	s_waitcnt lgkmcnt(0)
	v_mul_f64 v[110:111], v[3:4], v[116:117]
	v_mul_f64 v[116:117], v[1:2], v[116:117]
	v_fma_f64 v[1:2], v[1:2], v[114:115], -v[110:111]
	v_fma_f64 v[3:4], v[3:4], v[114:115], v[116:117]
	buffer_store_dword v2, off, s[0:3], 0 offset:180
	buffer_store_dword v1, off, s[0:3], 0 offset:176
	;; [unrolled: 1-line block ×4, first 2 shown]
.LBB114_487:
	s_or_b32 exec_lo, exec_lo, s4
	v_mov_b32_e32 v4, s46
	s_mov_b32 s4, exec_lo
	s_clause 0x3
	buffer_load_dword v1, v4, s[0:3], 0 offen
	buffer_load_dword v2, v4, s[0:3], 0 offen offset:4
	buffer_load_dword v3, v4, s[0:3], 0 offen offset:8
	buffer_load_dword v4, v4, s[0:3], 0 offen offset:12
	s_waitcnt vmcnt(0)
	ds_write_b128 v108, v[1:4]
	s_waitcnt lgkmcnt(0)
	s_waitcnt_vscnt null, 0x0
	s_barrier
	buffer_gl0_inv
	v_cmpx_gt_u32_e32 12, v0
	s_cbranch_execz .LBB114_495
; %bb.488:
	ds_read_b128 v[1:4], v108
	v_cmp_ne_u32_e32 vcc_lo, 1, v109
	s_cbranch_vccnz .LBB114_490
; %bb.489:
	s_clause 0x3
	buffer_load_dword v110, v107, s[0:3], 0 offen offset:8
	buffer_load_dword v111, v107, s[0:3], 0 offen offset:12
	buffer_load_dword v114, v107, s[0:3], 0 offen
	buffer_load_dword v115, v107, s[0:3], 0 offen offset:4
	s_waitcnt vmcnt(2) lgkmcnt(0)
	v_mul_f64 v[116:117], v[3:4], v[110:111]
	v_mul_f64 v[110:111], v[1:2], v[110:111]
	s_waitcnt vmcnt(0)
	v_fma_f64 v[1:2], v[1:2], v[114:115], -v[116:117]
	v_fma_f64 v[3:4], v[3:4], v[114:115], v[110:111]
.LBB114_490:
	s_mov_b32 s8, exec_lo
	v_cmpx_ne_u32_e32 11, v0
	s_cbranch_execz .LBB114_494
; %bb.491:
	v_add_nc_u32_e32 v110, 0x340, v113
	v_add3_u32 v111, 0, v113, 16
	v_mov_b32_e32 v112, v0
	s_mov_b32 s58, 0
	.p2align	6
.LBB114_492:                            ; =>This Inner Loop Header: Depth=1
	s_clause 0x3
	buffer_load_dword v118, v111, s[0:3], 0 offen offset:8
	buffer_load_dword v119, v111, s[0:3], 0 offen offset:12
	buffer_load_dword v120, v111, s[0:3], 0 offen
	buffer_load_dword v121, v111, s[0:3], 0 offen offset:4
	ds_read_b128 v[114:117], v110
	v_add_nc_u32_e32 v112, 1, v112
	v_add_nc_u32_e32 v110, 16, v110
	v_add_nc_u32_e32 v111, 16, v111
	v_cmp_lt_u32_e32 vcc_lo, 10, v112
	s_or_b32 s58, vcc_lo, s58
	s_waitcnt vmcnt(2) lgkmcnt(0)
	v_mul_f64 v[122:123], v[116:117], v[118:119]
	v_mul_f64 v[118:119], v[114:115], v[118:119]
	s_waitcnt vmcnt(0)
	v_fma_f64 v[114:115], v[114:115], v[120:121], -v[122:123]
	v_fma_f64 v[116:117], v[116:117], v[120:121], v[118:119]
	v_add_f64 v[1:2], v[1:2], v[114:115]
	v_add_f64 v[3:4], v[3:4], v[116:117]
	s_andn2_b32 exec_lo, exec_lo, s58
	s_cbranch_execnz .LBB114_492
; %bb.493:
	s_or_b32 exec_lo, exec_lo, s58
.LBB114_494:
	s_or_b32 exec_lo, exec_lo, s8
	v_mov_b32_e32 v110, 0
	ds_read_b128 v[114:117], v110 offset:192
	s_waitcnt lgkmcnt(0)
	v_mul_f64 v[110:111], v[3:4], v[116:117]
	v_mul_f64 v[116:117], v[1:2], v[116:117]
	v_fma_f64 v[1:2], v[1:2], v[114:115], -v[110:111]
	v_fma_f64 v[3:4], v[3:4], v[114:115], v[116:117]
	buffer_store_dword v2, off, s[0:3], 0 offset:196
	buffer_store_dword v1, off, s[0:3], 0 offset:192
	buffer_store_dword v4, off, s[0:3], 0 offset:204
	buffer_store_dword v3, off, s[0:3], 0 offset:200
.LBB114_495:
	s_or_b32 exec_lo, exec_lo, s4
	v_mov_b32_e32 v4, s45
	s_mov_b32 s4, exec_lo
	s_clause 0x3
	buffer_load_dword v1, v4, s[0:3], 0 offen
	buffer_load_dword v2, v4, s[0:3], 0 offen offset:4
	buffer_load_dword v3, v4, s[0:3], 0 offen offset:8
	buffer_load_dword v4, v4, s[0:3], 0 offen offset:12
	s_waitcnt vmcnt(0)
	ds_write_b128 v108, v[1:4]
	s_waitcnt lgkmcnt(0)
	s_waitcnt_vscnt null, 0x0
	s_barrier
	buffer_gl0_inv
	v_cmpx_gt_u32_e32 13, v0
	s_cbranch_execz .LBB114_503
; %bb.496:
	ds_read_b128 v[1:4], v108
	v_cmp_ne_u32_e32 vcc_lo, 1, v109
	s_cbranch_vccnz .LBB114_498
; %bb.497:
	s_clause 0x3
	buffer_load_dword v110, v107, s[0:3], 0 offen offset:8
	buffer_load_dword v111, v107, s[0:3], 0 offen offset:12
	buffer_load_dword v114, v107, s[0:3], 0 offen
	buffer_load_dword v115, v107, s[0:3], 0 offen offset:4
	s_waitcnt vmcnt(2) lgkmcnt(0)
	v_mul_f64 v[116:117], v[3:4], v[110:111]
	v_mul_f64 v[110:111], v[1:2], v[110:111]
	s_waitcnt vmcnt(0)
	v_fma_f64 v[1:2], v[1:2], v[114:115], -v[116:117]
	v_fma_f64 v[3:4], v[3:4], v[114:115], v[110:111]
.LBB114_498:
	s_mov_b32 s8, exec_lo
	v_cmpx_ne_u32_e32 12, v0
	s_cbranch_execz .LBB114_502
; %bb.499:
	v_add_nc_u32_e32 v110, 0x340, v113
	v_add3_u32 v111, 0, v113, 16
	v_mov_b32_e32 v112, v0
	s_mov_b32 s58, 0
	.p2align	6
.LBB114_500:                            ; =>This Inner Loop Header: Depth=1
	s_clause 0x3
	buffer_load_dword v118, v111, s[0:3], 0 offen offset:8
	buffer_load_dword v119, v111, s[0:3], 0 offen offset:12
	buffer_load_dword v120, v111, s[0:3], 0 offen
	buffer_load_dword v121, v111, s[0:3], 0 offen offset:4
	ds_read_b128 v[114:117], v110
	v_add_nc_u32_e32 v112, 1, v112
	v_add_nc_u32_e32 v110, 16, v110
	;; [unrolled: 1-line block ×3, first 2 shown]
	v_cmp_lt_u32_e32 vcc_lo, 11, v112
	s_or_b32 s58, vcc_lo, s58
	s_waitcnt vmcnt(2) lgkmcnt(0)
	v_mul_f64 v[122:123], v[116:117], v[118:119]
	v_mul_f64 v[118:119], v[114:115], v[118:119]
	s_waitcnt vmcnt(0)
	v_fma_f64 v[114:115], v[114:115], v[120:121], -v[122:123]
	v_fma_f64 v[116:117], v[116:117], v[120:121], v[118:119]
	v_add_f64 v[1:2], v[1:2], v[114:115]
	v_add_f64 v[3:4], v[3:4], v[116:117]
	s_andn2_b32 exec_lo, exec_lo, s58
	s_cbranch_execnz .LBB114_500
; %bb.501:
	s_or_b32 exec_lo, exec_lo, s58
.LBB114_502:
	s_or_b32 exec_lo, exec_lo, s8
	v_mov_b32_e32 v110, 0
	ds_read_b128 v[114:117], v110 offset:208
	s_waitcnt lgkmcnt(0)
	v_mul_f64 v[110:111], v[3:4], v[116:117]
	v_mul_f64 v[116:117], v[1:2], v[116:117]
	v_fma_f64 v[1:2], v[1:2], v[114:115], -v[110:111]
	v_fma_f64 v[3:4], v[3:4], v[114:115], v[116:117]
	buffer_store_dword v2, off, s[0:3], 0 offset:212
	buffer_store_dword v1, off, s[0:3], 0 offset:208
	;; [unrolled: 1-line block ×4, first 2 shown]
.LBB114_503:
	s_or_b32 exec_lo, exec_lo, s4
	v_mov_b32_e32 v4, s44
	s_mov_b32 s4, exec_lo
	s_clause 0x3
	buffer_load_dword v1, v4, s[0:3], 0 offen
	buffer_load_dword v2, v4, s[0:3], 0 offen offset:4
	buffer_load_dword v3, v4, s[0:3], 0 offen offset:8
	;; [unrolled: 1-line block ×3, first 2 shown]
	s_waitcnt vmcnt(0)
	ds_write_b128 v108, v[1:4]
	s_waitcnt lgkmcnt(0)
	s_waitcnt_vscnt null, 0x0
	s_barrier
	buffer_gl0_inv
	v_cmpx_gt_u32_e32 14, v0
	s_cbranch_execz .LBB114_511
; %bb.504:
	ds_read_b128 v[1:4], v108
	v_cmp_ne_u32_e32 vcc_lo, 1, v109
	s_cbranch_vccnz .LBB114_506
; %bb.505:
	s_clause 0x3
	buffer_load_dword v110, v107, s[0:3], 0 offen offset:8
	buffer_load_dword v111, v107, s[0:3], 0 offen offset:12
	buffer_load_dword v114, v107, s[0:3], 0 offen
	buffer_load_dword v115, v107, s[0:3], 0 offen offset:4
	s_waitcnt vmcnt(2) lgkmcnt(0)
	v_mul_f64 v[116:117], v[3:4], v[110:111]
	v_mul_f64 v[110:111], v[1:2], v[110:111]
	s_waitcnt vmcnt(0)
	v_fma_f64 v[1:2], v[1:2], v[114:115], -v[116:117]
	v_fma_f64 v[3:4], v[3:4], v[114:115], v[110:111]
.LBB114_506:
	s_mov_b32 s8, exec_lo
	v_cmpx_ne_u32_e32 13, v0
	s_cbranch_execz .LBB114_510
; %bb.507:
	v_add_nc_u32_e32 v110, 0x340, v113
	v_add3_u32 v111, 0, v113, 16
	v_mov_b32_e32 v112, v0
	s_mov_b32 s58, 0
	.p2align	6
.LBB114_508:                            ; =>This Inner Loop Header: Depth=1
	s_clause 0x3
	buffer_load_dword v118, v111, s[0:3], 0 offen offset:8
	buffer_load_dword v119, v111, s[0:3], 0 offen offset:12
	buffer_load_dword v120, v111, s[0:3], 0 offen
	buffer_load_dword v121, v111, s[0:3], 0 offen offset:4
	ds_read_b128 v[114:117], v110
	v_add_nc_u32_e32 v112, 1, v112
	v_add_nc_u32_e32 v110, 16, v110
	;; [unrolled: 1-line block ×3, first 2 shown]
	v_cmp_lt_u32_e32 vcc_lo, 12, v112
	s_or_b32 s58, vcc_lo, s58
	s_waitcnt vmcnt(2) lgkmcnt(0)
	v_mul_f64 v[122:123], v[116:117], v[118:119]
	v_mul_f64 v[118:119], v[114:115], v[118:119]
	s_waitcnt vmcnt(0)
	v_fma_f64 v[114:115], v[114:115], v[120:121], -v[122:123]
	v_fma_f64 v[116:117], v[116:117], v[120:121], v[118:119]
	v_add_f64 v[1:2], v[1:2], v[114:115]
	v_add_f64 v[3:4], v[3:4], v[116:117]
	s_andn2_b32 exec_lo, exec_lo, s58
	s_cbranch_execnz .LBB114_508
; %bb.509:
	s_or_b32 exec_lo, exec_lo, s58
.LBB114_510:
	s_or_b32 exec_lo, exec_lo, s8
	v_mov_b32_e32 v110, 0
	ds_read_b128 v[114:117], v110 offset:224
	s_waitcnt lgkmcnt(0)
	v_mul_f64 v[110:111], v[3:4], v[116:117]
	v_mul_f64 v[116:117], v[1:2], v[116:117]
	v_fma_f64 v[1:2], v[1:2], v[114:115], -v[110:111]
	v_fma_f64 v[3:4], v[3:4], v[114:115], v[116:117]
	buffer_store_dword v2, off, s[0:3], 0 offset:228
	buffer_store_dword v1, off, s[0:3], 0 offset:224
	;; [unrolled: 1-line block ×4, first 2 shown]
.LBB114_511:
	s_or_b32 exec_lo, exec_lo, s4
	v_mov_b32_e32 v4, s43
	s_mov_b32 s4, exec_lo
	s_clause 0x3
	buffer_load_dword v1, v4, s[0:3], 0 offen
	buffer_load_dword v2, v4, s[0:3], 0 offen offset:4
	buffer_load_dword v3, v4, s[0:3], 0 offen offset:8
	;; [unrolled: 1-line block ×3, first 2 shown]
	s_waitcnt vmcnt(0)
	ds_write_b128 v108, v[1:4]
	s_waitcnt lgkmcnt(0)
	s_waitcnt_vscnt null, 0x0
	s_barrier
	buffer_gl0_inv
	v_cmpx_gt_u32_e32 15, v0
	s_cbranch_execz .LBB114_519
; %bb.512:
	ds_read_b128 v[1:4], v108
	v_cmp_ne_u32_e32 vcc_lo, 1, v109
	s_cbranch_vccnz .LBB114_514
; %bb.513:
	s_clause 0x3
	buffer_load_dword v110, v107, s[0:3], 0 offen offset:8
	buffer_load_dword v111, v107, s[0:3], 0 offen offset:12
	buffer_load_dword v114, v107, s[0:3], 0 offen
	buffer_load_dword v115, v107, s[0:3], 0 offen offset:4
	s_waitcnt vmcnt(2) lgkmcnt(0)
	v_mul_f64 v[116:117], v[3:4], v[110:111]
	v_mul_f64 v[110:111], v[1:2], v[110:111]
	s_waitcnt vmcnt(0)
	v_fma_f64 v[1:2], v[1:2], v[114:115], -v[116:117]
	v_fma_f64 v[3:4], v[3:4], v[114:115], v[110:111]
.LBB114_514:
	s_mov_b32 s8, exec_lo
	v_cmpx_ne_u32_e32 14, v0
	s_cbranch_execz .LBB114_518
; %bb.515:
	v_add_nc_u32_e32 v110, 0x340, v113
	v_add3_u32 v111, 0, v113, 16
	v_mov_b32_e32 v112, v0
	s_mov_b32 s58, 0
	.p2align	6
.LBB114_516:                            ; =>This Inner Loop Header: Depth=1
	s_clause 0x3
	buffer_load_dword v118, v111, s[0:3], 0 offen offset:8
	buffer_load_dword v119, v111, s[0:3], 0 offen offset:12
	buffer_load_dword v120, v111, s[0:3], 0 offen
	buffer_load_dword v121, v111, s[0:3], 0 offen offset:4
	ds_read_b128 v[114:117], v110
	v_add_nc_u32_e32 v112, 1, v112
	v_add_nc_u32_e32 v110, 16, v110
	;; [unrolled: 1-line block ×3, first 2 shown]
	v_cmp_lt_u32_e32 vcc_lo, 13, v112
	s_or_b32 s58, vcc_lo, s58
	s_waitcnt vmcnt(2) lgkmcnt(0)
	v_mul_f64 v[122:123], v[116:117], v[118:119]
	v_mul_f64 v[118:119], v[114:115], v[118:119]
	s_waitcnt vmcnt(0)
	v_fma_f64 v[114:115], v[114:115], v[120:121], -v[122:123]
	v_fma_f64 v[116:117], v[116:117], v[120:121], v[118:119]
	v_add_f64 v[1:2], v[1:2], v[114:115]
	v_add_f64 v[3:4], v[3:4], v[116:117]
	s_andn2_b32 exec_lo, exec_lo, s58
	s_cbranch_execnz .LBB114_516
; %bb.517:
	s_or_b32 exec_lo, exec_lo, s58
.LBB114_518:
	s_or_b32 exec_lo, exec_lo, s8
	v_mov_b32_e32 v110, 0
	ds_read_b128 v[114:117], v110 offset:240
	s_waitcnt lgkmcnt(0)
	v_mul_f64 v[110:111], v[3:4], v[116:117]
	v_mul_f64 v[116:117], v[1:2], v[116:117]
	v_fma_f64 v[1:2], v[1:2], v[114:115], -v[110:111]
	v_fma_f64 v[3:4], v[3:4], v[114:115], v[116:117]
	buffer_store_dword v2, off, s[0:3], 0 offset:244
	buffer_store_dword v1, off, s[0:3], 0 offset:240
	;; [unrolled: 1-line block ×4, first 2 shown]
.LBB114_519:
	s_or_b32 exec_lo, exec_lo, s4
	v_mov_b32_e32 v4, s42
	s_mov_b32 s4, exec_lo
	s_clause 0x3
	buffer_load_dword v1, v4, s[0:3], 0 offen
	buffer_load_dword v2, v4, s[0:3], 0 offen offset:4
	buffer_load_dword v3, v4, s[0:3], 0 offen offset:8
	buffer_load_dword v4, v4, s[0:3], 0 offen offset:12
	s_waitcnt vmcnt(0)
	ds_write_b128 v108, v[1:4]
	s_waitcnt lgkmcnt(0)
	s_waitcnt_vscnt null, 0x0
	s_barrier
	buffer_gl0_inv
	v_cmpx_gt_u32_e32 16, v0
	s_cbranch_execz .LBB114_527
; %bb.520:
	ds_read_b128 v[1:4], v108
	v_cmp_ne_u32_e32 vcc_lo, 1, v109
	s_cbranch_vccnz .LBB114_522
; %bb.521:
	s_clause 0x3
	buffer_load_dword v110, v107, s[0:3], 0 offen offset:8
	buffer_load_dword v111, v107, s[0:3], 0 offen offset:12
	buffer_load_dword v114, v107, s[0:3], 0 offen
	buffer_load_dword v115, v107, s[0:3], 0 offen offset:4
	s_waitcnt vmcnt(2) lgkmcnt(0)
	v_mul_f64 v[116:117], v[3:4], v[110:111]
	v_mul_f64 v[110:111], v[1:2], v[110:111]
	s_waitcnt vmcnt(0)
	v_fma_f64 v[1:2], v[1:2], v[114:115], -v[116:117]
	v_fma_f64 v[3:4], v[3:4], v[114:115], v[110:111]
.LBB114_522:
	s_mov_b32 s8, exec_lo
	v_cmpx_ne_u32_e32 15, v0
	s_cbranch_execz .LBB114_526
; %bb.523:
	v_add_nc_u32_e32 v110, 0x340, v113
	v_add3_u32 v111, 0, v113, 16
	v_mov_b32_e32 v112, v0
	s_mov_b32 s58, 0
	.p2align	6
.LBB114_524:                            ; =>This Inner Loop Header: Depth=1
	s_clause 0x3
	buffer_load_dword v118, v111, s[0:3], 0 offen offset:8
	buffer_load_dword v119, v111, s[0:3], 0 offen offset:12
	buffer_load_dword v120, v111, s[0:3], 0 offen
	buffer_load_dword v121, v111, s[0:3], 0 offen offset:4
	ds_read_b128 v[114:117], v110
	v_add_nc_u32_e32 v112, 1, v112
	v_add_nc_u32_e32 v110, 16, v110
	;; [unrolled: 1-line block ×3, first 2 shown]
	v_cmp_lt_u32_e32 vcc_lo, 14, v112
	s_or_b32 s58, vcc_lo, s58
	s_waitcnt vmcnt(2) lgkmcnt(0)
	v_mul_f64 v[122:123], v[116:117], v[118:119]
	v_mul_f64 v[118:119], v[114:115], v[118:119]
	s_waitcnt vmcnt(0)
	v_fma_f64 v[114:115], v[114:115], v[120:121], -v[122:123]
	v_fma_f64 v[116:117], v[116:117], v[120:121], v[118:119]
	v_add_f64 v[1:2], v[1:2], v[114:115]
	v_add_f64 v[3:4], v[3:4], v[116:117]
	s_andn2_b32 exec_lo, exec_lo, s58
	s_cbranch_execnz .LBB114_524
; %bb.525:
	s_or_b32 exec_lo, exec_lo, s58
.LBB114_526:
	s_or_b32 exec_lo, exec_lo, s8
	v_mov_b32_e32 v110, 0
	ds_read_b128 v[114:117], v110 offset:256
	s_waitcnt lgkmcnt(0)
	v_mul_f64 v[110:111], v[3:4], v[116:117]
	v_mul_f64 v[116:117], v[1:2], v[116:117]
	v_fma_f64 v[1:2], v[1:2], v[114:115], -v[110:111]
	v_fma_f64 v[3:4], v[3:4], v[114:115], v[116:117]
	buffer_store_dword v2, off, s[0:3], 0 offset:260
	buffer_store_dword v1, off, s[0:3], 0 offset:256
	;; [unrolled: 1-line block ×4, first 2 shown]
.LBB114_527:
	s_or_b32 exec_lo, exec_lo, s4
	v_mov_b32_e32 v4, s41
	s_mov_b32 s4, exec_lo
	s_clause 0x3
	buffer_load_dword v1, v4, s[0:3], 0 offen
	buffer_load_dword v2, v4, s[0:3], 0 offen offset:4
	buffer_load_dword v3, v4, s[0:3], 0 offen offset:8
	;; [unrolled: 1-line block ×3, first 2 shown]
	s_waitcnt vmcnt(0)
	ds_write_b128 v108, v[1:4]
	s_waitcnt lgkmcnt(0)
	s_waitcnt_vscnt null, 0x0
	s_barrier
	buffer_gl0_inv
	v_cmpx_gt_u32_e32 17, v0
	s_cbranch_execz .LBB114_535
; %bb.528:
	ds_read_b128 v[1:4], v108
	v_cmp_ne_u32_e32 vcc_lo, 1, v109
	s_cbranch_vccnz .LBB114_530
; %bb.529:
	s_clause 0x3
	buffer_load_dword v110, v107, s[0:3], 0 offen offset:8
	buffer_load_dword v111, v107, s[0:3], 0 offen offset:12
	buffer_load_dword v114, v107, s[0:3], 0 offen
	buffer_load_dword v115, v107, s[0:3], 0 offen offset:4
	s_waitcnt vmcnt(2) lgkmcnt(0)
	v_mul_f64 v[116:117], v[3:4], v[110:111]
	v_mul_f64 v[110:111], v[1:2], v[110:111]
	s_waitcnt vmcnt(0)
	v_fma_f64 v[1:2], v[1:2], v[114:115], -v[116:117]
	v_fma_f64 v[3:4], v[3:4], v[114:115], v[110:111]
.LBB114_530:
	s_mov_b32 s8, exec_lo
	v_cmpx_ne_u32_e32 16, v0
	s_cbranch_execz .LBB114_534
; %bb.531:
	v_add_nc_u32_e32 v110, 0x340, v113
	v_add3_u32 v111, 0, v113, 16
	v_mov_b32_e32 v112, v0
	s_mov_b32 s58, 0
	.p2align	6
.LBB114_532:                            ; =>This Inner Loop Header: Depth=1
	s_clause 0x3
	buffer_load_dword v118, v111, s[0:3], 0 offen offset:8
	buffer_load_dword v119, v111, s[0:3], 0 offen offset:12
	buffer_load_dword v120, v111, s[0:3], 0 offen
	buffer_load_dword v121, v111, s[0:3], 0 offen offset:4
	ds_read_b128 v[114:117], v110
	v_add_nc_u32_e32 v112, 1, v112
	v_add_nc_u32_e32 v110, 16, v110
	;; [unrolled: 1-line block ×3, first 2 shown]
	v_cmp_lt_u32_e32 vcc_lo, 15, v112
	s_or_b32 s58, vcc_lo, s58
	s_waitcnt vmcnt(2) lgkmcnt(0)
	v_mul_f64 v[122:123], v[116:117], v[118:119]
	v_mul_f64 v[118:119], v[114:115], v[118:119]
	s_waitcnt vmcnt(0)
	v_fma_f64 v[114:115], v[114:115], v[120:121], -v[122:123]
	v_fma_f64 v[116:117], v[116:117], v[120:121], v[118:119]
	v_add_f64 v[1:2], v[1:2], v[114:115]
	v_add_f64 v[3:4], v[3:4], v[116:117]
	s_andn2_b32 exec_lo, exec_lo, s58
	s_cbranch_execnz .LBB114_532
; %bb.533:
	s_or_b32 exec_lo, exec_lo, s58
.LBB114_534:
	s_or_b32 exec_lo, exec_lo, s8
	v_mov_b32_e32 v110, 0
	ds_read_b128 v[114:117], v110 offset:272
	s_waitcnt lgkmcnt(0)
	v_mul_f64 v[110:111], v[3:4], v[116:117]
	v_mul_f64 v[116:117], v[1:2], v[116:117]
	v_fma_f64 v[1:2], v[1:2], v[114:115], -v[110:111]
	v_fma_f64 v[3:4], v[3:4], v[114:115], v[116:117]
	buffer_store_dword v2, off, s[0:3], 0 offset:276
	buffer_store_dword v1, off, s[0:3], 0 offset:272
	;; [unrolled: 1-line block ×4, first 2 shown]
.LBB114_535:
	s_or_b32 exec_lo, exec_lo, s4
	v_mov_b32_e32 v4, s40
	s_mov_b32 s4, exec_lo
	s_clause 0x3
	buffer_load_dword v1, v4, s[0:3], 0 offen
	buffer_load_dword v2, v4, s[0:3], 0 offen offset:4
	buffer_load_dword v3, v4, s[0:3], 0 offen offset:8
	;; [unrolled: 1-line block ×3, first 2 shown]
	s_waitcnt vmcnt(0)
	ds_write_b128 v108, v[1:4]
	s_waitcnt lgkmcnt(0)
	s_waitcnt_vscnt null, 0x0
	s_barrier
	buffer_gl0_inv
	v_cmpx_gt_u32_e32 18, v0
	s_cbranch_execz .LBB114_543
; %bb.536:
	ds_read_b128 v[1:4], v108
	v_cmp_ne_u32_e32 vcc_lo, 1, v109
	s_cbranch_vccnz .LBB114_538
; %bb.537:
	s_clause 0x3
	buffer_load_dword v110, v107, s[0:3], 0 offen offset:8
	buffer_load_dword v111, v107, s[0:3], 0 offen offset:12
	buffer_load_dword v114, v107, s[0:3], 0 offen
	buffer_load_dword v115, v107, s[0:3], 0 offen offset:4
	s_waitcnt vmcnt(2) lgkmcnt(0)
	v_mul_f64 v[116:117], v[3:4], v[110:111]
	v_mul_f64 v[110:111], v[1:2], v[110:111]
	s_waitcnt vmcnt(0)
	v_fma_f64 v[1:2], v[1:2], v[114:115], -v[116:117]
	v_fma_f64 v[3:4], v[3:4], v[114:115], v[110:111]
.LBB114_538:
	s_mov_b32 s8, exec_lo
	v_cmpx_ne_u32_e32 17, v0
	s_cbranch_execz .LBB114_542
; %bb.539:
	v_add_nc_u32_e32 v110, 0x340, v113
	v_add3_u32 v111, 0, v113, 16
	v_mov_b32_e32 v112, v0
	s_mov_b32 s58, 0
	.p2align	6
.LBB114_540:                            ; =>This Inner Loop Header: Depth=1
	s_clause 0x3
	buffer_load_dword v118, v111, s[0:3], 0 offen offset:8
	buffer_load_dword v119, v111, s[0:3], 0 offen offset:12
	buffer_load_dword v120, v111, s[0:3], 0 offen
	buffer_load_dword v121, v111, s[0:3], 0 offen offset:4
	ds_read_b128 v[114:117], v110
	v_add_nc_u32_e32 v112, 1, v112
	v_add_nc_u32_e32 v110, 16, v110
	;; [unrolled: 1-line block ×3, first 2 shown]
	v_cmp_lt_u32_e32 vcc_lo, 16, v112
	s_or_b32 s58, vcc_lo, s58
	s_waitcnt vmcnt(2) lgkmcnt(0)
	v_mul_f64 v[122:123], v[116:117], v[118:119]
	v_mul_f64 v[118:119], v[114:115], v[118:119]
	s_waitcnt vmcnt(0)
	v_fma_f64 v[114:115], v[114:115], v[120:121], -v[122:123]
	v_fma_f64 v[116:117], v[116:117], v[120:121], v[118:119]
	v_add_f64 v[1:2], v[1:2], v[114:115]
	v_add_f64 v[3:4], v[3:4], v[116:117]
	s_andn2_b32 exec_lo, exec_lo, s58
	s_cbranch_execnz .LBB114_540
; %bb.541:
	s_or_b32 exec_lo, exec_lo, s58
.LBB114_542:
	s_or_b32 exec_lo, exec_lo, s8
	v_mov_b32_e32 v110, 0
	ds_read_b128 v[114:117], v110 offset:288
	s_waitcnt lgkmcnt(0)
	v_mul_f64 v[110:111], v[3:4], v[116:117]
	v_mul_f64 v[116:117], v[1:2], v[116:117]
	v_fma_f64 v[1:2], v[1:2], v[114:115], -v[110:111]
	v_fma_f64 v[3:4], v[3:4], v[114:115], v[116:117]
	buffer_store_dword v2, off, s[0:3], 0 offset:292
	buffer_store_dword v1, off, s[0:3], 0 offset:288
	;; [unrolled: 1-line block ×4, first 2 shown]
.LBB114_543:
	s_or_b32 exec_lo, exec_lo, s4
	v_mov_b32_e32 v4, s39
	s_mov_b32 s4, exec_lo
	s_clause 0x3
	buffer_load_dword v1, v4, s[0:3], 0 offen
	buffer_load_dword v2, v4, s[0:3], 0 offen offset:4
	buffer_load_dword v3, v4, s[0:3], 0 offen offset:8
	;; [unrolled: 1-line block ×3, first 2 shown]
	s_waitcnt vmcnt(0)
	ds_write_b128 v108, v[1:4]
	s_waitcnt lgkmcnt(0)
	s_waitcnt_vscnt null, 0x0
	s_barrier
	buffer_gl0_inv
	v_cmpx_gt_u32_e32 19, v0
	s_cbranch_execz .LBB114_551
; %bb.544:
	ds_read_b128 v[1:4], v108
	v_cmp_ne_u32_e32 vcc_lo, 1, v109
	s_cbranch_vccnz .LBB114_546
; %bb.545:
	s_clause 0x3
	buffer_load_dword v110, v107, s[0:3], 0 offen offset:8
	buffer_load_dword v111, v107, s[0:3], 0 offen offset:12
	buffer_load_dword v114, v107, s[0:3], 0 offen
	buffer_load_dword v115, v107, s[0:3], 0 offen offset:4
	s_waitcnt vmcnt(2) lgkmcnt(0)
	v_mul_f64 v[116:117], v[3:4], v[110:111]
	v_mul_f64 v[110:111], v[1:2], v[110:111]
	s_waitcnt vmcnt(0)
	v_fma_f64 v[1:2], v[1:2], v[114:115], -v[116:117]
	v_fma_f64 v[3:4], v[3:4], v[114:115], v[110:111]
.LBB114_546:
	s_mov_b32 s8, exec_lo
	v_cmpx_ne_u32_e32 18, v0
	s_cbranch_execz .LBB114_550
; %bb.547:
	v_add_nc_u32_e32 v110, 0x340, v113
	v_add3_u32 v111, 0, v113, 16
	v_mov_b32_e32 v112, v0
	s_mov_b32 s58, 0
	.p2align	6
.LBB114_548:                            ; =>This Inner Loop Header: Depth=1
	s_clause 0x3
	buffer_load_dword v118, v111, s[0:3], 0 offen offset:8
	buffer_load_dword v119, v111, s[0:3], 0 offen offset:12
	buffer_load_dword v120, v111, s[0:3], 0 offen
	buffer_load_dword v121, v111, s[0:3], 0 offen offset:4
	ds_read_b128 v[114:117], v110
	v_add_nc_u32_e32 v112, 1, v112
	v_add_nc_u32_e32 v110, 16, v110
	;; [unrolled: 1-line block ×3, first 2 shown]
	v_cmp_lt_u32_e32 vcc_lo, 17, v112
	s_or_b32 s58, vcc_lo, s58
	s_waitcnt vmcnt(2) lgkmcnt(0)
	v_mul_f64 v[122:123], v[116:117], v[118:119]
	v_mul_f64 v[118:119], v[114:115], v[118:119]
	s_waitcnt vmcnt(0)
	v_fma_f64 v[114:115], v[114:115], v[120:121], -v[122:123]
	v_fma_f64 v[116:117], v[116:117], v[120:121], v[118:119]
	v_add_f64 v[1:2], v[1:2], v[114:115]
	v_add_f64 v[3:4], v[3:4], v[116:117]
	s_andn2_b32 exec_lo, exec_lo, s58
	s_cbranch_execnz .LBB114_548
; %bb.549:
	s_or_b32 exec_lo, exec_lo, s58
.LBB114_550:
	s_or_b32 exec_lo, exec_lo, s8
	v_mov_b32_e32 v110, 0
	ds_read_b128 v[114:117], v110 offset:304
	s_waitcnt lgkmcnt(0)
	v_mul_f64 v[110:111], v[3:4], v[116:117]
	v_mul_f64 v[116:117], v[1:2], v[116:117]
	v_fma_f64 v[1:2], v[1:2], v[114:115], -v[110:111]
	v_fma_f64 v[3:4], v[3:4], v[114:115], v[116:117]
	buffer_store_dword v2, off, s[0:3], 0 offset:308
	buffer_store_dword v1, off, s[0:3], 0 offset:304
	;; [unrolled: 1-line block ×4, first 2 shown]
.LBB114_551:
	s_or_b32 exec_lo, exec_lo, s4
	v_mov_b32_e32 v4, s38
	s_mov_b32 s4, exec_lo
	s_clause 0x3
	buffer_load_dword v1, v4, s[0:3], 0 offen
	buffer_load_dword v2, v4, s[0:3], 0 offen offset:4
	buffer_load_dword v3, v4, s[0:3], 0 offen offset:8
	;; [unrolled: 1-line block ×3, first 2 shown]
	s_waitcnt vmcnt(0)
	ds_write_b128 v108, v[1:4]
	s_waitcnt lgkmcnt(0)
	s_waitcnt_vscnt null, 0x0
	s_barrier
	buffer_gl0_inv
	v_cmpx_gt_u32_e32 20, v0
	s_cbranch_execz .LBB114_559
; %bb.552:
	ds_read_b128 v[1:4], v108
	v_cmp_ne_u32_e32 vcc_lo, 1, v109
	s_cbranch_vccnz .LBB114_554
; %bb.553:
	s_clause 0x3
	buffer_load_dword v110, v107, s[0:3], 0 offen offset:8
	buffer_load_dword v111, v107, s[0:3], 0 offen offset:12
	buffer_load_dword v114, v107, s[0:3], 0 offen
	buffer_load_dword v115, v107, s[0:3], 0 offen offset:4
	s_waitcnt vmcnt(2) lgkmcnt(0)
	v_mul_f64 v[116:117], v[3:4], v[110:111]
	v_mul_f64 v[110:111], v[1:2], v[110:111]
	s_waitcnt vmcnt(0)
	v_fma_f64 v[1:2], v[1:2], v[114:115], -v[116:117]
	v_fma_f64 v[3:4], v[3:4], v[114:115], v[110:111]
.LBB114_554:
	s_mov_b32 s8, exec_lo
	v_cmpx_ne_u32_e32 19, v0
	s_cbranch_execz .LBB114_558
; %bb.555:
	v_add_nc_u32_e32 v110, 0x340, v113
	v_add3_u32 v111, 0, v113, 16
	v_mov_b32_e32 v112, v0
	s_mov_b32 s58, 0
	.p2align	6
.LBB114_556:                            ; =>This Inner Loop Header: Depth=1
	s_clause 0x3
	buffer_load_dword v118, v111, s[0:3], 0 offen offset:8
	buffer_load_dword v119, v111, s[0:3], 0 offen offset:12
	buffer_load_dword v120, v111, s[0:3], 0 offen
	buffer_load_dword v121, v111, s[0:3], 0 offen offset:4
	ds_read_b128 v[114:117], v110
	v_add_nc_u32_e32 v112, 1, v112
	v_add_nc_u32_e32 v110, 16, v110
	;; [unrolled: 1-line block ×3, first 2 shown]
	v_cmp_lt_u32_e32 vcc_lo, 18, v112
	s_or_b32 s58, vcc_lo, s58
	s_waitcnt vmcnt(2) lgkmcnt(0)
	v_mul_f64 v[122:123], v[116:117], v[118:119]
	v_mul_f64 v[118:119], v[114:115], v[118:119]
	s_waitcnt vmcnt(0)
	v_fma_f64 v[114:115], v[114:115], v[120:121], -v[122:123]
	v_fma_f64 v[116:117], v[116:117], v[120:121], v[118:119]
	v_add_f64 v[1:2], v[1:2], v[114:115]
	v_add_f64 v[3:4], v[3:4], v[116:117]
	s_andn2_b32 exec_lo, exec_lo, s58
	s_cbranch_execnz .LBB114_556
; %bb.557:
	s_or_b32 exec_lo, exec_lo, s58
.LBB114_558:
	s_or_b32 exec_lo, exec_lo, s8
	v_mov_b32_e32 v110, 0
	ds_read_b128 v[114:117], v110 offset:320
	s_waitcnt lgkmcnt(0)
	v_mul_f64 v[110:111], v[3:4], v[116:117]
	v_mul_f64 v[116:117], v[1:2], v[116:117]
	v_fma_f64 v[1:2], v[1:2], v[114:115], -v[110:111]
	v_fma_f64 v[3:4], v[3:4], v[114:115], v[116:117]
	buffer_store_dword v2, off, s[0:3], 0 offset:324
	buffer_store_dword v1, off, s[0:3], 0 offset:320
	;; [unrolled: 1-line block ×4, first 2 shown]
.LBB114_559:
	s_or_b32 exec_lo, exec_lo, s4
	v_mov_b32_e32 v4, s37
	s_mov_b32 s4, exec_lo
	s_clause 0x3
	buffer_load_dword v1, v4, s[0:3], 0 offen
	buffer_load_dword v2, v4, s[0:3], 0 offen offset:4
	buffer_load_dword v3, v4, s[0:3], 0 offen offset:8
	;; [unrolled: 1-line block ×3, first 2 shown]
	s_waitcnt vmcnt(0)
	ds_write_b128 v108, v[1:4]
	s_waitcnt lgkmcnt(0)
	s_waitcnt_vscnt null, 0x0
	s_barrier
	buffer_gl0_inv
	v_cmpx_gt_u32_e32 21, v0
	s_cbranch_execz .LBB114_567
; %bb.560:
	ds_read_b128 v[1:4], v108
	v_cmp_ne_u32_e32 vcc_lo, 1, v109
	s_cbranch_vccnz .LBB114_562
; %bb.561:
	s_clause 0x3
	buffer_load_dword v110, v107, s[0:3], 0 offen offset:8
	buffer_load_dword v111, v107, s[0:3], 0 offen offset:12
	buffer_load_dword v114, v107, s[0:3], 0 offen
	buffer_load_dword v115, v107, s[0:3], 0 offen offset:4
	s_waitcnt vmcnt(2) lgkmcnt(0)
	v_mul_f64 v[116:117], v[3:4], v[110:111]
	v_mul_f64 v[110:111], v[1:2], v[110:111]
	s_waitcnt vmcnt(0)
	v_fma_f64 v[1:2], v[1:2], v[114:115], -v[116:117]
	v_fma_f64 v[3:4], v[3:4], v[114:115], v[110:111]
.LBB114_562:
	s_mov_b32 s8, exec_lo
	v_cmpx_ne_u32_e32 20, v0
	s_cbranch_execz .LBB114_566
; %bb.563:
	v_add_nc_u32_e32 v110, 0x340, v113
	v_add3_u32 v111, 0, v113, 16
	v_mov_b32_e32 v112, v0
	s_mov_b32 s58, 0
	.p2align	6
.LBB114_564:                            ; =>This Inner Loop Header: Depth=1
	s_clause 0x3
	buffer_load_dword v118, v111, s[0:3], 0 offen offset:8
	buffer_load_dword v119, v111, s[0:3], 0 offen offset:12
	buffer_load_dword v120, v111, s[0:3], 0 offen
	buffer_load_dword v121, v111, s[0:3], 0 offen offset:4
	ds_read_b128 v[114:117], v110
	v_add_nc_u32_e32 v112, 1, v112
	v_add_nc_u32_e32 v110, 16, v110
	;; [unrolled: 1-line block ×3, first 2 shown]
	v_cmp_lt_u32_e32 vcc_lo, 19, v112
	s_or_b32 s58, vcc_lo, s58
	s_waitcnt vmcnt(2) lgkmcnt(0)
	v_mul_f64 v[122:123], v[116:117], v[118:119]
	v_mul_f64 v[118:119], v[114:115], v[118:119]
	s_waitcnt vmcnt(0)
	v_fma_f64 v[114:115], v[114:115], v[120:121], -v[122:123]
	v_fma_f64 v[116:117], v[116:117], v[120:121], v[118:119]
	v_add_f64 v[1:2], v[1:2], v[114:115]
	v_add_f64 v[3:4], v[3:4], v[116:117]
	s_andn2_b32 exec_lo, exec_lo, s58
	s_cbranch_execnz .LBB114_564
; %bb.565:
	s_or_b32 exec_lo, exec_lo, s58
.LBB114_566:
	s_or_b32 exec_lo, exec_lo, s8
	v_mov_b32_e32 v110, 0
	ds_read_b128 v[114:117], v110 offset:336
	s_waitcnt lgkmcnt(0)
	v_mul_f64 v[110:111], v[3:4], v[116:117]
	v_mul_f64 v[116:117], v[1:2], v[116:117]
	v_fma_f64 v[1:2], v[1:2], v[114:115], -v[110:111]
	v_fma_f64 v[3:4], v[3:4], v[114:115], v[116:117]
	buffer_store_dword v2, off, s[0:3], 0 offset:340
	buffer_store_dword v1, off, s[0:3], 0 offset:336
	;; [unrolled: 1-line block ×4, first 2 shown]
.LBB114_567:
	s_or_b32 exec_lo, exec_lo, s4
	v_mov_b32_e32 v4, s36
	s_mov_b32 s4, exec_lo
	s_clause 0x3
	buffer_load_dword v1, v4, s[0:3], 0 offen
	buffer_load_dword v2, v4, s[0:3], 0 offen offset:4
	buffer_load_dword v3, v4, s[0:3], 0 offen offset:8
	;; [unrolled: 1-line block ×3, first 2 shown]
	s_waitcnt vmcnt(0)
	ds_write_b128 v108, v[1:4]
	s_waitcnt lgkmcnt(0)
	s_waitcnt_vscnt null, 0x0
	s_barrier
	buffer_gl0_inv
	v_cmpx_gt_u32_e32 22, v0
	s_cbranch_execz .LBB114_575
; %bb.568:
	ds_read_b128 v[1:4], v108
	v_cmp_ne_u32_e32 vcc_lo, 1, v109
	s_cbranch_vccnz .LBB114_570
; %bb.569:
	s_clause 0x3
	buffer_load_dword v110, v107, s[0:3], 0 offen offset:8
	buffer_load_dword v111, v107, s[0:3], 0 offen offset:12
	buffer_load_dword v114, v107, s[0:3], 0 offen
	buffer_load_dword v115, v107, s[0:3], 0 offen offset:4
	s_waitcnt vmcnt(2) lgkmcnt(0)
	v_mul_f64 v[116:117], v[3:4], v[110:111]
	v_mul_f64 v[110:111], v[1:2], v[110:111]
	s_waitcnt vmcnt(0)
	v_fma_f64 v[1:2], v[1:2], v[114:115], -v[116:117]
	v_fma_f64 v[3:4], v[3:4], v[114:115], v[110:111]
.LBB114_570:
	s_mov_b32 s8, exec_lo
	v_cmpx_ne_u32_e32 21, v0
	s_cbranch_execz .LBB114_574
; %bb.571:
	v_add_nc_u32_e32 v110, 0x340, v113
	v_add3_u32 v111, 0, v113, 16
	v_mov_b32_e32 v112, v0
	s_mov_b32 s58, 0
	.p2align	6
.LBB114_572:                            ; =>This Inner Loop Header: Depth=1
	s_clause 0x3
	buffer_load_dword v118, v111, s[0:3], 0 offen offset:8
	buffer_load_dword v119, v111, s[0:3], 0 offen offset:12
	buffer_load_dword v120, v111, s[0:3], 0 offen
	buffer_load_dword v121, v111, s[0:3], 0 offen offset:4
	ds_read_b128 v[114:117], v110
	v_add_nc_u32_e32 v112, 1, v112
	v_add_nc_u32_e32 v110, 16, v110
	;; [unrolled: 1-line block ×3, first 2 shown]
	v_cmp_lt_u32_e32 vcc_lo, 20, v112
	s_or_b32 s58, vcc_lo, s58
	s_waitcnt vmcnt(2) lgkmcnt(0)
	v_mul_f64 v[122:123], v[116:117], v[118:119]
	v_mul_f64 v[118:119], v[114:115], v[118:119]
	s_waitcnt vmcnt(0)
	v_fma_f64 v[114:115], v[114:115], v[120:121], -v[122:123]
	v_fma_f64 v[116:117], v[116:117], v[120:121], v[118:119]
	v_add_f64 v[1:2], v[1:2], v[114:115]
	v_add_f64 v[3:4], v[3:4], v[116:117]
	s_andn2_b32 exec_lo, exec_lo, s58
	s_cbranch_execnz .LBB114_572
; %bb.573:
	s_or_b32 exec_lo, exec_lo, s58
.LBB114_574:
	s_or_b32 exec_lo, exec_lo, s8
	v_mov_b32_e32 v110, 0
	ds_read_b128 v[114:117], v110 offset:352
	s_waitcnt lgkmcnt(0)
	v_mul_f64 v[110:111], v[3:4], v[116:117]
	v_mul_f64 v[116:117], v[1:2], v[116:117]
	v_fma_f64 v[1:2], v[1:2], v[114:115], -v[110:111]
	v_fma_f64 v[3:4], v[3:4], v[114:115], v[116:117]
	buffer_store_dword v2, off, s[0:3], 0 offset:356
	buffer_store_dword v1, off, s[0:3], 0 offset:352
	;; [unrolled: 1-line block ×4, first 2 shown]
.LBB114_575:
	s_or_b32 exec_lo, exec_lo, s4
	v_mov_b32_e32 v4, s35
	s_mov_b32 s4, exec_lo
	s_clause 0x3
	buffer_load_dword v1, v4, s[0:3], 0 offen
	buffer_load_dword v2, v4, s[0:3], 0 offen offset:4
	buffer_load_dword v3, v4, s[0:3], 0 offen offset:8
	;; [unrolled: 1-line block ×3, first 2 shown]
	s_waitcnt vmcnt(0)
	ds_write_b128 v108, v[1:4]
	s_waitcnt lgkmcnt(0)
	s_waitcnt_vscnt null, 0x0
	s_barrier
	buffer_gl0_inv
	v_cmpx_gt_u32_e32 23, v0
	s_cbranch_execz .LBB114_583
; %bb.576:
	ds_read_b128 v[1:4], v108
	v_cmp_ne_u32_e32 vcc_lo, 1, v109
	s_cbranch_vccnz .LBB114_578
; %bb.577:
	s_clause 0x3
	buffer_load_dword v110, v107, s[0:3], 0 offen offset:8
	buffer_load_dword v111, v107, s[0:3], 0 offen offset:12
	buffer_load_dword v114, v107, s[0:3], 0 offen
	buffer_load_dword v115, v107, s[0:3], 0 offen offset:4
	s_waitcnt vmcnt(2) lgkmcnt(0)
	v_mul_f64 v[116:117], v[3:4], v[110:111]
	v_mul_f64 v[110:111], v[1:2], v[110:111]
	s_waitcnt vmcnt(0)
	v_fma_f64 v[1:2], v[1:2], v[114:115], -v[116:117]
	v_fma_f64 v[3:4], v[3:4], v[114:115], v[110:111]
.LBB114_578:
	s_mov_b32 s8, exec_lo
	v_cmpx_ne_u32_e32 22, v0
	s_cbranch_execz .LBB114_582
; %bb.579:
	v_add_nc_u32_e32 v110, 0x340, v113
	v_add3_u32 v111, 0, v113, 16
	v_mov_b32_e32 v112, v0
	s_mov_b32 s58, 0
	.p2align	6
.LBB114_580:                            ; =>This Inner Loop Header: Depth=1
	s_clause 0x3
	buffer_load_dword v118, v111, s[0:3], 0 offen offset:8
	buffer_load_dword v119, v111, s[0:3], 0 offen offset:12
	buffer_load_dword v120, v111, s[0:3], 0 offen
	buffer_load_dword v121, v111, s[0:3], 0 offen offset:4
	ds_read_b128 v[114:117], v110
	v_add_nc_u32_e32 v112, 1, v112
	v_add_nc_u32_e32 v110, 16, v110
	;; [unrolled: 1-line block ×3, first 2 shown]
	v_cmp_lt_u32_e32 vcc_lo, 21, v112
	s_or_b32 s58, vcc_lo, s58
	s_waitcnt vmcnt(2) lgkmcnt(0)
	v_mul_f64 v[122:123], v[116:117], v[118:119]
	v_mul_f64 v[118:119], v[114:115], v[118:119]
	s_waitcnt vmcnt(0)
	v_fma_f64 v[114:115], v[114:115], v[120:121], -v[122:123]
	v_fma_f64 v[116:117], v[116:117], v[120:121], v[118:119]
	v_add_f64 v[1:2], v[1:2], v[114:115]
	v_add_f64 v[3:4], v[3:4], v[116:117]
	s_andn2_b32 exec_lo, exec_lo, s58
	s_cbranch_execnz .LBB114_580
; %bb.581:
	s_or_b32 exec_lo, exec_lo, s58
.LBB114_582:
	s_or_b32 exec_lo, exec_lo, s8
	v_mov_b32_e32 v110, 0
	ds_read_b128 v[114:117], v110 offset:368
	s_waitcnt lgkmcnt(0)
	v_mul_f64 v[110:111], v[3:4], v[116:117]
	v_mul_f64 v[116:117], v[1:2], v[116:117]
	v_fma_f64 v[1:2], v[1:2], v[114:115], -v[110:111]
	v_fma_f64 v[3:4], v[3:4], v[114:115], v[116:117]
	buffer_store_dword v2, off, s[0:3], 0 offset:372
	buffer_store_dword v1, off, s[0:3], 0 offset:368
	;; [unrolled: 1-line block ×4, first 2 shown]
.LBB114_583:
	s_or_b32 exec_lo, exec_lo, s4
	v_mov_b32_e32 v4, s34
	s_mov_b32 s4, exec_lo
	s_clause 0x3
	buffer_load_dword v1, v4, s[0:3], 0 offen
	buffer_load_dword v2, v4, s[0:3], 0 offen offset:4
	buffer_load_dword v3, v4, s[0:3], 0 offen offset:8
	;; [unrolled: 1-line block ×3, first 2 shown]
	s_waitcnt vmcnt(0)
	ds_write_b128 v108, v[1:4]
	s_waitcnt lgkmcnt(0)
	s_waitcnt_vscnt null, 0x0
	s_barrier
	buffer_gl0_inv
	v_cmpx_gt_u32_e32 24, v0
	s_cbranch_execz .LBB114_591
; %bb.584:
	ds_read_b128 v[1:4], v108
	v_cmp_ne_u32_e32 vcc_lo, 1, v109
	s_cbranch_vccnz .LBB114_586
; %bb.585:
	s_clause 0x3
	buffer_load_dword v110, v107, s[0:3], 0 offen offset:8
	buffer_load_dword v111, v107, s[0:3], 0 offen offset:12
	buffer_load_dword v114, v107, s[0:3], 0 offen
	buffer_load_dword v115, v107, s[0:3], 0 offen offset:4
	s_waitcnt vmcnt(2) lgkmcnt(0)
	v_mul_f64 v[116:117], v[3:4], v[110:111]
	v_mul_f64 v[110:111], v[1:2], v[110:111]
	s_waitcnt vmcnt(0)
	v_fma_f64 v[1:2], v[1:2], v[114:115], -v[116:117]
	v_fma_f64 v[3:4], v[3:4], v[114:115], v[110:111]
.LBB114_586:
	s_mov_b32 s8, exec_lo
	v_cmpx_ne_u32_e32 23, v0
	s_cbranch_execz .LBB114_590
; %bb.587:
	v_add_nc_u32_e32 v110, 0x340, v113
	v_add3_u32 v111, 0, v113, 16
	v_mov_b32_e32 v112, v0
	s_mov_b32 s58, 0
	.p2align	6
.LBB114_588:                            ; =>This Inner Loop Header: Depth=1
	s_clause 0x3
	buffer_load_dword v118, v111, s[0:3], 0 offen offset:8
	buffer_load_dword v119, v111, s[0:3], 0 offen offset:12
	buffer_load_dword v120, v111, s[0:3], 0 offen
	buffer_load_dword v121, v111, s[0:3], 0 offen offset:4
	ds_read_b128 v[114:117], v110
	v_add_nc_u32_e32 v112, 1, v112
	v_add_nc_u32_e32 v110, 16, v110
	;; [unrolled: 1-line block ×3, first 2 shown]
	v_cmp_lt_u32_e32 vcc_lo, 22, v112
	s_or_b32 s58, vcc_lo, s58
	s_waitcnt vmcnt(2) lgkmcnt(0)
	v_mul_f64 v[122:123], v[116:117], v[118:119]
	v_mul_f64 v[118:119], v[114:115], v[118:119]
	s_waitcnt vmcnt(0)
	v_fma_f64 v[114:115], v[114:115], v[120:121], -v[122:123]
	v_fma_f64 v[116:117], v[116:117], v[120:121], v[118:119]
	v_add_f64 v[1:2], v[1:2], v[114:115]
	v_add_f64 v[3:4], v[3:4], v[116:117]
	s_andn2_b32 exec_lo, exec_lo, s58
	s_cbranch_execnz .LBB114_588
; %bb.589:
	s_or_b32 exec_lo, exec_lo, s58
.LBB114_590:
	s_or_b32 exec_lo, exec_lo, s8
	v_mov_b32_e32 v110, 0
	ds_read_b128 v[114:117], v110 offset:384
	s_waitcnt lgkmcnt(0)
	v_mul_f64 v[110:111], v[3:4], v[116:117]
	v_mul_f64 v[116:117], v[1:2], v[116:117]
	v_fma_f64 v[1:2], v[1:2], v[114:115], -v[110:111]
	v_fma_f64 v[3:4], v[3:4], v[114:115], v[116:117]
	buffer_store_dword v2, off, s[0:3], 0 offset:388
	buffer_store_dword v1, off, s[0:3], 0 offset:384
	;; [unrolled: 1-line block ×4, first 2 shown]
.LBB114_591:
	s_or_b32 exec_lo, exec_lo, s4
	v_mov_b32_e32 v4, s33
	s_mov_b32 s4, exec_lo
	s_clause 0x3
	buffer_load_dword v1, v4, s[0:3], 0 offen
	buffer_load_dword v2, v4, s[0:3], 0 offen offset:4
	buffer_load_dword v3, v4, s[0:3], 0 offen offset:8
	;; [unrolled: 1-line block ×3, first 2 shown]
	s_waitcnt vmcnt(0)
	ds_write_b128 v108, v[1:4]
	s_waitcnt lgkmcnt(0)
	s_waitcnt_vscnt null, 0x0
	s_barrier
	buffer_gl0_inv
	v_cmpx_gt_u32_e32 25, v0
	s_cbranch_execz .LBB114_599
; %bb.592:
	ds_read_b128 v[1:4], v108
	v_cmp_ne_u32_e32 vcc_lo, 1, v109
	s_cbranch_vccnz .LBB114_594
; %bb.593:
	s_clause 0x3
	buffer_load_dword v110, v107, s[0:3], 0 offen offset:8
	buffer_load_dword v111, v107, s[0:3], 0 offen offset:12
	buffer_load_dword v114, v107, s[0:3], 0 offen
	buffer_load_dword v115, v107, s[0:3], 0 offen offset:4
	s_waitcnt vmcnt(2) lgkmcnt(0)
	v_mul_f64 v[116:117], v[3:4], v[110:111]
	v_mul_f64 v[110:111], v[1:2], v[110:111]
	s_waitcnt vmcnt(0)
	v_fma_f64 v[1:2], v[1:2], v[114:115], -v[116:117]
	v_fma_f64 v[3:4], v[3:4], v[114:115], v[110:111]
.LBB114_594:
	s_mov_b32 s8, exec_lo
	v_cmpx_ne_u32_e32 24, v0
	s_cbranch_execz .LBB114_598
; %bb.595:
	v_add_nc_u32_e32 v110, 0x340, v113
	v_add3_u32 v111, 0, v113, 16
	v_mov_b32_e32 v112, v0
	s_mov_b32 s58, 0
	.p2align	6
.LBB114_596:                            ; =>This Inner Loop Header: Depth=1
	s_clause 0x3
	buffer_load_dword v118, v111, s[0:3], 0 offen offset:8
	buffer_load_dword v119, v111, s[0:3], 0 offen offset:12
	buffer_load_dword v120, v111, s[0:3], 0 offen
	buffer_load_dword v121, v111, s[0:3], 0 offen offset:4
	ds_read_b128 v[114:117], v110
	v_add_nc_u32_e32 v112, 1, v112
	v_add_nc_u32_e32 v110, 16, v110
	;; [unrolled: 1-line block ×3, first 2 shown]
	v_cmp_lt_u32_e32 vcc_lo, 23, v112
	s_or_b32 s58, vcc_lo, s58
	s_waitcnt vmcnt(2) lgkmcnt(0)
	v_mul_f64 v[122:123], v[116:117], v[118:119]
	v_mul_f64 v[118:119], v[114:115], v[118:119]
	s_waitcnt vmcnt(0)
	v_fma_f64 v[114:115], v[114:115], v[120:121], -v[122:123]
	v_fma_f64 v[116:117], v[116:117], v[120:121], v[118:119]
	v_add_f64 v[1:2], v[1:2], v[114:115]
	v_add_f64 v[3:4], v[3:4], v[116:117]
	s_andn2_b32 exec_lo, exec_lo, s58
	s_cbranch_execnz .LBB114_596
; %bb.597:
	s_or_b32 exec_lo, exec_lo, s58
.LBB114_598:
	s_or_b32 exec_lo, exec_lo, s8
	v_mov_b32_e32 v110, 0
	ds_read_b128 v[114:117], v110 offset:400
	s_waitcnt lgkmcnt(0)
	v_mul_f64 v[110:111], v[3:4], v[116:117]
	v_mul_f64 v[116:117], v[1:2], v[116:117]
	v_fma_f64 v[1:2], v[1:2], v[114:115], -v[110:111]
	v_fma_f64 v[3:4], v[3:4], v[114:115], v[116:117]
	buffer_store_dword v2, off, s[0:3], 0 offset:404
	buffer_store_dword v1, off, s[0:3], 0 offset:400
	buffer_store_dword v4, off, s[0:3], 0 offset:412
	buffer_store_dword v3, off, s[0:3], 0 offset:408
.LBB114_599:
	s_or_b32 exec_lo, exec_lo, s4
	v_mov_b32_e32 v4, s31
	s_mov_b32 s4, exec_lo
	s_clause 0x3
	buffer_load_dword v1, v4, s[0:3], 0 offen
	buffer_load_dword v2, v4, s[0:3], 0 offen offset:4
	buffer_load_dword v3, v4, s[0:3], 0 offen offset:8
	;; [unrolled: 1-line block ×3, first 2 shown]
	s_waitcnt vmcnt(0)
	ds_write_b128 v108, v[1:4]
	s_waitcnt lgkmcnt(0)
	s_waitcnt_vscnt null, 0x0
	s_barrier
	buffer_gl0_inv
	v_cmpx_gt_u32_e32 26, v0
	s_cbranch_execz .LBB114_607
; %bb.600:
	ds_read_b128 v[1:4], v108
	v_cmp_ne_u32_e32 vcc_lo, 1, v109
	s_cbranch_vccnz .LBB114_602
; %bb.601:
	s_clause 0x3
	buffer_load_dword v110, v107, s[0:3], 0 offen offset:8
	buffer_load_dword v111, v107, s[0:3], 0 offen offset:12
	buffer_load_dword v114, v107, s[0:3], 0 offen
	buffer_load_dword v115, v107, s[0:3], 0 offen offset:4
	s_waitcnt vmcnt(2) lgkmcnt(0)
	v_mul_f64 v[116:117], v[3:4], v[110:111]
	v_mul_f64 v[110:111], v[1:2], v[110:111]
	s_waitcnt vmcnt(0)
	v_fma_f64 v[1:2], v[1:2], v[114:115], -v[116:117]
	v_fma_f64 v[3:4], v[3:4], v[114:115], v[110:111]
.LBB114_602:
	s_mov_b32 s8, exec_lo
	v_cmpx_ne_u32_e32 25, v0
	s_cbranch_execz .LBB114_606
; %bb.603:
	v_add_nc_u32_e32 v110, 0x340, v113
	v_add3_u32 v111, 0, v113, 16
	v_mov_b32_e32 v112, v0
	s_mov_b32 s58, 0
	.p2align	6
.LBB114_604:                            ; =>This Inner Loop Header: Depth=1
	s_clause 0x3
	buffer_load_dword v118, v111, s[0:3], 0 offen offset:8
	buffer_load_dword v119, v111, s[0:3], 0 offen offset:12
	buffer_load_dword v120, v111, s[0:3], 0 offen
	buffer_load_dword v121, v111, s[0:3], 0 offen offset:4
	ds_read_b128 v[114:117], v110
	v_add_nc_u32_e32 v112, 1, v112
	v_add_nc_u32_e32 v110, 16, v110
	;; [unrolled: 1-line block ×3, first 2 shown]
	v_cmp_lt_u32_e32 vcc_lo, 24, v112
	s_or_b32 s58, vcc_lo, s58
	s_waitcnt vmcnt(2) lgkmcnt(0)
	v_mul_f64 v[122:123], v[116:117], v[118:119]
	v_mul_f64 v[118:119], v[114:115], v[118:119]
	s_waitcnt vmcnt(0)
	v_fma_f64 v[114:115], v[114:115], v[120:121], -v[122:123]
	v_fma_f64 v[116:117], v[116:117], v[120:121], v[118:119]
	v_add_f64 v[1:2], v[1:2], v[114:115]
	v_add_f64 v[3:4], v[3:4], v[116:117]
	s_andn2_b32 exec_lo, exec_lo, s58
	s_cbranch_execnz .LBB114_604
; %bb.605:
	s_or_b32 exec_lo, exec_lo, s58
.LBB114_606:
	s_or_b32 exec_lo, exec_lo, s8
	v_mov_b32_e32 v110, 0
	ds_read_b128 v[114:117], v110 offset:416
	s_waitcnt lgkmcnt(0)
	v_mul_f64 v[110:111], v[3:4], v[116:117]
	v_mul_f64 v[116:117], v[1:2], v[116:117]
	v_fma_f64 v[1:2], v[1:2], v[114:115], -v[110:111]
	v_fma_f64 v[3:4], v[3:4], v[114:115], v[116:117]
	buffer_store_dword v2, off, s[0:3], 0 offset:420
	buffer_store_dword v1, off, s[0:3], 0 offset:416
	buffer_store_dword v4, off, s[0:3], 0 offset:428
	buffer_store_dword v3, off, s[0:3], 0 offset:424
.LBB114_607:
	s_or_b32 exec_lo, exec_lo, s4
	v_mov_b32_e32 v4, s30
	s_mov_b32 s4, exec_lo
	s_clause 0x3
	buffer_load_dword v1, v4, s[0:3], 0 offen
	buffer_load_dword v2, v4, s[0:3], 0 offen offset:4
	buffer_load_dword v3, v4, s[0:3], 0 offen offset:8
	;; [unrolled: 1-line block ×3, first 2 shown]
	s_waitcnt vmcnt(0)
	ds_write_b128 v108, v[1:4]
	s_waitcnt lgkmcnt(0)
	s_waitcnt_vscnt null, 0x0
	s_barrier
	buffer_gl0_inv
	v_cmpx_gt_u32_e32 27, v0
	s_cbranch_execz .LBB114_615
; %bb.608:
	ds_read_b128 v[1:4], v108
	v_cmp_ne_u32_e32 vcc_lo, 1, v109
	s_cbranch_vccnz .LBB114_610
; %bb.609:
	s_clause 0x3
	buffer_load_dword v110, v107, s[0:3], 0 offen offset:8
	buffer_load_dword v111, v107, s[0:3], 0 offen offset:12
	buffer_load_dword v114, v107, s[0:3], 0 offen
	buffer_load_dword v115, v107, s[0:3], 0 offen offset:4
	s_waitcnt vmcnt(2) lgkmcnt(0)
	v_mul_f64 v[116:117], v[3:4], v[110:111]
	v_mul_f64 v[110:111], v[1:2], v[110:111]
	s_waitcnt vmcnt(0)
	v_fma_f64 v[1:2], v[1:2], v[114:115], -v[116:117]
	v_fma_f64 v[3:4], v[3:4], v[114:115], v[110:111]
.LBB114_610:
	s_mov_b32 s8, exec_lo
	v_cmpx_ne_u32_e32 26, v0
	s_cbranch_execz .LBB114_614
; %bb.611:
	v_add_nc_u32_e32 v110, 0x340, v113
	v_add3_u32 v111, 0, v113, 16
	v_mov_b32_e32 v112, v0
	s_mov_b32 s58, 0
	.p2align	6
.LBB114_612:                            ; =>This Inner Loop Header: Depth=1
	s_clause 0x3
	buffer_load_dword v118, v111, s[0:3], 0 offen offset:8
	buffer_load_dword v119, v111, s[0:3], 0 offen offset:12
	buffer_load_dword v120, v111, s[0:3], 0 offen
	buffer_load_dword v121, v111, s[0:3], 0 offen offset:4
	ds_read_b128 v[114:117], v110
	v_add_nc_u32_e32 v112, 1, v112
	v_add_nc_u32_e32 v110, 16, v110
	;; [unrolled: 1-line block ×3, first 2 shown]
	v_cmp_lt_u32_e32 vcc_lo, 25, v112
	s_or_b32 s58, vcc_lo, s58
	s_waitcnt vmcnt(2) lgkmcnt(0)
	v_mul_f64 v[122:123], v[116:117], v[118:119]
	v_mul_f64 v[118:119], v[114:115], v[118:119]
	s_waitcnt vmcnt(0)
	v_fma_f64 v[114:115], v[114:115], v[120:121], -v[122:123]
	v_fma_f64 v[116:117], v[116:117], v[120:121], v[118:119]
	v_add_f64 v[1:2], v[1:2], v[114:115]
	v_add_f64 v[3:4], v[3:4], v[116:117]
	s_andn2_b32 exec_lo, exec_lo, s58
	s_cbranch_execnz .LBB114_612
; %bb.613:
	s_or_b32 exec_lo, exec_lo, s58
.LBB114_614:
	s_or_b32 exec_lo, exec_lo, s8
	v_mov_b32_e32 v110, 0
	ds_read_b128 v[114:117], v110 offset:432
	s_waitcnt lgkmcnt(0)
	v_mul_f64 v[110:111], v[3:4], v[116:117]
	v_mul_f64 v[116:117], v[1:2], v[116:117]
	v_fma_f64 v[1:2], v[1:2], v[114:115], -v[110:111]
	v_fma_f64 v[3:4], v[3:4], v[114:115], v[116:117]
	buffer_store_dword v2, off, s[0:3], 0 offset:436
	buffer_store_dword v1, off, s[0:3], 0 offset:432
	;; [unrolled: 1-line block ×4, first 2 shown]
.LBB114_615:
	s_or_b32 exec_lo, exec_lo, s4
	v_mov_b32_e32 v4, s29
	s_mov_b32 s4, exec_lo
	s_clause 0x3
	buffer_load_dword v1, v4, s[0:3], 0 offen
	buffer_load_dword v2, v4, s[0:3], 0 offen offset:4
	buffer_load_dword v3, v4, s[0:3], 0 offen offset:8
	buffer_load_dword v4, v4, s[0:3], 0 offen offset:12
	s_waitcnt vmcnt(0)
	ds_write_b128 v108, v[1:4]
	s_waitcnt lgkmcnt(0)
	s_waitcnt_vscnt null, 0x0
	s_barrier
	buffer_gl0_inv
	v_cmpx_gt_u32_e32 28, v0
	s_cbranch_execz .LBB114_623
; %bb.616:
	ds_read_b128 v[1:4], v108
	v_cmp_ne_u32_e32 vcc_lo, 1, v109
	s_cbranch_vccnz .LBB114_618
; %bb.617:
	s_clause 0x3
	buffer_load_dword v110, v107, s[0:3], 0 offen offset:8
	buffer_load_dword v111, v107, s[0:3], 0 offen offset:12
	buffer_load_dword v114, v107, s[0:3], 0 offen
	buffer_load_dword v115, v107, s[0:3], 0 offen offset:4
	s_waitcnt vmcnt(2) lgkmcnt(0)
	v_mul_f64 v[116:117], v[3:4], v[110:111]
	v_mul_f64 v[110:111], v[1:2], v[110:111]
	s_waitcnt vmcnt(0)
	v_fma_f64 v[1:2], v[1:2], v[114:115], -v[116:117]
	v_fma_f64 v[3:4], v[3:4], v[114:115], v[110:111]
.LBB114_618:
	s_mov_b32 s8, exec_lo
	v_cmpx_ne_u32_e32 27, v0
	s_cbranch_execz .LBB114_622
; %bb.619:
	v_add_nc_u32_e32 v110, 0x340, v113
	v_add3_u32 v111, 0, v113, 16
	v_mov_b32_e32 v112, v0
	s_mov_b32 s58, 0
	.p2align	6
.LBB114_620:                            ; =>This Inner Loop Header: Depth=1
	s_clause 0x3
	buffer_load_dword v118, v111, s[0:3], 0 offen offset:8
	buffer_load_dword v119, v111, s[0:3], 0 offen offset:12
	buffer_load_dword v120, v111, s[0:3], 0 offen
	buffer_load_dword v121, v111, s[0:3], 0 offen offset:4
	ds_read_b128 v[114:117], v110
	v_add_nc_u32_e32 v112, 1, v112
	v_add_nc_u32_e32 v110, 16, v110
	;; [unrolled: 1-line block ×3, first 2 shown]
	v_cmp_lt_u32_e32 vcc_lo, 26, v112
	s_or_b32 s58, vcc_lo, s58
	s_waitcnt vmcnt(2) lgkmcnt(0)
	v_mul_f64 v[122:123], v[116:117], v[118:119]
	v_mul_f64 v[118:119], v[114:115], v[118:119]
	s_waitcnt vmcnt(0)
	v_fma_f64 v[114:115], v[114:115], v[120:121], -v[122:123]
	v_fma_f64 v[116:117], v[116:117], v[120:121], v[118:119]
	v_add_f64 v[1:2], v[1:2], v[114:115]
	v_add_f64 v[3:4], v[3:4], v[116:117]
	s_andn2_b32 exec_lo, exec_lo, s58
	s_cbranch_execnz .LBB114_620
; %bb.621:
	s_or_b32 exec_lo, exec_lo, s58
.LBB114_622:
	s_or_b32 exec_lo, exec_lo, s8
	v_mov_b32_e32 v110, 0
	ds_read_b128 v[114:117], v110 offset:448
	s_waitcnt lgkmcnt(0)
	v_mul_f64 v[110:111], v[3:4], v[116:117]
	v_mul_f64 v[116:117], v[1:2], v[116:117]
	v_fma_f64 v[1:2], v[1:2], v[114:115], -v[110:111]
	v_fma_f64 v[3:4], v[3:4], v[114:115], v[116:117]
	buffer_store_dword v2, off, s[0:3], 0 offset:452
	buffer_store_dword v1, off, s[0:3], 0 offset:448
	;; [unrolled: 1-line block ×4, first 2 shown]
.LBB114_623:
	s_or_b32 exec_lo, exec_lo, s4
	v_mov_b32_e32 v4, s28
	s_mov_b32 s4, exec_lo
	s_clause 0x3
	buffer_load_dword v1, v4, s[0:3], 0 offen
	buffer_load_dword v2, v4, s[0:3], 0 offen offset:4
	buffer_load_dword v3, v4, s[0:3], 0 offen offset:8
	;; [unrolled: 1-line block ×3, first 2 shown]
	s_waitcnt vmcnt(0)
	ds_write_b128 v108, v[1:4]
	s_waitcnt lgkmcnt(0)
	s_waitcnt_vscnt null, 0x0
	s_barrier
	buffer_gl0_inv
	v_cmpx_gt_u32_e32 29, v0
	s_cbranch_execz .LBB114_631
; %bb.624:
	ds_read_b128 v[1:4], v108
	v_cmp_ne_u32_e32 vcc_lo, 1, v109
	s_cbranch_vccnz .LBB114_626
; %bb.625:
	s_clause 0x3
	buffer_load_dword v110, v107, s[0:3], 0 offen offset:8
	buffer_load_dword v111, v107, s[0:3], 0 offen offset:12
	buffer_load_dword v114, v107, s[0:3], 0 offen
	buffer_load_dword v115, v107, s[0:3], 0 offen offset:4
	s_waitcnt vmcnt(2) lgkmcnt(0)
	v_mul_f64 v[116:117], v[3:4], v[110:111]
	v_mul_f64 v[110:111], v[1:2], v[110:111]
	s_waitcnt vmcnt(0)
	v_fma_f64 v[1:2], v[1:2], v[114:115], -v[116:117]
	v_fma_f64 v[3:4], v[3:4], v[114:115], v[110:111]
.LBB114_626:
	s_mov_b32 s8, exec_lo
	v_cmpx_ne_u32_e32 28, v0
	s_cbranch_execz .LBB114_630
; %bb.627:
	v_add_nc_u32_e32 v110, 0x340, v113
	v_add3_u32 v111, 0, v113, 16
	v_mov_b32_e32 v112, v0
	s_mov_b32 s58, 0
	.p2align	6
.LBB114_628:                            ; =>This Inner Loop Header: Depth=1
	s_clause 0x3
	buffer_load_dword v118, v111, s[0:3], 0 offen offset:8
	buffer_load_dword v119, v111, s[0:3], 0 offen offset:12
	buffer_load_dword v120, v111, s[0:3], 0 offen
	buffer_load_dword v121, v111, s[0:3], 0 offen offset:4
	ds_read_b128 v[114:117], v110
	v_add_nc_u32_e32 v112, 1, v112
	v_add_nc_u32_e32 v110, 16, v110
	v_add_nc_u32_e32 v111, 16, v111
	v_cmp_lt_u32_e32 vcc_lo, 27, v112
	s_or_b32 s58, vcc_lo, s58
	s_waitcnt vmcnt(2) lgkmcnt(0)
	v_mul_f64 v[122:123], v[116:117], v[118:119]
	v_mul_f64 v[118:119], v[114:115], v[118:119]
	s_waitcnt vmcnt(0)
	v_fma_f64 v[114:115], v[114:115], v[120:121], -v[122:123]
	v_fma_f64 v[116:117], v[116:117], v[120:121], v[118:119]
	v_add_f64 v[1:2], v[1:2], v[114:115]
	v_add_f64 v[3:4], v[3:4], v[116:117]
	s_andn2_b32 exec_lo, exec_lo, s58
	s_cbranch_execnz .LBB114_628
; %bb.629:
	s_or_b32 exec_lo, exec_lo, s58
.LBB114_630:
	s_or_b32 exec_lo, exec_lo, s8
	v_mov_b32_e32 v110, 0
	ds_read_b128 v[114:117], v110 offset:464
	s_waitcnt lgkmcnt(0)
	v_mul_f64 v[110:111], v[3:4], v[116:117]
	v_mul_f64 v[116:117], v[1:2], v[116:117]
	v_fma_f64 v[1:2], v[1:2], v[114:115], -v[110:111]
	v_fma_f64 v[3:4], v[3:4], v[114:115], v[116:117]
	buffer_store_dword v2, off, s[0:3], 0 offset:468
	buffer_store_dword v1, off, s[0:3], 0 offset:464
	;; [unrolled: 1-line block ×4, first 2 shown]
.LBB114_631:
	s_or_b32 exec_lo, exec_lo, s4
	v_mov_b32_e32 v4, s27
	s_mov_b32 s4, exec_lo
	s_clause 0x3
	buffer_load_dword v1, v4, s[0:3], 0 offen
	buffer_load_dword v2, v4, s[0:3], 0 offen offset:4
	buffer_load_dword v3, v4, s[0:3], 0 offen offset:8
	;; [unrolled: 1-line block ×3, first 2 shown]
	s_waitcnt vmcnt(0)
	ds_write_b128 v108, v[1:4]
	s_waitcnt lgkmcnt(0)
	s_waitcnt_vscnt null, 0x0
	s_barrier
	buffer_gl0_inv
	v_cmpx_gt_u32_e32 30, v0
	s_cbranch_execz .LBB114_639
; %bb.632:
	ds_read_b128 v[1:4], v108
	v_cmp_ne_u32_e32 vcc_lo, 1, v109
	s_cbranch_vccnz .LBB114_634
; %bb.633:
	s_clause 0x3
	buffer_load_dword v110, v107, s[0:3], 0 offen offset:8
	buffer_load_dword v111, v107, s[0:3], 0 offen offset:12
	buffer_load_dword v114, v107, s[0:3], 0 offen
	buffer_load_dword v115, v107, s[0:3], 0 offen offset:4
	s_waitcnt vmcnt(2) lgkmcnt(0)
	v_mul_f64 v[116:117], v[3:4], v[110:111]
	v_mul_f64 v[110:111], v[1:2], v[110:111]
	s_waitcnt vmcnt(0)
	v_fma_f64 v[1:2], v[1:2], v[114:115], -v[116:117]
	v_fma_f64 v[3:4], v[3:4], v[114:115], v[110:111]
.LBB114_634:
	s_mov_b32 s8, exec_lo
	v_cmpx_ne_u32_e32 29, v0
	s_cbranch_execz .LBB114_638
; %bb.635:
	v_add_nc_u32_e32 v110, 0x340, v113
	v_add3_u32 v111, 0, v113, 16
	v_mov_b32_e32 v112, v0
	s_mov_b32 s58, 0
	.p2align	6
.LBB114_636:                            ; =>This Inner Loop Header: Depth=1
	s_clause 0x3
	buffer_load_dword v118, v111, s[0:3], 0 offen offset:8
	buffer_load_dword v119, v111, s[0:3], 0 offen offset:12
	buffer_load_dword v120, v111, s[0:3], 0 offen
	buffer_load_dword v121, v111, s[0:3], 0 offen offset:4
	ds_read_b128 v[114:117], v110
	v_add_nc_u32_e32 v112, 1, v112
	v_add_nc_u32_e32 v110, 16, v110
	;; [unrolled: 1-line block ×3, first 2 shown]
	v_cmp_lt_u32_e32 vcc_lo, 28, v112
	s_or_b32 s58, vcc_lo, s58
	s_waitcnt vmcnt(2) lgkmcnt(0)
	v_mul_f64 v[122:123], v[116:117], v[118:119]
	v_mul_f64 v[118:119], v[114:115], v[118:119]
	s_waitcnt vmcnt(0)
	v_fma_f64 v[114:115], v[114:115], v[120:121], -v[122:123]
	v_fma_f64 v[116:117], v[116:117], v[120:121], v[118:119]
	v_add_f64 v[1:2], v[1:2], v[114:115]
	v_add_f64 v[3:4], v[3:4], v[116:117]
	s_andn2_b32 exec_lo, exec_lo, s58
	s_cbranch_execnz .LBB114_636
; %bb.637:
	s_or_b32 exec_lo, exec_lo, s58
.LBB114_638:
	s_or_b32 exec_lo, exec_lo, s8
	v_mov_b32_e32 v110, 0
	ds_read_b128 v[114:117], v110 offset:480
	s_waitcnt lgkmcnt(0)
	v_mul_f64 v[110:111], v[3:4], v[116:117]
	v_mul_f64 v[116:117], v[1:2], v[116:117]
	v_fma_f64 v[1:2], v[1:2], v[114:115], -v[110:111]
	v_fma_f64 v[3:4], v[3:4], v[114:115], v[116:117]
	buffer_store_dword v2, off, s[0:3], 0 offset:484
	buffer_store_dword v1, off, s[0:3], 0 offset:480
	;; [unrolled: 1-line block ×4, first 2 shown]
.LBB114_639:
	s_or_b32 exec_lo, exec_lo, s4
	v_mov_b32_e32 v4, s26
	s_mov_b32 s4, exec_lo
	s_clause 0x3
	buffer_load_dword v1, v4, s[0:3], 0 offen
	buffer_load_dword v2, v4, s[0:3], 0 offen offset:4
	buffer_load_dword v3, v4, s[0:3], 0 offen offset:8
	;; [unrolled: 1-line block ×3, first 2 shown]
	s_waitcnt vmcnt(0)
	ds_write_b128 v108, v[1:4]
	s_waitcnt lgkmcnt(0)
	s_waitcnt_vscnt null, 0x0
	s_barrier
	buffer_gl0_inv
	v_cmpx_gt_u32_e32 31, v0
	s_cbranch_execz .LBB114_647
; %bb.640:
	ds_read_b128 v[1:4], v108
	v_cmp_ne_u32_e32 vcc_lo, 1, v109
	s_cbranch_vccnz .LBB114_642
; %bb.641:
	s_clause 0x3
	buffer_load_dword v110, v107, s[0:3], 0 offen offset:8
	buffer_load_dword v111, v107, s[0:3], 0 offen offset:12
	buffer_load_dword v114, v107, s[0:3], 0 offen
	buffer_load_dword v115, v107, s[0:3], 0 offen offset:4
	s_waitcnt vmcnt(2) lgkmcnt(0)
	v_mul_f64 v[116:117], v[3:4], v[110:111]
	v_mul_f64 v[110:111], v[1:2], v[110:111]
	s_waitcnt vmcnt(0)
	v_fma_f64 v[1:2], v[1:2], v[114:115], -v[116:117]
	v_fma_f64 v[3:4], v[3:4], v[114:115], v[110:111]
.LBB114_642:
	s_mov_b32 s8, exec_lo
	v_cmpx_ne_u32_e32 30, v0
	s_cbranch_execz .LBB114_646
; %bb.643:
	v_add_nc_u32_e32 v110, 0x340, v113
	v_add3_u32 v111, 0, v113, 16
	v_mov_b32_e32 v112, v0
	s_mov_b32 s58, 0
	.p2align	6
.LBB114_644:                            ; =>This Inner Loop Header: Depth=1
	s_clause 0x3
	buffer_load_dword v118, v111, s[0:3], 0 offen offset:8
	buffer_load_dword v119, v111, s[0:3], 0 offen offset:12
	buffer_load_dword v120, v111, s[0:3], 0 offen
	buffer_load_dword v121, v111, s[0:3], 0 offen offset:4
	ds_read_b128 v[114:117], v110
	v_add_nc_u32_e32 v112, 1, v112
	v_add_nc_u32_e32 v110, 16, v110
	v_add_nc_u32_e32 v111, 16, v111
	v_cmp_lt_u32_e32 vcc_lo, 29, v112
	s_or_b32 s58, vcc_lo, s58
	s_waitcnt vmcnt(2) lgkmcnt(0)
	v_mul_f64 v[122:123], v[116:117], v[118:119]
	v_mul_f64 v[118:119], v[114:115], v[118:119]
	s_waitcnt vmcnt(0)
	v_fma_f64 v[114:115], v[114:115], v[120:121], -v[122:123]
	v_fma_f64 v[116:117], v[116:117], v[120:121], v[118:119]
	v_add_f64 v[1:2], v[1:2], v[114:115]
	v_add_f64 v[3:4], v[3:4], v[116:117]
	s_andn2_b32 exec_lo, exec_lo, s58
	s_cbranch_execnz .LBB114_644
; %bb.645:
	s_or_b32 exec_lo, exec_lo, s58
.LBB114_646:
	s_or_b32 exec_lo, exec_lo, s8
	v_mov_b32_e32 v110, 0
	ds_read_b128 v[114:117], v110 offset:496
	s_waitcnt lgkmcnt(0)
	v_mul_f64 v[110:111], v[3:4], v[116:117]
	v_mul_f64 v[116:117], v[1:2], v[116:117]
	v_fma_f64 v[1:2], v[1:2], v[114:115], -v[110:111]
	v_fma_f64 v[3:4], v[3:4], v[114:115], v[116:117]
	buffer_store_dword v2, off, s[0:3], 0 offset:500
	buffer_store_dword v1, off, s[0:3], 0 offset:496
	;; [unrolled: 1-line block ×4, first 2 shown]
.LBB114_647:
	s_or_b32 exec_lo, exec_lo, s4
	v_mov_b32_e32 v4, s25
	s_mov_b32 s4, exec_lo
	s_clause 0x3
	buffer_load_dword v1, v4, s[0:3], 0 offen
	buffer_load_dword v2, v4, s[0:3], 0 offen offset:4
	buffer_load_dword v3, v4, s[0:3], 0 offen offset:8
	;; [unrolled: 1-line block ×3, first 2 shown]
	s_waitcnt vmcnt(0)
	ds_write_b128 v108, v[1:4]
	s_waitcnt lgkmcnt(0)
	s_waitcnt_vscnt null, 0x0
	s_barrier
	buffer_gl0_inv
	v_cmpx_gt_u32_e32 32, v0
	s_cbranch_execz .LBB114_655
; %bb.648:
	ds_read_b128 v[1:4], v108
	v_cmp_ne_u32_e32 vcc_lo, 1, v109
	s_cbranch_vccnz .LBB114_650
; %bb.649:
	s_clause 0x3
	buffer_load_dword v110, v107, s[0:3], 0 offen offset:8
	buffer_load_dword v111, v107, s[0:3], 0 offen offset:12
	buffer_load_dword v114, v107, s[0:3], 0 offen
	buffer_load_dword v115, v107, s[0:3], 0 offen offset:4
	s_waitcnt vmcnt(2) lgkmcnt(0)
	v_mul_f64 v[116:117], v[3:4], v[110:111]
	v_mul_f64 v[110:111], v[1:2], v[110:111]
	s_waitcnt vmcnt(0)
	v_fma_f64 v[1:2], v[1:2], v[114:115], -v[116:117]
	v_fma_f64 v[3:4], v[3:4], v[114:115], v[110:111]
.LBB114_650:
	s_mov_b32 s8, exec_lo
	v_cmpx_ne_u32_e32 31, v0
	s_cbranch_execz .LBB114_654
; %bb.651:
	v_add_nc_u32_e32 v110, 0x340, v113
	v_add3_u32 v111, 0, v113, 16
	v_mov_b32_e32 v112, v0
	s_mov_b32 s58, 0
	.p2align	6
.LBB114_652:                            ; =>This Inner Loop Header: Depth=1
	s_clause 0x3
	buffer_load_dword v118, v111, s[0:3], 0 offen offset:8
	buffer_load_dword v119, v111, s[0:3], 0 offen offset:12
	buffer_load_dword v120, v111, s[0:3], 0 offen
	buffer_load_dword v121, v111, s[0:3], 0 offen offset:4
	ds_read_b128 v[114:117], v110
	v_add_nc_u32_e32 v112, 1, v112
	v_add_nc_u32_e32 v110, 16, v110
	;; [unrolled: 1-line block ×3, first 2 shown]
	v_cmp_lt_u32_e32 vcc_lo, 30, v112
	s_or_b32 s58, vcc_lo, s58
	s_waitcnt vmcnt(2) lgkmcnt(0)
	v_mul_f64 v[122:123], v[116:117], v[118:119]
	v_mul_f64 v[118:119], v[114:115], v[118:119]
	s_waitcnt vmcnt(0)
	v_fma_f64 v[114:115], v[114:115], v[120:121], -v[122:123]
	v_fma_f64 v[116:117], v[116:117], v[120:121], v[118:119]
	v_add_f64 v[1:2], v[1:2], v[114:115]
	v_add_f64 v[3:4], v[3:4], v[116:117]
	s_andn2_b32 exec_lo, exec_lo, s58
	s_cbranch_execnz .LBB114_652
; %bb.653:
	s_or_b32 exec_lo, exec_lo, s58
.LBB114_654:
	s_or_b32 exec_lo, exec_lo, s8
	v_mov_b32_e32 v110, 0
	ds_read_b128 v[114:117], v110 offset:512
	s_waitcnt lgkmcnt(0)
	v_mul_f64 v[110:111], v[3:4], v[116:117]
	v_mul_f64 v[116:117], v[1:2], v[116:117]
	v_fma_f64 v[1:2], v[1:2], v[114:115], -v[110:111]
	v_fma_f64 v[3:4], v[3:4], v[114:115], v[116:117]
	buffer_store_dword v2, off, s[0:3], 0 offset:516
	buffer_store_dword v1, off, s[0:3], 0 offset:512
	;; [unrolled: 1-line block ×4, first 2 shown]
.LBB114_655:
	s_or_b32 exec_lo, exec_lo, s4
	v_mov_b32_e32 v4, s24
	s_mov_b32 s4, exec_lo
	s_clause 0x3
	buffer_load_dword v1, v4, s[0:3], 0 offen
	buffer_load_dword v2, v4, s[0:3], 0 offen offset:4
	buffer_load_dword v3, v4, s[0:3], 0 offen offset:8
	;; [unrolled: 1-line block ×3, first 2 shown]
	s_waitcnt vmcnt(0)
	ds_write_b128 v108, v[1:4]
	s_waitcnt lgkmcnt(0)
	s_waitcnt_vscnt null, 0x0
	s_barrier
	buffer_gl0_inv
	v_cmpx_gt_u32_e32 33, v0
	s_cbranch_execz .LBB114_663
; %bb.656:
	ds_read_b128 v[1:4], v108
	v_cmp_ne_u32_e32 vcc_lo, 1, v109
	s_cbranch_vccnz .LBB114_658
; %bb.657:
	s_clause 0x3
	buffer_load_dword v110, v107, s[0:3], 0 offen offset:8
	buffer_load_dword v111, v107, s[0:3], 0 offen offset:12
	buffer_load_dword v114, v107, s[0:3], 0 offen
	buffer_load_dword v115, v107, s[0:3], 0 offen offset:4
	s_waitcnt vmcnt(2) lgkmcnt(0)
	v_mul_f64 v[116:117], v[3:4], v[110:111]
	v_mul_f64 v[110:111], v[1:2], v[110:111]
	s_waitcnt vmcnt(0)
	v_fma_f64 v[1:2], v[1:2], v[114:115], -v[116:117]
	v_fma_f64 v[3:4], v[3:4], v[114:115], v[110:111]
.LBB114_658:
	s_mov_b32 s8, exec_lo
	v_cmpx_ne_u32_e32 32, v0
	s_cbranch_execz .LBB114_662
; %bb.659:
	v_add_nc_u32_e32 v110, 0x340, v113
	v_add3_u32 v111, 0, v113, 16
	v_mov_b32_e32 v112, v0
	s_mov_b32 s58, 0
	.p2align	6
.LBB114_660:                            ; =>This Inner Loop Header: Depth=1
	s_clause 0x3
	buffer_load_dword v118, v111, s[0:3], 0 offen offset:8
	buffer_load_dword v119, v111, s[0:3], 0 offen offset:12
	buffer_load_dword v120, v111, s[0:3], 0 offen
	buffer_load_dword v121, v111, s[0:3], 0 offen offset:4
	ds_read_b128 v[114:117], v110
	v_add_nc_u32_e32 v112, 1, v112
	v_add_nc_u32_e32 v110, 16, v110
	;; [unrolled: 1-line block ×3, first 2 shown]
	v_cmp_lt_u32_e32 vcc_lo, 31, v112
	s_or_b32 s58, vcc_lo, s58
	s_waitcnt vmcnt(2) lgkmcnt(0)
	v_mul_f64 v[122:123], v[116:117], v[118:119]
	v_mul_f64 v[118:119], v[114:115], v[118:119]
	s_waitcnt vmcnt(0)
	v_fma_f64 v[114:115], v[114:115], v[120:121], -v[122:123]
	v_fma_f64 v[116:117], v[116:117], v[120:121], v[118:119]
	v_add_f64 v[1:2], v[1:2], v[114:115]
	v_add_f64 v[3:4], v[3:4], v[116:117]
	s_andn2_b32 exec_lo, exec_lo, s58
	s_cbranch_execnz .LBB114_660
; %bb.661:
	s_or_b32 exec_lo, exec_lo, s58
.LBB114_662:
	s_or_b32 exec_lo, exec_lo, s8
	v_mov_b32_e32 v110, 0
	ds_read_b128 v[114:117], v110 offset:528
	s_waitcnt lgkmcnt(0)
	v_mul_f64 v[110:111], v[3:4], v[116:117]
	v_mul_f64 v[116:117], v[1:2], v[116:117]
	v_fma_f64 v[1:2], v[1:2], v[114:115], -v[110:111]
	v_fma_f64 v[3:4], v[3:4], v[114:115], v[116:117]
	buffer_store_dword v2, off, s[0:3], 0 offset:532
	buffer_store_dword v1, off, s[0:3], 0 offset:528
	;; [unrolled: 1-line block ×4, first 2 shown]
.LBB114_663:
	s_or_b32 exec_lo, exec_lo, s4
	v_mov_b32_e32 v4, s23
	s_mov_b32 s4, exec_lo
	s_clause 0x3
	buffer_load_dword v1, v4, s[0:3], 0 offen
	buffer_load_dword v2, v4, s[0:3], 0 offen offset:4
	buffer_load_dword v3, v4, s[0:3], 0 offen offset:8
	;; [unrolled: 1-line block ×3, first 2 shown]
	s_waitcnt vmcnt(0)
	ds_write_b128 v108, v[1:4]
	s_waitcnt lgkmcnt(0)
	s_waitcnt_vscnt null, 0x0
	s_barrier
	buffer_gl0_inv
	v_cmpx_gt_u32_e32 34, v0
	s_cbranch_execz .LBB114_671
; %bb.664:
	ds_read_b128 v[1:4], v108
	v_cmp_ne_u32_e32 vcc_lo, 1, v109
	s_cbranch_vccnz .LBB114_666
; %bb.665:
	s_clause 0x3
	buffer_load_dword v110, v107, s[0:3], 0 offen offset:8
	buffer_load_dword v111, v107, s[0:3], 0 offen offset:12
	buffer_load_dword v114, v107, s[0:3], 0 offen
	buffer_load_dword v115, v107, s[0:3], 0 offen offset:4
	s_waitcnt vmcnt(2) lgkmcnt(0)
	v_mul_f64 v[116:117], v[3:4], v[110:111]
	v_mul_f64 v[110:111], v[1:2], v[110:111]
	s_waitcnt vmcnt(0)
	v_fma_f64 v[1:2], v[1:2], v[114:115], -v[116:117]
	v_fma_f64 v[3:4], v[3:4], v[114:115], v[110:111]
.LBB114_666:
	s_mov_b32 s8, exec_lo
	v_cmpx_ne_u32_e32 33, v0
	s_cbranch_execz .LBB114_670
; %bb.667:
	v_add_nc_u32_e32 v110, 0x340, v113
	v_add3_u32 v111, 0, v113, 16
	v_mov_b32_e32 v112, v0
	s_mov_b32 s58, 0
	.p2align	6
.LBB114_668:                            ; =>This Inner Loop Header: Depth=1
	s_clause 0x3
	buffer_load_dword v118, v111, s[0:3], 0 offen offset:8
	buffer_load_dword v119, v111, s[0:3], 0 offen offset:12
	buffer_load_dword v120, v111, s[0:3], 0 offen
	buffer_load_dword v121, v111, s[0:3], 0 offen offset:4
	ds_read_b128 v[114:117], v110
	v_add_nc_u32_e32 v112, 1, v112
	v_add_nc_u32_e32 v110, 16, v110
	;; [unrolled: 1-line block ×3, first 2 shown]
	v_cmp_lt_u32_e32 vcc_lo, 32, v112
	s_or_b32 s58, vcc_lo, s58
	s_waitcnt vmcnt(2) lgkmcnt(0)
	v_mul_f64 v[122:123], v[116:117], v[118:119]
	v_mul_f64 v[118:119], v[114:115], v[118:119]
	s_waitcnt vmcnt(0)
	v_fma_f64 v[114:115], v[114:115], v[120:121], -v[122:123]
	v_fma_f64 v[116:117], v[116:117], v[120:121], v[118:119]
	v_add_f64 v[1:2], v[1:2], v[114:115]
	v_add_f64 v[3:4], v[3:4], v[116:117]
	s_andn2_b32 exec_lo, exec_lo, s58
	s_cbranch_execnz .LBB114_668
; %bb.669:
	s_or_b32 exec_lo, exec_lo, s58
.LBB114_670:
	s_or_b32 exec_lo, exec_lo, s8
	v_mov_b32_e32 v110, 0
	ds_read_b128 v[114:117], v110 offset:544
	s_waitcnt lgkmcnt(0)
	v_mul_f64 v[110:111], v[3:4], v[116:117]
	v_mul_f64 v[116:117], v[1:2], v[116:117]
	v_fma_f64 v[1:2], v[1:2], v[114:115], -v[110:111]
	v_fma_f64 v[3:4], v[3:4], v[114:115], v[116:117]
	buffer_store_dword v2, off, s[0:3], 0 offset:548
	buffer_store_dword v1, off, s[0:3], 0 offset:544
	;; [unrolled: 1-line block ×4, first 2 shown]
.LBB114_671:
	s_or_b32 exec_lo, exec_lo, s4
	v_mov_b32_e32 v4, s22
	s_mov_b32 s4, exec_lo
	s_clause 0x3
	buffer_load_dword v1, v4, s[0:3], 0 offen
	buffer_load_dword v2, v4, s[0:3], 0 offen offset:4
	buffer_load_dword v3, v4, s[0:3], 0 offen offset:8
	;; [unrolled: 1-line block ×3, first 2 shown]
	s_waitcnt vmcnt(0)
	ds_write_b128 v108, v[1:4]
	s_waitcnt lgkmcnt(0)
	s_waitcnt_vscnt null, 0x0
	s_barrier
	buffer_gl0_inv
	v_cmpx_gt_u32_e32 35, v0
	s_cbranch_execz .LBB114_679
; %bb.672:
	ds_read_b128 v[1:4], v108
	v_cmp_ne_u32_e32 vcc_lo, 1, v109
	s_cbranch_vccnz .LBB114_674
; %bb.673:
	s_clause 0x3
	buffer_load_dword v110, v107, s[0:3], 0 offen offset:8
	buffer_load_dword v111, v107, s[0:3], 0 offen offset:12
	buffer_load_dword v114, v107, s[0:3], 0 offen
	buffer_load_dword v115, v107, s[0:3], 0 offen offset:4
	s_waitcnt vmcnt(2) lgkmcnt(0)
	v_mul_f64 v[116:117], v[3:4], v[110:111]
	v_mul_f64 v[110:111], v[1:2], v[110:111]
	s_waitcnt vmcnt(0)
	v_fma_f64 v[1:2], v[1:2], v[114:115], -v[116:117]
	v_fma_f64 v[3:4], v[3:4], v[114:115], v[110:111]
.LBB114_674:
	s_mov_b32 s8, exec_lo
	v_cmpx_ne_u32_e32 34, v0
	s_cbranch_execz .LBB114_678
; %bb.675:
	v_add_nc_u32_e32 v110, 0x340, v113
	v_add3_u32 v111, 0, v113, 16
	v_mov_b32_e32 v112, v0
	s_mov_b32 s58, 0
	.p2align	6
.LBB114_676:                            ; =>This Inner Loop Header: Depth=1
	s_clause 0x3
	buffer_load_dword v118, v111, s[0:3], 0 offen offset:8
	buffer_load_dword v119, v111, s[0:3], 0 offen offset:12
	buffer_load_dword v120, v111, s[0:3], 0 offen
	buffer_load_dword v121, v111, s[0:3], 0 offen offset:4
	ds_read_b128 v[114:117], v110
	v_add_nc_u32_e32 v112, 1, v112
	v_add_nc_u32_e32 v110, 16, v110
	;; [unrolled: 1-line block ×3, first 2 shown]
	v_cmp_lt_u32_e32 vcc_lo, 33, v112
	s_or_b32 s58, vcc_lo, s58
	s_waitcnt vmcnt(2) lgkmcnt(0)
	v_mul_f64 v[122:123], v[116:117], v[118:119]
	v_mul_f64 v[118:119], v[114:115], v[118:119]
	s_waitcnt vmcnt(0)
	v_fma_f64 v[114:115], v[114:115], v[120:121], -v[122:123]
	v_fma_f64 v[116:117], v[116:117], v[120:121], v[118:119]
	v_add_f64 v[1:2], v[1:2], v[114:115]
	v_add_f64 v[3:4], v[3:4], v[116:117]
	s_andn2_b32 exec_lo, exec_lo, s58
	s_cbranch_execnz .LBB114_676
; %bb.677:
	s_or_b32 exec_lo, exec_lo, s58
.LBB114_678:
	s_or_b32 exec_lo, exec_lo, s8
	v_mov_b32_e32 v110, 0
	ds_read_b128 v[114:117], v110 offset:560
	s_waitcnt lgkmcnt(0)
	v_mul_f64 v[110:111], v[3:4], v[116:117]
	v_mul_f64 v[116:117], v[1:2], v[116:117]
	v_fma_f64 v[1:2], v[1:2], v[114:115], -v[110:111]
	v_fma_f64 v[3:4], v[3:4], v[114:115], v[116:117]
	buffer_store_dword v2, off, s[0:3], 0 offset:564
	buffer_store_dword v1, off, s[0:3], 0 offset:560
	buffer_store_dword v4, off, s[0:3], 0 offset:572
	buffer_store_dword v3, off, s[0:3], 0 offset:568
.LBB114_679:
	s_or_b32 exec_lo, exec_lo, s4
	v_mov_b32_e32 v4, s21
	s_mov_b32 s4, exec_lo
	s_clause 0x3
	buffer_load_dword v1, v4, s[0:3], 0 offen
	buffer_load_dword v2, v4, s[0:3], 0 offen offset:4
	buffer_load_dword v3, v4, s[0:3], 0 offen offset:8
	;; [unrolled: 1-line block ×3, first 2 shown]
	s_waitcnt vmcnt(0)
	ds_write_b128 v108, v[1:4]
	s_waitcnt lgkmcnt(0)
	s_waitcnt_vscnt null, 0x0
	s_barrier
	buffer_gl0_inv
	v_cmpx_gt_u32_e32 36, v0
	s_cbranch_execz .LBB114_687
; %bb.680:
	ds_read_b128 v[1:4], v108
	v_cmp_ne_u32_e32 vcc_lo, 1, v109
	s_cbranch_vccnz .LBB114_682
; %bb.681:
	s_clause 0x3
	buffer_load_dword v110, v107, s[0:3], 0 offen offset:8
	buffer_load_dword v111, v107, s[0:3], 0 offen offset:12
	buffer_load_dword v114, v107, s[0:3], 0 offen
	buffer_load_dword v115, v107, s[0:3], 0 offen offset:4
	s_waitcnt vmcnt(2) lgkmcnt(0)
	v_mul_f64 v[116:117], v[3:4], v[110:111]
	v_mul_f64 v[110:111], v[1:2], v[110:111]
	s_waitcnt vmcnt(0)
	v_fma_f64 v[1:2], v[1:2], v[114:115], -v[116:117]
	v_fma_f64 v[3:4], v[3:4], v[114:115], v[110:111]
.LBB114_682:
	s_mov_b32 s8, exec_lo
	v_cmpx_ne_u32_e32 35, v0
	s_cbranch_execz .LBB114_686
; %bb.683:
	v_add_nc_u32_e32 v110, 0x340, v113
	v_add3_u32 v111, 0, v113, 16
	v_mov_b32_e32 v112, v0
	s_mov_b32 s58, 0
	.p2align	6
.LBB114_684:                            ; =>This Inner Loop Header: Depth=1
	s_clause 0x3
	buffer_load_dword v118, v111, s[0:3], 0 offen offset:8
	buffer_load_dword v119, v111, s[0:3], 0 offen offset:12
	buffer_load_dword v120, v111, s[0:3], 0 offen
	buffer_load_dword v121, v111, s[0:3], 0 offen offset:4
	ds_read_b128 v[114:117], v110
	v_add_nc_u32_e32 v112, 1, v112
	v_add_nc_u32_e32 v110, 16, v110
	;; [unrolled: 1-line block ×3, first 2 shown]
	v_cmp_lt_u32_e32 vcc_lo, 34, v112
	s_or_b32 s58, vcc_lo, s58
	s_waitcnt vmcnt(2) lgkmcnt(0)
	v_mul_f64 v[122:123], v[116:117], v[118:119]
	v_mul_f64 v[118:119], v[114:115], v[118:119]
	s_waitcnt vmcnt(0)
	v_fma_f64 v[114:115], v[114:115], v[120:121], -v[122:123]
	v_fma_f64 v[116:117], v[116:117], v[120:121], v[118:119]
	v_add_f64 v[1:2], v[1:2], v[114:115]
	v_add_f64 v[3:4], v[3:4], v[116:117]
	s_andn2_b32 exec_lo, exec_lo, s58
	s_cbranch_execnz .LBB114_684
; %bb.685:
	s_or_b32 exec_lo, exec_lo, s58
.LBB114_686:
	s_or_b32 exec_lo, exec_lo, s8
	v_mov_b32_e32 v110, 0
	ds_read_b128 v[114:117], v110 offset:576
	s_waitcnt lgkmcnt(0)
	v_mul_f64 v[110:111], v[3:4], v[116:117]
	v_mul_f64 v[116:117], v[1:2], v[116:117]
	v_fma_f64 v[1:2], v[1:2], v[114:115], -v[110:111]
	v_fma_f64 v[3:4], v[3:4], v[114:115], v[116:117]
	buffer_store_dword v2, off, s[0:3], 0 offset:580
	buffer_store_dword v1, off, s[0:3], 0 offset:576
	;; [unrolled: 1-line block ×4, first 2 shown]
.LBB114_687:
	s_or_b32 exec_lo, exec_lo, s4
	v_mov_b32_e32 v4, s20
	s_mov_b32 s4, exec_lo
	s_clause 0x3
	buffer_load_dword v1, v4, s[0:3], 0 offen
	buffer_load_dword v2, v4, s[0:3], 0 offen offset:4
	buffer_load_dword v3, v4, s[0:3], 0 offen offset:8
	;; [unrolled: 1-line block ×3, first 2 shown]
	s_waitcnt vmcnt(0)
	ds_write_b128 v108, v[1:4]
	s_waitcnt lgkmcnt(0)
	s_waitcnt_vscnt null, 0x0
	s_barrier
	buffer_gl0_inv
	v_cmpx_gt_u32_e32 37, v0
	s_cbranch_execz .LBB114_695
; %bb.688:
	ds_read_b128 v[1:4], v108
	v_cmp_ne_u32_e32 vcc_lo, 1, v109
	s_cbranch_vccnz .LBB114_690
; %bb.689:
	s_clause 0x3
	buffer_load_dword v110, v107, s[0:3], 0 offen offset:8
	buffer_load_dword v111, v107, s[0:3], 0 offen offset:12
	buffer_load_dword v114, v107, s[0:3], 0 offen
	buffer_load_dword v115, v107, s[0:3], 0 offen offset:4
	s_waitcnt vmcnt(2) lgkmcnt(0)
	v_mul_f64 v[116:117], v[3:4], v[110:111]
	v_mul_f64 v[110:111], v[1:2], v[110:111]
	s_waitcnt vmcnt(0)
	v_fma_f64 v[1:2], v[1:2], v[114:115], -v[116:117]
	v_fma_f64 v[3:4], v[3:4], v[114:115], v[110:111]
.LBB114_690:
	s_mov_b32 s8, exec_lo
	v_cmpx_ne_u32_e32 36, v0
	s_cbranch_execz .LBB114_694
; %bb.691:
	v_add_nc_u32_e32 v110, 0x340, v113
	v_add3_u32 v111, 0, v113, 16
	v_mov_b32_e32 v112, v0
	s_mov_b32 s58, 0
	.p2align	6
.LBB114_692:                            ; =>This Inner Loop Header: Depth=1
	s_clause 0x3
	buffer_load_dword v118, v111, s[0:3], 0 offen offset:8
	buffer_load_dword v119, v111, s[0:3], 0 offen offset:12
	buffer_load_dword v120, v111, s[0:3], 0 offen
	buffer_load_dword v121, v111, s[0:3], 0 offen offset:4
	ds_read_b128 v[114:117], v110
	v_add_nc_u32_e32 v112, 1, v112
	v_add_nc_u32_e32 v110, 16, v110
	;; [unrolled: 1-line block ×3, first 2 shown]
	v_cmp_lt_u32_e32 vcc_lo, 35, v112
	s_or_b32 s58, vcc_lo, s58
	s_waitcnt vmcnt(2) lgkmcnt(0)
	v_mul_f64 v[122:123], v[116:117], v[118:119]
	v_mul_f64 v[118:119], v[114:115], v[118:119]
	s_waitcnt vmcnt(0)
	v_fma_f64 v[114:115], v[114:115], v[120:121], -v[122:123]
	v_fma_f64 v[116:117], v[116:117], v[120:121], v[118:119]
	v_add_f64 v[1:2], v[1:2], v[114:115]
	v_add_f64 v[3:4], v[3:4], v[116:117]
	s_andn2_b32 exec_lo, exec_lo, s58
	s_cbranch_execnz .LBB114_692
; %bb.693:
	s_or_b32 exec_lo, exec_lo, s58
.LBB114_694:
	s_or_b32 exec_lo, exec_lo, s8
	v_mov_b32_e32 v110, 0
	ds_read_b128 v[114:117], v110 offset:592
	s_waitcnt lgkmcnt(0)
	v_mul_f64 v[110:111], v[3:4], v[116:117]
	v_mul_f64 v[116:117], v[1:2], v[116:117]
	v_fma_f64 v[1:2], v[1:2], v[114:115], -v[110:111]
	v_fma_f64 v[3:4], v[3:4], v[114:115], v[116:117]
	buffer_store_dword v2, off, s[0:3], 0 offset:596
	buffer_store_dword v1, off, s[0:3], 0 offset:592
	;; [unrolled: 1-line block ×4, first 2 shown]
.LBB114_695:
	s_or_b32 exec_lo, exec_lo, s4
	v_mov_b32_e32 v4, s19
	s_mov_b32 s4, exec_lo
	s_clause 0x3
	buffer_load_dword v1, v4, s[0:3], 0 offen
	buffer_load_dword v2, v4, s[0:3], 0 offen offset:4
	buffer_load_dword v3, v4, s[0:3], 0 offen offset:8
	;; [unrolled: 1-line block ×3, first 2 shown]
	s_waitcnt vmcnt(0)
	ds_write_b128 v108, v[1:4]
	s_waitcnt lgkmcnt(0)
	s_waitcnt_vscnt null, 0x0
	s_barrier
	buffer_gl0_inv
	v_cmpx_gt_u32_e32 38, v0
	s_cbranch_execz .LBB114_703
; %bb.696:
	ds_read_b128 v[1:4], v108
	v_cmp_ne_u32_e32 vcc_lo, 1, v109
	s_cbranch_vccnz .LBB114_698
; %bb.697:
	s_clause 0x3
	buffer_load_dword v110, v107, s[0:3], 0 offen offset:8
	buffer_load_dword v111, v107, s[0:3], 0 offen offset:12
	buffer_load_dword v114, v107, s[0:3], 0 offen
	buffer_load_dword v115, v107, s[0:3], 0 offen offset:4
	s_waitcnt vmcnt(2) lgkmcnt(0)
	v_mul_f64 v[116:117], v[3:4], v[110:111]
	v_mul_f64 v[110:111], v[1:2], v[110:111]
	s_waitcnt vmcnt(0)
	v_fma_f64 v[1:2], v[1:2], v[114:115], -v[116:117]
	v_fma_f64 v[3:4], v[3:4], v[114:115], v[110:111]
.LBB114_698:
	s_mov_b32 s8, exec_lo
	v_cmpx_ne_u32_e32 37, v0
	s_cbranch_execz .LBB114_702
; %bb.699:
	v_add_nc_u32_e32 v110, 0x340, v113
	v_add3_u32 v111, 0, v113, 16
	v_mov_b32_e32 v112, v0
	s_mov_b32 s58, 0
	.p2align	6
.LBB114_700:                            ; =>This Inner Loop Header: Depth=1
	s_clause 0x3
	buffer_load_dword v118, v111, s[0:3], 0 offen offset:8
	buffer_load_dword v119, v111, s[0:3], 0 offen offset:12
	buffer_load_dword v120, v111, s[0:3], 0 offen
	buffer_load_dword v121, v111, s[0:3], 0 offen offset:4
	ds_read_b128 v[114:117], v110
	v_add_nc_u32_e32 v112, 1, v112
	v_add_nc_u32_e32 v110, 16, v110
	;; [unrolled: 1-line block ×3, first 2 shown]
	v_cmp_lt_u32_e32 vcc_lo, 36, v112
	s_or_b32 s58, vcc_lo, s58
	s_waitcnt vmcnt(2) lgkmcnt(0)
	v_mul_f64 v[122:123], v[116:117], v[118:119]
	v_mul_f64 v[118:119], v[114:115], v[118:119]
	s_waitcnt vmcnt(0)
	v_fma_f64 v[114:115], v[114:115], v[120:121], -v[122:123]
	v_fma_f64 v[116:117], v[116:117], v[120:121], v[118:119]
	v_add_f64 v[1:2], v[1:2], v[114:115]
	v_add_f64 v[3:4], v[3:4], v[116:117]
	s_andn2_b32 exec_lo, exec_lo, s58
	s_cbranch_execnz .LBB114_700
; %bb.701:
	s_or_b32 exec_lo, exec_lo, s58
.LBB114_702:
	s_or_b32 exec_lo, exec_lo, s8
	v_mov_b32_e32 v110, 0
	ds_read_b128 v[114:117], v110 offset:608
	s_waitcnt lgkmcnt(0)
	v_mul_f64 v[110:111], v[3:4], v[116:117]
	v_mul_f64 v[116:117], v[1:2], v[116:117]
	v_fma_f64 v[1:2], v[1:2], v[114:115], -v[110:111]
	v_fma_f64 v[3:4], v[3:4], v[114:115], v[116:117]
	buffer_store_dword v2, off, s[0:3], 0 offset:612
	buffer_store_dword v1, off, s[0:3], 0 offset:608
	;; [unrolled: 1-line block ×4, first 2 shown]
.LBB114_703:
	s_or_b32 exec_lo, exec_lo, s4
	v_mov_b32_e32 v4, s18
	s_mov_b32 s4, exec_lo
	s_clause 0x3
	buffer_load_dword v1, v4, s[0:3], 0 offen
	buffer_load_dword v2, v4, s[0:3], 0 offen offset:4
	buffer_load_dword v3, v4, s[0:3], 0 offen offset:8
	;; [unrolled: 1-line block ×3, first 2 shown]
	s_waitcnt vmcnt(0)
	ds_write_b128 v108, v[1:4]
	s_waitcnt lgkmcnt(0)
	s_waitcnt_vscnt null, 0x0
	s_barrier
	buffer_gl0_inv
	v_cmpx_gt_u32_e32 39, v0
	s_cbranch_execz .LBB114_711
; %bb.704:
	ds_read_b128 v[1:4], v108
	v_cmp_ne_u32_e32 vcc_lo, 1, v109
	s_cbranch_vccnz .LBB114_706
; %bb.705:
	s_clause 0x3
	buffer_load_dword v110, v107, s[0:3], 0 offen offset:8
	buffer_load_dword v111, v107, s[0:3], 0 offen offset:12
	buffer_load_dword v114, v107, s[0:3], 0 offen
	buffer_load_dword v115, v107, s[0:3], 0 offen offset:4
	s_waitcnt vmcnt(2) lgkmcnt(0)
	v_mul_f64 v[116:117], v[3:4], v[110:111]
	v_mul_f64 v[110:111], v[1:2], v[110:111]
	s_waitcnt vmcnt(0)
	v_fma_f64 v[1:2], v[1:2], v[114:115], -v[116:117]
	v_fma_f64 v[3:4], v[3:4], v[114:115], v[110:111]
.LBB114_706:
	s_mov_b32 s8, exec_lo
	v_cmpx_ne_u32_e32 38, v0
	s_cbranch_execz .LBB114_710
; %bb.707:
	v_add_nc_u32_e32 v110, 0x340, v113
	v_add3_u32 v111, 0, v113, 16
	v_mov_b32_e32 v112, v0
	s_mov_b32 s58, 0
	.p2align	6
.LBB114_708:                            ; =>This Inner Loop Header: Depth=1
	s_clause 0x3
	buffer_load_dword v118, v111, s[0:3], 0 offen offset:8
	buffer_load_dword v119, v111, s[0:3], 0 offen offset:12
	buffer_load_dword v120, v111, s[0:3], 0 offen
	buffer_load_dword v121, v111, s[0:3], 0 offen offset:4
	ds_read_b128 v[114:117], v110
	v_add_nc_u32_e32 v112, 1, v112
	v_add_nc_u32_e32 v110, 16, v110
	;; [unrolled: 1-line block ×3, first 2 shown]
	v_cmp_lt_u32_e32 vcc_lo, 37, v112
	s_or_b32 s58, vcc_lo, s58
	s_waitcnt vmcnt(2) lgkmcnt(0)
	v_mul_f64 v[122:123], v[116:117], v[118:119]
	v_mul_f64 v[118:119], v[114:115], v[118:119]
	s_waitcnt vmcnt(0)
	v_fma_f64 v[114:115], v[114:115], v[120:121], -v[122:123]
	v_fma_f64 v[116:117], v[116:117], v[120:121], v[118:119]
	v_add_f64 v[1:2], v[1:2], v[114:115]
	v_add_f64 v[3:4], v[3:4], v[116:117]
	s_andn2_b32 exec_lo, exec_lo, s58
	s_cbranch_execnz .LBB114_708
; %bb.709:
	s_or_b32 exec_lo, exec_lo, s58
.LBB114_710:
	s_or_b32 exec_lo, exec_lo, s8
	v_mov_b32_e32 v110, 0
	ds_read_b128 v[114:117], v110 offset:624
	s_waitcnt lgkmcnt(0)
	v_mul_f64 v[110:111], v[3:4], v[116:117]
	v_mul_f64 v[116:117], v[1:2], v[116:117]
	v_fma_f64 v[1:2], v[1:2], v[114:115], -v[110:111]
	v_fma_f64 v[3:4], v[3:4], v[114:115], v[116:117]
	buffer_store_dword v2, off, s[0:3], 0 offset:628
	buffer_store_dword v1, off, s[0:3], 0 offset:624
	buffer_store_dword v4, off, s[0:3], 0 offset:636
	buffer_store_dword v3, off, s[0:3], 0 offset:632
.LBB114_711:
	s_or_b32 exec_lo, exec_lo, s4
	v_mov_b32_e32 v4, s17
	s_mov_b32 s4, exec_lo
	s_clause 0x3
	buffer_load_dword v1, v4, s[0:3], 0 offen
	buffer_load_dword v2, v4, s[0:3], 0 offen offset:4
	buffer_load_dword v3, v4, s[0:3], 0 offen offset:8
	;; [unrolled: 1-line block ×3, first 2 shown]
	s_waitcnt vmcnt(0)
	ds_write_b128 v108, v[1:4]
	s_waitcnt lgkmcnt(0)
	s_waitcnt_vscnt null, 0x0
	s_barrier
	buffer_gl0_inv
	v_cmpx_gt_u32_e32 40, v0
	s_cbranch_execz .LBB114_719
; %bb.712:
	ds_read_b128 v[1:4], v108
	v_cmp_ne_u32_e32 vcc_lo, 1, v109
	s_cbranch_vccnz .LBB114_714
; %bb.713:
	s_clause 0x3
	buffer_load_dword v110, v107, s[0:3], 0 offen offset:8
	buffer_load_dword v111, v107, s[0:3], 0 offen offset:12
	buffer_load_dword v114, v107, s[0:3], 0 offen
	buffer_load_dword v115, v107, s[0:3], 0 offen offset:4
	s_waitcnt vmcnt(2) lgkmcnt(0)
	v_mul_f64 v[116:117], v[3:4], v[110:111]
	v_mul_f64 v[110:111], v[1:2], v[110:111]
	s_waitcnt vmcnt(0)
	v_fma_f64 v[1:2], v[1:2], v[114:115], -v[116:117]
	v_fma_f64 v[3:4], v[3:4], v[114:115], v[110:111]
.LBB114_714:
	s_mov_b32 s8, exec_lo
	v_cmpx_ne_u32_e32 39, v0
	s_cbranch_execz .LBB114_718
; %bb.715:
	v_add_nc_u32_e32 v110, 0x340, v113
	v_add3_u32 v111, 0, v113, 16
	v_mov_b32_e32 v112, v0
	s_mov_b32 s58, 0
	.p2align	6
.LBB114_716:                            ; =>This Inner Loop Header: Depth=1
	s_clause 0x3
	buffer_load_dword v118, v111, s[0:3], 0 offen offset:8
	buffer_load_dword v119, v111, s[0:3], 0 offen offset:12
	buffer_load_dword v120, v111, s[0:3], 0 offen
	buffer_load_dword v121, v111, s[0:3], 0 offen offset:4
	ds_read_b128 v[114:117], v110
	v_add_nc_u32_e32 v112, 1, v112
	v_add_nc_u32_e32 v110, 16, v110
	;; [unrolled: 1-line block ×3, first 2 shown]
	v_cmp_lt_u32_e32 vcc_lo, 38, v112
	s_or_b32 s58, vcc_lo, s58
	s_waitcnt vmcnt(2) lgkmcnt(0)
	v_mul_f64 v[122:123], v[116:117], v[118:119]
	v_mul_f64 v[118:119], v[114:115], v[118:119]
	s_waitcnt vmcnt(0)
	v_fma_f64 v[114:115], v[114:115], v[120:121], -v[122:123]
	v_fma_f64 v[116:117], v[116:117], v[120:121], v[118:119]
	v_add_f64 v[1:2], v[1:2], v[114:115]
	v_add_f64 v[3:4], v[3:4], v[116:117]
	s_andn2_b32 exec_lo, exec_lo, s58
	s_cbranch_execnz .LBB114_716
; %bb.717:
	s_or_b32 exec_lo, exec_lo, s58
.LBB114_718:
	s_or_b32 exec_lo, exec_lo, s8
	v_mov_b32_e32 v110, 0
	ds_read_b128 v[114:117], v110 offset:640
	s_waitcnt lgkmcnt(0)
	v_mul_f64 v[110:111], v[3:4], v[116:117]
	v_mul_f64 v[116:117], v[1:2], v[116:117]
	v_fma_f64 v[1:2], v[1:2], v[114:115], -v[110:111]
	v_fma_f64 v[3:4], v[3:4], v[114:115], v[116:117]
	buffer_store_dword v2, off, s[0:3], 0 offset:644
	buffer_store_dword v1, off, s[0:3], 0 offset:640
	;; [unrolled: 1-line block ×4, first 2 shown]
.LBB114_719:
	s_or_b32 exec_lo, exec_lo, s4
	v_mov_b32_e32 v4, s16
	s_mov_b32 s4, exec_lo
	s_clause 0x3
	buffer_load_dword v1, v4, s[0:3], 0 offen
	buffer_load_dword v2, v4, s[0:3], 0 offen offset:4
	buffer_load_dword v3, v4, s[0:3], 0 offen offset:8
	buffer_load_dword v4, v4, s[0:3], 0 offen offset:12
	s_waitcnt vmcnt(0)
	ds_write_b128 v108, v[1:4]
	s_waitcnt lgkmcnt(0)
	s_waitcnt_vscnt null, 0x0
	s_barrier
	buffer_gl0_inv
	v_cmpx_gt_u32_e32 41, v0
	s_cbranch_execz .LBB114_727
; %bb.720:
	ds_read_b128 v[1:4], v108
	v_cmp_ne_u32_e32 vcc_lo, 1, v109
	s_cbranch_vccnz .LBB114_722
; %bb.721:
	s_clause 0x3
	buffer_load_dword v110, v107, s[0:3], 0 offen offset:8
	buffer_load_dword v111, v107, s[0:3], 0 offen offset:12
	buffer_load_dword v114, v107, s[0:3], 0 offen
	buffer_load_dword v115, v107, s[0:3], 0 offen offset:4
	s_waitcnt vmcnt(2) lgkmcnt(0)
	v_mul_f64 v[116:117], v[3:4], v[110:111]
	v_mul_f64 v[110:111], v[1:2], v[110:111]
	s_waitcnt vmcnt(0)
	v_fma_f64 v[1:2], v[1:2], v[114:115], -v[116:117]
	v_fma_f64 v[3:4], v[3:4], v[114:115], v[110:111]
.LBB114_722:
	s_mov_b32 s8, exec_lo
	v_cmpx_ne_u32_e32 40, v0
	s_cbranch_execz .LBB114_726
; %bb.723:
	v_add_nc_u32_e32 v110, 0x340, v113
	v_add3_u32 v111, 0, v113, 16
	v_mov_b32_e32 v112, v0
	s_mov_b32 s58, 0
	.p2align	6
.LBB114_724:                            ; =>This Inner Loop Header: Depth=1
	s_clause 0x3
	buffer_load_dword v118, v111, s[0:3], 0 offen offset:8
	buffer_load_dword v119, v111, s[0:3], 0 offen offset:12
	buffer_load_dword v120, v111, s[0:3], 0 offen
	buffer_load_dword v121, v111, s[0:3], 0 offen offset:4
	ds_read_b128 v[114:117], v110
	v_add_nc_u32_e32 v112, 1, v112
	v_add_nc_u32_e32 v110, 16, v110
	;; [unrolled: 1-line block ×3, first 2 shown]
	v_cmp_lt_u32_e32 vcc_lo, 39, v112
	s_or_b32 s58, vcc_lo, s58
	s_waitcnt vmcnt(2) lgkmcnt(0)
	v_mul_f64 v[122:123], v[116:117], v[118:119]
	v_mul_f64 v[118:119], v[114:115], v[118:119]
	s_waitcnt vmcnt(0)
	v_fma_f64 v[114:115], v[114:115], v[120:121], -v[122:123]
	v_fma_f64 v[116:117], v[116:117], v[120:121], v[118:119]
	v_add_f64 v[1:2], v[1:2], v[114:115]
	v_add_f64 v[3:4], v[3:4], v[116:117]
	s_andn2_b32 exec_lo, exec_lo, s58
	s_cbranch_execnz .LBB114_724
; %bb.725:
	s_or_b32 exec_lo, exec_lo, s58
.LBB114_726:
	s_or_b32 exec_lo, exec_lo, s8
	v_mov_b32_e32 v110, 0
	ds_read_b128 v[114:117], v110 offset:656
	s_waitcnt lgkmcnt(0)
	v_mul_f64 v[110:111], v[3:4], v[116:117]
	v_mul_f64 v[116:117], v[1:2], v[116:117]
	v_fma_f64 v[1:2], v[1:2], v[114:115], -v[110:111]
	v_fma_f64 v[3:4], v[3:4], v[114:115], v[116:117]
	buffer_store_dword v2, off, s[0:3], 0 offset:660
	buffer_store_dword v1, off, s[0:3], 0 offset:656
	;; [unrolled: 1-line block ×4, first 2 shown]
.LBB114_727:
	s_or_b32 exec_lo, exec_lo, s4
	v_mov_b32_e32 v4, s15
	s_mov_b32 s4, exec_lo
	s_clause 0x3
	buffer_load_dword v1, v4, s[0:3], 0 offen
	buffer_load_dword v2, v4, s[0:3], 0 offen offset:4
	buffer_load_dword v3, v4, s[0:3], 0 offen offset:8
	buffer_load_dword v4, v4, s[0:3], 0 offen offset:12
	s_waitcnt vmcnt(0)
	ds_write_b128 v108, v[1:4]
	s_waitcnt lgkmcnt(0)
	s_waitcnt_vscnt null, 0x0
	s_barrier
	buffer_gl0_inv
	v_cmpx_gt_u32_e32 42, v0
	s_cbranch_execz .LBB114_735
; %bb.728:
	ds_read_b128 v[1:4], v108
	v_cmp_ne_u32_e32 vcc_lo, 1, v109
	s_cbranch_vccnz .LBB114_730
; %bb.729:
	s_clause 0x3
	buffer_load_dword v110, v107, s[0:3], 0 offen offset:8
	buffer_load_dword v111, v107, s[0:3], 0 offen offset:12
	buffer_load_dword v114, v107, s[0:3], 0 offen
	buffer_load_dword v115, v107, s[0:3], 0 offen offset:4
	s_waitcnt vmcnt(2) lgkmcnt(0)
	v_mul_f64 v[116:117], v[3:4], v[110:111]
	v_mul_f64 v[110:111], v[1:2], v[110:111]
	s_waitcnt vmcnt(0)
	v_fma_f64 v[1:2], v[1:2], v[114:115], -v[116:117]
	v_fma_f64 v[3:4], v[3:4], v[114:115], v[110:111]
.LBB114_730:
	s_mov_b32 s8, exec_lo
	v_cmpx_ne_u32_e32 41, v0
	s_cbranch_execz .LBB114_734
; %bb.731:
	v_add_nc_u32_e32 v110, 0x340, v113
	v_add3_u32 v111, 0, v113, 16
	v_mov_b32_e32 v112, v0
	s_mov_b32 s58, 0
	.p2align	6
.LBB114_732:                            ; =>This Inner Loop Header: Depth=1
	s_clause 0x3
	buffer_load_dword v118, v111, s[0:3], 0 offen offset:8
	buffer_load_dword v119, v111, s[0:3], 0 offen offset:12
	buffer_load_dword v120, v111, s[0:3], 0 offen
	buffer_load_dword v121, v111, s[0:3], 0 offen offset:4
	ds_read_b128 v[114:117], v110
	v_add_nc_u32_e32 v112, 1, v112
	v_add_nc_u32_e32 v110, 16, v110
	;; [unrolled: 1-line block ×3, first 2 shown]
	v_cmp_lt_u32_e32 vcc_lo, 40, v112
	s_or_b32 s58, vcc_lo, s58
	s_waitcnt vmcnt(2) lgkmcnt(0)
	v_mul_f64 v[122:123], v[116:117], v[118:119]
	v_mul_f64 v[118:119], v[114:115], v[118:119]
	s_waitcnt vmcnt(0)
	v_fma_f64 v[114:115], v[114:115], v[120:121], -v[122:123]
	v_fma_f64 v[116:117], v[116:117], v[120:121], v[118:119]
	v_add_f64 v[1:2], v[1:2], v[114:115]
	v_add_f64 v[3:4], v[3:4], v[116:117]
	s_andn2_b32 exec_lo, exec_lo, s58
	s_cbranch_execnz .LBB114_732
; %bb.733:
	s_or_b32 exec_lo, exec_lo, s58
.LBB114_734:
	s_or_b32 exec_lo, exec_lo, s8
	v_mov_b32_e32 v110, 0
	ds_read_b128 v[114:117], v110 offset:672
	s_waitcnt lgkmcnt(0)
	v_mul_f64 v[110:111], v[3:4], v[116:117]
	v_mul_f64 v[116:117], v[1:2], v[116:117]
	v_fma_f64 v[1:2], v[1:2], v[114:115], -v[110:111]
	v_fma_f64 v[3:4], v[3:4], v[114:115], v[116:117]
	buffer_store_dword v2, off, s[0:3], 0 offset:676
	buffer_store_dword v1, off, s[0:3], 0 offset:672
	;; [unrolled: 1-line block ×4, first 2 shown]
.LBB114_735:
	s_or_b32 exec_lo, exec_lo, s4
	v_mov_b32_e32 v4, s14
	s_mov_b32 s4, exec_lo
	s_clause 0x3
	buffer_load_dword v1, v4, s[0:3], 0 offen
	buffer_load_dword v2, v4, s[0:3], 0 offen offset:4
	buffer_load_dword v3, v4, s[0:3], 0 offen offset:8
	;; [unrolled: 1-line block ×3, first 2 shown]
	s_waitcnt vmcnt(0)
	ds_write_b128 v108, v[1:4]
	s_waitcnt lgkmcnt(0)
	s_waitcnt_vscnt null, 0x0
	s_barrier
	buffer_gl0_inv
	v_cmpx_gt_u32_e32 43, v0
	s_cbranch_execz .LBB114_743
; %bb.736:
	ds_read_b128 v[1:4], v108
	v_cmp_ne_u32_e32 vcc_lo, 1, v109
	s_cbranch_vccnz .LBB114_738
; %bb.737:
	s_clause 0x3
	buffer_load_dword v110, v107, s[0:3], 0 offen offset:8
	buffer_load_dword v111, v107, s[0:3], 0 offen offset:12
	buffer_load_dword v114, v107, s[0:3], 0 offen
	buffer_load_dword v115, v107, s[0:3], 0 offen offset:4
	s_waitcnt vmcnt(2) lgkmcnt(0)
	v_mul_f64 v[116:117], v[3:4], v[110:111]
	v_mul_f64 v[110:111], v[1:2], v[110:111]
	s_waitcnt vmcnt(0)
	v_fma_f64 v[1:2], v[1:2], v[114:115], -v[116:117]
	v_fma_f64 v[3:4], v[3:4], v[114:115], v[110:111]
.LBB114_738:
	s_mov_b32 s8, exec_lo
	v_cmpx_ne_u32_e32 42, v0
	s_cbranch_execz .LBB114_742
; %bb.739:
	v_add_nc_u32_e32 v110, 0x340, v113
	v_add3_u32 v111, 0, v113, 16
	v_mov_b32_e32 v112, v0
	s_mov_b32 s58, 0
	.p2align	6
.LBB114_740:                            ; =>This Inner Loop Header: Depth=1
	s_clause 0x3
	buffer_load_dword v118, v111, s[0:3], 0 offen offset:8
	buffer_load_dword v119, v111, s[0:3], 0 offen offset:12
	buffer_load_dword v120, v111, s[0:3], 0 offen
	buffer_load_dword v121, v111, s[0:3], 0 offen offset:4
	ds_read_b128 v[114:117], v110
	v_add_nc_u32_e32 v112, 1, v112
	v_add_nc_u32_e32 v110, 16, v110
	;; [unrolled: 1-line block ×3, first 2 shown]
	v_cmp_lt_u32_e32 vcc_lo, 41, v112
	s_or_b32 s58, vcc_lo, s58
	s_waitcnt vmcnt(2) lgkmcnt(0)
	v_mul_f64 v[122:123], v[116:117], v[118:119]
	v_mul_f64 v[118:119], v[114:115], v[118:119]
	s_waitcnt vmcnt(0)
	v_fma_f64 v[114:115], v[114:115], v[120:121], -v[122:123]
	v_fma_f64 v[116:117], v[116:117], v[120:121], v[118:119]
	v_add_f64 v[1:2], v[1:2], v[114:115]
	v_add_f64 v[3:4], v[3:4], v[116:117]
	s_andn2_b32 exec_lo, exec_lo, s58
	s_cbranch_execnz .LBB114_740
; %bb.741:
	s_or_b32 exec_lo, exec_lo, s58
.LBB114_742:
	s_or_b32 exec_lo, exec_lo, s8
	v_mov_b32_e32 v110, 0
	ds_read_b128 v[114:117], v110 offset:688
	s_waitcnt lgkmcnt(0)
	v_mul_f64 v[110:111], v[3:4], v[116:117]
	v_mul_f64 v[116:117], v[1:2], v[116:117]
	v_fma_f64 v[1:2], v[1:2], v[114:115], -v[110:111]
	v_fma_f64 v[3:4], v[3:4], v[114:115], v[116:117]
	buffer_store_dword v2, off, s[0:3], 0 offset:692
	buffer_store_dword v1, off, s[0:3], 0 offset:688
	buffer_store_dword v4, off, s[0:3], 0 offset:700
	buffer_store_dword v3, off, s[0:3], 0 offset:696
.LBB114_743:
	s_or_b32 exec_lo, exec_lo, s4
	v_mov_b32_e32 v4, s13
	s_mov_b32 s4, exec_lo
	s_clause 0x3
	buffer_load_dword v1, v4, s[0:3], 0 offen
	buffer_load_dword v2, v4, s[0:3], 0 offen offset:4
	buffer_load_dword v3, v4, s[0:3], 0 offen offset:8
	;; [unrolled: 1-line block ×3, first 2 shown]
	s_waitcnt vmcnt(0)
	ds_write_b128 v108, v[1:4]
	s_waitcnt lgkmcnt(0)
	s_waitcnt_vscnt null, 0x0
	s_barrier
	buffer_gl0_inv
	v_cmpx_gt_u32_e32 44, v0
	s_cbranch_execz .LBB114_751
; %bb.744:
	ds_read_b128 v[1:4], v108
	v_cmp_ne_u32_e32 vcc_lo, 1, v109
	s_cbranch_vccnz .LBB114_746
; %bb.745:
	s_clause 0x3
	buffer_load_dword v110, v107, s[0:3], 0 offen offset:8
	buffer_load_dword v111, v107, s[0:3], 0 offen offset:12
	buffer_load_dword v114, v107, s[0:3], 0 offen
	buffer_load_dword v115, v107, s[0:3], 0 offen offset:4
	s_waitcnt vmcnt(2) lgkmcnt(0)
	v_mul_f64 v[116:117], v[3:4], v[110:111]
	v_mul_f64 v[110:111], v[1:2], v[110:111]
	s_waitcnt vmcnt(0)
	v_fma_f64 v[1:2], v[1:2], v[114:115], -v[116:117]
	v_fma_f64 v[3:4], v[3:4], v[114:115], v[110:111]
.LBB114_746:
	s_mov_b32 s8, exec_lo
	v_cmpx_ne_u32_e32 43, v0
	s_cbranch_execz .LBB114_750
; %bb.747:
	v_add_nc_u32_e32 v110, 0x340, v113
	v_add3_u32 v111, 0, v113, 16
	v_mov_b32_e32 v112, v0
	s_mov_b32 s58, 0
	.p2align	6
.LBB114_748:                            ; =>This Inner Loop Header: Depth=1
	s_clause 0x3
	buffer_load_dword v118, v111, s[0:3], 0 offen offset:8
	buffer_load_dword v119, v111, s[0:3], 0 offen offset:12
	buffer_load_dword v120, v111, s[0:3], 0 offen
	buffer_load_dword v121, v111, s[0:3], 0 offen offset:4
	ds_read_b128 v[114:117], v110
	v_add_nc_u32_e32 v112, 1, v112
	v_add_nc_u32_e32 v110, 16, v110
	;; [unrolled: 1-line block ×3, first 2 shown]
	v_cmp_lt_u32_e32 vcc_lo, 42, v112
	s_or_b32 s58, vcc_lo, s58
	s_waitcnt vmcnt(2) lgkmcnt(0)
	v_mul_f64 v[122:123], v[116:117], v[118:119]
	v_mul_f64 v[118:119], v[114:115], v[118:119]
	s_waitcnt vmcnt(0)
	v_fma_f64 v[114:115], v[114:115], v[120:121], -v[122:123]
	v_fma_f64 v[116:117], v[116:117], v[120:121], v[118:119]
	v_add_f64 v[1:2], v[1:2], v[114:115]
	v_add_f64 v[3:4], v[3:4], v[116:117]
	s_andn2_b32 exec_lo, exec_lo, s58
	s_cbranch_execnz .LBB114_748
; %bb.749:
	s_or_b32 exec_lo, exec_lo, s58
.LBB114_750:
	s_or_b32 exec_lo, exec_lo, s8
	v_mov_b32_e32 v110, 0
	ds_read_b128 v[114:117], v110 offset:704
	s_waitcnt lgkmcnt(0)
	v_mul_f64 v[110:111], v[3:4], v[116:117]
	v_mul_f64 v[116:117], v[1:2], v[116:117]
	v_fma_f64 v[1:2], v[1:2], v[114:115], -v[110:111]
	v_fma_f64 v[3:4], v[3:4], v[114:115], v[116:117]
	buffer_store_dword v2, off, s[0:3], 0 offset:708
	buffer_store_dword v1, off, s[0:3], 0 offset:704
	;; [unrolled: 1-line block ×4, first 2 shown]
.LBB114_751:
	s_or_b32 exec_lo, exec_lo, s4
	v_mov_b32_e32 v4, s12
	s_mov_b32 s4, exec_lo
	s_clause 0x3
	buffer_load_dword v1, v4, s[0:3], 0 offen
	buffer_load_dword v2, v4, s[0:3], 0 offen offset:4
	buffer_load_dword v3, v4, s[0:3], 0 offen offset:8
	buffer_load_dword v4, v4, s[0:3], 0 offen offset:12
	s_waitcnt vmcnt(0)
	ds_write_b128 v108, v[1:4]
	s_waitcnt lgkmcnt(0)
	s_waitcnt_vscnt null, 0x0
	s_barrier
	buffer_gl0_inv
	v_cmpx_gt_u32_e32 45, v0
	s_cbranch_execz .LBB114_759
; %bb.752:
	ds_read_b128 v[1:4], v108
	v_cmp_ne_u32_e32 vcc_lo, 1, v109
	s_cbranch_vccnz .LBB114_754
; %bb.753:
	s_clause 0x3
	buffer_load_dword v110, v107, s[0:3], 0 offen offset:8
	buffer_load_dword v111, v107, s[0:3], 0 offen offset:12
	buffer_load_dword v114, v107, s[0:3], 0 offen
	buffer_load_dword v115, v107, s[0:3], 0 offen offset:4
	s_waitcnt vmcnt(2) lgkmcnt(0)
	v_mul_f64 v[116:117], v[3:4], v[110:111]
	v_mul_f64 v[110:111], v[1:2], v[110:111]
	s_waitcnt vmcnt(0)
	v_fma_f64 v[1:2], v[1:2], v[114:115], -v[116:117]
	v_fma_f64 v[3:4], v[3:4], v[114:115], v[110:111]
.LBB114_754:
	s_mov_b32 s8, exec_lo
	v_cmpx_ne_u32_e32 44, v0
	s_cbranch_execz .LBB114_758
; %bb.755:
	v_add_nc_u32_e32 v110, 0x340, v113
	v_add3_u32 v111, 0, v113, 16
	v_mov_b32_e32 v112, v0
	s_mov_b32 s58, 0
	.p2align	6
.LBB114_756:                            ; =>This Inner Loop Header: Depth=1
	s_clause 0x3
	buffer_load_dword v118, v111, s[0:3], 0 offen offset:8
	buffer_load_dword v119, v111, s[0:3], 0 offen offset:12
	buffer_load_dword v120, v111, s[0:3], 0 offen
	buffer_load_dword v121, v111, s[0:3], 0 offen offset:4
	ds_read_b128 v[114:117], v110
	v_add_nc_u32_e32 v112, 1, v112
	v_add_nc_u32_e32 v110, 16, v110
	;; [unrolled: 1-line block ×3, first 2 shown]
	v_cmp_lt_u32_e32 vcc_lo, 43, v112
	s_or_b32 s58, vcc_lo, s58
	s_waitcnt vmcnt(2) lgkmcnt(0)
	v_mul_f64 v[122:123], v[116:117], v[118:119]
	v_mul_f64 v[118:119], v[114:115], v[118:119]
	s_waitcnt vmcnt(0)
	v_fma_f64 v[114:115], v[114:115], v[120:121], -v[122:123]
	v_fma_f64 v[116:117], v[116:117], v[120:121], v[118:119]
	v_add_f64 v[1:2], v[1:2], v[114:115]
	v_add_f64 v[3:4], v[3:4], v[116:117]
	s_andn2_b32 exec_lo, exec_lo, s58
	s_cbranch_execnz .LBB114_756
; %bb.757:
	s_or_b32 exec_lo, exec_lo, s58
.LBB114_758:
	s_or_b32 exec_lo, exec_lo, s8
	v_mov_b32_e32 v110, 0
	ds_read_b128 v[114:117], v110 offset:720
	s_waitcnt lgkmcnt(0)
	v_mul_f64 v[110:111], v[3:4], v[116:117]
	v_mul_f64 v[116:117], v[1:2], v[116:117]
	v_fma_f64 v[1:2], v[1:2], v[114:115], -v[110:111]
	v_fma_f64 v[3:4], v[3:4], v[114:115], v[116:117]
	buffer_store_dword v2, off, s[0:3], 0 offset:724
	buffer_store_dword v1, off, s[0:3], 0 offset:720
	;; [unrolled: 1-line block ×4, first 2 shown]
.LBB114_759:
	s_or_b32 exec_lo, exec_lo, s4
	v_mov_b32_e32 v4, s11
	s_mov_b32 s4, exec_lo
	s_clause 0x3
	buffer_load_dword v1, v4, s[0:3], 0 offen
	buffer_load_dword v2, v4, s[0:3], 0 offen offset:4
	buffer_load_dword v3, v4, s[0:3], 0 offen offset:8
	;; [unrolled: 1-line block ×3, first 2 shown]
	s_waitcnt vmcnt(0)
	ds_write_b128 v108, v[1:4]
	s_waitcnt lgkmcnt(0)
	s_waitcnt_vscnt null, 0x0
	s_barrier
	buffer_gl0_inv
	v_cmpx_gt_u32_e32 46, v0
	s_cbranch_execz .LBB114_767
; %bb.760:
	ds_read_b128 v[1:4], v108
	v_cmp_ne_u32_e32 vcc_lo, 1, v109
	s_cbranch_vccnz .LBB114_762
; %bb.761:
	s_clause 0x3
	buffer_load_dword v110, v107, s[0:3], 0 offen offset:8
	buffer_load_dword v111, v107, s[0:3], 0 offen offset:12
	buffer_load_dword v114, v107, s[0:3], 0 offen
	buffer_load_dword v115, v107, s[0:3], 0 offen offset:4
	s_waitcnt vmcnt(2) lgkmcnt(0)
	v_mul_f64 v[116:117], v[3:4], v[110:111]
	v_mul_f64 v[110:111], v[1:2], v[110:111]
	s_waitcnt vmcnt(0)
	v_fma_f64 v[1:2], v[1:2], v[114:115], -v[116:117]
	v_fma_f64 v[3:4], v[3:4], v[114:115], v[110:111]
.LBB114_762:
	s_mov_b32 s8, exec_lo
	v_cmpx_ne_u32_e32 45, v0
	s_cbranch_execz .LBB114_766
; %bb.763:
	v_add_nc_u32_e32 v110, 0x340, v113
	v_add3_u32 v111, 0, v113, 16
	v_mov_b32_e32 v112, v0
	s_mov_b32 s58, 0
	.p2align	6
.LBB114_764:                            ; =>This Inner Loop Header: Depth=1
	s_clause 0x3
	buffer_load_dword v118, v111, s[0:3], 0 offen offset:8
	buffer_load_dword v119, v111, s[0:3], 0 offen offset:12
	buffer_load_dword v120, v111, s[0:3], 0 offen
	buffer_load_dword v121, v111, s[0:3], 0 offen offset:4
	ds_read_b128 v[114:117], v110
	v_add_nc_u32_e32 v112, 1, v112
	v_add_nc_u32_e32 v110, 16, v110
	v_add_nc_u32_e32 v111, 16, v111
	v_cmp_lt_u32_e32 vcc_lo, 44, v112
	s_or_b32 s58, vcc_lo, s58
	s_waitcnt vmcnt(2) lgkmcnt(0)
	v_mul_f64 v[122:123], v[116:117], v[118:119]
	v_mul_f64 v[118:119], v[114:115], v[118:119]
	s_waitcnt vmcnt(0)
	v_fma_f64 v[114:115], v[114:115], v[120:121], -v[122:123]
	v_fma_f64 v[116:117], v[116:117], v[120:121], v[118:119]
	v_add_f64 v[1:2], v[1:2], v[114:115]
	v_add_f64 v[3:4], v[3:4], v[116:117]
	s_andn2_b32 exec_lo, exec_lo, s58
	s_cbranch_execnz .LBB114_764
; %bb.765:
	s_or_b32 exec_lo, exec_lo, s58
.LBB114_766:
	s_or_b32 exec_lo, exec_lo, s8
	v_mov_b32_e32 v110, 0
	ds_read_b128 v[114:117], v110 offset:736
	s_waitcnt lgkmcnt(0)
	v_mul_f64 v[110:111], v[3:4], v[116:117]
	v_mul_f64 v[116:117], v[1:2], v[116:117]
	v_fma_f64 v[1:2], v[1:2], v[114:115], -v[110:111]
	v_fma_f64 v[3:4], v[3:4], v[114:115], v[116:117]
	buffer_store_dword v2, off, s[0:3], 0 offset:740
	buffer_store_dword v1, off, s[0:3], 0 offset:736
	buffer_store_dword v4, off, s[0:3], 0 offset:748
	buffer_store_dword v3, off, s[0:3], 0 offset:744
.LBB114_767:
	s_or_b32 exec_lo, exec_lo, s4
	v_mov_b32_e32 v4, s10
	s_mov_b32 s4, exec_lo
	s_clause 0x3
	buffer_load_dword v1, v4, s[0:3], 0 offen
	buffer_load_dword v2, v4, s[0:3], 0 offen offset:4
	buffer_load_dword v3, v4, s[0:3], 0 offen offset:8
	;; [unrolled: 1-line block ×3, first 2 shown]
	s_waitcnt vmcnt(0)
	ds_write_b128 v108, v[1:4]
	s_waitcnt lgkmcnt(0)
	s_waitcnt_vscnt null, 0x0
	s_barrier
	buffer_gl0_inv
	v_cmpx_gt_u32_e32 47, v0
	s_cbranch_execz .LBB114_775
; %bb.768:
	ds_read_b128 v[1:4], v108
	v_cmp_ne_u32_e32 vcc_lo, 1, v109
	s_cbranch_vccnz .LBB114_770
; %bb.769:
	s_clause 0x3
	buffer_load_dword v110, v107, s[0:3], 0 offen offset:8
	buffer_load_dword v111, v107, s[0:3], 0 offen offset:12
	buffer_load_dword v114, v107, s[0:3], 0 offen
	buffer_load_dword v115, v107, s[0:3], 0 offen offset:4
	s_waitcnt vmcnt(2) lgkmcnt(0)
	v_mul_f64 v[116:117], v[3:4], v[110:111]
	v_mul_f64 v[110:111], v[1:2], v[110:111]
	s_waitcnt vmcnt(0)
	v_fma_f64 v[1:2], v[1:2], v[114:115], -v[116:117]
	v_fma_f64 v[3:4], v[3:4], v[114:115], v[110:111]
.LBB114_770:
	s_mov_b32 s8, exec_lo
	v_cmpx_ne_u32_e32 46, v0
	s_cbranch_execz .LBB114_774
; %bb.771:
	v_add_nc_u32_e32 v110, 0x340, v113
	v_add3_u32 v111, 0, v113, 16
	v_mov_b32_e32 v112, v0
	s_mov_b32 s58, 0
	.p2align	6
.LBB114_772:                            ; =>This Inner Loop Header: Depth=1
	s_clause 0x3
	buffer_load_dword v118, v111, s[0:3], 0 offen offset:8
	buffer_load_dword v119, v111, s[0:3], 0 offen offset:12
	buffer_load_dword v120, v111, s[0:3], 0 offen
	buffer_load_dword v121, v111, s[0:3], 0 offen offset:4
	ds_read_b128 v[114:117], v110
	v_add_nc_u32_e32 v112, 1, v112
	v_add_nc_u32_e32 v110, 16, v110
	v_add_nc_u32_e32 v111, 16, v111
	v_cmp_lt_u32_e32 vcc_lo, 45, v112
	s_or_b32 s58, vcc_lo, s58
	s_waitcnt vmcnt(2) lgkmcnt(0)
	v_mul_f64 v[122:123], v[116:117], v[118:119]
	v_mul_f64 v[118:119], v[114:115], v[118:119]
	s_waitcnt vmcnt(0)
	v_fma_f64 v[114:115], v[114:115], v[120:121], -v[122:123]
	v_fma_f64 v[116:117], v[116:117], v[120:121], v[118:119]
	v_add_f64 v[1:2], v[1:2], v[114:115]
	v_add_f64 v[3:4], v[3:4], v[116:117]
	s_andn2_b32 exec_lo, exec_lo, s58
	s_cbranch_execnz .LBB114_772
; %bb.773:
	s_or_b32 exec_lo, exec_lo, s58
.LBB114_774:
	s_or_b32 exec_lo, exec_lo, s8
	v_mov_b32_e32 v110, 0
	ds_read_b128 v[114:117], v110 offset:752
	s_waitcnt lgkmcnt(0)
	v_mul_f64 v[110:111], v[3:4], v[116:117]
	v_mul_f64 v[116:117], v[1:2], v[116:117]
	v_fma_f64 v[1:2], v[1:2], v[114:115], -v[110:111]
	v_fma_f64 v[3:4], v[3:4], v[114:115], v[116:117]
	buffer_store_dword v2, off, s[0:3], 0 offset:756
	buffer_store_dword v1, off, s[0:3], 0 offset:752
	;; [unrolled: 1-line block ×4, first 2 shown]
.LBB114_775:
	s_or_b32 exec_lo, exec_lo, s4
	v_mov_b32_e32 v4, s9
	s_mov_b32 s4, exec_lo
	s_clause 0x3
	buffer_load_dword v1, v4, s[0:3], 0 offen
	buffer_load_dword v2, v4, s[0:3], 0 offen offset:4
	buffer_load_dword v3, v4, s[0:3], 0 offen offset:8
	buffer_load_dword v4, v4, s[0:3], 0 offen offset:12
	s_waitcnt vmcnt(0)
	ds_write_b128 v108, v[1:4]
	s_waitcnt lgkmcnt(0)
	s_waitcnt_vscnt null, 0x0
	s_barrier
	buffer_gl0_inv
	v_cmpx_gt_u32_e32 48, v0
	s_cbranch_execz .LBB114_783
; %bb.776:
	ds_read_b128 v[1:4], v108
	v_cmp_ne_u32_e32 vcc_lo, 1, v109
	s_cbranch_vccnz .LBB114_778
; %bb.777:
	s_clause 0x3
	buffer_load_dword v110, v107, s[0:3], 0 offen offset:8
	buffer_load_dword v111, v107, s[0:3], 0 offen offset:12
	buffer_load_dword v114, v107, s[0:3], 0 offen
	buffer_load_dword v115, v107, s[0:3], 0 offen offset:4
	s_waitcnt vmcnt(2) lgkmcnt(0)
	v_mul_f64 v[116:117], v[3:4], v[110:111]
	v_mul_f64 v[110:111], v[1:2], v[110:111]
	s_waitcnt vmcnt(0)
	v_fma_f64 v[1:2], v[1:2], v[114:115], -v[116:117]
	v_fma_f64 v[3:4], v[3:4], v[114:115], v[110:111]
.LBB114_778:
	s_mov_b32 s8, exec_lo
	v_cmpx_ne_u32_e32 47, v0
	s_cbranch_execz .LBB114_782
; %bb.779:
	v_add_nc_u32_e32 v110, 0x340, v113
	v_add3_u32 v111, 0, v113, 16
	v_mov_b32_e32 v112, v0
	s_mov_b32 s58, 0
	.p2align	6
.LBB114_780:                            ; =>This Inner Loop Header: Depth=1
	s_clause 0x3
	buffer_load_dword v118, v111, s[0:3], 0 offen offset:8
	buffer_load_dword v119, v111, s[0:3], 0 offen offset:12
	buffer_load_dword v120, v111, s[0:3], 0 offen
	buffer_load_dword v121, v111, s[0:3], 0 offen offset:4
	ds_read_b128 v[114:117], v110
	v_add_nc_u32_e32 v112, 1, v112
	v_add_nc_u32_e32 v110, 16, v110
	;; [unrolled: 1-line block ×3, first 2 shown]
	v_cmp_lt_u32_e32 vcc_lo, 46, v112
	s_or_b32 s58, vcc_lo, s58
	s_waitcnt vmcnt(2) lgkmcnt(0)
	v_mul_f64 v[122:123], v[116:117], v[118:119]
	v_mul_f64 v[118:119], v[114:115], v[118:119]
	s_waitcnt vmcnt(0)
	v_fma_f64 v[114:115], v[114:115], v[120:121], -v[122:123]
	v_fma_f64 v[116:117], v[116:117], v[120:121], v[118:119]
	v_add_f64 v[1:2], v[1:2], v[114:115]
	v_add_f64 v[3:4], v[3:4], v[116:117]
	s_andn2_b32 exec_lo, exec_lo, s58
	s_cbranch_execnz .LBB114_780
; %bb.781:
	s_or_b32 exec_lo, exec_lo, s58
.LBB114_782:
	s_or_b32 exec_lo, exec_lo, s8
	v_mov_b32_e32 v110, 0
	ds_read_b128 v[114:117], v110 offset:768
	s_waitcnt lgkmcnt(0)
	v_mul_f64 v[110:111], v[3:4], v[116:117]
	v_mul_f64 v[116:117], v[1:2], v[116:117]
	v_fma_f64 v[1:2], v[1:2], v[114:115], -v[110:111]
	v_fma_f64 v[3:4], v[3:4], v[114:115], v[116:117]
	buffer_store_dword v2, off, s[0:3], 0 offset:772
	buffer_store_dword v1, off, s[0:3], 0 offset:768
	;; [unrolled: 1-line block ×4, first 2 shown]
.LBB114_783:
	s_or_b32 exec_lo, exec_lo, s4
	v_mov_b32_e32 v4, s7
	v_cmp_gt_u32_e64 s4, 49, v0
	s_clause 0x3
	buffer_load_dword v1, v4, s[0:3], 0 offen
	buffer_load_dword v2, v4, s[0:3], 0 offen offset:4
	buffer_load_dword v3, v4, s[0:3], 0 offen offset:8
	;; [unrolled: 1-line block ×3, first 2 shown]
	s_waitcnt vmcnt(0)
	ds_write_b128 v108, v[1:4]
	s_waitcnt lgkmcnt(0)
	s_waitcnt_vscnt null, 0x0
	s_barrier
	buffer_gl0_inv
	s_and_saveexec_b32 s8, s4
	s_cbranch_execz .LBB114_791
; %bb.784:
	ds_read_b128 v[1:4], v108
	v_cmp_ne_u32_e32 vcc_lo, 1, v109
	s_cbranch_vccnz .LBB114_786
; %bb.785:
	s_clause 0x3
	buffer_load_dword v110, v107, s[0:3], 0 offen offset:8
	buffer_load_dword v111, v107, s[0:3], 0 offen offset:12
	buffer_load_dword v114, v107, s[0:3], 0 offen
	buffer_load_dword v115, v107, s[0:3], 0 offen offset:4
	s_waitcnt vmcnt(2) lgkmcnt(0)
	v_mul_f64 v[116:117], v[3:4], v[110:111]
	v_mul_f64 v[110:111], v[1:2], v[110:111]
	s_waitcnt vmcnt(0)
	v_fma_f64 v[1:2], v[1:2], v[114:115], -v[116:117]
	v_fma_f64 v[3:4], v[3:4], v[114:115], v[110:111]
.LBB114_786:
	s_mov_b32 s58, exec_lo
	v_cmpx_ne_u32_e32 48, v0
	s_cbranch_execz .LBB114_790
; %bb.787:
	v_add_nc_u32_e32 v110, 0x340, v113
	v_add3_u32 v111, 0, v113, 16
	v_mov_b32_e32 v112, v0
	s_mov_b32 s59, 0
	.p2align	6
.LBB114_788:                            ; =>This Inner Loop Header: Depth=1
	s_clause 0x3
	buffer_load_dword v118, v111, s[0:3], 0 offen offset:8
	buffer_load_dword v119, v111, s[0:3], 0 offen offset:12
	buffer_load_dword v120, v111, s[0:3], 0 offen
	buffer_load_dword v121, v111, s[0:3], 0 offen offset:4
	ds_read_b128 v[114:117], v110
	v_add_nc_u32_e32 v112, 1, v112
	v_add_nc_u32_e32 v110, 16, v110
	;; [unrolled: 1-line block ×3, first 2 shown]
	v_cmp_lt_u32_e32 vcc_lo, 47, v112
	s_or_b32 s59, vcc_lo, s59
	s_waitcnt vmcnt(2) lgkmcnt(0)
	v_mul_f64 v[122:123], v[116:117], v[118:119]
	v_mul_f64 v[118:119], v[114:115], v[118:119]
	s_waitcnt vmcnt(0)
	v_fma_f64 v[114:115], v[114:115], v[120:121], -v[122:123]
	v_fma_f64 v[116:117], v[116:117], v[120:121], v[118:119]
	v_add_f64 v[1:2], v[1:2], v[114:115]
	v_add_f64 v[3:4], v[3:4], v[116:117]
	s_andn2_b32 exec_lo, exec_lo, s59
	s_cbranch_execnz .LBB114_788
; %bb.789:
	s_or_b32 exec_lo, exec_lo, s59
.LBB114_790:
	s_or_b32 exec_lo, exec_lo, s58
	v_mov_b32_e32 v110, 0
	ds_read_b128 v[114:117], v110 offset:784
	s_waitcnt lgkmcnt(0)
	v_mul_f64 v[110:111], v[3:4], v[116:117]
	v_mul_f64 v[116:117], v[1:2], v[116:117]
	v_fma_f64 v[1:2], v[1:2], v[114:115], -v[110:111]
	v_fma_f64 v[3:4], v[3:4], v[114:115], v[116:117]
	buffer_store_dword v2, off, s[0:3], 0 offset:788
	buffer_store_dword v1, off, s[0:3], 0 offset:784
	;; [unrolled: 1-line block ×4, first 2 shown]
.LBB114_791:
	s_or_b32 exec_lo, exec_lo, s8
	v_mov_b32_e32 v4, s6
	s_mov_b32 s8, exec_lo
                                        ; implicit-def: $sgpr60
	s_clause 0x3
	buffer_load_dword v1, v4, s[0:3], 0 offen
	buffer_load_dword v2, v4, s[0:3], 0 offen offset:4
	buffer_load_dword v3, v4, s[0:3], 0 offen offset:8
	;; [unrolled: 1-line block ×3, first 2 shown]
	s_waitcnt vmcnt(0)
	ds_write_b128 v108, v[1:4]
	s_waitcnt lgkmcnt(0)
	s_waitcnt_vscnt null, 0x0
	s_barrier
	buffer_gl0_inv
                                        ; implicit-def: $vgpr1_vgpr2
	v_cmpx_ne_u32_e32 50, v0
	s_cbranch_execz .LBB114_799
; %bb.792:
	ds_read_b128 v[1:4], v108
	v_cmp_ne_u32_e32 vcc_lo, 1, v109
	s_cbranch_vccnz .LBB114_794
; %bb.793:
	s_clause 0x3
	buffer_load_dword v108, v107, s[0:3], 0 offen offset:8
	buffer_load_dword v109, v107, s[0:3], 0 offen offset:12
	buffer_load_dword v110, v107, s[0:3], 0 offen
	buffer_load_dword v111, v107, s[0:3], 0 offen offset:4
	s_waitcnt vmcnt(2) lgkmcnt(0)
	v_mul_f64 v[114:115], v[3:4], v[108:109]
	v_mul_f64 v[107:108], v[1:2], v[108:109]
	s_waitcnt vmcnt(0)
	v_fma_f64 v[1:2], v[1:2], v[110:111], -v[114:115]
	v_fma_f64 v[3:4], v[3:4], v[110:111], v[107:108]
.LBB114_794:
	s_and_saveexec_b32 s58, s4
	s_cbranch_execz .LBB114_798
; %bb.795:
	v_add_nc_u32_e32 v107, 0x340, v113
	v_add3_u32 v108, 0, v113, 16
	s_mov_b32 s4, 0
	.p2align	6
.LBB114_796:                            ; =>This Inner Loop Header: Depth=1
	s_clause 0x3
	buffer_load_dword v113, v108, s[0:3], 0 offen offset:8
	buffer_load_dword v114, v108, s[0:3], 0 offen offset:12
	buffer_load_dword v115, v108, s[0:3], 0 offen
	buffer_load_dword v116, v108, s[0:3], 0 offen offset:4
	ds_read_b128 v[109:112], v107
	v_add_nc_u32_e32 v0, 1, v0
	v_add_nc_u32_e32 v107, 16, v107
	;; [unrolled: 1-line block ×3, first 2 shown]
	v_cmp_lt_u32_e32 vcc_lo, 48, v0
	s_or_b32 s4, vcc_lo, s4
	s_waitcnt vmcnt(2) lgkmcnt(0)
	v_mul_f64 v[117:118], v[111:112], v[113:114]
	v_mul_f64 v[113:114], v[109:110], v[113:114]
	s_waitcnt vmcnt(0)
	v_fma_f64 v[109:110], v[109:110], v[115:116], -v[117:118]
	v_fma_f64 v[111:112], v[111:112], v[115:116], v[113:114]
	v_add_f64 v[1:2], v[1:2], v[109:110]
	v_add_f64 v[3:4], v[3:4], v[111:112]
	s_andn2_b32 exec_lo, exec_lo, s4
	s_cbranch_execnz .LBB114_796
; %bb.797:
	s_or_b32 exec_lo, exec_lo, s4
.LBB114_798:
	s_or_b32 exec_lo, exec_lo, s58
	v_mov_b32_e32 v0, 0
	s_movk_i32 s60, 0x328
	s_or_b32 s5, s5, exec_lo
	ds_read_b128 v[107:110], v0 offset:800
	s_waitcnt lgkmcnt(0)
	v_mul_f64 v[111:112], v[3:4], v[109:110]
	v_mul_f64 v[109:110], v[1:2], v[109:110]
	v_fma_f64 v[111:112], v[1:2], v[107:108], -v[111:112]
	v_fma_f64 v[1:2], v[3:4], v[107:108], v[109:110]
	buffer_store_dword v112, off, s[0:3], 0 offset:804
	buffer_store_dword v111, off, s[0:3], 0 offset:800
.LBB114_799:
	s_or_b32 exec_lo, exec_lo, s8
.LBB114_800:
	s_and_saveexec_b32 s4, s5
	s_cbranch_execz .LBB114_802
; %bb.801:
	v_mov_b32_e32 v0, s60
	buffer_store_dword v2, v0, s[0:3], 0 offen offset:4
	buffer_store_dword v1, v0, s[0:3], 0 offen
.LBB114_802:
	s_or_b32 exec_lo, exec_lo, s4
	s_clause 0x3
	buffer_load_dword v0, off, s[0:3], 0
	buffer_load_dword v1, off, s[0:3], 0 offset:4
	buffer_load_dword v2, off, s[0:3], 0 offset:8
	;; [unrolled: 1-line block ×3, first 2 shown]
	v_mov_b32_e32 v4, s57
	s_waitcnt vmcnt(0)
	flat_store_dwordx4 v[5:6], v[0:3]
	s_clause 0x3
	buffer_load_dword v0, v4, s[0:3], 0 offen
	buffer_load_dword v1, v4, s[0:3], 0 offen offset:4
	buffer_load_dword v2, v4, s[0:3], 0 offen offset:8
	buffer_load_dword v3, v4, s[0:3], 0 offen offset:12
	v_mov_b32_e32 v4, s56
	s_waitcnt vmcnt(0)
	flat_store_dwordx4 v[59:60], v[0:3]
	s_clause 0x3
	buffer_load_dword v0, v4, s[0:3], 0 offen
	buffer_load_dword v1, v4, s[0:3], 0 offen offset:4
	buffer_load_dword v2, v4, s[0:3], 0 offen offset:8
	buffer_load_dword v3, v4, s[0:3], 0 offen offset:12
	;; [unrolled: 8-line block ×50, first 2 shown]
	s_waitcnt vmcnt(0)
	flat_store_dwordx4 v[105:106], v[0:3]
.LBB114_803:
	s_endpgm
	.section	.rodata,"a",@progbits
	.p2align	6, 0x0
	.amdhsa_kernel _ZN9rocsolver6v33100L18trti2_kernel_smallILi51E19rocblas_complex_numIdEPKPS3_EEv13rocblas_fill_17rocblas_diagonal_T1_iil
		.amdhsa_group_segment_fixed_size 1632
		.amdhsa_private_segment_fixed_size 832
		.amdhsa_kernarg_size 32
		.amdhsa_user_sgpr_count 6
		.amdhsa_user_sgpr_private_segment_buffer 1
		.amdhsa_user_sgpr_dispatch_ptr 0
		.amdhsa_user_sgpr_queue_ptr 0
		.amdhsa_user_sgpr_kernarg_segment_ptr 1
		.amdhsa_user_sgpr_dispatch_id 0
		.amdhsa_user_sgpr_flat_scratch_init 0
		.amdhsa_user_sgpr_private_segment_size 0
		.amdhsa_wavefront_size32 1
		.amdhsa_uses_dynamic_stack 0
		.amdhsa_system_sgpr_private_segment_wavefront_offset 1
		.amdhsa_system_sgpr_workgroup_id_x 1
		.amdhsa_system_sgpr_workgroup_id_y 0
		.amdhsa_system_sgpr_workgroup_id_z 0
		.amdhsa_system_sgpr_workgroup_info 0
		.amdhsa_system_vgpr_workitem_id 0
		.amdhsa_next_free_vgpr 124
		.amdhsa_next_free_sgpr 81
		.amdhsa_reserve_vcc 1
		.amdhsa_reserve_flat_scratch 0
		.amdhsa_float_round_mode_32 0
		.amdhsa_float_round_mode_16_64 0
		.amdhsa_float_denorm_mode_32 3
		.amdhsa_float_denorm_mode_16_64 3
		.amdhsa_dx10_clamp 1
		.amdhsa_ieee_mode 1
		.amdhsa_fp16_overflow 0
		.amdhsa_workgroup_processor_mode 1
		.amdhsa_memory_ordered 1
		.amdhsa_forward_progress 1
		.amdhsa_shared_vgpr_count 0
		.amdhsa_exception_fp_ieee_invalid_op 0
		.amdhsa_exception_fp_denorm_src 0
		.amdhsa_exception_fp_ieee_div_zero 0
		.amdhsa_exception_fp_ieee_overflow 0
		.amdhsa_exception_fp_ieee_underflow 0
		.amdhsa_exception_fp_ieee_inexact 0
		.amdhsa_exception_int_div_zero 0
	.end_amdhsa_kernel
	.section	.text._ZN9rocsolver6v33100L18trti2_kernel_smallILi51E19rocblas_complex_numIdEPKPS3_EEv13rocblas_fill_17rocblas_diagonal_T1_iil,"axG",@progbits,_ZN9rocsolver6v33100L18trti2_kernel_smallILi51E19rocblas_complex_numIdEPKPS3_EEv13rocblas_fill_17rocblas_diagonal_T1_iil,comdat
.Lfunc_end114:
	.size	_ZN9rocsolver6v33100L18trti2_kernel_smallILi51E19rocblas_complex_numIdEPKPS3_EEv13rocblas_fill_17rocblas_diagonal_T1_iil, .Lfunc_end114-_ZN9rocsolver6v33100L18trti2_kernel_smallILi51E19rocblas_complex_numIdEPKPS3_EEv13rocblas_fill_17rocblas_diagonal_T1_iil
                                        ; -- End function
	.set _ZN9rocsolver6v33100L18trti2_kernel_smallILi51E19rocblas_complex_numIdEPKPS3_EEv13rocblas_fill_17rocblas_diagonal_T1_iil.num_vgpr, 124
	.set _ZN9rocsolver6v33100L18trti2_kernel_smallILi51E19rocblas_complex_numIdEPKPS3_EEv13rocblas_fill_17rocblas_diagonal_T1_iil.num_agpr, 0
	.set _ZN9rocsolver6v33100L18trti2_kernel_smallILi51E19rocblas_complex_numIdEPKPS3_EEv13rocblas_fill_17rocblas_diagonal_T1_iil.numbered_sgpr, 81
	.set _ZN9rocsolver6v33100L18trti2_kernel_smallILi51E19rocblas_complex_numIdEPKPS3_EEv13rocblas_fill_17rocblas_diagonal_T1_iil.num_named_barrier, 0
	.set _ZN9rocsolver6v33100L18trti2_kernel_smallILi51E19rocblas_complex_numIdEPKPS3_EEv13rocblas_fill_17rocblas_diagonal_T1_iil.private_seg_size, 832
	.set _ZN9rocsolver6v33100L18trti2_kernel_smallILi51E19rocblas_complex_numIdEPKPS3_EEv13rocblas_fill_17rocblas_diagonal_T1_iil.uses_vcc, 1
	.set _ZN9rocsolver6v33100L18trti2_kernel_smallILi51E19rocblas_complex_numIdEPKPS3_EEv13rocblas_fill_17rocblas_diagonal_T1_iil.uses_flat_scratch, 0
	.set _ZN9rocsolver6v33100L18trti2_kernel_smallILi51E19rocblas_complex_numIdEPKPS3_EEv13rocblas_fill_17rocblas_diagonal_T1_iil.has_dyn_sized_stack, 0
	.set _ZN9rocsolver6v33100L18trti2_kernel_smallILi51E19rocblas_complex_numIdEPKPS3_EEv13rocblas_fill_17rocblas_diagonal_T1_iil.has_recursion, 0
	.set _ZN9rocsolver6v33100L18trti2_kernel_smallILi51E19rocblas_complex_numIdEPKPS3_EEv13rocblas_fill_17rocblas_diagonal_T1_iil.has_indirect_call, 0
	.section	.AMDGPU.csdata,"",@progbits
; Kernel info:
; codeLenInByte = 51984
; TotalNumSgprs: 83
; NumVgprs: 124
; ScratchSize: 832
; MemoryBound: 0
; FloatMode: 240
; IeeeMode: 1
; LDSByteSize: 1632 bytes/workgroup (compile time only)
; SGPRBlocks: 0
; VGPRBlocks: 15
; NumSGPRsForWavesPerEU: 83
; NumVGPRsForWavesPerEU: 124
; Occupancy: 8
; WaveLimiterHint : 1
; COMPUTE_PGM_RSRC2:SCRATCH_EN: 1
; COMPUTE_PGM_RSRC2:USER_SGPR: 6
; COMPUTE_PGM_RSRC2:TRAP_HANDLER: 0
; COMPUTE_PGM_RSRC2:TGID_X_EN: 1
; COMPUTE_PGM_RSRC2:TGID_Y_EN: 0
; COMPUTE_PGM_RSRC2:TGID_Z_EN: 0
; COMPUTE_PGM_RSRC2:TIDIG_COMP_CNT: 0
	.section	.text._ZN9rocsolver6v33100L18trti2_kernel_smallILi52E19rocblas_complex_numIdEPKPS3_EEv13rocblas_fill_17rocblas_diagonal_T1_iil,"axG",@progbits,_ZN9rocsolver6v33100L18trti2_kernel_smallILi52E19rocblas_complex_numIdEPKPS3_EEv13rocblas_fill_17rocblas_diagonal_T1_iil,comdat
	.globl	_ZN9rocsolver6v33100L18trti2_kernel_smallILi52E19rocblas_complex_numIdEPKPS3_EEv13rocblas_fill_17rocblas_diagonal_T1_iil ; -- Begin function _ZN9rocsolver6v33100L18trti2_kernel_smallILi52E19rocblas_complex_numIdEPKPS3_EEv13rocblas_fill_17rocblas_diagonal_T1_iil
	.p2align	8
	.type	_ZN9rocsolver6v33100L18trti2_kernel_smallILi52E19rocblas_complex_numIdEPKPS3_EEv13rocblas_fill_17rocblas_diagonal_T1_iil,@function
_ZN9rocsolver6v33100L18trti2_kernel_smallILi52E19rocblas_complex_numIdEPKPS3_EEv13rocblas_fill_17rocblas_diagonal_T1_iil: ; @_ZN9rocsolver6v33100L18trti2_kernel_smallILi52E19rocblas_complex_numIdEPKPS3_EEv13rocblas_fill_17rocblas_diagonal_T1_iil
; %bb.0:
	s_add_u32 s0, s0, s7
	s_addc_u32 s1, s1, 0
	s_mov_b32 s7, exec_lo
	v_cmpx_gt_u32_e32 52, v0
	s_cbranch_execz .LBB115_819
; %bb.1:
	s_clause 0x1
	s_load_dwordx2 s[12:13], s[4:5], 0x10
	s_load_dwordx4 s[8:11], s[4:5], 0x0
	s_ashr_i32 s7, s6, 31
	v_lshlrev_b32_e32 v115, 4, v0
	s_lshl_b64 s[4:5], s[6:7], 3
	s_movk_i32 s14, 0xd0
	s_movk_i32 s15, 0xe0
	;; [unrolled: 1-line block ×15, first 2 shown]
	s_waitcnt lgkmcnt(0)
	s_ashr_i32 s7, s12, 31
	s_add_u32 s4, s10, s4
	s_addc_u32 s5, s11, s5
	s_mov_b32 s6, s12
	s_load_dwordx2 s[4:5], s[4:5], 0x0
	s_lshl_b64 s[6:7], s[6:7], 4
	v_add3_u32 v7, s13, s13, v0
	s_movk_i32 s10, 0x90
	s_movk_i32 s11, 0xa0
	;; [unrolled: 1-line block ×4, first 2 shown]
	v_ashrrev_i32_e32 v8, 31, v7
	s_movk_i32 s30, 0x1d0
	s_movk_i32 s61, 0x1e0
	;; [unrolled: 1-line block ×4, first 2 shown]
	v_lshlrev_b64 v[8:9], 4, v[7:8]
	v_add_nc_u32_e32 v7, s13, v7
	s_movk_i32 s64, 0x210
	s_movk_i32 s65, 0x220
	;; [unrolled: 1-line block ×6, first 2 shown]
	s_waitcnt lgkmcnt(0)
	s_add_u32 s6, s4, s6
	s_addc_u32 s7, s5, s7
	v_add_co_u32 v5, s4, s6, v115
	v_add_co_ci_u32_e64 v6, null, s7, 0, s4
	s_mov_b32 s4, s13
	s_ashr_i32 s5, s13, 31
	s_movk_i32 s70, 0x270
	flat_load_dwordx4 v[1:4], v[5:6]
	s_lshl_b64 s[4:5], s[4:5], 4
	s_cmpk_lg_i32 s9, 0x84
	v_add_co_u32 v59, vcc_lo, v5, s4
	v_add_co_ci_u32_e64 v60, null, s5, v6, vcc_lo
	v_add_co_u32 v57, vcc_lo, s6, v8
	v_add_co_ci_u32_e64 v58, null, s7, v9, vcc_lo
	v_ashrrev_i32_e32 v8, 31, v7
	s_movk_i32 s4, 0x50
	s_movk_i32 s5, 0x60
	;; [unrolled: 1-line block ×4, first 2 shown]
	v_lshlrev_b64 v[8:9], 4, v[7:8]
	v_add_nc_u32_e32 v7, s13, v7
	s_movk_i32 s73, 0x2a0
	s_movk_i32 s74, 0x2b0
	;; [unrolled: 1-line block ×4, first 2 shown]
	v_add_co_u32 v55, vcc_lo, s6, v8
	v_add_co_ci_u32_e64 v56, null, s7, v9, vcc_lo
	v_ashrrev_i32_e32 v8, 31, v7
	s_movk_i32 s77, 0x2e0
	s_movk_i32 s78, 0x2f0
	;; [unrolled: 1-line block ×4, first 2 shown]
	v_lshlrev_b64 v[8:9], 4, v[7:8]
	v_add_nc_u32_e32 v7, s13, v7
	s_movk_i32 s81, 0x320
	s_movk_i32 s82, 0x330
	s_cselect_b32 s60, -1, 0
	s_cmpk_eq_i32 s9, 0x84
	v_add_co_u32 v53, vcc_lo, s6, v8
	v_add_co_ci_u32_e64 v54, null, s7, v9, vcc_lo
	v_ashrrev_i32_e32 v8, 31, v7
	s_waitcnt vmcnt(0) lgkmcnt(0)
	buffer_store_dword v4, off, s[0:3], 0 offset:12
	buffer_store_dword v3, off, s[0:3], 0 offset:8
	;; [unrolled: 1-line block ×3, first 2 shown]
	buffer_store_dword v1, off, s[0:3], 0
	flat_load_dwordx4 v[1:4], v[59:60]
	v_lshlrev_b64 v[8:9], 4, v[7:8]
	v_add_nc_u32_e32 v7, s13, v7
	s_waitcnt vmcnt(0) lgkmcnt(0)
	buffer_store_dword v4, off, s[0:3], 0 offset:28
	buffer_store_dword v3, off, s[0:3], 0 offset:24
	buffer_store_dword v2, off, s[0:3], 0 offset:20
	buffer_store_dword v1, off, s[0:3], 0 offset:16
	flat_load_dwordx4 v[1:4], v[57:58]
	v_add_co_u32 v49, vcc_lo, s6, v8
	v_add_co_ci_u32_e64 v50, null, s7, v9, vcc_lo
	v_ashrrev_i32_e32 v8, 31, v7
	s_waitcnt vmcnt(0) lgkmcnt(0)
	buffer_store_dword v4, off, s[0:3], 0 offset:44
	buffer_store_dword v3, off, s[0:3], 0 offset:40
	buffer_store_dword v2, off, s[0:3], 0 offset:36
	buffer_store_dword v1, off, s[0:3], 0 offset:32
	flat_load_dwordx4 v[1:4], v[55:56]
	v_lshlrev_b64 v[8:9], 4, v[7:8]
	v_add_nc_u32_e32 v7, s13, v7
	s_waitcnt vmcnt(0) lgkmcnt(0)
	buffer_store_dword v4, off, s[0:3], 0 offset:60
	buffer_store_dword v3, off, s[0:3], 0 offset:56
	buffer_store_dword v2, off, s[0:3], 0 offset:52
	buffer_store_dword v1, off, s[0:3], 0 offset:48
	flat_load_dwordx4 v[1:4], v[53:54]
	v_add_co_u32 v47, vcc_lo, s6, v8
	v_add_co_ci_u32_e64 v48, null, s7, v9, vcc_lo
	v_ashrrev_i32_e32 v8, 31, v7
	s_waitcnt vmcnt(0) lgkmcnt(0)
	buffer_store_dword v4, off, s[0:3], 0 offset:76
	buffer_store_dword v3, off, s[0:3], 0 offset:72
	buffer_store_dword v2, off, s[0:3], 0 offset:68
	buffer_store_dword v1, off, s[0:3], 0 offset:64
	;; [unrolled: 17-line block ×3, first 2 shown]
	flat_load_dwordx4 v[1:4], v[45:46]
	v_lshlrev_b64 v[8:9], 4, v[7:8]
	v_add_nc_u32_e32 v7, s13, v7
	s_waitcnt vmcnt(0) lgkmcnt(0)
	buffer_store_dword v4, off, s[0:3], 0 offset:124
	buffer_store_dword v3, off, s[0:3], 0 offset:120
	;; [unrolled: 1-line block ×4, first 2 shown]
	v_add_co_u32 v43, vcc_lo, s6, v8
	v_add_co_ci_u32_e64 v44, null, s7, v9, vcc_lo
	v_ashrrev_i32_e32 v8, 31, v7
	flat_load_dwordx4 v[1:4], v[43:44]
	s_waitcnt vmcnt(0) lgkmcnt(0)
	buffer_store_dword v4, off, s[0:3], 0 offset:140
	buffer_store_dword v3, off, s[0:3], 0 offset:136
	buffer_store_dword v2, off, s[0:3], 0 offset:132
	buffer_store_dword v1, off, s[0:3], 0 offset:128
	v_lshlrev_b64 v[8:9], 4, v[7:8]
	v_add_nc_u32_e32 v7, s13, v7
	v_add_co_u32 v41, vcc_lo, s6, v8
	v_add_co_ci_u32_e64 v42, null, s7, v9, vcc_lo
	v_ashrrev_i32_e32 v8, 31, v7
	flat_load_dwordx4 v[1:4], v[41:42]
	s_waitcnt vmcnt(0) lgkmcnt(0)
	buffer_store_dword v4, off, s[0:3], 0 offset:156
	buffer_store_dword v3, off, s[0:3], 0 offset:152
	buffer_store_dword v2, off, s[0:3], 0 offset:148
	buffer_store_dword v1, off, s[0:3], 0 offset:144
	v_lshlrev_b64 v[8:9], 4, v[7:8]
	v_add_nc_u32_e32 v7, s13, v7
	;; [unrolled: 11-line block ×15, first 2 shown]
	v_add_co_u32 v11, vcc_lo, s6, v8
	v_add_co_ci_u32_e64 v12, null, s7, v9, vcc_lo
	v_ashrrev_i32_e32 v8, 31, v7
	v_add_nc_u32_e32 v33, s13, v7
	flat_load_dwordx4 v[1:4], v[11:12]
	s_waitcnt vmcnt(0) lgkmcnt(0)
	buffer_store_dword v4, off, s[0:3], 0 offset:380
	buffer_store_dword v3, off, s[0:3], 0 offset:376
	;; [unrolled: 1-line block ×4, first 2 shown]
	v_lshlrev_b64 v[9:10], 4, v[7:8]
	v_ashrrev_i32_e32 v34, 31, v33
	v_add_nc_u32_e32 v51, s13, v33
	v_add_co_u32 v9, vcc_lo, s6, v9
	v_add_co_ci_u32_e64 v10, null, s7, v10, vcc_lo
	v_lshlrev_b64 v[7:8], 4, v[33:34]
	v_ashrrev_i32_e32 v52, 31, v51
	v_add_nc_u32_e32 v61, s13, v51
	flat_load_dwordx4 v[1:4], v[9:10]
	s_waitcnt vmcnt(0) lgkmcnt(0)
	buffer_store_dword v4, off, s[0:3], 0 offset:396
	buffer_store_dword v3, off, s[0:3], 0 offset:392
	buffer_store_dword v2, off, s[0:3], 0 offset:388
	buffer_store_dword v1, off, s[0:3], 0 offset:384
	v_add_co_u32 v7, vcc_lo, s6, v7
	v_add_co_ci_u32_e64 v8, null, s7, v8, vcc_lo
	v_lshlrev_b64 v[33:34], 4, v[51:52]
	v_ashrrev_i32_e32 v62, 31, v61
	v_add_nc_u32_e32 v63, s13, v61
	flat_load_dwordx4 v[1:4], v[7:8]
	s_waitcnt vmcnt(0) lgkmcnt(0)
	buffer_store_dword v4, off, s[0:3], 0 offset:412
	buffer_store_dword v3, off, s[0:3], 0 offset:408
	buffer_store_dword v2, off, s[0:3], 0 offset:404
	buffer_store_dword v1, off, s[0:3], 0 offset:400
	;; [unrolled: 11-line block ×24, first 2 shown]
	v_add_co_u32 v101, vcc_lo, s6, v101
	v_add_co_ci_u32_e64 v102, null, s7, v102, vcc_lo
	v_lshlrev_b64 v[103:104], 4, v[105:106]
	v_ashrrev_i32_e32 v108, 31, v107
	flat_load_dwordx4 v[1:4], v[101:102]
	s_waitcnt vmcnt(0) lgkmcnt(0)
	buffer_store_dword v4, off, s[0:3], 0 offset:780
	buffer_store_dword v3, off, s[0:3], 0 offset:776
	;; [unrolled: 1-line block ×4, first 2 shown]
	v_add_co_u32 v103, vcc_lo, s6, v103
	v_add_co_ci_u32_e64 v104, null, s7, v104, vcc_lo
	v_lshlrev_b64 v[105:106], 4, v[107:108]
	v_add_nc_u32_e32 v107, s13, v107
	s_movk_i32 s13, 0xc0
	flat_load_dwordx4 v[1:4], v[103:104]
	s_waitcnt vmcnt(0) lgkmcnt(0)
	buffer_store_dword v4, off, s[0:3], 0 offset:796
	buffer_store_dword v3, off, s[0:3], 0 offset:792
	buffer_store_dword v2, off, s[0:3], 0 offset:788
	buffer_store_dword v1, off, s[0:3], 0 offset:784
	v_add_co_u32 v105, vcc_lo, s6, v105
	v_add_co_ci_u32_e64 v106, null, s7, v106, vcc_lo
	v_ashrrev_i32_e32 v108, 31, v107
	flat_load_dwordx4 v[1:4], v[105:106]
	s_waitcnt vmcnt(0) lgkmcnt(0)
	buffer_store_dword v4, off, s[0:3], 0 offset:812
	buffer_store_dword v3, off, s[0:3], 0 offset:808
	;; [unrolled: 1-line block ×4, first 2 shown]
	v_lshlrev_b64 v[107:108], 4, v[107:108]
	v_add_co_u32 v107, vcc_lo, s6, v107
	v_add_co_ci_u32_e64 v108, null, s7, v108, vcc_lo
	s_movk_i32 s6, 0x70
	s_movk_i32 s7, 0x80
	flat_load_dwordx4 v[1:4], v[107:108]
	s_waitcnt vmcnt(0) lgkmcnt(0)
	buffer_store_dword v4, off, s[0:3], 0 offset:828
	buffer_store_dword v3, off, s[0:3], 0 offset:824
	;; [unrolled: 1-line block ×4, first 2 shown]
	s_cbranch_scc1 .LBB115_7
; %bb.2:
	v_lshl_add_u32 v116, v0, 4, 0
                                        ; implicit-def: $vgpr111_vgpr112
                                        ; implicit-def: $vgpr3_vgpr4
	s_clause 0x3
	buffer_load_dword v109, v116, s[0:3], 0 offen
	buffer_load_dword v110, v116, s[0:3], 0 offen offset:4
	buffer_load_dword v113, v116, s[0:3], 0 offen offset:8
	;; [unrolled: 1-line block ×3, first 2 shown]
	s_waitcnt vmcnt(0)
	v_cmp_ngt_f64_e64 s9, |v[109:110]|, |v[113:114]|
	s_and_saveexec_b32 s31, s9
	s_xor_b32 s9, exec_lo, s31
	s_cbranch_execz .LBB115_4
; %bb.3:
	v_div_scale_f64 v[1:2], null, v[113:114], v[113:114], v[109:110]
	v_div_scale_f64 v[117:118], vcc_lo, v[109:110], v[113:114], v[109:110]
	v_rcp_f64_e32 v[3:4], v[1:2]
	v_fma_f64 v[111:112], -v[1:2], v[3:4], 1.0
	v_fma_f64 v[3:4], v[3:4], v[111:112], v[3:4]
	v_fma_f64 v[111:112], -v[1:2], v[3:4], 1.0
	v_fma_f64 v[3:4], v[3:4], v[111:112], v[3:4]
	v_mul_f64 v[111:112], v[117:118], v[3:4]
	v_fma_f64 v[1:2], -v[1:2], v[111:112], v[117:118]
	v_div_fmas_f64 v[1:2], v[1:2], v[3:4], v[111:112]
	v_div_fixup_f64 v[1:2], v[1:2], v[113:114], v[109:110]
	v_fma_f64 v[3:4], v[109:110], v[1:2], v[113:114]
	v_div_scale_f64 v[109:110], null, v[3:4], v[3:4], 1.0
	v_div_scale_f64 v[117:118], vcc_lo, 1.0, v[3:4], 1.0
	v_rcp_f64_e32 v[111:112], v[109:110]
	v_fma_f64 v[113:114], -v[109:110], v[111:112], 1.0
	v_fma_f64 v[111:112], v[111:112], v[113:114], v[111:112]
	v_fma_f64 v[113:114], -v[109:110], v[111:112], 1.0
	v_fma_f64 v[111:112], v[111:112], v[113:114], v[111:112]
	v_mul_f64 v[113:114], v[117:118], v[111:112]
	v_fma_f64 v[109:110], -v[109:110], v[113:114], v[117:118]
	v_div_fmas_f64 v[109:110], v[109:110], v[111:112], v[113:114]
                                        ; implicit-def: $vgpr113_vgpr114
	v_div_fixup_f64 v[3:4], v[109:110], v[3:4], 1.0
                                        ; implicit-def: $vgpr109_vgpr110
	v_mul_f64 v[111:112], v[1:2], v[3:4]
	v_xor_b32_e32 v4, 0x80000000, v4
	v_xor_b32_e32 v2, 0x80000000, v112
	v_mov_b32_e32 v1, v111
.LBB115_4:
	s_andn2_saveexec_b32 s9, s9
	s_cbranch_execz .LBB115_6
; %bb.5:
	v_div_scale_f64 v[1:2], null, v[109:110], v[109:110], v[113:114]
	v_div_scale_f64 v[117:118], vcc_lo, v[113:114], v[109:110], v[113:114]
	v_rcp_f64_e32 v[3:4], v[1:2]
	v_fma_f64 v[111:112], -v[1:2], v[3:4], 1.0
	v_fma_f64 v[3:4], v[3:4], v[111:112], v[3:4]
	v_fma_f64 v[111:112], -v[1:2], v[3:4], 1.0
	v_fma_f64 v[3:4], v[3:4], v[111:112], v[3:4]
	v_mul_f64 v[111:112], v[117:118], v[3:4]
	v_fma_f64 v[1:2], -v[1:2], v[111:112], v[117:118]
	v_div_fmas_f64 v[1:2], v[1:2], v[3:4], v[111:112]
	v_div_fixup_f64 v[1:2], v[1:2], v[109:110], v[113:114]
	v_fma_f64 v[3:4], v[113:114], v[1:2], v[109:110]
	v_div_scale_f64 v[109:110], null, v[3:4], v[3:4], 1.0
	v_rcp_f64_e32 v[111:112], v[109:110]
	v_fma_f64 v[113:114], -v[109:110], v[111:112], 1.0
	v_fma_f64 v[111:112], v[111:112], v[113:114], v[111:112]
	v_fma_f64 v[113:114], -v[109:110], v[111:112], 1.0
	v_fma_f64 v[111:112], v[111:112], v[113:114], v[111:112]
	v_div_scale_f64 v[113:114], vcc_lo, 1.0, v[3:4], 1.0
	v_mul_f64 v[117:118], v[113:114], v[111:112]
	v_fma_f64 v[109:110], -v[109:110], v[117:118], v[113:114]
	v_div_fmas_f64 v[109:110], v[109:110], v[111:112], v[117:118]
	v_div_fixup_f64 v[111:112], v[109:110], v[3:4], 1.0
	v_mul_f64 v[3:4], v[1:2], -v[111:112]
	v_xor_b32_e32 v2, 0x80000000, v112
	v_mov_b32_e32 v1, v111
.LBB115_6:
	s_or_b32 exec_lo, exec_lo, s9
	buffer_store_dword v4, v116, s[0:3], 0 offen offset:12
	v_xor_b32_e32 v4, 0x80000000, v4
	buffer_store_dword v112, v116, s[0:3], 0 offen offset:4
	buffer_store_dword v111, v116, s[0:3], 0 offen
	buffer_store_dword v3, v116, s[0:3], 0 offen offset:8
	s_branch .LBB115_8
.LBB115_7:
	v_mov_b32_e32 v1, 0
	v_mov_b32_e32 v3, 0
	;; [unrolled: 1-line block ×4, first 2 shown]
.LBB115_8:
	v_add_nc_u32_e32 v110, 0x340, v115
	v_mov_b32_e32 v109, v115
	s_mov_b32 s59, 16
	s_mov_b32 s58, 32
	;; [unrolled: 1-line block ×50, first 2 shown]
	s_cmpk_eq_i32 s8, 0x79
	ds_write_b128 v115, v[1:4]
	s_cbranch_scc1 .LBB115_412
; %bb.9:
	v_mov_b32_e32 v4, s9
	v_cmp_eq_u32_e64 s4, 51, v0
	s_clause 0x3
	buffer_load_dword v1, v4, s[0:3], 0 offen
	buffer_load_dword v2, v4, s[0:3], 0 offen offset:4
	buffer_load_dword v3, v4, s[0:3], 0 offen offset:8
	buffer_load_dword v4, v4, s[0:3], 0 offen offset:12
	s_waitcnt vmcnt(0)
	ds_write_b128 v110, v[1:4]
	s_waitcnt lgkmcnt(0)
	s_waitcnt_vscnt null, 0x0
	s_barrier
	buffer_gl0_inv
	s_and_saveexec_b32 s5, s4
	s_cbranch_execz .LBB115_13
; %bb.10:
	ds_read_b128 v[1:4], v110
	s_andn2_b32 vcc_lo, exec_lo, s60
	s_cbranch_vccnz .LBB115_12
; %bb.11:
	s_clause 0x3
	buffer_load_dword v111, v109, s[0:3], 0 offen offset:8
	buffer_load_dword v112, v109, s[0:3], 0 offen offset:12
	buffer_load_dword v113, v109, s[0:3], 0 offen
	buffer_load_dword v114, v109, s[0:3], 0 offen offset:4
	s_waitcnt vmcnt(2) lgkmcnt(0)
	v_mul_f64 v[116:117], v[3:4], v[111:112]
	v_mul_f64 v[111:112], v[1:2], v[111:112]
	s_waitcnt vmcnt(0)
	v_fma_f64 v[1:2], v[1:2], v[113:114], -v[116:117]
	v_fma_f64 v[3:4], v[3:4], v[113:114], v[111:112]
.LBB115_12:
	v_mov_b32_e32 v111, 0
	ds_read_b128 v[111:114], v111 offset:800
	s_waitcnt lgkmcnt(0)
	v_mul_f64 v[116:117], v[3:4], v[113:114]
	v_mul_f64 v[113:114], v[1:2], v[113:114]
	v_fma_f64 v[1:2], v[1:2], v[111:112], -v[116:117]
	v_fma_f64 v[3:4], v[3:4], v[111:112], v[113:114]
	buffer_store_dword v2, off, s[0:3], 0 offset:804
	buffer_store_dword v1, off, s[0:3], 0 offset:800
	;; [unrolled: 1-line block ×4, first 2 shown]
.LBB115_13:
	s_or_b32 exec_lo, exec_lo, s5
	v_mov_b32_e32 v4, s10
	v_cmp_lt_u32_e64 s5, 49, v0
	s_clause 0x3
	buffer_load_dword v1, v4, s[0:3], 0 offen
	buffer_load_dword v2, v4, s[0:3], 0 offen offset:4
	buffer_load_dword v3, v4, s[0:3], 0 offen offset:8
	;; [unrolled: 1-line block ×3, first 2 shown]
	s_waitcnt vmcnt(0)
	ds_write_b128 v110, v[1:4]
	s_waitcnt lgkmcnt(0)
	s_waitcnt_vscnt null, 0x0
	s_barrier
	buffer_gl0_inv
	s_and_saveexec_b32 s6, s5
	s_cbranch_execz .LBB115_19
; %bb.14:
	ds_read_b128 v[1:4], v110
	s_andn2_b32 vcc_lo, exec_lo, s60
	s_cbranch_vccnz .LBB115_16
; %bb.15:
	s_clause 0x3
	buffer_load_dword v111, v109, s[0:3], 0 offen offset:8
	buffer_load_dword v112, v109, s[0:3], 0 offen offset:12
	buffer_load_dword v113, v109, s[0:3], 0 offen
	buffer_load_dword v114, v109, s[0:3], 0 offen offset:4
	s_waitcnt vmcnt(2) lgkmcnt(0)
	v_mul_f64 v[116:117], v[3:4], v[111:112]
	v_mul_f64 v[111:112], v[1:2], v[111:112]
	s_waitcnt vmcnt(0)
	v_fma_f64 v[1:2], v[1:2], v[113:114], -v[116:117]
	v_fma_f64 v[3:4], v[3:4], v[113:114], v[111:112]
.LBB115_16:
	s_and_saveexec_b32 s8, s4
	s_cbranch_execz .LBB115_18
; %bb.17:
	s_clause 0x3
	buffer_load_dword v116, off, s[0:3], 0 offset:808
	buffer_load_dword v117, off, s[0:3], 0 offset:812
	;; [unrolled: 1-line block ×4, first 2 shown]
	v_mov_b32_e32 v111, 0
	ds_read_b128 v[111:114], v111 offset:1632
	s_waitcnt vmcnt(2) lgkmcnt(0)
	v_mul_f64 v[120:121], v[111:112], v[116:117]
	v_mul_f64 v[116:117], v[113:114], v[116:117]
	s_waitcnt vmcnt(0)
	v_fma_f64 v[113:114], v[113:114], v[118:119], v[120:121]
	v_fma_f64 v[111:112], v[111:112], v[118:119], -v[116:117]
	v_add_f64 v[3:4], v[3:4], v[113:114]
	v_add_f64 v[1:2], v[1:2], v[111:112]
.LBB115_18:
	s_or_b32 exec_lo, exec_lo, s8
	v_mov_b32_e32 v111, 0
	ds_read_b128 v[111:114], v111 offset:784
	s_waitcnt lgkmcnt(0)
	v_mul_f64 v[116:117], v[3:4], v[113:114]
	v_mul_f64 v[113:114], v[1:2], v[113:114]
	v_fma_f64 v[1:2], v[1:2], v[111:112], -v[116:117]
	v_fma_f64 v[3:4], v[3:4], v[111:112], v[113:114]
	buffer_store_dword v2, off, s[0:3], 0 offset:788
	buffer_store_dword v1, off, s[0:3], 0 offset:784
	;; [unrolled: 1-line block ×4, first 2 shown]
.LBB115_19:
	s_or_b32 exec_lo, exec_lo, s6
	v_mov_b32_e32 v4, s11
	v_cmp_lt_u32_e64 s4, 48, v0
	s_clause 0x3
	buffer_load_dword v1, v4, s[0:3], 0 offen
	buffer_load_dword v2, v4, s[0:3], 0 offen offset:4
	buffer_load_dword v3, v4, s[0:3], 0 offen offset:8
	buffer_load_dword v4, v4, s[0:3], 0 offen offset:12
	s_waitcnt vmcnt(0)
	ds_write_b128 v110, v[1:4]
	s_waitcnt lgkmcnt(0)
	s_waitcnt_vscnt null, 0x0
	s_barrier
	buffer_gl0_inv
	s_and_saveexec_b32 s6, s4
	s_cbranch_execz .LBB115_27
; %bb.20:
	ds_read_b128 v[1:4], v110
	s_andn2_b32 vcc_lo, exec_lo, s60
	s_cbranch_vccnz .LBB115_22
; %bb.21:
	s_clause 0x3
	buffer_load_dword v111, v109, s[0:3], 0 offen offset:8
	buffer_load_dword v112, v109, s[0:3], 0 offen offset:12
	buffer_load_dword v113, v109, s[0:3], 0 offen
	buffer_load_dword v114, v109, s[0:3], 0 offen offset:4
	s_waitcnt vmcnt(2) lgkmcnt(0)
	v_mul_f64 v[116:117], v[3:4], v[111:112]
	v_mul_f64 v[111:112], v[1:2], v[111:112]
	s_waitcnt vmcnt(0)
	v_fma_f64 v[1:2], v[1:2], v[113:114], -v[116:117]
	v_fma_f64 v[3:4], v[3:4], v[113:114], v[111:112]
.LBB115_22:
	s_and_saveexec_b32 s8, s5
	s_cbranch_execz .LBB115_26
; %bb.23:
	v_subrev_nc_u32_e32 v111, 49, v0
	s_movk_i32 s61, 0x650
	s_mov_b32 s5, 0
	s_mov_b32 s62, s10
	.p2align	6
.LBB115_24:                             ; =>This Inner Loop Header: Depth=1
	v_mov_b32_e32 v114, s62
	v_add_nc_u32_e32 v111, -1, v111
	s_add_i32 s62, s62, 16
	s_clause 0x3
	buffer_load_dword v112, v114, s[0:3], 0 offen offset:8
	buffer_load_dword v113, v114, s[0:3], 0 offen offset:12
	buffer_load_dword v120, v114, s[0:3], 0 offen
	buffer_load_dword v121, v114, s[0:3], 0 offen offset:4
	v_mov_b32_e32 v114, s61
	v_cmp_eq_u32_e32 vcc_lo, 0, v111
	s_add_i32 s61, s61, 16
	ds_read_b128 v[116:119], v114
	s_or_b32 s5, vcc_lo, s5
	s_waitcnt vmcnt(2) lgkmcnt(0)
	v_mul_f64 v[122:123], v[118:119], v[112:113]
	v_mul_f64 v[112:113], v[116:117], v[112:113]
	s_waitcnt vmcnt(0)
	v_fma_f64 v[116:117], v[116:117], v[120:121], -v[122:123]
	v_fma_f64 v[112:113], v[118:119], v[120:121], v[112:113]
	v_add_f64 v[1:2], v[1:2], v[116:117]
	v_add_f64 v[3:4], v[3:4], v[112:113]
	s_andn2_b32 exec_lo, exec_lo, s5
	s_cbranch_execnz .LBB115_24
; %bb.25:
	s_or_b32 exec_lo, exec_lo, s5
.LBB115_26:
	s_or_b32 exec_lo, exec_lo, s8
	v_mov_b32_e32 v111, 0
	ds_read_b128 v[111:114], v111 offset:768
	s_waitcnt lgkmcnt(0)
	v_mul_f64 v[116:117], v[3:4], v[113:114]
	v_mul_f64 v[113:114], v[1:2], v[113:114]
	v_fma_f64 v[1:2], v[1:2], v[111:112], -v[116:117]
	v_fma_f64 v[3:4], v[3:4], v[111:112], v[113:114]
	buffer_store_dword v2, off, s[0:3], 0 offset:772
	buffer_store_dword v1, off, s[0:3], 0 offset:768
	;; [unrolled: 1-line block ×4, first 2 shown]
.LBB115_27:
	s_or_b32 exec_lo, exec_lo, s6
	v_mov_b32_e32 v4, s12
	v_cmp_lt_u32_e64 s5, 47, v0
	s_clause 0x3
	buffer_load_dword v1, v4, s[0:3], 0 offen
	buffer_load_dword v2, v4, s[0:3], 0 offen offset:4
	buffer_load_dword v3, v4, s[0:3], 0 offen offset:8
	;; [unrolled: 1-line block ×3, first 2 shown]
	s_waitcnt vmcnt(0)
	ds_write_b128 v110, v[1:4]
	s_waitcnt lgkmcnt(0)
	s_waitcnt_vscnt null, 0x0
	s_barrier
	buffer_gl0_inv
	s_and_saveexec_b32 s6, s5
	s_cbranch_execz .LBB115_35
; %bb.28:
	ds_read_b128 v[1:4], v110
	s_andn2_b32 vcc_lo, exec_lo, s60
	s_cbranch_vccnz .LBB115_30
; %bb.29:
	s_clause 0x3
	buffer_load_dword v111, v109, s[0:3], 0 offen offset:8
	buffer_load_dword v112, v109, s[0:3], 0 offen offset:12
	buffer_load_dword v113, v109, s[0:3], 0 offen
	buffer_load_dword v114, v109, s[0:3], 0 offen offset:4
	s_waitcnt vmcnt(2) lgkmcnt(0)
	v_mul_f64 v[116:117], v[3:4], v[111:112]
	v_mul_f64 v[111:112], v[1:2], v[111:112]
	s_waitcnt vmcnt(0)
	v_fma_f64 v[1:2], v[1:2], v[113:114], -v[116:117]
	v_fma_f64 v[3:4], v[3:4], v[113:114], v[111:112]
.LBB115_30:
	s_and_saveexec_b32 s8, s4
	s_cbranch_execz .LBB115_34
; %bb.31:
	v_subrev_nc_u32_e32 v111, 48, v0
	s_movk_i32 s61, 0x640
	s_mov_b32 s4, 0
	s_mov_b32 s62, s11
	.p2align	6
.LBB115_32:                             ; =>This Inner Loop Header: Depth=1
	v_mov_b32_e32 v114, s62
	v_add_nc_u32_e32 v111, -1, v111
	s_add_i32 s62, s62, 16
	s_clause 0x3
	buffer_load_dword v112, v114, s[0:3], 0 offen offset:8
	buffer_load_dword v113, v114, s[0:3], 0 offen offset:12
	buffer_load_dword v120, v114, s[0:3], 0 offen
	buffer_load_dword v121, v114, s[0:3], 0 offen offset:4
	v_mov_b32_e32 v114, s61
	v_cmp_eq_u32_e32 vcc_lo, 0, v111
	s_add_i32 s61, s61, 16
	ds_read_b128 v[116:119], v114
	s_or_b32 s4, vcc_lo, s4
	s_waitcnt vmcnt(2) lgkmcnt(0)
	v_mul_f64 v[122:123], v[118:119], v[112:113]
	v_mul_f64 v[112:113], v[116:117], v[112:113]
	s_waitcnt vmcnt(0)
	v_fma_f64 v[116:117], v[116:117], v[120:121], -v[122:123]
	v_fma_f64 v[112:113], v[118:119], v[120:121], v[112:113]
	v_add_f64 v[1:2], v[1:2], v[116:117]
	v_add_f64 v[3:4], v[3:4], v[112:113]
	s_andn2_b32 exec_lo, exec_lo, s4
	s_cbranch_execnz .LBB115_32
; %bb.33:
	s_or_b32 exec_lo, exec_lo, s4
.LBB115_34:
	s_or_b32 exec_lo, exec_lo, s8
	v_mov_b32_e32 v111, 0
	ds_read_b128 v[111:114], v111 offset:752
	s_waitcnt lgkmcnt(0)
	v_mul_f64 v[116:117], v[3:4], v[113:114]
	v_mul_f64 v[113:114], v[1:2], v[113:114]
	v_fma_f64 v[1:2], v[1:2], v[111:112], -v[116:117]
	v_fma_f64 v[3:4], v[3:4], v[111:112], v[113:114]
	buffer_store_dword v2, off, s[0:3], 0 offset:756
	buffer_store_dword v1, off, s[0:3], 0 offset:752
	;; [unrolled: 1-line block ×4, first 2 shown]
.LBB115_35:
	s_or_b32 exec_lo, exec_lo, s6
	v_mov_b32_e32 v4, s13
	v_cmp_lt_u32_e64 s4, 46, v0
	s_clause 0x3
	buffer_load_dword v1, v4, s[0:3], 0 offen
	buffer_load_dword v2, v4, s[0:3], 0 offen offset:4
	buffer_load_dword v3, v4, s[0:3], 0 offen offset:8
	;; [unrolled: 1-line block ×3, first 2 shown]
	s_waitcnt vmcnt(0)
	ds_write_b128 v110, v[1:4]
	s_waitcnt lgkmcnt(0)
	s_waitcnt_vscnt null, 0x0
	s_barrier
	buffer_gl0_inv
	s_and_saveexec_b32 s6, s4
	s_cbranch_execz .LBB115_43
; %bb.36:
	ds_read_b128 v[1:4], v110
	s_andn2_b32 vcc_lo, exec_lo, s60
	s_cbranch_vccnz .LBB115_38
; %bb.37:
	s_clause 0x3
	buffer_load_dword v111, v109, s[0:3], 0 offen offset:8
	buffer_load_dword v112, v109, s[0:3], 0 offen offset:12
	buffer_load_dword v113, v109, s[0:3], 0 offen
	buffer_load_dword v114, v109, s[0:3], 0 offen offset:4
	s_waitcnt vmcnt(2) lgkmcnt(0)
	v_mul_f64 v[116:117], v[3:4], v[111:112]
	v_mul_f64 v[111:112], v[1:2], v[111:112]
	s_waitcnt vmcnt(0)
	v_fma_f64 v[1:2], v[1:2], v[113:114], -v[116:117]
	v_fma_f64 v[3:4], v[3:4], v[113:114], v[111:112]
.LBB115_38:
	s_and_saveexec_b32 s8, s5
	s_cbranch_execz .LBB115_42
; %bb.39:
	v_subrev_nc_u32_e32 v111, 47, v0
	s_movk_i32 s61, 0x630
	s_mov_b32 s5, 0
	s_mov_b32 s62, s12
	.p2align	6
.LBB115_40:                             ; =>This Inner Loop Header: Depth=1
	v_mov_b32_e32 v114, s62
	v_add_nc_u32_e32 v111, -1, v111
	s_add_i32 s62, s62, 16
	s_clause 0x3
	buffer_load_dword v112, v114, s[0:3], 0 offen offset:8
	buffer_load_dword v113, v114, s[0:3], 0 offen offset:12
	buffer_load_dword v120, v114, s[0:3], 0 offen
	buffer_load_dword v121, v114, s[0:3], 0 offen offset:4
	v_mov_b32_e32 v114, s61
	v_cmp_eq_u32_e32 vcc_lo, 0, v111
	s_add_i32 s61, s61, 16
	ds_read_b128 v[116:119], v114
	s_or_b32 s5, vcc_lo, s5
	s_waitcnt vmcnt(2) lgkmcnt(0)
	v_mul_f64 v[122:123], v[118:119], v[112:113]
	v_mul_f64 v[112:113], v[116:117], v[112:113]
	s_waitcnt vmcnt(0)
	v_fma_f64 v[116:117], v[116:117], v[120:121], -v[122:123]
	v_fma_f64 v[112:113], v[118:119], v[120:121], v[112:113]
	v_add_f64 v[1:2], v[1:2], v[116:117]
	v_add_f64 v[3:4], v[3:4], v[112:113]
	s_andn2_b32 exec_lo, exec_lo, s5
	s_cbranch_execnz .LBB115_40
; %bb.41:
	s_or_b32 exec_lo, exec_lo, s5
.LBB115_42:
	s_or_b32 exec_lo, exec_lo, s8
	v_mov_b32_e32 v111, 0
	ds_read_b128 v[111:114], v111 offset:736
	s_waitcnt lgkmcnt(0)
	v_mul_f64 v[116:117], v[3:4], v[113:114]
	v_mul_f64 v[113:114], v[1:2], v[113:114]
	v_fma_f64 v[1:2], v[1:2], v[111:112], -v[116:117]
	v_fma_f64 v[3:4], v[3:4], v[111:112], v[113:114]
	buffer_store_dword v2, off, s[0:3], 0 offset:740
	buffer_store_dword v1, off, s[0:3], 0 offset:736
	;; [unrolled: 1-line block ×4, first 2 shown]
.LBB115_43:
	s_or_b32 exec_lo, exec_lo, s6
	v_mov_b32_e32 v4, s14
	v_cmp_lt_u32_e64 s5, 45, v0
	s_clause 0x3
	buffer_load_dword v1, v4, s[0:3], 0 offen
	buffer_load_dword v2, v4, s[0:3], 0 offen offset:4
	buffer_load_dword v3, v4, s[0:3], 0 offen offset:8
	;; [unrolled: 1-line block ×3, first 2 shown]
	s_waitcnt vmcnt(0)
	ds_write_b128 v110, v[1:4]
	s_waitcnt lgkmcnt(0)
	s_waitcnt_vscnt null, 0x0
	s_barrier
	buffer_gl0_inv
	s_and_saveexec_b32 s6, s5
	s_cbranch_execz .LBB115_51
; %bb.44:
	ds_read_b128 v[1:4], v110
	s_andn2_b32 vcc_lo, exec_lo, s60
	s_cbranch_vccnz .LBB115_46
; %bb.45:
	s_clause 0x3
	buffer_load_dword v111, v109, s[0:3], 0 offen offset:8
	buffer_load_dword v112, v109, s[0:3], 0 offen offset:12
	buffer_load_dword v113, v109, s[0:3], 0 offen
	buffer_load_dword v114, v109, s[0:3], 0 offen offset:4
	s_waitcnt vmcnt(2) lgkmcnt(0)
	v_mul_f64 v[116:117], v[3:4], v[111:112]
	v_mul_f64 v[111:112], v[1:2], v[111:112]
	s_waitcnt vmcnt(0)
	v_fma_f64 v[1:2], v[1:2], v[113:114], -v[116:117]
	v_fma_f64 v[3:4], v[3:4], v[113:114], v[111:112]
.LBB115_46:
	s_and_saveexec_b32 s8, s4
	s_cbranch_execz .LBB115_50
; %bb.47:
	v_subrev_nc_u32_e32 v111, 46, v0
	s_movk_i32 s61, 0x620
	s_mov_b32 s4, 0
	s_mov_b32 s62, s13
	.p2align	6
.LBB115_48:                             ; =>This Inner Loop Header: Depth=1
	v_mov_b32_e32 v114, s62
	v_add_nc_u32_e32 v111, -1, v111
	s_add_i32 s62, s62, 16
	s_clause 0x3
	buffer_load_dword v112, v114, s[0:3], 0 offen offset:8
	buffer_load_dword v113, v114, s[0:3], 0 offen offset:12
	buffer_load_dword v120, v114, s[0:3], 0 offen
	buffer_load_dword v121, v114, s[0:3], 0 offen offset:4
	v_mov_b32_e32 v114, s61
	v_cmp_eq_u32_e32 vcc_lo, 0, v111
	s_add_i32 s61, s61, 16
	ds_read_b128 v[116:119], v114
	s_or_b32 s4, vcc_lo, s4
	s_waitcnt vmcnt(2) lgkmcnt(0)
	v_mul_f64 v[122:123], v[118:119], v[112:113]
	v_mul_f64 v[112:113], v[116:117], v[112:113]
	s_waitcnt vmcnt(0)
	v_fma_f64 v[116:117], v[116:117], v[120:121], -v[122:123]
	v_fma_f64 v[112:113], v[118:119], v[120:121], v[112:113]
	v_add_f64 v[1:2], v[1:2], v[116:117]
	v_add_f64 v[3:4], v[3:4], v[112:113]
	s_andn2_b32 exec_lo, exec_lo, s4
	s_cbranch_execnz .LBB115_48
; %bb.49:
	s_or_b32 exec_lo, exec_lo, s4
.LBB115_50:
	s_or_b32 exec_lo, exec_lo, s8
	v_mov_b32_e32 v111, 0
	ds_read_b128 v[111:114], v111 offset:720
	s_waitcnt lgkmcnt(0)
	v_mul_f64 v[116:117], v[3:4], v[113:114]
	v_mul_f64 v[113:114], v[1:2], v[113:114]
	v_fma_f64 v[1:2], v[1:2], v[111:112], -v[116:117]
	v_fma_f64 v[3:4], v[3:4], v[111:112], v[113:114]
	buffer_store_dword v2, off, s[0:3], 0 offset:724
	buffer_store_dword v1, off, s[0:3], 0 offset:720
	;; [unrolled: 1-line block ×4, first 2 shown]
.LBB115_51:
	s_or_b32 exec_lo, exec_lo, s6
	v_mov_b32_e32 v4, s15
	v_cmp_lt_u32_e64 s4, 44, v0
	s_clause 0x3
	buffer_load_dword v1, v4, s[0:3], 0 offen
	buffer_load_dword v2, v4, s[0:3], 0 offen offset:4
	buffer_load_dword v3, v4, s[0:3], 0 offen offset:8
	;; [unrolled: 1-line block ×3, first 2 shown]
	s_waitcnt vmcnt(0)
	ds_write_b128 v110, v[1:4]
	s_waitcnt lgkmcnt(0)
	s_waitcnt_vscnt null, 0x0
	s_barrier
	buffer_gl0_inv
	s_and_saveexec_b32 s6, s4
	s_cbranch_execz .LBB115_59
; %bb.52:
	ds_read_b128 v[1:4], v110
	s_andn2_b32 vcc_lo, exec_lo, s60
	s_cbranch_vccnz .LBB115_54
; %bb.53:
	s_clause 0x3
	buffer_load_dword v111, v109, s[0:3], 0 offen offset:8
	buffer_load_dword v112, v109, s[0:3], 0 offen offset:12
	buffer_load_dword v113, v109, s[0:3], 0 offen
	buffer_load_dword v114, v109, s[0:3], 0 offen offset:4
	s_waitcnt vmcnt(2) lgkmcnt(0)
	v_mul_f64 v[116:117], v[3:4], v[111:112]
	v_mul_f64 v[111:112], v[1:2], v[111:112]
	s_waitcnt vmcnt(0)
	v_fma_f64 v[1:2], v[1:2], v[113:114], -v[116:117]
	v_fma_f64 v[3:4], v[3:4], v[113:114], v[111:112]
.LBB115_54:
	s_and_saveexec_b32 s8, s5
	s_cbranch_execz .LBB115_58
; %bb.55:
	v_subrev_nc_u32_e32 v111, 45, v0
	s_movk_i32 s61, 0x610
	s_mov_b32 s5, 0
	s_mov_b32 s62, s14
	.p2align	6
.LBB115_56:                             ; =>This Inner Loop Header: Depth=1
	v_mov_b32_e32 v114, s62
	v_add_nc_u32_e32 v111, -1, v111
	s_add_i32 s62, s62, 16
	s_clause 0x3
	buffer_load_dword v112, v114, s[0:3], 0 offen offset:8
	buffer_load_dword v113, v114, s[0:3], 0 offen offset:12
	buffer_load_dword v120, v114, s[0:3], 0 offen
	buffer_load_dword v121, v114, s[0:3], 0 offen offset:4
	v_mov_b32_e32 v114, s61
	v_cmp_eq_u32_e32 vcc_lo, 0, v111
	s_add_i32 s61, s61, 16
	ds_read_b128 v[116:119], v114
	s_or_b32 s5, vcc_lo, s5
	s_waitcnt vmcnt(2) lgkmcnt(0)
	v_mul_f64 v[122:123], v[118:119], v[112:113]
	v_mul_f64 v[112:113], v[116:117], v[112:113]
	s_waitcnt vmcnt(0)
	v_fma_f64 v[116:117], v[116:117], v[120:121], -v[122:123]
	v_fma_f64 v[112:113], v[118:119], v[120:121], v[112:113]
	v_add_f64 v[1:2], v[1:2], v[116:117]
	v_add_f64 v[3:4], v[3:4], v[112:113]
	s_andn2_b32 exec_lo, exec_lo, s5
	s_cbranch_execnz .LBB115_56
; %bb.57:
	s_or_b32 exec_lo, exec_lo, s5
.LBB115_58:
	s_or_b32 exec_lo, exec_lo, s8
	v_mov_b32_e32 v111, 0
	ds_read_b128 v[111:114], v111 offset:704
	s_waitcnt lgkmcnt(0)
	v_mul_f64 v[116:117], v[3:4], v[113:114]
	v_mul_f64 v[113:114], v[1:2], v[113:114]
	v_fma_f64 v[1:2], v[1:2], v[111:112], -v[116:117]
	v_fma_f64 v[3:4], v[3:4], v[111:112], v[113:114]
	buffer_store_dword v2, off, s[0:3], 0 offset:708
	buffer_store_dword v1, off, s[0:3], 0 offset:704
	;; [unrolled: 1-line block ×4, first 2 shown]
.LBB115_59:
	s_or_b32 exec_lo, exec_lo, s6
	v_mov_b32_e32 v4, s16
	v_cmp_lt_u32_e64 s5, 43, v0
	s_clause 0x3
	buffer_load_dword v1, v4, s[0:3], 0 offen
	buffer_load_dword v2, v4, s[0:3], 0 offen offset:4
	buffer_load_dword v3, v4, s[0:3], 0 offen offset:8
	;; [unrolled: 1-line block ×3, first 2 shown]
	s_waitcnt vmcnt(0)
	ds_write_b128 v110, v[1:4]
	s_waitcnt lgkmcnt(0)
	s_waitcnt_vscnt null, 0x0
	s_barrier
	buffer_gl0_inv
	s_and_saveexec_b32 s6, s5
	s_cbranch_execz .LBB115_67
; %bb.60:
	ds_read_b128 v[1:4], v110
	s_andn2_b32 vcc_lo, exec_lo, s60
	s_cbranch_vccnz .LBB115_62
; %bb.61:
	s_clause 0x3
	buffer_load_dword v111, v109, s[0:3], 0 offen offset:8
	buffer_load_dword v112, v109, s[0:3], 0 offen offset:12
	buffer_load_dword v113, v109, s[0:3], 0 offen
	buffer_load_dword v114, v109, s[0:3], 0 offen offset:4
	s_waitcnt vmcnt(2) lgkmcnt(0)
	v_mul_f64 v[116:117], v[3:4], v[111:112]
	v_mul_f64 v[111:112], v[1:2], v[111:112]
	s_waitcnt vmcnt(0)
	v_fma_f64 v[1:2], v[1:2], v[113:114], -v[116:117]
	v_fma_f64 v[3:4], v[3:4], v[113:114], v[111:112]
.LBB115_62:
	s_and_saveexec_b32 s8, s4
	s_cbranch_execz .LBB115_66
; %bb.63:
	v_subrev_nc_u32_e32 v111, 44, v0
	s_movk_i32 s61, 0x600
	s_mov_b32 s4, 0
	s_mov_b32 s62, s15
	.p2align	6
.LBB115_64:                             ; =>This Inner Loop Header: Depth=1
	v_mov_b32_e32 v114, s62
	v_add_nc_u32_e32 v111, -1, v111
	s_add_i32 s62, s62, 16
	s_clause 0x3
	buffer_load_dword v112, v114, s[0:3], 0 offen offset:8
	buffer_load_dword v113, v114, s[0:3], 0 offen offset:12
	buffer_load_dword v120, v114, s[0:3], 0 offen
	buffer_load_dword v121, v114, s[0:3], 0 offen offset:4
	v_mov_b32_e32 v114, s61
	v_cmp_eq_u32_e32 vcc_lo, 0, v111
	s_add_i32 s61, s61, 16
	ds_read_b128 v[116:119], v114
	s_or_b32 s4, vcc_lo, s4
	s_waitcnt vmcnt(2) lgkmcnt(0)
	v_mul_f64 v[122:123], v[118:119], v[112:113]
	v_mul_f64 v[112:113], v[116:117], v[112:113]
	s_waitcnt vmcnt(0)
	v_fma_f64 v[116:117], v[116:117], v[120:121], -v[122:123]
	v_fma_f64 v[112:113], v[118:119], v[120:121], v[112:113]
	v_add_f64 v[1:2], v[1:2], v[116:117]
	v_add_f64 v[3:4], v[3:4], v[112:113]
	s_andn2_b32 exec_lo, exec_lo, s4
	s_cbranch_execnz .LBB115_64
; %bb.65:
	s_or_b32 exec_lo, exec_lo, s4
.LBB115_66:
	s_or_b32 exec_lo, exec_lo, s8
	v_mov_b32_e32 v111, 0
	ds_read_b128 v[111:114], v111 offset:688
	s_waitcnt lgkmcnt(0)
	v_mul_f64 v[116:117], v[3:4], v[113:114]
	v_mul_f64 v[113:114], v[1:2], v[113:114]
	v_fma_f64 v[1:2], v[1:2], v[111:112], -v[116:117]
	v_fma_f64 v[3:4], v[3:4], v[111:112], v[113:114]
	buffer_store_dword v2, off, s[0:3], 0 offset:692
	buffer_store_dword v1, off, s[0:3], 0 offset:688
	;; [unrolled: 1-line block ×4, first 2 shown]
.LBB115_67:
	s_or_b32 exec_lo, exec_lo, s6
	v_mov_b32_e32 v4, s17
	v_cmp_lt_u32_e64 s4, 42, v0
	s_clause 0x3
	buffer_load_dword v1, v4, s[0:3], 0 offen
	buffer_load_dword v2, v4, s[0:3], 0 offen offset:4
	buffer_load_dword v3, v4, s[0:3], 0 offen offset:8
	;; [unrolled: 1-line block ×3, first 2 shown]
	s_waitcnt vmcnt(0)
	ds_write_b128 v110, v[1:4]
	s_waitcnt lgkmcnt(0)
	s_waitcnt_vscnt null, 0x0
	s_barrier
	buffer_gl0_inv
	s_and_saveexec_b32 s6, s4
	s_cbranch_execz .LBB115_75
; %bb.68:
	ds_read_b128 v[1:4], v110
	s_andn2_b32 vcc_lo, exec_lo, s60
	s_cbranch_vccnz .LBB115_70
; %bb.69:
	s_clause 0x3
	buffer_load_dword v111, v109, s[0:3], 0 offen offset:8
	buffer_load_dword v112, v109, s[0:3], 0 offen offset:12
	buffer_load_dword v113, v109, s[0:3], 0 offen
	buffer_load_dword v114, v109, s[0:3], 0 offen offset:4
	s_waitcnt vmcnt(2) lgkmcnt(0)
	v_mul_f64 v[116:117], v[3:4], v[111:112]
	v_mul_f64 v[111:112], v[1:2], v[111:112]
	s_waitcnt vmcnt(0)
	v_fma_f64 v[1:2], v[1:2], v[113:114], -v[116:117]
	v_fma_f64 v[3:4], v[3:4], v[113:114], v[111:112]
.LBB115_70:
	s_and_saveexec_b32 s8, s5
	s_cbranch_execz .LBB115_74
; %bb.71:
	v_subrev_nc_u32_e32 v111, 43, v0
	s_movk_i32 s61, 0x5f0
	s_mov_b32 s5, 0
	s_mov_b32 s62, s16
	.p2align	6
.LBB115_72:                             ; =>This Inner Loop Header: Depth=1
	v_mov_b32_e32 v114, s62
	v_add_nc_u32_e32 v111, -1, v111
	s_add_i32 s62, s62, 16
	s_clause 0x3
	buffer_load_dword v112, v114, s[0:3], 0 offen offset:8
	buffer_load_dword v113, v114, s[0:3], 0 offen offset:12
	buffer_load_dword v120, v114, s[0:3], 0 offen
	buffer_load_dword v121, v114, s[0:3], 0 offen offset:4
	v_mov_b32_e32 v114, s61
	v_cmp_eq_u32_e32 vcc_lo, 0, v111
	s_add_i32 s61, s61, 16
	ds_read_b128 v[116:119], v114
	s_or_b32 s5, vcc_lo, s5
	s_waitcnt vmcnt(2) lgkmcnt(0)
	v_mul_f64 v[122:123], v[118:119], v[112:113]
	v_mul_f64 v[112:113], v[116:117], v[112:113]
	s_waitcnt vmcnt(0)
	v_fma_f64 v[116:117], v[116:117], v[120:121], -v[122:123]
	v_fma_f64 v[112:113], v[118:119], v[120:121], v[112:113]
	v_add_f64 v[1:2], v[1:2], v[116:117]
	v_add_f64 v[3:4], v[3:4], v[112:113]
	s_andn2_b32 exec_lo, exec_lo, s5
	s_cbranch_execnz .LBB115_72
; %bb.73:
	s_or_b32 exec_lo, exec_lo, s5
.LBB115_74:
	s_or_b32 exec_lo, exec_lo, s8
	v_mov_b32_e32 v111, 0
	ds_read_b128 v[111:114], v111 offset:672
	s_waitcnt lgkmcnt(0)
	v_mul_f64 v[116:117], v[3:4], v[113:114]
	v_mul_f64 v[113:114], v[1:2], v[113:114]
	v_fma_f64 v[1:2], v[1:2], v[111:112], -v[116:117]
	v_fma_f64 v[3:4], v[3:4], v[111:112], v[113:114]
	buffer_store_dword v2, off, s[0:3], 0 offset:676
	buffer_store_dword v1, off, s[0:3], 0 offset:672
	;; [unrolled: 1-line block ×4, first 2 shown]
.LBB115_75:
	s_or_b32 exec_lo, exec_lo, s6
	v_mov_b32_e32 v4, s18
	v_cmp_lt_u32_e64 s5, 41, v0
	s_clause 0x3
	buffer_load_dword v1, v4, s[0:3], 0 offen
	buffer_load_dword v2, v4, s[0:3], 0 offen offset:4
	buffer_load_dword v3, v4, s[0:3], 0 offen offset:8
	;; [unrolled: 1-line block ×3, first 2 shown]
	s_waitcnt vmcnt(0)
	ds_write_b128 v110, v[1:4]
	s_waitcnt lgkmcnt(0)
	s_waitcnt_vscnt null, 0x0
	s_barrier
	buffer_gl0_inv
	s_and_saveexec_b32 s6, s5
	s_cbranch_execz .LBB115_83
; %bb.76:
	ds_read_b128 v[1:4], v110
	s_andn2_b32 vcc_lo, exec_lo, s60
	s_cbranch_vccnz .LBB115_78
; %bb.77:
	s_clause 0x3
	buffer_load_dword v111, v109, s[0:3], 0 offen offset:8
	buffer_load_dword v112, v109, s[0:3], 0 offen offset:12
	buffer_load_dword v113, v109, s[0:3], 0 offen
	buffer_load_dword v114, v109, s[0:3], 0 offen offset:4
	s_waitcnt vmcnt(2) lgkmcnt(0)
	v_mul_f64 v[116:117], v[3:4], v[111:112]
	v_mul_f64 v[111:112], v[1:2], v[111:112]
	s_waitcnt vmcnt(0)
	v_fma_f64 v[1:2], v[1:2], v[113:114], -v[116:117]
	v_fma_f64 v[3:4], v[3:4], v[113:114], v[111:112]
.LBB115_78:
	s_and_saveexec_b32 s8, s4
	s_cbranch_execz .LBB115_82
; %bb.79:
	v_subrev_nc_u32_e32 v111, 42, v0
	s_movk_i32 s61, 0x5e0
	s_mov_b32 s4, 0
	s_mov_b32 s62, s17
	.p2align	6
.LBB115_80:                             ; =>This Inner Loop Header: Depth=1
	v_mov_b32_e32 v114, s62
	v_add_nc_u32_e32 v111, -1, v111
	s_add_i32 s62, s62, 16
	s_clause 0x3
	buffer_load_dword v112, v114, s[0:3], 0 offen offset:8
	buffer_load_dword v113, v114, s[0:3], 0 offen offset:12
	buffer_load_dword v120, v114, s[0:3], 0 offen
	buffer_load_dword v121, v114, s[0:3], 0 offen offset:4
	v_mov_b32_e32 v114, s61
	v_cmp_eq_u32_e32 vcc_lo, 0, v111
	s_add_i32 s61, s61, 16
	ds_read_b128 v[116:119], v114
	s_or_b32 s4, vcc_lo, s4
	s_waitcnt vmcnt(2) lgkmcnt(0)
	v_mul_f64 v[122:123], v[118:119], v[112:113]
	v_mul_f64 v[112:113], v[116:117], v[112:113]
	s_waitcnt vmcnt(0)
	v_fma_f64 v[116:117], v[116:117], v[120:121], -v[122:123]
	v_fma_f64 v[112:113], v[118:119], v[120:121], v[112:113]
	v_add_f64 v[1:2], v[1:2], v[116:117]
	v_add_f64 v[3:4], v[3:4], v[112:113]
	s_andn2_b32 exec_lo, exec_lo, s4
	s_cbranch_execnz .LBB115_80
; %bb.81:
	s_or_b32 exec_lo, exec_lo, s4
.LBB115_82:
	s_or_b32 exec_lo, exec_lo, s8
	v_mov_b32_e32 v111, 0
	ds_read_b128 v[111:114], v111 offset:656
	s_waitcnt lgkmcnt(0)
	v_mul_f64 v[116:117], v[3:4], v[113:114]
	v_mul_f64 v[113:114], v[1:2], v[113:114]
	v_fma_f64 v[1:2], v[1:2], v[111:112], -v[116:117]
	v_fma_f64 v[3:4], v[3:4], v[111:112], v[113:114]
	buffer_store_dword v2, off, s[0:3], 0 offset:660
	buffer_store_dword v1, off, s[0:3], 0 offset:656
	;; [unrolled: 1-line block ×4, first 2 shown]
.LBB115_83:
	s_or_b32 exec_lo, exec_lo, s6
	v_mov_b32_e32 v4, s19
	v_cmp_lt_u32_e64 s4, 40, v0
	s_clause 0x3
	buffer_load_dword v1, v4, s[0:3], 0 offen
	buffer_load_dword v2, v4, s[0:3], 0 offen offset:4
	buffer_load_dword v3, v4, s[0:3], 0 offen offset:8
	;; [unrolled: 1-line block ×3, first 2 shown]
	s_waitcnt vmcnt(0)
	ds_write_b128 v110, v[1:4]
	s_waitcnt lgkmcnt(0)
	s_waitcnt_vscnt null, 0x0
	s_barrier
	buffer_gl0_inv
	s_and_saveexec_b32 s6, s4
	s_cbranch_execz .LBB115_91
; %bb.84:
	ds_read_b128 v[1:4], v110
	s_andn2_b32 vcc_lo, exec_lo, s60
	s_cbranch_vccnz .LBB115_86
; %bb.85:
	s_clause 0x3
	buffer_load_dword v111, v109, s[0:3], 0 offen offset:8
	buffer_load_dword v112, v109, s[0:3], 0 offen offset:12
	buffer_load_dword v113, v109, s[0:3], 0 offen
	buffer_load_dword v114, v109, s[0:3], 0 offen offset:4
	s_waitcnt vmcnt(2) lgkmcnt(0)
	v_mul_f64 v[116:117], v[3:4], v[111:112]
	v_mul_f64 v[111:112], v[1:2], v[111:112]
	s_waitcnt vmcnt(0)
	v_fma_f64 v[1:2], v[1:2], v[113:114], -v[116:117]
	v_fma_f64 v[3:4], v[3:4], v[113:114], v[111:112]
.LBB115_86:
	s_and_saveexec_b32 s8, s5
	s_cbranch_execz .LBB115_90
; %bb.87:
	v_subrev_nc_u32_e32 v111, 41, v0
	s_movk_i32 s61, 0x5d0
	s_mov_b32 s5, 0
	s_mov_b32 s62, s18
	.p2align	6
.LBB115_88:                             ; =>This Inner Loop Header: Depth=1
	v_mov_b32_e32 v114, s62
	v_add_nc_u32_e32 v111, -1, v111
	s_add_i32 s62, s62, 16
	s_clause 0x3
	buffer_load_dword v112, v114, s[0:3], 0 offen offset:8
	buffer_load_dword v113, v114, s[0:3], 0 offen offset:12
	buffer_load_dword v120, v114, s[0:3], 0 offen
	buffer_load_dword v121, v114, s[0:3], 0 offen offset:4
	v_mov_b32_e32 v114, s61
	v_cmp_eq_u32_e32 vcc_lo, 0, v111
	s_add_i32 s61, s61, 16
	ds_read_b128 v[116:119], v114
	s_or_b32 s5, vcc_lo, s5
	s_waitcnt vmcnt(2) lgkmcnt(0)
	v_mul_f64 v[122:123], v[118:119], v[112:113]
	v_mul_f64 v[112:113], v[116:117], v[112:113]
	s_waitcnt vmcnt(0)
	v_fma_f64 v[116:117], v[116:117], v[120:121], -v[122:123]
	v_fma_f64 v[112:113], v[118:119], v[120:121], v[112:113]
	v_add_f64 v[1:2], v[1:2], v[116:117]
	v_add_f64 v[3:4], v[3:4], v[112:113]
	s_andn2_b32 exec_lo, exec_lo, s5
	s_cbranch_execnz .LBB115_88
; %bb.89:
	s_or_b32 exec_lo, exec_lo, s5
.LBB115_90:
	s_or_b32 exec_lo, exec_lo, s8
	v_mov_b32_e32 v111, 0
	ds_read_b128 v[111:114], v111 offset:640
	s_waitcnt lgkmcnt(0)
	v_mul_f64 v[116:117], v[3:4], v[113:114]
	v_mul_f64 v[113:114], v[1:2], v[113:114]
	v_fma_f64 v[1:2], v[1:2], v[111:112], -v[116:117]
	v_fma_f64 v[3:4], v[3:4], v[111:112], v[113:114]
	buffer_store_dword v2, off, s[0:3], 0 offset:644
	buffer_store_dword v1, off, s[0:3], 0 offset:640
	;; [unrolled: 1-line block ×4, first 2 shown]
.LBB115_91:
	s_or_b32 exec_lo, exec_lo, s6
	v_mov_b32_e32 v4, s20
	v_cmp_lt_u32_e64 s5, 39, v0
	s_clause 0x3
	buffer_load_dword v1, v4, s[0:3], 0 offen
	buffer_load_dword v2, v4, s[0:3], 0 offen offset:4
	buffer_load_dword v3, v4, s[0:3], 0 offen offset:8
	;; [unrolled: 1-line block ×3, first 2 shown]
	s_waitcnt vmcnt(0)
	ds_write_b128 v110, v[1:4]
	s_waitcnt lgkmcnt(0)
	s_waitcnt_vscnt null, 0x0
	s_barrier
	buffer_gl0_inv
	s_and_saveexec_b32 s6, s5
	s_cbranch_execz .LBB115_99
; %bb.92:
	ds_read_b128 v[1:4], v110
	s_andn2_b32 vcc_lo, exec_lo, s60
	s_cbranch_vccnz .LBB115_94
; %bb.93:
	s_clause 0x3
	buffer_load_dword v111, v109, s[0:3], 0 offen offset:8
	buffer_load_dword v112, v109, s[0:3], 0 offen offset:12
	buffer_load_dword v113, v109, s[0:3], 0 offen
	buffer_load_dword v114, v109, s[0:3], 0 offen offset:4
	s_waitcnt vmcnt(2) lgkmcnt(0)
	v_mul_f64 v[116:117], v[3:4], v[111:112]
	v_mul_f64 v[111:112], v[1:2], v[111:112]
	s_waitcnt vmcnt(0)
	v_fma_f64 v[1:2], v[1:2], v[113:114], -v[116:117]
	v_fma_f64 v[3:4], v[3:4], v[113:114], v[111:112]
.LBB115_94:
	s_and_saveexec_b32 s8, s4
	s_cbranch_execz .LBB115_98
; %bb.95:
	v_subrev_nc_u32_e32 v111, 40, v0
	s_movk_i32 s61, 0x5c0
	s_mov_b32 s4, 0
	s_mov_b32 s62, s19
	.p2align	6
.LBB115_96:                             ; =>This Inner Loop Header: Depth=1
	v_mov_b32_e32 v114, s62
	v_add_nc_u32_e32 v111, -1, v111
	s_add_i32 s62, s62, 16
	s_clause 0x3
	buffer_load_dword v112, v114, s[0:3], 0 offen offset:8
	buffer_load_dword v113, v114, s[0:3], 0 offen offset:12
	buffer_load_dword v120, v114, s[0:3], 0 offen
	buffer_load_dword v121, v114, s[0:3], 0 offen offset:4
	v_mov_b32_e32 v114, s61
	v_cmp_eq_u32_e32 vcc_lo, 0, v111
	s_add_i32 s61, s61, 16
	ds_read_b128 v[116:119], v114
	s_or_b32 s4, vcc_lo, s4
	s_waitcnt vmcnt(2) lgkmcnt(0)
	v_mul_f64 v[122:123], v[118:119], v[112:113]
	v_mul_f64 v[112:113], v[116:117], v[112:113]
	s_waitcnt vmcnt(0)
	v_fma_f64 v[116:117], v[116:117], v[120:121], -v[122:123]
	v_fma_f64 v[112:113], v[118:119], v[120:121], v[112:113]
	v_add_f64 v[1:2], v[1:2], v[116:117]
	v_add_f64 v[3:4], v[3:4], v[112:113]
	s_andn2_b32 exec_lo, exec_lo, s4
	s_cbranch_execnz .LBB115_96
; %bb.97:
	s_or_b32 exec_lo, exec_lo, s4
.LBB115_98:
	s_or_b32 exec_lo, exec_lo, s8
	v_mov_b32_e32 v111, 0
	ds_read_b128 v[111:114], v111 offset:624
	s_waitcnt lgkmcnt(0)
	v_mul_f64 v[116:117], v[3:4], v[113:114]
	v_mul_f64 v[113:114], v[1:2], v[113:114]
	v_fma_f64 v[1:2], v[1:2], v[111:112], -v[116:117]
	v_fma_f64 v[3:4], v[3:4], v[111:112], v[113:114]
	buffer_store_dword v2, off, s[0:3], 0 offset:628
	buffer_store_dword v1, off, s[0:3], 0 offset:624
	;; [unrolled: 1-line block ×4, first 2 shown]
.LBB115_99:
	s_or_b32 exec_lo, exec_lo, s6
	v_mov_b32_e32 v4, s21
	v_cmp_lt_u32_e64 s4, 38, v0
	s_clause 0x3
	buffer_load_dword v1, v4, s[0:3], 0 offen
	buffer_load_dword v2, v4, s[0:3], 0 offen offset:4
	buffer_load_dword v3, v4, s[0:3], 0 offen offset:8
	;; [unrolled: 1-line block ×3, first 2 shown]
	s_waitcnt vmcnt(0)
	ds_write_b128 v110, v[1:4]
	s_waitcnt lgkmcnt(0)
	s_waitcnt_vscnt null, 0x0
	s_barrier
	buffer_gl0_inv
	s_and_saveexec_b32 s6, s4
	s_cbranch_execz .LBB115_107
; %bb.100:
	ds_read_b128 v[1:4], v110
	s_andn2_b32 vcc_lo, exec_lo, s60
	s_cbranch_vccnz .LBB115_102
; %bb.101:
	s_clause 0x3
	buffer_load_dword v111, v109, s[0:3], 0 offen offset:8
	buffer_load_dword v112, v109, s[0:3], 0 offen offset:12
	buffer_load_dword v113, v109, s[0:3], 0 offen
	buffer_load_dword v114, v109, s[0:3], 0 offen offset:4
	s_waitcnt vmcnt(2) lgkmcnt(0)
	v_mul_f64 v[116:117], v[3:4], v[111:112]
	v_mul_f64 v[111:112], v[1:2], v[111:112]
	s_waitcnt vmcnt(0)
	v_fma_f64 v[1:2], v[1:2], v[113:114], -v[116:117]
	v_fma_f64 v[3:4], v[3:4], v[113:114], v[111:112]
.LBB115_102:
	s_and_saveexec_b32 s8, s5
	s_cbranch_execz .LBB115_106
; %bb.103:
	v_subrev_nc_u32_e32 v111, 39, v0
	s_movk_i32 s61, 0x5b0
	s_mov_b32 s5, 0
	s_mov_b32 s62, s20
	.p2align	6
.LBB115_104:                            ; =>This Inner Loop Header: Depth=1
	v_mov_b32_e32 v114, s62
	v_add_nc_u32_e32 v111, -1, v111
	s_add_i32 s62, s62, 16
	s_clause 0x3
	buffer_load_dword v112, v114, s[0:3], 0 offen offset:8
	buffer_load_dword v113, v114, s[0:3], 0 offen offset:12
	buffer_load_dword v120, v114, s[0:3], 0 offen
	buffer_load_dword v121, v114, s[0:3], 0 offen offset:4
	v_mov_b32_e32 v114, s61
	v_cmp_eq_u32_e32 vcc_lo, 0, v111
	s_add_i32 s61, s61, 16
	ds_read_b128 v[116:119], v114
	s_or_b32 s5, vcc_lo, s5
	s_waitcnt vmcnt(2) lgkmcnt(0)
	v_mul_f64 v[122:123], v[118:119], v[112:113]
	v_mul_f64 v[112:113], v[116:117], v[112:113]
	s_waitcnt vmcnt(0)
	v_fma_f64 v[116:117], v[116:117], v[120:121], -v[122:123]
	v_fma_f64 v[112:113], v[118:119], v[120:121], v[112:113]
	v_add_f64 v[1:2], v[1:2], v[116:117]
	v_add_f64 v[3:4], v[3:4], v[112:113]
	s_andn2_b32 exec_lo, exec_lo, s5
	s_cbranch_execnz .LBB115_104
; %bb.105:
	s_or_b32 exec_lo, exec_lo, s5
.LBB115_106:
	s_or_b32 exec_lo, exec_lo, s8
	v_mov_b32_e32 v111, 0
	ds_read_b128 v[111:114], v111 offset:608
	s_waitcnt lgkmcnt(0)
	v_mul_f64 v[116:117], v[3:4], v[113:114]
	v_mul_f64 v[113:114], v[1:2], v[113:114]
	v_fma_f64 v[1:2], v[1:2], v[111:112], -v[116:117]
	v_fma_f64 v[3:4], v[3:4], v[111:112], v[113:114]
	buffer_store_dword v2, off, s[0:3], 0 offset:612
	buffer_store_dword v1, off, s[0:3], 0 offset:608
	;; [unrolled: 1-line block ×4, first 2 shown]
.LBB115_107:
	s_or_b32 exec_lo, exec_lo, s6
	v_mov_b32_e32 v4, s22
	v_cmp_lt_u32_e64 s5, 37, v0
	s_clause 0x3
	buffer_load_dword v1, v4, s[0:3], 0 offen
	buffer_load_dword v2, v4, s[0:3], 0 offen offset:4
	buffer_load_dword v3, v4, s[0:3], 0 offen offset:8
	;; [unrolled: 1-line block ×3, first 2 shown]
	s_waitcnt vmcnt(0)
	ds_write_b128 v110, v[1:4]
	s_waitcnt lgkmcnt(0)
	s_waitcnt_vscnt null, 0x0
	s_barrier
	buffer_gl0_inv
	s_and_saveexec_b32 s6, s5
	s_cbranch_execz .LBB115_115
; %bb.108:
	ds_read_b128 v[1:4], v110
	s_andn2_b32 vcc_lo, exec_lo, s60
	s_cbranch_vccnz .LBB115_110
; %bb.109:
	s_clause 0x3
	buffer_load_dword v111, v109, s[0:3], 0 offen offset:8
	buffer_load_dword v112, v109, s[0:3], 0 offen offset:12
	buffer_load_dword v113, v109, s[0:3], 0 offen
	buffer_load_dword v114, v109, s[0:3], 0 offen offset:4
	s_waitcnt vmcnt(2) lgkmcnt(0)
	v_mul_f64 v[116:117], v[3:4], v[111:112]
	v_mul_f64 v[111:112], v[1:2], v[111:112]
	s_waitcnt vmcnt(0)
	v_fma_f64 v[1:2], v[1:2], v[113:114], -v[116:117]
	v_fma_f64 v[3:4], v[3:4], v[113:114], v[111:112]
.LBB115_110:
	s_and_saveexec_b32 s8, s4
	s_cbranch_execz .LBB115_114
; %bb.111:
	v_subrev_nc_u32_e32 v111, 38, v0
	s_movk_i32 s61, 0x5a0
	s_mov_b32 s4, 0
	s_mov_b32 s62, s21
	.p2align	6
.LBB115_112:                            ; =>This Inner Loop Header: Depth=1
	v_mov_b32_e32 v114, s62
	v_add_nc_u32_e32 v111, -1, v111
	s_add_i32 s62, s62, 16
	s_clause 0x3
	buffer_load_dword v112, v114, s[0:3], 0 offen offset:8
	buffer_load_dword v113, v114, s[0:3], 0 offen offset:12
	buffer_load_dword v120, v114, s[0:3], 0 offen
	buffer_load_dword v121, v114, s[0:3], 0 offen offset:4
	v_mov_b32_e32 v114, s61
	v_cmp_eq_u32_e32 vcc_lo, 0, v111
	s_add_i32 s61, s61, 16
	ds_read_b128 v[116:119], v114
	s_or_b32 s4, vcc_lo, s4
	s_waitcnt vmcnt(2) lgkmcnt(0)
	v_mul_f64 v[122:123], v[118:119], v[112:113]
	v_mul_f64 v[112:113], v[116:117], v[112:113]
	s_waitcnt vmcnt(0)
	v_fma_f64 v[116:117], v[116:117], v[120:121], -v[122:123]
	v_fma_f64 v[112:113], v[118:119], v[120:121], v[112:113]
	v_add_f64 v[1:2], v[1:2], v[116:117]
	v_add_f64 v[3:4], v[3:4], v[112:113]
	s_andn2_b32 exec_lo, exec_lo, s4
	s_cbranch_execnz .LBB115_112
; %bb.113:
	s_or_b32 exec_lo, exec_lo, s4
.LBB115_114:
	s_or_b32 exec_lo, exec_lo, s8
	v_mov_b32_e32 v111, 0
	ds_read_b128 v[111:114], v111 offset:592
	s_waitcnt lgkmcnt(0)
	v_mul_f64 v[116:117], v[3:4], v[113:114]
	v_mul_f64 v[113:114], v[1:2], v[113:114]
	v_fma_f64 v[1:2], v[1:2], v[111:112], -v[116:117]
	v_fma_f64 v[3:4], v[3:4], v[111:112], v[113:114]
	buffer_store_dword v2, off, s[0:3], 0 offset:596
	buffer_store_dword v1, off, s[0:3], 0 offset:592
	;; [unrolled: 1-line block ×4, first 2 shown]
.LBB115_115:
	s_or_b32 exec_lo, exec_lo, s6
	v_mov_b32_e32 v4, s23
	v_cmp_lt_u32_e64 s4, 36, v0
	s_clause 0x3
	buffer_load_dword v1, v4, s[0:3], 0 offen
	buffer_load_dword v2, v4, s[0:3], 0 offen offset:4
	buffer_load_dword v3, v4, s[0:3], 0 offen offset:8
	;; [unrolled: 1-line block ×3, first 2 shown]
	s_waitcnt vmcnt(0)
	ds_write_b128 v110, v[1:4]
	s_waitcnt lgkmcnt(0)
	s_waitcnt_vscnt null, 0x0
	s_barrier
	buffer_gl0_inv
	s_and_saveexec_b32 s6, s4
	s_cbranch_execz .LBB115_123
; %bb.116:
	ds_read_b128 v[1:4], v110
	s_andn2_b32 vcc_lo, exec_lo, s60
	s_cbranch_vccnz .LBB115_118
; %bb.117:
	s_clause 0x3
	buffer_load_dword v111, v109, s[0:3], 0 offen offset:8
	buffer_load_dword v112, v109, s[0:3], 0 offen offset:12
	buffer_load_dword v113, v109, s[0:3], 0 offen
	buffer_load_dword v114, v109, s[0:3], 0 offen offset:4
	s_waitcnt vmcnt(2) lgkmcnt(0)
	v_mul_f64 v[116:117], v[3:4], v[111:112]
	v_mul_f64 v[111:112], v[1:2], v[111:112]
	s_waitcnt vmcnt(0)
	v_fma_f64 v[1:2], v[1:2], v[113:114], -v[116:117]
	v_fma_f64 v[3:4], v[3:4], v[113:114], v[111:112]
.LBB115_118:
	s_and_saveexec_b32 s8, s5
	s_cbranch_execz .LBB115_122
; %bb.119:
	v_subrev_nc_u32_e32 v111, 37, v0
	s_movk_i32 s61, 0x590
	s_mov_b32 s5, 0
	s_mov_b32 s62, s22
	.p2align	6
.LBB115_120:                            ; =>This Inner Loop Header: Depth=1
	v_mov_b32_e32 v114, s62
	v_add_nc_u32_e32 v111, -1, v111
	s_add_i32 s62, s62, 16
	s_clause 0x3
	buffer_load_dword v112, v114, s[0:3], 0 offen offset:8
	buffer_load_dword v113, v114, s[0:3], 0 offen offset:12
	buffer_load_dword v120, v114, s[0:3], 0 offen
	buffer_load_dword v121, v114, s[0:3], 0 offen offset:4
	v_mov_b32_e32 v114, s61
	v_cmp_eq_u32_e32 vcc_lo, 0, v111
	s_add_i32 s61, s61, 16
	ds_read_b128 v[116:119], v114
	s_or_b32 s5, vcc_lo, s5
	s_waitcnt vmcnt(2) lgkmcnt(0)
	v_mul_f64 v[122:123], v[118:119], v[112:113]
	v_mul_f64 v[112:113], v[116:117], v[112:113]
	s_waitcnt vmcnt(0)
	v_fma_f64 v[116:117], v[116:117], v[120:121], -v[122:123]
	v_fma_f64 v[112:113], v[118:119], v[120:121], v[112:113]
	v_add_f64 v[1:2], v[1:2], v[116:117]
	v_add_f64 v[3:4], v[3:4], v[112:113]
	s_andn2_b32 exec_lo, exec_lo, s5
	s_cbranch_execnz .LBB115_120
; %bb.121:
	s_or_b32 exec_lo, exec_lo, s5
.LBB115_122:
	s_or_b32 exec_lo, exec_lo, s8
	v_mov_b32_e32 v111, 0
	ds_read_b128 v[111:114], v111 offset:576
	s_waitcnt lgkmcnt(0)
	v_mul_f64 v[116:117], v[3:4], v[113:114]
	v_mul_f64 v[113:114], v[1:2], v[113:114]
	v_fma_f64 v[1:2], v[1:2], v[111:112], -v[116:117]
	v_fma_f64 v[3:4], v[3:4], v[111:112], v[113:114]
	buffer_store_dword v2, off, s[0:3], 0 offset:580
	buffer_store_dword v1, off, s[0:3], 0 offset:576
	;; [unrolled: 1-line block ×4, first 2 shown]
.LBB115_123:
	s_or_b32 exec_lo, exec_lo, s6
	v_mov_b32_e32 v4, s24
	v_cmp_lt_u32_e64 s5, 35, v0
	s_clause 0x3
	buffer_load_dword v1, v4, s[0:3], 0 offen
	buffer_load_dword v2, v4, s[0:3], 0 offen offset:4
	buffer_load_dword v3, v4, s[0:3], 0 offen offset:8
	;; [unrolled: 1-line block ×3, first 2 shown]
	s_waitcnt vmcnt(0)
	ds_write_b128 v110, v[1:4]
	s_waitcnt lgkmcnt(0)
	s_waitcnt_vscnt null, 0x0
	s_barrier
	buffer_gl0_inv
	s_and_saveexec_b32 s6, s5
	s_cbranch_execz .LBB115_131
; %bb.124:
	ds_read_b128 v[1:4], v110
	s_andn2_b32 vcc_lo, exec_lo, s60
	s_cbranch_vccnz .LBB115_126
; %bb.125:
	s_clause 0x3
	buffer_load_dword v111, v109, s[0:3], 0 offen offset:8
	buffer_load_dword v112, v109, s[0:3], 0 offen offset:12
	buffer_load_dword v113, v109, s[0:3], 0 offen
	buffer_load_dword v114, v109, s[0:3], 0 offen offset:4
	s_waitcnt vmcnt(2) lgkmcnt(0)
	v_mul_f64 v[116:117], v[3:4], v[111:112]
	v_mul_f64 v[111:112], v[1:2], v[111:112]
	s_waitcnt vmcnt(0)
	v_fma_f64 v[1:2], v[1:2], v[113:114], -v[116:117]
	v_fma_f64 v[3:4], v[3:4], v[113:114], v[111:112]
.LBB115_126:
	s_and_saveexec_b32 s8, s4
	s_cbranch_execz .LBB115_130
; %bb.127:
	v_subrev_nc_u32_e32 v111, 36, v0
	s_movk_i32 s61, 0x580
	s_mov_b32 s4, 0
	s_mov_b32 s62, s23
	.p2align	6
.LBB115_128:                            ; =>This Inner Loop Header: Depth=1
	v_mov_b32_e32 v114, s62
	v_add_nc_u32_e32 v111, -1, v111
	s_add_i32 s62, s62, 16
	s_clause 0x3
	buffer_load_dword v112, v114, s[0:3], 0 offen offset:8
	buffer_load_dword v113, v114, s[0:3], 0 offen offset:12
	buffer_load_dword v120, v114, s[0:3], 0 offen
	buffer_load_dword v121, v114, s[0:3], 0 offen offset:4
	v_mov_b32_e32 v114, s61
	v_cmp_eq_u32_e32 vcc_lo, 0, v111
	s_add_i32 s61, s61, 16
	ds_read_b128 v[116:119], v114
	s_or_b32 s4, vcc_lo, s4
	s_waitcnt vmcnt(2) lgkmcnt(0)
	v_mul_f64 v[122:123], v[118:119], v[112:113]
	v_mul_f64 v[112:113], v[116:117], v[112:113]
	s_waitcnt vmcnt(0)
	v_fma_f64 v[116:117], v[116:117], v[120:121], -v[122:123]
	v_fma_f64 v[112:113], v[118:119], v[120:121], v[112:113]
	v_add_f64 v[1:2], v[1:2], v[116:117]
	v_add_f64 v[3:4], v[3:4], v[112:113]
	s_andn2_b32 exec_lo, exec_lo, s4
	s_cbranch_execnz .LBB115_128
; %bb.129:
	s_or_b32 exec_lo, exec_lo, s4
.LBB115_130:
	s_or_b32 exec_lo, exec_lo, s8
	v_mov_b32_e32 v111, 0
	ds_read_b128 v[111:114], v111 offset:560
	s_waitcnt lgkmcnt(0)
	v_mul_f64 v[116:117], v[3:4], v[113:114]
	v_mul_f64 v[113:114], v[1:2], v[113:114]
	v_fma_f64 v[1:2], v[1:2], v[111:112], -v[116:117]
	v_fma_f64 v[3:4], v[3:4], v[111:112], v[113:114]
	buffer_store_dword v2, off, s[0:3], 0 offset:564
	buffer_store_dword v1, off, s[0:3], 0 offset:560
	buffer_store_dword v4, off, s[0:3], 0 offset:572
	buffer_store_dword v3, off, s[0:3], 0 offset:568
.LBB115_131:
	s_or_b32 exec_lo, exec_lo, s6
	v_mov_b32_e32 v4, s25
	v_cmp_lt_u32_e64 s4, 34, v0
	s_clause 0x3
	buffer_load_dword v1, v4, s[0:3], 0 offen
	buffer_load_dword v2, v4, s[0:3], 0 offen offset:4
	buffer_load_dword v3, v4, s[0:3], 0 offen offset:8
	;; [unrolled: 1-line block ×3, first 2 shown]
	s_waitcnt vmcnt(0)
	ds_write_b128 v110, v[1:4]
	s_waitcnt lgkmcnt(0)
	s_waitcnt_vscnt null, 0x0
	s_barrier
	buffer_gl0_inv
	s_and_saveexec_b32 s6, s4
	s_cbranch_execz .LBB115_139
; %bb.132:
	ds_read_b128 v[1:4], v110
	s_andn2_b32 vcc_lo, exec_lo, s60
	s_cbranch_vccnz .LBB115_134
; %bb.133:
	s_clause 0x3
	buffer_load_dword v111, v109, s[0:3], 0 offen offset:8
	buffer_load_dword v112, v109, s[0:3], 0 offen offset:12
	buffer_load_dword v113, v109, s[0:3], 0 offen
	buffer_load_dword v114, v109, s[0:3], 0 offen offset:4
	s_waitcnt vmcnt(2) lgkmcnt(0)
	v_mul_f64 v[116:117], v[3:4], v[111:112]
	v_mul_f64 v[111:112], v[1:2], v[111:112]
	s_waitcnt vmcnt(0)
	v_fma_f64 v[1:2], v[1:2], v[113:114], -v[116:117]
	v_fma_f64 v[3:4], v[3:4], v[113:114], v[111:112]
.LBB115_134:
	s_and_saveexec_b32 s8, s5
	s_cbranch_execz .LBB115_138
; %bb.135:
	v_subrev_nc_u32_e32 v111, 35, v0
	s_movk_i32 s61, 0x570
	s_mov_b32 s5, 0
	s_mov_b32 s62, s24
	.p2align	6
.LBB115_136:                            ; =>This Inner Loop Header: Depth=1
	v_mov_b32_e32 v114, s62
	v_add_nc_u32_e32 v111, -1, v111
	s_add_i32 s62, s62, 16
	s_clause 0x3
	buffer_load_dword v112, v114, s[0:3], 0 offen offset:8
	buffer_load_dword v113, v114, s[0:3], 0 offen offset:12
	buffer_load_dword v120, v114, s[0:3], 0 offen
	buffer_load_dword v121, v114, s[0:3], 0 offen offset:4
	v_mov_b32_e32 v114, s61
	v_cmp_eq_u32_e32 vcc_lo, 0, v111
	s_add_i32 s61, s61, 16
	ds_read_b128 v[116:119], v114
	s_or_b32 s5, vcc_lo, s5
	s_waitcnt vmcnt(2) lgkmcnt(0)
	v_mul_f64 v[122:123], v[118:119], v[112:113]
	v_mul_f64 v[112:113], v[116:117], v[112:113]
	s_waitcnt vmcnt(0)
	v_fma_f64 v[116:117], v[116:117], v[120:121], -v[122:123]
	v_fma_f64 v[112:113], v[118:119], v[120:121], v[112:113]
	v_add_f64 v[1:2], v[1:2], v[116:117]
	v_add_f64 v[3:4], v[3:4], v[112:113]
	s_andn2_b32 exec_lo, exec_lo, s5
	s_cbranch_execnz .LBB115_136
; %bb.137:
	s_or_b32 exec_lo, exec_lo, s5
.LBB115_138:
	s_or_b32 exec_lo, exec_lo, s8
	v_mov_b32_e32 v111, 0
	ds_read_b128 v[111:114], v111 offset:544
	s_waitcnt lgkmcnt(0)
	v_mul_f64 v[116:117], v[3:4], v[113:114]
	v_mul_f64 v[113:114], v[1:2], v[113:114]
	v_fma_f64 v[1:2], v[1:2], v[111:112], -v[116:117]
	v_fma_f64 v[3:4], v[3:4], v[111:112], v[113:114]
	buffer_store_dword v2, off, s[0:3], 0 offset:548
	buffer_store_dword v1, off, s[0:3], 0 offset:544
	buffer_store_dword v4, off, s[0:3], 0 offset:556
	buffer_store_dword v3, off, s[0:3], 0 offset:552
.LBB115_139:
	s_or_b32 exec_lo, exec_lo, s6
	v_mov_b32_e32 v4, s26
	v_cmp_lt_u32_e64 s5, 33, v0
	s_clause 0x3
	buffer_load_dword v1, v4, s[0:3], 0 offen
	buffer_load_dword v2, v4, s[0:3], 0 offen offset:4
	buffer_load_dword v3, v4, s[0:3], 0 offen offset:8
	;; [unrolled: 1-line block ×3, first 2 shown]
	s_waitcnt vmcnt(0)
	ds_write_b128 v110, v[1:4]
	s_waitcnt lgkmcnt(0)
	s_waitcnt_vscnt null, 0x0
	s_barrier
	buffer_gl0_inv
	s_and_saveexec_b32 s6, s5
	s_cbranch_execz .LBB115_147
; %bb.140:
	ds_read_b128 v[1:4], v110
	s_andn2_b32 vcc_lo, exec_lo, s60
	s_cbranch_vccnz .LBB115_142
; %bb.141:
	s_clause 0x3
	buffer_load_dword v111, v109, s[0:3], 0 offen offset:8
	buffer_load_dword v112, v109, s[0:3], 0 offen offset:12
	buffer_load_dword v113, v109, s[0:3], 0 offen
	buffer_load_dword v114, v109, s[0:3], 0 offen offset:4
	s_waitcnt vmcnt(2) lgkmcnt(0)
	v_mul_f64 v[116:117], v[3:4], v[111:112]
	v_mul_f64 v[111:112], v[1:2], v[111:112]
	s_waitcnt vmcnt(0)
	v_fma_f64 v[1:2], v[1:2], v[113:114], -v[116:117]
	v_fma_f64 v[3:4], v[3:4], v[113:114], v[111:112]
.LBB115_142:
	s_and_saveexec_b32 s8, s4
	s_cbranch_execz .LBB115_146
; %bb.143:
	v_subrev_nc_u32_e32 v111, 34, v0
	s_movk_i32 s61, 0x560
	s_mov_b32 s4, 0
	s_mov_b32 s62, s25
	.p2align	6
.LBB115_144:                            ; =>This Inner Loop Header: Depth=1
	v_mov_b32_e32 v114, s62
	v_add_nc_u32_e32 v111, -1, v111
	s_add_i32 s62, s62, 16
	s_clause 0x3
	buffer_load_dword v112, v114, s[0:3], 0 offen offset:8
	buffer_load_dword v113, v114, s[0:3], 0 offen offset:12
	buffer_load_dword v120, v114, s[0:3], 0 offen
	buffer_load_dword v121, v114, s[0:3], 0 offen offset:4
	v_mov_b32_e32 v114, s61
	v_cmp_eq_u32_e32 vcc_lo, 0, v111
	s_add_i32 s61, s61, 16
	ds_read_b128 v[116:119], v114
	s_or_b32 s4, vcc_lo, s4
	s_waitcnt vmcnt(2) lgkmcnt(0)
	v_mul_f64 v[122:123], v[118:119], v[112:113]
	v_mul_f64 v[112:113], v[116:117], v[112:113]
	s_waitcnt vmcnt(0)
	v_fma_f64 v[116:117], v[116:117], v[120:121], -v[122:123]
	v_fma_f64 v[112:113], v[118:119], v[120:121], v[112:113]
	v_add_f64 v[1:2], v[1:2], v[116:117]
	v_add_f64 v[3:4], v[3:4], v[112:113]
	s_andn2_b32 exec_lo, exec_lo, s4
	s_cbranch_execnz .LBB115_144
; %bb.145:
	s_or_b32 exec_lo, exec_lo, s4
.LBB115_146:
	s_or_b32 exec_lo, exec_lo, s8
	v_mov_b32_e32 v111, 0
	ds_read_b128 v[111:114], v111 offset:528
	s_waitcnt lgkmcnt(0)
	v_mul_f64 v[116:117], v[3:4], v[113:114]
	v_mul_f64 v[113:114], v[1:2], v[113:114]
	v_fma_f64 v[1:2], v[1:2], v[111:112], -v[116:117]
	v_fma_f64 v[3:4], v[3:4], v[111:112], v[113:114]
	buffer_store_dword v2, off, s[0:3], 0 offset:532
	buffer_store_dword v1, off, s[0:3], 0 offset:528
	;; [unrolled: 1-line block ×4, first 2 shown]
.LBB115_147:
	s_or_b32 exec_lo, exec_lo, s6
	v_mov_b32_e32 v4, s27
	v_cmp_lt_u32_e64 s4, 32, v0
	s_clause 0x3
	buffer_load_dword v1, v4, s[0:3], 0 offen
	buffer_load_dword v2, v4, s[0:3], 0 offen offset:4
	buffer_load_dword v3, v4, s[0:3], 0 offen offset:8
	;; [unrolled: 1-line block ×3, first 2 shown]
	s_waitcnt vmcnt(0)
	ds_write_b128 v110, v[1:4]
	s_waitcnt lgkmcnt(0)
	s_waitcnt_vscnt null, 0x0
	s_barrier
	buffer_gl0_inv
	s_and_saveexec_b32 s6, s4
	s_cbranch_execz .LBB115_155
; %bb.148:
	ds_read_b128 v[1:4], v110
	s_andn2_b32 vcc_lo, exec_lo, s60
	s_cbranch_vccnz .LBB115_150
; %bb.149:
	s_clause 0x3
	buffer_load_dword v111, v109, s[0:3], 0 offen offset:8
	buffer_load_dword v112, v109, s[0:3], 0 offen offset:12
	buffer_load_dword v113, v109, s[0:3], 0 offen
	buffer_load_dword v114, v109, s[0:3], 0 offen offset:4
	s_waitcnt vmcnt(2) lgkmcnt(0)
	v_mul_f64 v[116:117], v[3:4], v[111:112]
	v_mul_f64 v[111:112], v[1:2], v[111:112]
	s_waitcnt vmcnt(0)
	v_fma_f64 v[1:2], v[1:2], v[113:114], -v[116:117]
	v_fma_f64 v[3:4], v[3:4], v[113:114], v[111:112]
.LBB115_150:
	s_and_saveexec_b32 s8, s5
	s_cbranch_execz .LBB115_154
; %bb.151:
	v_subrev_nc_u32_e32 v111, 33, v0
	s_movk_i32 s61, 0x550
	s_mov_b32 s5, 0
	s_mov_b32 s62, s26
	.p2align	6
.LBB115_152:                            ; =>This Inner Loop Header: Depth=1
	v_mov_b32_e32 v114, s62
	v_add_nc_u32_e32 v111, -1, v111
	s_add_i32 s62, s62, 16
	s_clause 0x3
	buffer_load_dword v112, v114, s[0:3], 0 offen offset:8
	buffer_load_dword v113, v114, s[0:3], 0 offen offset:12
	buffer_load_dword v120, v114, s[0:3], 0 offen
	buffer_load_dword v121, v114, s[0:3], 0 offen offset:4
	v_mov_b32_e32 v114, s61
	v_cmp_eq_u32_e32 vcc_lo, 0, v111
	s_add_i32 s61, s61, 16
	ds_read_b128 v[116:119], v114
	s_or_b32 s5, vcc_lo, s5
	s_waitcnt vmcnt(2) lgkmcnt(0)
	v_mul_f64 v[122:123], v[118:119], v[112:113]
	v_mul_f64 v[112:113], v[116:117], v[112:113]
	s_waitcnt vmcnt(0)
	v_fma_f64 v[116:117], v[116:117], v[120:121], -v[122:123]
	v_fma_f64 v[112:113], v[118:119], v[120:121], v[112:113]
	v_add_f64 v[1:2], v[1:2], v[116:117]
	v_add_f64 v[3:4], v[3:4], v[112:113]
	s_andn2_b32 exec_lo, exec_lo, s5
	s_cbranch_execnz .LBB115_152
; %bb.153:
	s_or_b32 exec_lo, exec_lo, s5
.LBB115_154:
	s_or_b32 exec_lo, exec_lo, s8
	v_mov_b32_e32 v111, 0
	ds_read_b128 v[111:114], v111 offset:512
	s_waitcnt lgkmcnt(0)
	v_mul_f64 v[116:117], v[3:4], v[113:114]
	v_mul_f64 v[113:114], v[1:2], v[113:114]
	v_fma_f64 v[1:2], v[1:2], v[111:112], -v[116:117]
	v_fma_f64 v[3:4], v[3:4], v[111:112], v[113:114]
	buffer_store_dword v2, off, s[0:3], 0 offset:516
	buffer_store_dword v1, off, s[0:3], 0 offset:512
	;; [unrolled: 1-line block ×4, first 2 shown]
.LBB115_155:
	s_or_b32 exec_lo, exec_lo, s6
	v_mov_b32_e32 v4, s28
	v_cmp_lt_u32_e64 s5, 31, v0
	s_clause 0x3
	buffer_load_dword v1, v4, s[0:3], 0 offen
	buffer_load_dword v2, v4, s[0:3], 0 offen offset:4
	buffer_load_dword v3, v4, s[0:3], 0 offen offset:8
	;; [unrolled: 1-line block ×3, first 2 shown]
	s_waitcnt vmcnt(0)
	ds_write_b128 v110, v[1:4]
	s_waitcnt lgkmcnt(0)
	s_waitcnt_vscnt null, 0x0
	s_barrier
	buffer_gl0_inv
	s_and_saveexec_b32 s6, s5
	s_cbranch_execz .LBB115_163
; %bb.156:
	ds_read_b128 v[1:4], v110
	s_andn2_b32 vcc_lo, exec_lo, s60
	s_cbranch_vccnz .LBB115_158
; %bb.157:
	s_clause 0x3
	buffer_load_dword v111, v109, s[0:3], 0 offen offset:8
	buffer_load_dword v112, v109, s[0:3], 0 offen offset:12
	buffer_load_dword v113, v109, s[0:3], 0 offen
	buffer_load_dword v114, v109, s[0:3], 0 offen offset:4
	s_waitcnt vmcnt(2) lgkmcnt(0)
	v_mul_f64 v[116:117], v[3:4], v[111:112]
	v_mul_f64 v[111:112], v[1:2], v[111:112]
	s_waitcnt vmcnt(0)
	v_fma_f64 v[1:2], v[1:2], v[113:114], -v[116:117]
	v_fma_f64 v[3:4], v[3:4], v[113:114], v[111:112]
.LBB115_158:
	s_and_saveexec_b32 s8, s4
	s_cbranch_execz .LBB115_162
; %bb.159:
	v_subrev_nc_u32_e32 v111, 32, v0
	s_movk_i32 s61, 0x540
	s_mov_b32 s4, 0
	s_mov_b32 s62, s27
	.p2align	6
.LBB115_160:                            ; =>This Inner Loop Header: Depth=1
	v_mov_b32_e32 v114, s62
	v_add_nc_u32_e32 v111, -1, v111
	s_add_i32 s62, s62, 16
	s_clause 0x3
	buffer_load_dword v112, v114, s[0:3], 0 offen offset:8
	buffer_load_dword v113, v114, s[0:3], 0 offen offset:12
	buffer_load_dword v120, v114, s[0:3], 0 offen
	buffer_load_dword v121, v114, s[0:3], 0 offen offset:4
	v_mov_b32_e32 v114, s61
	v_cmp_eq_u32_e32 vcc_lo, 0, v111
	s_add_i32 s61, s61, 16
	ds_read_b128 v[116:119], v114
	s_or_b32 s4, vcc_lo, s4
	s_waitcnt vmcnt(2) lgkmcnt(0)
	v_mul_f64 v[122:123], v[118:119], v[112:113]
	v_mul_f64 v[112:113], v[116:117], v[112:113]
	s_waitcnt vmcnt(0)
	v_fma_f64 v[116:117], v[116:117], v[120:121], -v[122:123]
	v_fma_f64 v[112:113], v[118:119], v[120:121], v[112:113]
	v_add_f64 v[1:2], v[1:2], v[116:117]
	v_add_f64 v[3:4], v[3:4], v[112:113]
	s_andn2_b32 exec_lo, exec_lo, s4
	s_cbranch_execnz .LBB115_160
; %bb.161:
	s_or_b32 exec_lo, exec_lo, s4
.LBB115_162:
	s_or_b32 exec_lo, exec_lo, s8
	v_mov_b32_e32 v111, 0
	ds_read_b128 v[111:114], v111 offset:496
	s_waitcnt lgkmcnt(0)
	v_mul_f64 v[116:117], v[3:4], v[113:114]
	v_mul_f64 v[113:114], v[1:2], v[113:114]
	v_fma_f64 v[1:2], v[1:2], v[111:112], -v[116:117]
	v_fma_f64 v[3:4], v[3:4], v[111:112], v[113:114]
	buffer_store_dword v2, off, s[0:3], 0 offset:500
	buffer_store_dword v1, off, s[0:3], 0 offset:496
	;; [unrolled: 1-line block ×4, first 2 shown]
.LBB115_163:
	s_or_b32 exec_lo, exec_lo, s6
	v_mov_b32_e32 v4, s29
	v_cmp_lt_u32_e64 s4, 30, v0
	s_clause 0x3
	buffer_load_dword v1, v4, s[0:3], 0 offen
	buffer_load_dword v2, v4, s[0:3], 0 offen offset:4
	buffer_load_dword v3, v4, s[0:3], 0 offen offset:8
	;; [unrolled: 1-line block ×3, first 2 shown]
	s_waitcnt vmcnt(0)
	ds_write_b128 v110, v[1:4]
	s_waitcnt lgkmcnt(0)
	s_waitcnt_vscnt null, 0x0
	s_barrier
	buffer_gl0_inv
	s_and_saveexec_b32 s6, s4
	s_cbranch_execz .LBB115_171
; %bb.164:
	ds_read_b128 v[1:4], v110
	s_andn2_b32 vcc_lo, exec_lo, s60
	s_cbranch_vccnz .LBB115_166
; %bb.165:
	s_clause 0x3
	buffer_load_dword v111, v109, s[0:3], 0 offen offset:8
	buffer_load_dword v112, v109, s[0:3], 0 offen offset:12
	buffer_load_dword v113, v109, s[0:3], 0 offen
	buffer_load_dword v114, v109, s[0:3], 0 offen offset:4
	s_waitcnt vmcnt(2) lgkmcnt(0)
	v_mul_f64 v[116:117], v[3:4], v[111:112]
	v_mul_f64 v[111:112], v[1:2], v[111:112]
	s_waitcnt vmcnt(0)
	v_fma_f64 v[1:2], v[1:2], v[113:114], -v[116:117]
	v_fma_f64 v[3:4], v[3:4], v[113:114], v[111:112]
.LBB115_166:
	s_and_saveexec_b32 s8, s5
	s_cbranch_execz .LBB115_170
; %bb.167:
	v_subrev_nc_u32_e32 v111, 31, v0
	s_movk_i32 s61, 0x530
	s_mov_b32 s5, 0
	s_mov_b32 s62, s28
	.p2align	6
.LBB115_168:                            ; =>This Inner Loop Header: Depth=1
	v_mov_b32_e32 v114, s62
	v_add_nc_u32_e32 v111, -1, v111
	s_add_i32 s62, s62, 16
	s_clause 0x3
	buffer_load_dword v112, v114, s[0:3], 0 offen offset:8
	buffer_load_dword v113, v114, s[0:3], 0 offen offset:12
	buffer_load_dword v120, v114, s[0:3], 0 offen
	buffer_load_dword v121, v114, s[0:3], 0 offen offset:4
	v_mov_b32_e32 v114, s61
	v_cmp_eq_u32_e32 vcc_lo, 0, v111
	s_add_i32 s61, s61, 16
	ds_read_b128 v[116:119], v114
	s_or_b32 s5, vcc_lo, s5
	s_waitcnt vmcnt(2) lgkmcnt(0)
	v_mul_f64 v[122:123], v[118:119], v[112:113]
	v_mul_f64 v[112:113], v[116:117], v[112:113]
	s_waitcnt vmcnt(0)
	v_fma_f64 v[116:117], v[116:117], v[120:121], -v[122:123]
	v_fma_f64 v[112:113], v[118:119], v[120:121], v[112:113]
	v_add_f64 v[1:2], v[1:2], v[116:117]
	v_add_f64 v[3:4], v[3:4], v[112:113]
	s_andn2_b32 exec_lo, exec_lo, s5
	s_cbranch_execnz .LBB115_168
; %bb.169:
	s_or_b32 exec_lo, exec_lo, s5
.LBB115_170:
	s_or_b32 exec_lo, exec_lo, s8
	v_mov_b32_e32 v111, 0
	ds_read_b128 v[111:114], v111 offset:480
	s_waitcnt lgkmcnt(0)
	v_mul_f64 v[116:117], v[3:4], v[113:114]
	v_mul_f64 v[113:114], v[1:2], v[113:114]
	v_fma_f64 v[1:2], v[1:2], v[111:112], -v[116:117]
	v_fma_f64 v[3:4], v[3:4], v[111:112], v[113:114]
	buffer_store_dword v2, off, s[0:3], 0 offset:484
	buffer_store_dword v1, off, s[0:3], 0 offset:480
	;; [unrolled: 1-line block ×4, first 2 shown]
.LBB115_171:
	s_or_b32 exec_lo, exec_lo, s6
	v_mov_b32_e32 v4, s30
	v_cmp_lt_u32_e64 s5, 29, v0
	s_clause 0x3
	buffer_load_dword v1, v4, s[0:3], 0 offen
	buffer_load_dword v2, v4, s[0:3], 0 offen offset:4
	buffer_load_dword v3, v4, s[0:3], 0 offen offset:8
	;; [unrolled: 1-line block ×3, first 2 shown]
	s_waitcnt vmcnt(0)
	ds_write_b128 v110, v[1:4]
	s_waitcnt lgkmcnt(0)
	s_waitcnt_vscnt null, 0x0
	s_barrier
	buffer_gl0_inv
	s_and_saveexec_b32 s6, s5
	s_cbranch_execz .LBB115_179
; %bb.172:
	ds_read_b128 v[1:4], v110
	s_andn2_b32 vcc_lo, exec_lo, s60
	s_cbranch_vccnz .LBB115_174
; %bb.173:
	s_clause 0x3
	buffer_load_dword v111, v109, s[0:3], 0 offen offset:8
	buffer_load_dword v112, v109, s[0:3], 0 offen offset:12
	buffer_load_dword v113, v109, s[0:3], 0 offen
	buffer_load_dword v114, v109, s[0:3], 0 offen offset:4
	s_waitcnt vmcnt(2) lgkmcnt(0)
	v_mul_f64 v[116:117], v[3:4], v[111:112]
	v_mul_f64 v[111:112], v[1:2], v[111:112]
	s_waitcnt vmcnt(0)
	v_fma_f64 v[1:2], v[1:2], v[113:114], -v[116:117]
	v_fma_f64 v[3:4], v[3:4], v[113:114], v[111:112]
.LBB115_174:
	s_and_saveexec_b32 s8, s4
	s_cbranch_execz .LBB115_178
; %bb.175:
	v_subrev_nc_u32_e32 v111, 30, v0
	s_movk_i32 s61, 0x520
	s_mov_b32 s4, 0
	s_mov_b32 s62, s29
	.p2align	6
.LBB115_176:                            ; =>This Inner Loop Header: Depth=1
	v_mov_b32_e32 v114, s62
	v_add_nc_u32_e32 v111, -1, v111
	s_add_i32 s62, s62, 16
	s_clause 0x3
	buffer_load_dword v112, v114, s[0:3], 0 offen offset:8
	buffer_load_dword v113, v114, s[0:3], 0 offen offset:12
	buffer_load_dword v120, v114, s[0:3], 0 offen
	buffer_load_dword v121, v114, s[0:3], 0 offen offset:4
	v_mov_b32_e32 v114, s61
	v_cmp_eq_u32_e32 vcc_lo, 0, v111
	s_add_i32 s61, s61, 16
	ds_read_b128 v[116:119], v114
	s_or_b32 s4, vcc_lo, s4
	s_waitcnt vmcnt(2) lgkmcnt(0)
	v_mul_f64 v[122:123], v[118:119], v[112:113]
	v_mul_f64 v[112:113], v[116:117], v[112:113]
	s_waitcnt vmcnt(0)
	v_fma_f64 v[116:117], v[116:117], v[120:121], -v[122:123]
	v_fma_f64 v[112:113], v[118:119], v[120:121], v[112:113]
	v_add_f64 v[1:2], v[1:2], v[116:117]
	v_add_f64 v[3:4], v[3:4], v[112:113]
	s_andn2_b32 exec_lo, exec_lo, s4
	s_cbranch_execnz .LBB115_176
; %bb.177:
	s_or_b32 exec_lo, exec_lo, s4
.LBB115_178:
	s_or_b32 exec_lo, exec_lo, s8
	v_mov_b32_e32 v111, 0
	ds_read_b128 v[111:114], v111 offset:464
	s_waitcnt lgkmcnt(0)
	v_mul_f64 v[116:117], v[3:4], v[113:114]
	v_mul_f64 v[113:114], v[1:2], v[113:114]
	v_fma_f64 v[1:2], v[1:2], v[111:112], -v[116:117]
	v_fma_f64 v[3:4], v[3:4], v[111:112], v[113:114]
	buffer_store_dword v2, off, s[0:3], 0 offset:468
	buffer_store_dword v1, off, s[0:3], 0 offset:464
	;; [unrolled: 1-line block ×4, first 2 shown]
.LBB115_179:
	s_or_b32 exec_lo, exec_lo, s6
	v_mov_b32_e32 v4, s31
	v_cmp_lt_u32_e64 s4, 28, v0
	s_clause 0x3
	buffer_load_dword v1, v4, s[0:3], 0 offen
	buffer_load_dword v2, v4, s[0:3], 0 offen offset:4
	buffer_load_dword v3, v4, s[0:3], 0 offen offset:8
	;; [unrolled: 1-line block ×3, first 2 shown]
	s_waitcnt vmcnt(0)
	ds_write_b128 v110, v[1:4]
	s_waitcnt lgkmcnt(0)
	s_waitcnt_vscnt null, 0x0
	s_barrier
	buffer_gl0_inv
	s_and_saveexec_b32 s6, s4
	s_cbranch_execz .LBB115_187
; %bb.180:
	ds_read_b128 v[1:4], v110
	s_andn2_b32 vcc_lo, exec_lo, s60
	s_cbranch_vccnz .LBB115_182
; %bb.181:
	s_clause 0x3
	buffer_load_dword v111, v109, s[0:3], 0 offen offset:8
	buffer_load_dword v112, v109, s[0:3], 0 offen offset:12
	buffer_load_dword v113, v109, s[0:3], 0 offen
	buffer_load_dword v114, v109, s[0:3], 0 offen offset:4
	s_waitcnt vmcnt(2) lgkmcnt(0)
	v_mul_f64 v[116:117], v[3:4], v[111:112]
	v_mul_f64 v[111:112], v[1:2], v[111:112]
	s_waitcnt vmcnt(0)
	v_fma_f64 v[1:2], v[1:2], v[113:114], -v[116:117]
	v_fma_f64 v[3:4], v[3:4], v[113:114], v[111:112]
.LBB115_182:
	s_and_saveexec_b32 s8, s5
	s_cbranch_execz .LBB115_186
; %bb.183:
	v_subrev_nc_u32_e32 v111, 29, v0
	s_movk_i32 s61, 0x510
	s_mov_b32 s5, 0
	s_mov_b32 s62, s30
	.p2align	6
.LBB115_184:                            ; =>This Inner Loop Header: Depth=1
	v_mov_b32_e32 v114, s62
	v_add_nc_u32_e32 v111, -1, v111
	s_add_i32 s62, s62, 16
	s_clause 0x3
	buffer_load_dword v112, v114, s[0:3], 0 offen offset:8
	buffer_load_dword v113, v114, s[0:3], 0 offen offset:12
	buffer_load_dword v120, v114, s[0:3], 0 offen
	buffer_load_dword v121, v114, s[0:3], 0 offen offset:4
	v_mov_b32_e32 v114, s61
	v_cmp_eq_u32_e32 vcc_lo, 0, v111
	s_add_i32 s61, s61, 16
	ds_read_b128 v[116:119], v114
	s_or_b32 s5, vcc_lo, s5
	s_waitcnt vmcnt(2) lgkmcnt(0)
	v_mul_f64 v[122:123], v[118:119], v[112:113]
	v_mul_f64 v[112:113], v[116:117], v[112:113]
	s_waitcnt vmcnt(0)
	v_fma_f64 v[116:117], v[116:117], v[120:121], -v[122:123]
	v_fma_f64 v[112:113], v[118:119], v[120:121], v[112:113]
	v_add_f64 v[1:2], v[1:2], v[116:117]
	v_add_f64 v[3:4], v[3:4], v[112:113]
	s_andn2_b32 exec_lo, exec_lo, s5
	s_cbranch_execnz .LBB115_184
; %bb.185:
	s_or_b32 exec_lo, exec_lo, s5
.LBB115_186:
	s_or_b32 exec_lo, exec_lo, s8
	v_mov_b32_e32 v111, 0
	ds_read_b128 v[111:114], v111 offset:448
	s_waitcnt lgkmcnt(0)
	v_mul_f64 v[116:117], v[3:4], v[113:114]
	v_mul_f64 v[113:114], v[1:2], v[113:114]
	v_fma_f64 v[1:2], v[1:2], v[111:112], -v[116:117]
	v_fma_f64 v[3:4], v[3:4], v[111:112], v[113:114]
	buffer_store_dword v2, off, s[0:3], 0 offset:452
	buffer_store_dword v1, off, s[0:3], 0 offset:448
	;; [unrolled: 1-line block ×4, first 2 shown]
.LBB115_187:
	s_or_b32 exec_lo, exec_lo, s6
	v_mov_b32_e32 v4, s33
	v_cmp_lt_u32_e64 s5, 27, v0
	s_clause 0x3
	buffer_load_dword v1, v4, s[0:3], 0 offen
	buffer_load_dword v2, v4, s[0:3], 0 offen offset:4
	buffer_load_dword v3, v4, s[0:3], 0 offen offset:8
	;; [unrolled: 1-line block ×3, first 2 shown]
	s_waitcnt vmcnt(0)
	ds_write_b128 v110, v[1:4]
	s_waitcnt lgkmcnt(0)
	s_waitcnt_vscnt null, 0x0
	s_barrier
	buffer_gl0_inv
	s_and_saveexec_b32 s6, s5
	s_cbranch_execz .LBB115_195
; %bb.188:
	ds_read_b128 v[1:4], v110
	s_andn2_b32 vcc_lo, exec_lo, s60
	s_cbranch_vccnz .LBB115_190
; %bb.189:
	s_clause 0x3
	buffer_load_dword v111, v109, s[0:3], 0 offen offset:8
	buffer_load_dword v112, v109, s[0:3], 0 offen offset:12
	buffer_load_dword v113, v109, s[0:3], 0 offen
	buffer_load_dword v114, v109, s[0:3], 0 offen offset:4
	s_waitcnt vmcnt(2) lgkmcnt(0)
	v_mul_f64 v[116:117], v[3:4], v[111:112]
	v_mul_f64 v[111:112], v[1:2], v[111:112]
	s_waitcnt vmcnt(0)
	v_fma_f64 v[1:2], v[1:2], v[113:114], -v[116:117]
	v_fma_f64 v[3:4], v[3:4], v[113:114], v[111:112]
.LBB115_190:
	s_and_saveexec_b32 s8, s4
	s_cbranch_execz .LBB115_194
; %bb.191:
	v_subrev_nc_u32_e32 v111, 28, v0
	s_movk_i32 s61, 0x500
	s_mov_b32 s4, 0
	s_mov_b32 s62, s31
	.p2align	6
.LBB115_192:                            ; =>This Inner Loop Header: Depth=1
	v_mov_b32_e32 v114, s62
	v_add_nc_u32_e32 v111, -1, v111
	s_add_i32 s62, s62, 16
	s_clause 0x3
	buffer_load_dword v112, v114, s[0:3], 0 offen offset:8
	buffer_load_dword v113, v114, s[0:3], 0 offen offset:12
	buffer_load_dword v120, v114, s[0:3], 0 offen
	buffer_load_dword v121, v114, s[0:3], 0 offen offset:4
	v_mov_b32_e32 v114, s61
	v_cmp_eq_u32_e32 vcc_lo, 0, v111
	s_add_i32 s61, s61, 16
	ds_read_b128 v[116:119], v114
	s_or_b32 s4, vcc_lo, s4
	s_waitcnt vmcnt(2) lgkmcnt(0)
	v_mul_f64 v[122:123], v[118:119], v[112:113]
	v_mul_f64 v[112:113], v[116:117], v[112:113]
	s_waitcnt vmcnt(0)
	v_fma_f64 v[116:117], v[116:117], v[120:121], -v[122:123]
	v_fma_f64 v[112:113], v[118:119], v[120:121], v[112:113]
	v_add_f64 v[1:2], v[1:2], v[116:117]
	v_add_f64 v[3:4], v[3:4], v[112:113]
	s_andn2_b32 exec_lo, exec_lo, s4
	s_cbranch_execnz .LBB115_192
; %bb.193:
	s_or_b32 exec_lo, exec_lo, s4
.LBB115_194:
	s_or_b32 exec_lo, exec_lo, s8
	v_mov_b32_e32 v111, 0
	ds_read_b128 v[111:114], v111 offset:432
	s_waitcnt lgkmcnt(0)
	v_mul_f64 v[116:117], v[3:4], v[113:114]
	v_mul_f64 v[113:114], v[1:2], v[113:114]
	v_fma_f64 v[1:2], v[1:2], v[111:112], -v[116:117]
	v_fma_f64 v[3:4], v[3:4], v[111:112], v[113:114]
	buffer_store_dword v2, off, s[0:3], 0 offset:436
	buffer_store_dword v1, off, s[0:3], 0 offset:432
	buffer_store_dword v4, off, s[0:3], 0 offset:444
	buffer_store_dword v3, off, s[0:3], 0 offset:440
.LBB115_195:
	s_or_b32 exec_lo, exec_lo, s6
	v_mov_b32_e32 v4, s34
	v_cmp_lt_u32_e64 s4, 26, v0
	s_clause 0x3
	buffer_load_dword v1, v4, s[0:3], 0 offen
	buffer_load_dword v2, v4, s[0:3], 0 offen offset:4
	buffer_load_dword v3, v4, s[0:3], 0 offen offset:8
	;; [unrolled: 1-line block ×3, first 2 shown]
	s_waitcnt vmcnt(0)
	ds_write_b128 v110, v[1:4]
	s_waitcnt lgkmcnt(0)
	s_waitcnt_vscnt null, 0x0
	s_barrier
	buffer_gl0_inv
	s_and_saveexec_b32 s6, s4
	s_cbranch_execz .LBB115_203
; %bb.196:
	ds_read_b128 v[1:4], v110
	s_andn2_b32 vcc_lo, exec_lo, s60
	s_cbranch_vccnz .LBB115_198
; %bb.197:
	s_clause 0x3
	buffer_load_dword v111, v109, s[0:3], 0 offen offset:8
	buffer_load_dword v112, v109, s[0:3], 0 offen offset:12
	buffer_load_dword v113, v109, s[0:3], 0 offen
	buffer_load_dword v114, v109, s[0:3], 0 offen offset:4
	s_waitcnt vmcnt(2) lgkmcnt(0)
	v_mul_f64 v[116:117], v[3:4], v[111:112]
	v_mul_f64 v[111:112], v[1:2], v[111:112]
	s_waitcnt vmcnt(0)
	v_fma_f64 v[1:2], v[1:2], v[113:114], -v[116:117]
	v_fma_f64 v[3:4], v[3:4], v[113:114], v[111:112]
.LBB115_198:
	s_and_saveexec_b32 s8, s5
	s_cbranch_execz .LBB115_202
; %bb.199:
	v_subrev_nc_u32_e32 v111, 27, v0
	s_movk_i32 s61, 0x4f0
	s_mov_b32 s5, 0
	s_mov_b32 s62, s33
	.p2align	6
.LBB115_200:                            ; =>This Inner Loop Header: Depth=1
	v_mov_b32_e32 v114, s62
	v_add_nc_u32_e32 v111, -1, v111
	s_add_i32 s62, s62, 16
	s_clause 0x3
	buffer_load_dword v112, v114, s[0:3], 0 offen offset:8
	buffer_load_dword v113, v114, s[0:3], 0 offen offset:12
	buffer_load_dword v120, v114, s[0:3], 0 offen
	buffer_load_dword v121, v114, s[0:3], 0 offen offset:4
	v_mov_b32_e32 v114, s61
	v_cmp_eq_u32_e32 vcc_lo, 0, v111
	s_add_i32 s61, s61, 16
	ds_read_b128 v[116:119], v114
	s_or_b32 s5, vcc_lo, s5
	s_waitcnt vmcnt(2) lgkmcnt(0)
	v_mul_f64 v[122:123], v[118:119], v[112:113]
	v_mul_f64 v[112:113], v[116:117], v[112:113]
	s_waitcnt vmcnt(0)
	v_fma_f64 v[116:117], v[116:117], v[120:121], -v[122:123]
	v_fma_f64 v[112:113], v[118:119], v[120:121], v[112:113]
	v_add_f64 v[1:2], v[1:2], v[116:117]
	v_add_f64 v[3:4], v[3:4], v[112:113]
	s_andn2_b32 exec_lo, exec_lo, s5
	s_cbranch_execnz .LBB115_200
; %bb.201:
	s_or_b32 exec_lo, exec_lo, s5
.LBB115_202:
	s_or_b32 exec_lo, exec_lo, s8
	v_mov_b32_e32 v111, 0
	ds_read_b128 v[111:114], v111 offset:416
	s_waitcnt lgkmcnt(0)
	v_mul_f64 v[116:117], v[3:4], v[113:114]
	v_mul_f64 v[113:114], v[1:2], v[113:114]
	v_fma_f64 v[1:2], v[1:2], v[111:112], -v[116:117]
	v_fma_f64 v[3:4], v[3:4], v[111:112], v[113:114]
	buffer_store_dword v2, off, s[0:3], 0 offset:420
	buffer_store_dword v1, off, s[0:3], 0 offset:416
	buffer_store_dword v4, off, s[0:3], 0 offset:428
	buffer_store_dword v3, off, s[0:3], 0 offset:424
.LBB115_203:
	s_or_b32 exec_lo, exec_lo, s6
	v_mov_b32_e32 v4, s35
	v_cmp_lt_u32_e64 s5, 25, v0
	s_clause 0x3
	buffer_load_dword v1, v4, s[0:3], 0 offen
	buffer_load_dword v2, v4, s[0:3], 0 offen offset:4
	buffer_load_dword v3, v4, s[0:3], 0 offen offset:8
	;; [unrolled: 1-line block ×3, first 2 shown]
	s_waitcnt vmcnt(0)
	ds_write_b128 v110, v[1:4]
	s_waitcnt lgkmcnt(0)
	s_waitcnt_vscnt null, 0x0
	s_barrier
	buffer_gl0_inv
	s_and_saveexec_b32 s6, s5
	s_cbranch_execz .LBB115_211
; %bb.204:
	ds_read_b128 v[1:4], v110
	s_andn2_b32 vcc_lo, exec_lo, s60
	s_cbranch_vccnz .LBB115_206
; %bb.205:
	s_clause 0x3
	buffer_load_dword v111, v109, s[0:3], 0 offen offset:8
	buffer_load_dword v112, v109, s[0:3], 0 offen offset:12
	buffer_load_dword v113, v109, s[0:3], 0 offen
	buffer_load_dword v114, v109, s[0:3], 0 offen offset:4
	s_waitcnt vmcnt(2) lgkmcnt(0)
	v_mul_f64 v[116:117], v[3:4], v[111:112]
	v_mul_f64 v[111:112], v[1:2], v[111:112]
	s_waitcnt vmcnt(0)
	v_fma_f64 v[1:2], v[1:2], v[113:114], -v[116:117]
	v_fma_f64 v[3:4], v[3:4], v[113:114], v[111:112]
.LBB115_206:
	s_and_saveexec_b32 s8, s4
	s_cbranch_execz .LBB115_210
; %bb.207:
	v_subrev_nc_u32_e32 v111, 26, v0
	s_movk_i32 s61, 0x4e0
	s_mov_b32 s4, 0
	s_mov_b32 s62, s34
	.p2align	6
.LBB115_208:                            ; =>This Inner Loop Header: Depth=1
	v_mov_b32_e32 v114, s62
	v_add_nc_u32_e32 v111, -1, v111
	s_add_i32 s62, s62, 16
	s_clause 0x3
	buffer_load_dword v112, v114, s[0:3], 0 offen offset:8
	buffer_load_dword v113, v114, s[0:3], 0 offen offset:12
	buffer_load_dword v120, v114, s[0:3], 0 offen
	buffer_load_dword v121, v114, s[0:3], 0 offen offset:4
	v_mov_b32_e32 v114, s61
	v_cmp_eq_u32_e32 vcc_lo, 0, v111
	s_add_i32 s61, s61, 16
	ds_read_b128 v[116:119], v114
	s_or_b32 s4, vcc_lo, s4
	s_waitcnt vmcnt(2) lgkmcnt(0)
	v_mul_f64 v[122:123], v[118:119], v[112:113]
	v_mul_f64 v[112:113], v[116:117], v[112:113]
	s_waitcnt vmcnt(0)
	v_fma_f64 v[116:117], v[116:117], v[120:121], -v[122:123]
	v_fma_f64 v[112:113], v[118:119], v[120:121], v[112:113]
	v_add_f64 v[1:2], v[1:2], v[116:117]
	v_add_f64 v[3:4], v[3:4], v[112:113]
	s_andn2_b32 exec_lo, exec_lo, s4
	s_cbranch_execnz .LBB115_208
; %bb.209:
	s_or_b32 exec_lo, exec_lo, s4
.LBB115_210:
	s_or_b32 exec_lo, exec_lo, s8
	v_mov_b32_e32 v111, 0
	ds_read_b128 v[111:114], v111 offset:400
	s_waitcnt lgkmcnt(0)
	v_mul_f64 v[116:117], v[3:4], v[113:114]
	v_mul_f64 v[113:114], v[1:2], v[113:114]
	v_fma_f64 v[1:2], v[1:2], v[111:112], -v[116:117]
	v_fma_f64 v[3:4], v[3:4], v[111:112], v[113:114]
	buffer_store_dword v2, off, s[0:3], 0 offset:404
	buffer_store_dword v1, off, s[0:3], 0 offset:400
	;; [unrolled: 1-line block ×4, first 2 shown]
.LBB115_211:
	s_or_b32 exec_lo, exec_lo, s6
	v_mov_b32_e32 v4, s36
	v_cmp_lt_u32_e64 s4, 24, v0
	s_clause 0x3
	buffer_load_dword v1, v4, s[0:3], 0 offen
	buffer_load_dword v2, v4, s[0:3], 0 offen offset:4
	buffer_load_dword v3, v4, s[0:3], 0 offen offset:8
	buffer_load_dword v4, v4, s[0:3], 0 offen offset:12
	s_waitcnt vmcnt(0)
	ds_write_b128 v110, v[1:4]
	s_waitcnt lgkmcnt(0)
	s_waitcnt_vscnt null, 0x0
	s_barrier
	buffer_gl0_inv
	s_and_saveexec_b32 s6, s4
	s_cbranch_execz .LBB115_219
; %bb.212:
	ds_read_b128 v[1:4], v110
	s_andn2_b32 vcc_lo, exec_lo, s60
	s_cbranch_vccnz .LBB115_214
; %bb.213:
	s_clause 0x3
	buffer_load_dword v111, v109, s[0:3], 0 offen offset:8
	buffer_load_dword v112, v109, s[0:3], 0 offen offset:12
	buffer_load_dword v113, v109, s[0:3], 0 offen
	buffer_load_dword v114, v109, s[0:3], 0 offen offset:4
	s_waitcnt vmcnt(2) lgkmcnt(0)
	v_mul_f64 v[116:117], v[3:4], v[111:112]
	v_mul_f64 v[111:112], v[1:2], v[111:112]
	s_waitcnt vmcnt(0)
	v_fma_f64 v[1:2], v[1:2], v[113:114], -v[116:117]
	v_fma_f64 v[3:4], v[3:4], v[113:114], v[111:112]
.LBB115_214:
	s_and_saveexec_b32 s8, s5
	s_cbranch_execz .LBB115_218
; %bb.215:
	v_subrev_nc_u32_e32 v111, 25, v0
	s_movk_i32 s61, 0x4d0
	s_mov_b32 s5, 0
	s_mov_b32 s62, s35
	.p2align	6
.LBB115_216:                            ; =>This Inner Loop Header: Depth=1
	v_mov_b32_e32 v114, s62
	v_add_nc_u32_e32 v111, -1, v111
	s_add_i32 s62, s62, 16
	s_clause 0x3
	buffer_load_dword v112, v114, s[0:3], 0 offen offset:8
	buffer_load_dword v113, v114, s[0:3], 0 offen offset:12
	buffer_load_dword v120, v114, s[0:3], 0 offen
	buffer_load_dword v121, v114, s[0:3], 0 offen offset:4
	v_mov_b32_e32 v114, s61
	v_cmp_eq_u32_e32 vcc_lo, 0, v111
	s_add_i32 s61, s61, 16
	ds_read_b128 v[116:119], v114
	s_or_b32 s5, vcc_lo, s5
	s_waitcnt vmcnt(2) lgkmcnt(0)
	v_mul_f64 v[122:123], v[118:119], v[112:113]
	v_mul_f64 v[112:113], v[116:117], v[112:113]
	s_waitcnt vmcnt(0)
	v_fma_f64 v[116:117], v[116:117], v[120:121], -v[122:123]
	v_fma_f64 v[112:113], v[118:119], v[120:121], v[112:113]
	v_add_f64 v[1:2], v[1:2], v[116:117]
	v_add_f64 v[3:4], v[3:4], v[112:113]
	s_andn2_b32 exec_lo, exec_lo, s5
	s_cbranch_execnz .LBB115_216
; %bb.217:
	s_or_b32 exec_lo, exec_lo, s5
.LBB115_218:
	s_or_b32 exec_lo, exec_lo, s8
	v_mov_b32_e32 v111, 0
	ds_read_b128 v[111:114], v111 offset:384
	s_waitcnt lgkmcnt(0)
	v_mul_f64 v[116:117], v[3:4], v[113:114]
	v_mul_f64 v[113:114], v[1:2], v[113:114]
	v_fma_f64 v[1:2], v[1:2], v[111:112], -v[116:117]
	v_fma_f64 v[3:4], v[3:4], v[111:112], v[113:114]
	buffer_store_dword v2, off, s[0:3], 0 offset:388
	buffer_store_dword v1, off, s[0:3], 0 offset:384
	;; [unrolled: 1-line block ×4, first 2 shown]
.LBB115_219:
	s_or_b32 exec_lo, exec_lo, s6
	v_mov_b32_e32 v4, s37
	v_cmp_lt_u32_e64 s5, 23, v0
	s_clause 0x3
	buffer_load_dword v1, v4, s[0:3], 0 offen
	buffer_load_dword v2, v4, s[0:3], 0 offen offset:4
	buffer_load_dword v3, v4, s[0:3], 0 offen offset:8
	;; [unrolled: 1-line block ×3, first 2 shown]
	s_waitcnt vmcnt(0)
	ds_write_b128 v110, v[1:4]
	s_waitcnt lgkmcnt(0)
	s_waitcnt_vscnt null, 0x0
	s_barrier
	buffer_gl0_inv
	s_and_saveexec_b32 s6, s5
	s_cbranch_execz .LBB115_227
; %bb.220:
	ds_read_b128 v[1:4], v110
	s_andn2_b32 vcc_lo, exec_lo, s60
	s_cbranch_vccnz .LBB115_222
; %bb.221:
	s_clause 0x3
	buffer_load_dword v111, v109, s[0:3], 0 offen offset:8
	buffer_load_dword v112, v109, s[0:3], 0 offen offset:12
	buffer_load_dword v113, v109, s[0:3], 0 offen
	buffer_load_dword v114, v109, s[0:3], 0 offen offset:4
	s_waitcnt vmcnt(2) lgkmcnt(0)
	v_mul_f64 v[116:117], v[3:4], v[111:112]
	v_mul_f64 v[111:112], v[1:2], v[111:112]
	s_waitcnt vmcnt(0)
	v_fma_f64 v[1:2], v[1:2], v[113:114], -v[116:117]
	v_fma_f64 v[3:4], v[3:4], v[113:114], v[111:112]
.LBB115_222:
	s_and_saveexec_b32 s8, s4
	s_cbranch_execz .LBB115_226
; %bb.223:
	v_subrev_nc_u32_e32 v111, 24, v0
	s_movk_i32 s61, 0x4c0
	s_mov_b32 s4, 0
	s_mov_b32 s62, s36
	.p2align	6
.LBB115_224:                            ; =>This Inner Loop Header: Depth=1
	v_mov_b32_e32 v114, s62
	v_add_nc_u32_e32 v111, -1, v111
	s_add_i32 s62, s62, 16
	s_clause 0x3
	buffer_load_dword v112, v114, s[0:3], 0 offen offset:8
	buffer_load_dword v113, v114, s[0:3], 0 offen offset:12
	buffer_load_dword v120, v114, s[0:3], 0 offen
	buffer_load_dword v121, v114, s[0:3], 0 offen offset:4
	v_mov_b32_e32 v114, s61
	v_cmp_eq_u32_e32 vcc_lo, 0, v111
	s_add_i32 s61, s61, 16
	ds_read_b128 v[116:119], v114
	s_or_b32 s4, vcc_lo, s4
	s_waitcnt vmcnt(2) lgkmcnt(0)
	v_mul_f64 v[122:123], v[118:119], v[112:113]
	v_mul_f64 v[112:113], v[116:117], v[112:113]
	s_waitcnt vmcnt(0)
	v_fma_f64 v[116:117], v[116:117], v[120:121], -v[122:123]
	v_fma_f64 v[112:113], v[118:119], v[120:121], v[112:113]
	v_add_f64 v[1:2], v[1:2], v[116:117]
	v_add_f64 v[3:4], v[3:4], v[112:113]
	s_andn2_b32 exec_lo, exec_lo, s4
	s_cbranch_execnz .LBB115_224
; %bb.225:
	s_or_b32 exec_lo, exec_lo, s4
.LBB115_226:
	s_or_b32 exec_lo, exec_lo, s8
	v_mov_b32_e32 v111, 0
	ds_read_b128 v[111:114], v111 offset:368
	s_waitcnt lgkmcnt(0)
	v_mul_f64 v[116:117], v[3:4], v[113:114]
	v_mul_f64 v[113:114], v[1:2], v[113:114]
	v_fma_f64 v[1:2], v[1:2], v[111:112], -v[116:117]
	v_fma_f64 v[3:4], v[3:4], v[111:112], v[113:114]
	buffer_store_dword v2, off, s[0:3], 0 offset:372
	buffer_store_dword v1, off, s[0:3], 0 offset:368
	;; [unrolled: 1-line block ×4, first 2 shown]
.LBB115_227:
	s_or_b32 exec_lo, exec_lo, s6
	v_mov_b32_e32 v4, s38
	v_cmp_lt_u32_e64 s4, 22, v0
	s_clause 0x3
	buffer_load_dword v1, v4, s[0:3], 0 offen
	buffer_load_dword v2, v4, s[0:3], 0 offen offset:4
	buffer_load_dword v3, v4, s[0:3], 0 offen offset:8
	;; [unrolled: 1-line block ×3, first 2 shown]
	s_waitcnt vmcnt(0)
	ds_write_b128 v110, v[1:4]
	s_waitcnt lgkmcnt(0)
	s_waitcnt_vscnt null, 0x0
	s_barrier
	buffer_gl0_inv
	s_and_saveexec_b32 s6, s4
	s_cbranch_execz .LBB115_235
; %bb.228:
	ds_read_b128 v[1:4], v110
	s_andn2_b32 vcc_lo, exec_lo, s60
	s_cbranch_vccnz .LBB115_230
; %bb.229:
	s_clause 0x3
	buffer_load_dword v111, v109, s[0:3], 0 offen offset:8
	buffer_load_dword v112, v109, s[0:3], 0 offen offset:12
	buffer_load_dword v113, v109, s[0:3], 0 offen
	buffer_load_dword v114, v109, s[0:3], 0 offen offset:4
	s_waitcnt vmcnt(2) lgkmcnt(0)
	v_mul_f64 v[116:117], v[3:4], v[111:112]
	v_mul_f64 v[111:112], v[1:2], v[111:112]
	s_waitcnt vmcnt(0)
	v_fma_f64 v[1:2], v[1:2], v[113:114], -v[116:117]
	v_fma_f64 v[3:4], v[3:4], v[113:114], v[111:112]
.LBB115_230:
	s_and_saveexec_b32 s8, s5
	s_cbranch_execz .LBB115_234
; %bb.231:
	v_subrev_nc_u32_e32 v111, 23, v0
	s_movk_i32 s61, 0x4b0
	s_mov_b32 s5, 0
	s_mov_b32 s62, s37
	.p2align	6
.LBB115_232:                            ; =>This Inner Loop Header: Depth=1
	v_mov_b32_e32 v114, s62
	v_add_nc_u32_e32 v111, -1, v111
	s_add_i32 s62, s62, 16
	s_clause 0x3
	buffer_load_dword v112, v114, s[0:3], 0 offen offset:8
	buffer_load_dword v113, v114, s[0:3], 0 offen offset:12
	buffer_load_dword v120, v114, s[0:3], 0 offen
	buffer_load_dword v121, v114, s[0:3], 0 offen offset:4
	v_mov_b32_e32 v114, s61
	v_cmp_eq_u32_e32 vcc_lo, 0, v111
	s_add_i32 s61, s61, 16
	ds_read_b128 v[116:119], v114
	s_or_b32 s5, vcc_lo, s5
	s_waitcnt vmcnt(2) lgkmcnt(0)
	v_mul_f64 v[122:123], v[118:119], v[112:113]
	v_mul_f64 v[112:113], v[116:117], v[112:113]
	s_waitcnt vmcnt(0)
	v_fma_f64 v[116:117], v[116:117], v[120:121], -v[122:123]
	v_fma_f64 v[112:113], v[118:119], v[120:121], v[112:113]
	v_add_f64 v[1:2], v[1:2], v[116:117]
	v_add_f64 v[3:4], v[3:4], v[112:113]
	s_andn2_b32 exec_lo, exec_lo, s5
	s_cbranch_execnz .LBB115_232
; %bb.233:
	s_or_b32 exec_lo, exec_lo, s5
.LBB115_234:
	s_or_b32 exec_lo, exec_lo, s8
	v_mov_b32_e32 v111, 0
	ds_read_b128 v[111:114], v111 offset:352
	s_waitcnt lgkmcnt(0)
	v_mul_f64 v[116:117], v[3:4], v[113:114]
	v_mul_f64 v[113:114], v[1:2], v[113:114]
	v_fma_f64 v[1:2], v[1:2], v[111:112], -v[116:117]
	v_fma_f64 v[3:4], v[3:4], v[111:112], v[113:114]
	buffer_store_dword v2, off, s[0:3], 0 offset:356
	buffer_store_dword v1, off, s[0:3], 0 offset:352
	;; [unrolled: 1-line block ×4, first 2 shown]
.LBB115_235:
	s_or_b32 exec_lo, exec_lo, s6
	v_mov_b32_e32 v4, s39
	v_cmp_lt_u32_e64 s5, 21, v0
	s_clause 0x3
	buffer_load_dword v1, v4, s[0:3], 0 offen
	buffer_load_dword v2, v4, s[0:3], 0 offen offset:4
	buffer_load_dword v3, v4, s[0:3], 0 offen offset:8
	;; [unrolled: 1-line block ×3, first 2 shown]
	s_waitcnt vmcnt(0)
	ds_write_b128 v110, v[1:4]
	s_waitcnt lgkmcnt(0)
	s_waitcnt_vscnt null, 0x0
	s_barrier
	buffer_gl0_inv
	s_and_saveexec_b32 s6, s5
	s_cbranch_execz .LBB115_243
; %bb.236:
	ds_read_b128 v[1:4], v110
	s_andn2_b32 vcc_lo, exec_lo, s60
	s_cbranch_vccnz .LBB115_238
; %bb.237:
	s_clause 0x3
	buffer_load_dword v111, v109, s[0:3], 0 offen offset:8
	buffer_load_dword v112, v109, s[0:3], 0 offen offset:12
	buffer_load_dword v113, v109, s[0:3], 0 offen
	buffer_load_dword v114, v109, s[0:3], 0 offen offset:4
	s_waitcnt vmcnt(2) lgkmcnt(0)
	v_mul_f64 v[116:117], v[3:4], v[111:112]
	v_mul_f64 v[111:112], v[1:2], v[111:112]
	s_waitcnt vmcnt(0)
	v_fma_f64 v[1:2], v[1:2], v[113:114], -v[116:117]
	v_fma_f64 v[3:4], v[3:4], v[113:114], v[111:112]
.LBB115_238:
	s_and_saveexec_b32 s8, s4
	s_cbranch_execz .LBB115_242
; %bb.239:
	v_subrev_nc_u32_e32 v111, 22, v0
	s_movk_i32 s61, 0x4a0
	s_mov_b32 s4, 0
	s_mov_b32 s62, s38
	.p2align	6
.LBB115_240:                            ; =>This Inner Loop Header: Depth=1
	v_mov_b32_e32 v114, s62
	v_add_nc_u32_e32 v111, -1, v111
	s_add_i32 s62, s62, 16
	s_clause 0x3
	buffer_load_dword v112, v114, s[0:3], 0 offen offset:8
	buffer_load_dword v113, v114, s[0:3], 0 offen offset:12
	buffer_load_dword v120, v114, s[0:3], 0 offen
	buffer_load_dword v121, v114, s[0:3], 0 offen offset:4
	v_mov_b32_e32 v114, s61
	v_cmp_eq_u32_e32 vcc_lo, 0, v111
	s_add_i32 s61, s61, 16
	ds_read_b128 v[116:119], v114
	s_or_b32 s4, vcc_lo, s4
	s_waitcnt vmcnt(2) lgkmcnt(0)
	v_mul_f64 v[122:123], v[118:119], v[112:113]
	v_mul_f64 v[112:113], v[116:117], v[112:113]
	s_waitcnt vmcnt(0)
	v_fma_f64 v[116:117], v[116:117], v[120:121], -v[122:123]
	v_fma_f64 v[112:113], v[118:119], v[120:121], v[112:113]
	v_add_f64 v[1:2], v[1:2], v[116:117]
	v_add_f64 v[3:4], v[3:4], v[112:113]
	s_andn2_b32 exec_lo, exec_lo, s4
	s_cbranch_execnz .LBB115_240
; %bb.241:
	s_or_b32 exec_lo, exec_lo, s4
.LBB115_242:
	s_or_b32 exec_lo, exec_lo, s8
	v_mov_b32_e32 v111, 0
	ds_read_b128 v[111:114], v111 offset:336
	s_waitcnt lgkmcnt(0)
	v_mul_f64 v[116:117], v[3:4], v[113:114]
	v_mul_f64 v[113:114], v[1:2], v[113:114]
	v_fma_f64 v[1:2], v[1:2], v[111:112], -v[116:117]
	v_fma_f64 v[3:4], v[3:4], v[111:112], v[113:114]
	buffer_store_dword v2, off, s[0:3], 0 offset:340
	buffer_store_dword v1, off, s[0:3], 0 offset:336
	;; [unrolled: 1-line block ×4, first 2 shown]
.LBB115_243:
	s_or_b32 exec_lo, exec_lo, s6
	v_mov_b32_e32 v4, s40
	v_cmp_lt_u32_e64 s4, 20, v0
	s_clause 0x3
	buffer_load_dword v1, v4, s[0:3], 0 offen
	buffer_load_dword v2, v4, s[0:3], 0 offen offset:4
	buffer_load_dword v3, v4, s[0:3], 0 offen offset:8
	;; [unrolled: 1-line block ×3, first 2 shown]
	s_waitcnt vmcnt(0)
	ds_write_b128 v110, v[1:4]
	s_waitcnt lgkmcnt(0)
	s_waitcnt_vscnt null, 0x0
	s_barrier
	buffer_gl0_inv
	s_and_saveexec_b32 s6, s4
	s_cbranch_execz .LBB115_251
; %bb.244:
	ds_read_b128 v[1:4], v110
	s_andn2_b32 vcc_lo, exec_lo, s60
	s_cbranch_vccnz .LBB115_246
; %bb.245:
	s_clause 0x3
	buffer_load_dword v111, v109, s[0:3], 0 offen offset:8
	buffer_load_dword v112, v109, s[0:3], 0 offen offset:12
	buffer_load_dword v113, v109, s[0:3], 0 offen
	buffer_load_dword v114, v109, s[0:3], 0 offen offset:4
	s_waitcnt vmcnt(2) lgkmcnt(0)
	v_mul_f64 v[116:117], v[3:4], v[111:112]
	v_mul_f64 v[111:112], v[1:2], v[111:112]
	s_waitcnt vmcnt(0)
	v_fma_f64 v[1:2], v[1:2], v[113:114], -v[116:117]
	v_fma_f64 v[3:4], v[3:4], v[113:114], v[111:112]
.LBB115_246:
	s_and_saveexec_b32 s8, s5
	s_cbranch_execz .LBB115_250
; %bb.247:
	v_subrev_nc_u32_e32 v111, 21, v0
	s_movk_i32 s61, 0x490
	s_mov_b32 s5, 0
	s_mov_b32 s62, s39
	.p2align	6
.LBB115_248:                            ; =>This Inner Loop Header: Depth=1
	v_mov_b32_e32 v114, s62
	v_add_nc_u32_e32 v111, -1, v111
	s_add_i32 s62, s62, 16
	s_clause 0x3
	buffer_load_dword v112, v114, s[0:3], 0 offen offset:8
	buffer_load_dword v113, v114, s[0:3], 0 offen offset:12
	buffer_load_dword v120, v114, s[0:3], 0 offen
	buffer_load_dword v121, v114, s[0:3], 0 offen offset:4
	v_mov_b32_e32 v114, s61
	v_cmp_eq_u32_e32 vcc_lo, 0, v111
	s_add_i32 s61, s61, 16
	ds_read_b128 v[116:119], v114
	s_or_b32 s5, vcc_lo, s5
	s_waitcnt vmcnt(2) lgkmcnt(0)
	v_mul_f64 v[122:123], v[118:119], v[112:113]
	v_mul_f64 v[112:113], v[116:117], v[112:113]
	s_waitcnt vmcnt(0)
	v_fma_f64 v[116:117], v[116:117], v[120:121], -v[122:123]
	v_fma_f64 v[112:113], v[118:119], v[120:121], v[112:113]
	v_add_f64 v[1:2], v[1:2], v[116:117]
	v_add_f64 v[3:4], v[3:4], v[112:113]
	s_andn2_b32 exec_lo, exec_lo, s5
	s_cbranch_execnz .LBB115_248
; %bb.249:
	s_or_b32 exec_lo, exec_lo, s5
.LBB115_250:
	s_or_b32 exec_lo, exec_lo, s8
	v_mov_b32_e32 v111, 0
	ds_read_b128 v[111:114], v111 offset:320
	s_waitcnt lgkmcnt(0)
	v_mul_f64 v[116:117], v[3:4], v[113:114]
	v_mul_f64 v[113:114], v[1:2], v[113:114]
	v_fma_f64 v[1:2], v[1:2], v[111:112], -v[116:117]
	v_fma_f64 v[3:4], v[3:4], v[111:112], v[113:114]
	buffer_store_dword v2, off, s[0:3], 0 offset:324
	buffer_store_dword v1, off, s[0:3], 0 offset:320
	;; [unrolled: 1-line block ×4, first 2 shown]
.LBB115_251:
	s_or_b32 exec_lo, exec_lo, s6
	v_mov_b32_e32 v4, s41
	v_cmp_lt_u32_e64 s5, 19, v0
	s_clause 0x3
	buffer_load_dword v1, v4, s[0:3], 0 offen
	buffer_load_dword v2, v4, s[0:3], 0 offen offset:4
	buffer_load_dword v3, v4, s[0:3], 0 offen offset:8
	;; [unrolled: 1-line block ×3, first 2 shown]
	s_waitcnt vmcnt(0)
	ds_write_b128 v110, v[1:4]
	s_waitcnt lgkmcnt(0)
	s_waitcnt_vscnt null, 0x0
	s_barrier
	buffer_gl0_inv
	s_and_saveexec_b32 s6, s5
	s_cbranch_execz .LBB115_259
; %bb.252:
	ds_read_b128 v[1:4], v110
	s_andn2_b32 vcc_lo, exec_lo, s60
	s_cbranch_vccnz .LBB115_254
; %bb.253:
	s_clause 0x3
	buffer_load_dword v111, v109, s[0:3], 0 offen offset:8
	buffer_load_dword v112, v109, s[0:3], 0 offen offset:12
	buffer_load_dword v113, v109, s[0:3], 0 offen
	buffer_load_dword v114, v109, s[0:3], 0 offen offset:4
	s_waitcnt vmcnt(2) lgkmcnt(0)
	v_mul_f64 v[116:117], v[3:4], v[111:112]
	v_mul_f64 v[111:112], v[1:2], v[111:112]
	s_waitcnt vmcnt(0)
	v_fma_f64 v[1:2], v[1:2], v[113:114], -v[116:117]
	v_fma_f64 v[3:4], v[3:4], v[113:114], v[111:112]
.LBB115_254:
	s_and_saveexec_b32 s8, s4
	s_cbranch_execz .LBB115_258
; %bb.255:
	v_subrev_nc_u32_e32 v111, 20, v0
	s_movk_i32 s61, 0x480
	s_mov_b32 s4, 0
	s_mov_b32 s62, s40
	.p2align	6
.LBB115_256:                            ; =>This Inner Loop Header: Depth=1
	v_mov_b32_e32 v114, s62
	v_add_nc_u32_e32 v111, -1, v111
	s_add_i32 s62, s62, 16
	s_clause 0x3
	buffer_load_dword v112, v114, s[0:3], 0 offen offset:8
	buffer_load_dword v113, v114, s[0:3], 0 offen offset:12
	buffer_load_dword v120, v114, s[0:3], 0 offen
	buffer_load_dword v121, v114, s[0:3], 0 offen offset:4
	v_mov_b32_e32 v114, s61
	v_cmp_eq_u32_e32 vcc_lo, 0, v111
	s_add_i32 s61, s61, 16
	ds_read_b128 v[116:119], v114
	s_or_b32 s4, vcc_lo, s4
	s_waitcnt vmcnt(2) lgkmcnt(0)
	v_mul_f64 v[122:123], v[118:119], v[112:113]
	v_mul_f64 v[112:113], v[116:117], v[112:113]
	s_waitcnt vmcnt(0)
	v_fma_f64 v[116:117], v[116:117], v[120:121], -v[122:123]
	v_fma_f64 v[112:113], v[118:119], v[120:121], v[112:113]
	v_add_f64 v[1:2], v[1:2], v[116:117]
	v_add_f64 v[3:4], v[3:4], v[112:113]
	s_andn2_b32 exec_lo, exec_lo, s4
	s_cbranch_execnz .LBB115_256
; %bb.257:
	s_or_b32 exec_lo, exec_lo, s4
.LBB115_258:
	s_or_b32 exec_lo, exec_lo, s8
	v_mov_b32_e32 v111, 0
	ds_read_b128 v[111:114], v111 offset:304
	s_waitcnt lgkmcnt(0)
	v_mul_f64 v[116:117], v[3:4], v[113:114]
	v_mul_f64 v[113:114], v[1:2], v[113:114]
	v_fma_f64 v[1:2], v[1:2], v[111:112], -v[116:117]
	v_fma_f64 v[3:4], v[3:4], v[111:112], v[113:114]
	buffer_store_dword v2, off, s[0:3], 0 offset:308
	buffer_store_dword v1, off, s[0:3], 0 offset:304
	;; [unrolled: 1-line block ×4, first 2 shown]
.LBB115_259:
	s_or_b32 exec_lo, exec_lo, s6
	v_mov_b32_e32 v4, s42
	v_cmp_lt_u32_e64 s4, 18, v0
	s_clause 0x3
	buffer_load_dword v1, v4, s[0:3], 0 offen
	buffer_load_dword v2, v4, s[0:3], 0 offen offset:4
	buffer_load_dword v3, v4, s[0:3], 0 offen offset:8
	buffer_load_dword v4, v4, s[0:3], 0 offen offset:12
	s_waitcnt vmcnt(0)
	ds_write_b128 v110, v[1:4]
	s_waitcnt lgkmcnt(0)
	s_waitcnt_vscnt null, 0x0
	s_barrier
	buffer_gl0_inv
	s_and_saveexec_b32 s6, s4
	s_cbranch_execz .LBB115_267
; %bb.260:
	ds_read_b128 v[1:4], v110
	s_andn2_b32 vcc_lo, exec_lo, s60
	s_cbranch_vccnz .LBB115_262
; %bb.261:
	s_clause 0x3
	buffer_load_dword v111, v109, s[0:3], 0 offen offset:8
	buffer_load_dword v112, v109, s[0:3], 0 offen offset:12
	buffer_load_dword v113, v109, s[0:3], 0 offen
	buffer_load_dword v114, v109, s[0:3], 0 offen offset:4
	s_waitcnt vmcnt(2) lgkmcnt(0)
	v_mul_f64 v[116:117], v[3:4], v[111:112]
	v_mul_f64 v[111:112], v[1:2], v[111:112]
	s_waitcnt vmcnt(0)
	v_fma_f64 v[1:2], v[1:2], v[113:114], -v[116:117]
	v_fma_f64 v[3:4], v[3:4], v[113:114], v[111:112]
.LBB115_262:
	s_and_saveexec_b32 s8, s5
	s_cbranch_execz .LBB115_266
; %bb.263:
	v_subrev_nc_u32_e32 v111, 19, v0
	s_movk_i32 s61, 0x470
	s_mov_b32 s5, 0
	s_mov_b32 s62, s41
	.p2align	6
.LBB115_264:                            ; =>This Inner Loop Header: Depth=1
	v_mov_b32_e32 v114, s62
	v_add_nc_u32_e32 v111, -1, v111
	s_add_i32 s62, s62, 16
	s_clause 0x3
	buffer_load_dword v112, v114, s[0:3], 0 offen offset:8
	buffer_load_dword v113, v114, s[0:3], 0 offen offset:12
	buffer_load_dword v120, v114, s[0:3], 0 offen
	buffer_load_dword v121, v114, s[0:3], 0 offen offset:4
	v_mov_b32_e32 v114, s61
	v_cmp_eq_u32_e32 vcc_lo, 0, v111
	s_add_i32 s61, s61, 16
	ds_read_b128 v[116:119], v114
	s_or_b32 s5, vcc_lo, s5
	s_waitcnt vmcnt(2) lgkmcnt(0)
	v_mul_f64 v[122:123], v[118:119], v[112:113]
	v_mul_f64 v[112:113], v[116:117], v[112:113]
	s_waitcnt vmcnt(0)
	v_fma_f64 v[116:117], v[116:117], v[120:121], -v[122:123]
	v_fma_f64 v[112:113], v[118:119], v[120:121], v[112:113]
	v_add_f64 v[1:2], v[1:2], v[116:117]
	v_add_f64 v[3:4], v[3:4], v[112:113]
	s_andn2_b32 exec_lo, exec_lo, s5
	s_cbranch_execnz .LBB115_264
; %bb.265:
	s_or_b32 exec_lo, exec_lo, s5
.LBB115_266:
	s_or_b32 exec_lo, exec_lo, s8
	v_mov_b32_e32 v111, 0
	ds_read_b128 v[111:114], v111 offset:288
	s_waitcnt lgkmcnt(0)
	v_mul_f64 v[116:117], v[3:4], v[113:114]
	v_mul_f64 v[113:114], v[1:2], v[113:114]
	v_fma_f64 v[1:2], v[1:2], v[111:112], -v[116:117]
	v_fma_f64 v[3:4], v[3:4], v[111:112], v[113:114]
	buffer_store_dword v2, off, s[0:3], 0 offset:292
	buffer_store_dword v1, off, s[0:3], 0 offset:288
	;; [unrolled: 1-line block ×4, first 2 shown]
.LBB115_267:
	s_or_b32 exec_lo, exec_lo, s6
	v_mov_b32_e32 v4, s43
	v_cmp_lt_u32_e64 s5, 17, v0
	s_clause 0x3
	buffer_load_dword v1, v4, s[0:3], 0 offen
	buffer_load_dword v2, v4, s[0:3], 0 offen offset:4
	buffer_load_dword v3, v4, s[0:3], 0 offen offset:8
	;; [unrolled: 1-line block ×3, first 2 shown]
	s_waitcnt vmcnt(0)
	ds_write_b128 v110, v[1:4]
	s_waitcnt lgkmcnt(0)
	s_waitcnt_vscnt null, 0x0
	s_barrier
	buffer_gl0_inv
	s_and_saveexec_b32 s6, s5
	s_cbranch_execz .LBB115_275
; %bb.268:
	ds_read_b128 v[1:4], v110
	s_andn2_b32 vcc_lo, exec_lo, s60
	s_cbranch_vccnz .LBB115_270
; %bb.269:
	s_clause 0x3
	buffer_load_dword v111, v109, s[0:3], 0 offen offset:8
	buffer_load_dword v112, v109, s[0:3], 0 offen offset:12
	buffer_load_dword v113, v109, s[0:3], 0 offen
	buffer_load_dword v114, v109, s[0:3], 0 offen offset:4
	s_waitcnt vmcnt(2) lgkmcnt(0)
	v_mul_f64 v[116:117], v[3:4], v[111:112]
	v_mul_f64 v[111:112], v[1:2], v[111:112]
	s_waitcnt vmcnt(0)
	v_fma_f64 v[1:2], v[1:2], v[113:114], -v[116:117]
	v_fma_f64 v[3:4], v[3:4], v[113:114], v[111:112]
.LBB115_270:
	s_and_saveexec_b32 s8, s4
	s_cbranch_execz .LBB115_274
; %bb.271:
	v_subrev_nc_u32_e32 v111, 18, v0
	s_movk_i32 s61, 0x460
	s_mov_b32 s4, 0
	s_mov_b32 s62, s42
	.p2align	6
.LBB115_272:                            ; =>This Inner Loop Header: Depth=1
	v_mov_b32_e32 v114, s62
	v_add_nc_u32_e32 v111, -1, v111
	s_add_i32 s62, s62, 16
	s_clause 0x3
	buffer_load_dword v112, v114, s[0:3], 0 offen offset:8
	buffer_load_dword v113, v114, s[0:3], 0 offen offset:12
	buffer_load_dword v120, v114, s[0:3], 0 offen
	buffer_load_dword v121, v114, s[0:3], 0 offen offset:4
	v_mov_b32_e32 v114, s61
	v_cmp_eq_u32_e32 vcc_lo, 0, v111
	s_add_i32 s61, s61, 16
	ds_read_b128 v[116:119], v114
	s_or_b32 s4, vcc_lo, s4
	s_waitcnt vmcnt(2) lgkmcnt(0)
	v_mul_f64 v[122:123], v[118:119], v[112:113]
	v_mul_f64 v[112:113], v[116:117], v[112:113]
	s_waitcnt vmcnt(0)
	v_fma_f64 v[116:117], v[116:117], v[120:121], -v[122:123]
	v_fma_f64 v[112:113], v[118:119], v[120:121], v[112:113]
	v_add_f64 v[1:2], v[1:2], v[116:117]
	v_add_f64 v[3:4], v[3:4], v[112:113]
	s_andn2_b32 exec_lo, exec_lo, s4
	s_cbranch_execnz .LBB115_272
; %bb.273:
	s_or_b32 exec_lo, exec_lo, s4
.LBB115_274:
	s_or_b32 exec_lo, exec_lo, s8
	v_mov_b32_e32 v111, 0
	ds_read_b128 v[111:114], v111 offset:272
	s_waitcnt lgkmcnt(0)
	v_mul_f64 v[116:117], v[3:4], v[113:114]
	v_mul_f64 v[113:114], v[1:2], v[113:114]
	v_fma_f64 v[1:2], v[1:2], v[111:112], -v[116:117]
	v_fma_f64 v[3:4], v[3:4], v[111:112], v[113:114]
	buffer_store_dword v2, off, s[0:3], 0 offset:276
	buffer_store_dword v1, off, s[0:3], 0 offset:272
	;; [unrolled: 1-line block ×4, first 2 shown]
.LBB115_275:
	s_or_b32 exec_lo, exec_lo, s6
	v_mov_b32_e32 v4, s44
	v_cmp_lt_u32_e64 s4, 16, v0
	s_clause 0x3
	buffer_load_dword v1, v4, s[0:3], 0 offen
	buffer_load_dword v2, v4, s[0:3], 0 offen offset:4
	buffer_load_dword v3, v4, s[0:3], 0 offen offset:8
	buffer_load_dword v4, v4, s[0:3], 0 offen offset:12
	s_waitcnt vmcnt(0)
	ds_write_b128 v110, v[1:4]
	s_waitcnt lgkmcnt(0)
	s_waitcnt_vscnt null, 0x0
	s_barrier
	buffer_gl0_inv
	s_and_saveexec_b32 s6, s4
	s_cbranch_execz .LBB115_283
; %bb.276:
	ds_read_b128 v[1:4], v110
	s_andn2_b32 vcc_lo, exec_lo, s60
	s_cbranch_vccnz .LBB115_278
; %bb.277:
	s_clause 0x3
	buffer_load_dword v111, v109, s[0:3], 0 offen offset:8
	buffer_load_dword v112, v109, s[0:3], 0 offen offset:12
	buffer_load_dword v113, v109, s[0:3], 0 offen
	buffer_load_dword v114, v109, s[0:3], 0 offen offset:4
	s_waitcnt vmcnt(2) lgkmcnt(0)
	v_mul_f64 v[116:117], v[3:4], v[111:112]
	v_mul_f64 v[111:112], v[1:2], v[111:112]
	s_waitcnt vmcnt(0)
	v_fma_f64 v[1:2], v[1:2], v[113:114], -v[116:117]
	v_fma_f64 v[3:4], v[3:4], v[113:114], v[111:112]
.LBB115_278:
	s_and_saveexec_b32 s8, s5
	s_cbranch_execz .LBB115_282
; %bb.279:
	v_subrev_nc_u32_e32 v111, 17, v0
	s_movk_i32 s61, 0x450
	s_mov_b32 s5, 0
	s_mov_b32 s62, s43
	.p2align	6
.LBB115_280:                            ; =>This Inner Loop Header: Depth=1
	v_mov_b32_e32 v114, s62
	v_add_nc_u32_e32 v111, -1, v111
	s_add_i32 s62, s62, 16
	s_clause 0x3
	buffer_load_dword v112, v114, s[0:3], 0 offen offset:8
	buffer_load_dword v113, v114, s[0:3], 0 offen offset:12
	buffer_load_dword v120, v114, s[0:3], 0 offen
	buffer_load_dword v121, v114, s[0:3], 0 offen offset:4
	v_mov_b32_e32 v114, s61
	v_cmp_eq_u32_e32 vcc_lo, 0, v111
	s_add_i32 s61, s61, 16
	ds_read_b128 v[116:119], v114
	s_or_b32 s5, vcc_lo, s5
	s_waitcnt vmcnt(2) lgkmcnt(0)
	v_mul_f64 v[122:123], v[118:119], v[112:113]
	v_mul_f64 v[112:113], v[116:117], v[112:113]
	s_waitcnt vmcnt(0)
	v_fma_f64 v[116:117], v[116:117], v[120:121], -v[122:123]
	v_fma_f64 v[112:113], v[118:119], v[120:121], v[112:113]
	v_add_f64 v[1:2], v[1:2], v[116:117]
	v_add_f64 v[3:4], v[3:4], v[112:113]
	s_andn2_b32 exec_lo, exec_lo, s5
	s_cbranch_execnz .LBB115_280
; %bb.281:
	s_or_b32 exec_lo, exec_lo, s5
.LBB115_282:
	s_or_b32 exec_lo, exec_lo, s8
	v_mov_b32_e32 v111, 0
	ds_read_b128 v[111:114], v111 offset:256
	s_waitcnt lgkmcnt(0)
	v_mul_f64 v[116:117], v[3:4], v[113:114]
	v_mul_f64 v[113:114], v[1:2], v[113:114]
	v_fma_f64 v[1:2], v[1:2], v[111:112], -v[116:117]
	v_fma_f64 v[3:4], v[3:4], v[111:112], v[113:114]
	buffer_store_dword v2, off, s[0:3], 0 offset:260
	buffer_store_dword v1, off, s[0:3], 0 offset:256
	;; [unrolled: 1-line block ×4, first 2 shown]
.LBB115_283:
	s_or_b32 exec_lo, exec_lo, s6
	v_mov_b32_e32 v4, s45
	v_cmp_lt_u32_e64 s5, 15, v0
	s_clause 0x3
	buffer_load_dword v1, v4, s[0:3], 0 offen
	buffer_load_dword v2, v4, s[0:3], 0 offen offset:4
	buffer_load_dword v3, v4, s[0:3], 0 offen offset:8
	;; [unrolled: 1-line block ×3, first 2 shown]
	s_waitcnt vmcnt(0)
	ds_write_b128 v110, v[1:4]
	s_waitcnt lgkmcnt(0)
	s_waitcnt_vscnt null, 0x0
	s_barrier
	buffer_gl0_inv
	s_and_saveexec_b32 s6, s5
	s_cbranch_execz .LBB115_291
; %bb.284:
	ds_read_b128 v[1:4], v110
	s_andn2_b32 vcc_lo, exec_lo, s60
	s_cbranch_vccnz .LBB115_286
; %bb.285:
	s_clause 0x3
	buffer_load_dword v111, v109, s[0:3], 0 offen offset:8
	buffer_load_dword v112, v109, s[0:3], 0 offen offset:12
	buffer_load_dword v113, v109, s[0:3], 0 offen
	buffer_load_dword v114, v109, s[0:3], 0 offen offset:4
	s_waitcnt vmcnt(2) lgkmcnt(0)
	v_mul_f64 v[116:117], v[3:4], v[111:112]
	v_mul_f64 v[111:112], v[1:2], v[111:112]
	s_waitcnt vmcnt(0)
	v_fma_f64 v[1:2], v[1:2], v[113:114], -v[116:117]
	v_fma_f64 v[3:4], v[3:4], v[113:114], v[111:112]
.LBB115_286:
	s_and_saveexec_b32 s8, s4
	s_cbranch_execz .LBB115_290
; %bb.287:
	v_add_nc_u32_e32 v111, -16, v0
	s_movk_i32 s61, 0x440
	s_mov_b32 s4, 0
	s_mov_b32 s62, s44
	.p2align	6
.LBB115_288:                            ; =>This Inner Loop Header: Depth=1
	v_mov_b32_e32 v114, s62
	v_add_nc_u32_e32 v111, -1, v111
	s_add_i32 s62, s62, 16
	s_clause 0x3
	buffer_load_dword v112, v114, s[0:3], 0 offen offset:8
	buffer_load_dword v113, v114, s[0:3], 0 offen offset:12
	buffer_load_dword v120, v114, s[0:3], 0 offen
	buffer_load_dword v121, v114, s[0:3], 0 offen offset:4
	v_mov_b32_e32 v114, s61
	v_cmp_eq_u32_e32 vcc_lo, 0, v111
	s_add_i32 s61, s61, 16
	ds_read_b128 v[116:119], v114
	s_or_b32 s4, vcc_lo, s4
	s_waitcnt vmcnt(2) lgkmcnt(0)
	v_mul_f64 v[122:123], v[118:119], v[112:113]
	v_mul_f64 v[112:113], v[116:117], v[112:113]
	s_waitcnt vmcnt(0)
	v_fma_f64 v[116:117], v[116:117], v[120:121], -v[122:123]
	v_fma_f64 v[112:113], v[118:119], v[120:121], v[112:113]
	v_add_f64 v[1:2], v[1:2], v[116:117]
	v_add_f64 v[3:4], v[3:4], v[112:113]
	s_andn2_b32 exec_lo, exec_lo, s4
	s_cbranch_execnz .LBB115_288
; %bb.289:
	s_or_b32 exec_lo, exec_lo, s4
.LBB115_290:
	s_or_b32 exec_lo, exec_lo, s8
	v_mov_b32_e32 v111, 0
	ds_read_b128 v[111:114], v111 offset:240
	s_waitcnt lgkmcnt(0)
	v_mul_f64 v[116:117], v[3:4], v[113:114]
	v_mul_f64 v[113:114], v[1:2], v[113:114]
	v_fma_f64 v[1:2], v[1:2], v[111:112], -v[116:117]
	v_fma_f64 v[3:4], v[3:4], v[111:112], v[113:114]
	buffer_store_dword v2, off, s[0:3], 0 offset:244
	buffer_store_dword v1, off, s[0:3], 0 offset:240
	;; [unrolled: 1-line block ×4, first 2 shown]
.LBB115_291:
	s_or_b32 exec_lo, exec_lo, s6
	v_mov_b32_e32 v4, s46
	v_cmp_lt_u32_e64 s4, 14, v0
	s_clause 0x3
	buffer_load_dword v1, v4, s[0:3], 0 offen
	buffer_load_dword v2, v4, s[0:3], 0 offen offset:4
	buffer_load_dword v3, v4, s[0:3], 0 offen offset:8
	;; [unrolled: 1-line block ×3, first 2 shown]
	s_waitcnt vmcnt(0)
	ds_write_b128 v110, v[1:4]
	s_waitcnt lgkmcnt(0)
	s_waitcnt_vscnt null, 0x0
	s_barrier
	buffer_gl0_inv
	s_and_saveexec_b32 s6, s4
	s_cbranch_execz .LBB115_299
; %bb.292:
	ds_read_b128 v[1:4], v110
	s_andn2_b32 vcc_lo, exec_lo, s60
	s_cbranch_vccnz .LBB115_294
; %bb.293:
	s_clause 0x3
	buffer_load_dword v111, v109, s[0:3], 0 offen offset:8
	buffer_load_dword v112, v109, s[0:3], 0 offen offset:12
	buffer_load_dword v113, v109, s[0:3], 0 offen
	buffer_load_dword v114, v109, s[0:3], 0 offen offset:4
	s_waitcnt vmcnt(2) lgkmcnt(0)
	v_mul_f64 v[116:117], v[3:4], v[111:112]
	v_mul_f64 v[111:112], v[1:2], v[111:112]
	s_waitcnt vmcnt(0)
	v_fma_f64 v[1:2], v[1:2], v[113:114], -v[116:117]
	v_fma_f64 v[3:4], v[3:4], v[113:114], v[111:112]
.LBB115_294:
	s_and_saveexec_b32 s8, s5
	s_cbranch_execz .LBB115_298
; %bb.295:
	v_add_nc_u32_e32 v111, -15, v0
	s_movk_i32 s61, 0x430
	s_mov_b32 s5, 0
	s_mov_b32 s62, s45
	.p2align	6
.LBB115_296:                            ; =>This Inner Loop Header: Depth=1
	v_mov_b32_e32 v114, s62
	v_add_nc_u32_e32 v111, -1, v111
	s_add_i32 s62, s62, 16
	s_clause 0x3
	buffer_load_dword v112, v114, s[0:3], 0 offen offset:8
	buffer_load_dword v113, v114, s[0:3], 0 offen offset:12
	buffer_load_dword v120, v114, s[0:3], 0 offen
	buffer_load_dword v121, v114, s[0:3], 0 offen offset:4
	v_mov_b32_e32 v114, s61
	v_cmp_eq_u32_e32 vcc_lo, 0, v111
	s_add_i32 s61, s61, 16
	ds_read_b128 v[116:119], v114
	s_or_b32 s5, vcc_lo, s5
	s_waitcnt vmcnt(2) lgkmcnt(0)
	v_mul_f64 v[122:123], v[118:119], v[112:113]
	v_mul_f64 v[112:113], v[116:117], v[112:113]
	s_waitcnt vmcnt(0)
	v_fma_f64 v[116:117], v[116:117], v[120:121], -v[122:123]
	v_fma_f64 v[112:113], v[118:119], v[120:121], v[112:113]
	v_add_f64 v[1:2], v[1:2], v[116:117]
	v_add_f64 v[3:4], v[3:4], v[112:113]
	s_andn2_b32 exec_lo, exec_lo, s5
	s_cbranch_execnz .LBB115_296
; %bb.297:
	s_or_b32 exec_lo, exec_lo, s5
.LBB115_298:
	s_or_b32 exec_lo, exec_lo, s8
	v_mov_b32_e32 v111, 0
	ds_read_b128 v[111:114], v111 offset:224
	s_waitcnt lgkmcnt(0)
	v_mul_f64 v[116:117], v[3:4], v[113:114]
	v_mul_f64 v[113:114], v[1:2], v[113:114]
	v_fma_f64 v[1:2], v[1:2], v[111:112], -v[116:117]
	v_fma_f64 v[3:4], v[3:4], v[111:112], v[113:114]
	buffer_store_dword v2, off, s[0:3], 0 offset:228
	buffer_store_dword v1, off, s[0:3], 0 offset:224
	;; [unrolled: 1-line block ×4, first 2 shown]
.LBB115_299:
	s_or_b32 exec_lo, exec_lo, s6
	v_mov_b32_e32 v4, s47
	v_cmp_lt_u32_e64 s5, 13, v0
	s_clause 0x3
	buffer_load_dword v1, v4, s[0:3], 0 offen
	buffer_load_dword v2, v4, s[0:3], 0 offen offset:4
	buffer_load_dword v3, v4, s[0:3], 0 offen offset:8
	;; [unrolled: 1-line block ×3, first 2 shown]
	s_waitcnt vmcnt(0)
	ds_write_b128 v110, v[1:4]
	s_waitcnt lgkmcnt(0)
	s_waitcnt_vscnt null, 0x0
	s_barrier
	buffer_gl0_inv
	s_and_saveexec_b32 s6, s5
	s_cbranch_execz .LBB115_307
; %bb.300:
	ds_read_b128 v[1:4], v110
	s_andn2_b32 vcc_lo, exec_lo, s60
	s_cbranch_vccnz .LBB115_302
; %bb.301:
	s_clause 0x3
	buffer_load_dword v111, v109, s[0:3], 0 offen offset:8
	buffer_load_dword v112, v109, s[0:3], 0 offen offset:12
	buffer_load_dword v113, v109, s[0:3], 0 offen
	buffer_load_dword v114, v109, s[0:3], 0 offen offset:4
	s_waitcnt vmcnt(2) lgkmcnt(0)
	v_mul_f64 v[116:117], v[3:4], v[111:112]
	v_mul_f64 v[111:112], v[1:2], v[111:112]
	s_waitcnt vmcnt(0)
	v_fma_f64 v[1:2], v[1:2], v[113:114], -v[116:117]
	v_fma_f64 v[3:4], v[3:4], v[113:114], v[111:112]
.LBB115_302:
	s_and_saveexec_b32 s8, s4
	s_cbranch_execz .LBB115_306
; %bb.303:
	v_add_nc_u32_e32 v111, -14, v0
	s_movk_i32 s61, 0x420
	s_mov_b32 s4, 0
	s_mov_b32 s62, s46
	.p2align	6
.LBB115_304:                            ; =>This Inner Loop Header: Depth=1
	v_mov_b32_e32 v114, s62
	v_add_nc_u32_e32 v111, -1, v111
	s_add_i32 s62, s62, 16
	s_clause 0x3
	buffer_load_dword v112, v114, s[0:3], 0 offen offset:8
	buffer_load_dword v113, v114, s[0:3], 0 offen offset:12
	buffer_load_dword v120, v114, s[0:3], 0 offen
	buffer_load_dword v121, v114, s[0:3], 0 offen offset:4
	v_mov_b32_e32 v114, s61
	v_cmp_eq_u32_e32 vcc_lo, 0, v111
	s_add_i32 s61, s61, 16
	ds_read_b128 v[116:119], v114
	s_or_b32 s4, vcc_lo, s4
	s_waitcnt vmcnt(2) lgkmcnt(0)
	v_mul_f64 v[122:123], v[118:119], v[112:113]
	v_mul_f64 v[112:113], v[116:117], v[112:113]
	s_waitcnt vmcnt(0)
	v_fma_f64 v[116:117], v[116:117], v[120:121], -v[122:123]
	v_fma_f64 v[112:113], v[118:119], v[120:121], v[112:113]
	v_add_f64 v[1:2], v[1:2], v[116:117]
	v_add_f64 v[3:4], v[3:4], v[112:113]
	s_andn2_b32 exec_lo, exec_lo, s4
	s_cbranch_execnz .LBB115_304
; %bb.305:
	s_or_b32 exec_lo, exec_lo, s4
.LBB115_306:
	s_or_b32 exec_lo, exec_lo, s8
	v_mov_b32_e32 v111, 0
	ds_read_b128 v[111:114], v111 offset:208
	s_waitcnt lgkmcnt(0)
	v_mul_f64 v[116:117], v[3:4], v[113:114]
	v_mul_f64 v[113:114], v[1:2], v[113:114]
	v_fma_f64 v[1:2], v[1:2], v[111:112], -v[116:117]
	v_fma_f64 v[3:4], v[3:4], v[111:112], v[113:114]
	buffer_store_dword v2, off, s[0:3], 0 offset:212
	buffer_store_dword v1, off, s[0:3], 0 offset:208
	;; [unrolled: 1-line block ×4, first 2 shown]
.LBB115_307:
	s_or_b32 exec_lo, exec_lo, s6
	v_mov_b32_e32 v4, s48
	v_cmp_lt_u32_e64 s4, 12, v0
	s_clause 0x3
	buffer_load_dword v1, v4, s[0:3], 0 offen
	buffer_load_dword v2, v4, s[0:3], 0 offen offset:4
	buffer_load_dword v3, v4, s[0:3], 0 offen offset:8
	;; [unrolled: 1-line block ×3, first 2 shown]
	s_waitcnt vmcnt(0)
	ds_write_b128 v110, v[1:4]
	s_waitcnt lgkmcnt(0)
	s_waitcnt_vscnt null, 0x0
	s_barrier
	buffer_gl0_inv
	s_and_saveexec_b32 s6, s4
	s_cbranch_execz .LBB115_315
; %bb.308:
	ds_read_b128 v[1:4], v110
	s_andn2_b32 vcc_lo, exec_lo, s60
	s_cbranch_vccnz .LBB115_310
; %bb.309:
	s_clause 0x3
	buffer_load_dword v111, v109, s[0:3], 0 offen offset:8
	buffer_load_dword v112, v109, s[0:3], 0 offen offset:12
	buffer_load_dword v113, v109, s[0:3], 0 offen
	buffer_load_dword v114, v109, s[0:3], 0 offen offset:4
	s_waitcnt vmcnt(2) lgkmcnt(0)
	v_mul_f64 v[116:117], v[3:4], v[111:112]
	v_mul_f64 v[111:112], v[1:2], v[111:112]
	s_waitcnt vmcnt(0)
	v_fma_f64 v[1:2], v[1:2], v[113:114], -v[116:117]
	v_fma_f64 v[3:4], v[3:4], v[113:114], v[111:112]
.LBB115_310:
	s_and_saveexec_b32 s8, s5
	s_cbranch_execz .LBB115_314
; %bb.311:
	v_add_nc_u32_e32 v111, -13, v0
	s_movk_i32 s61, 0x410
	s_mov_b32 s5, 0
	s_mov_b32 s62, s47
	.p2align	6
.LBB115_312:                            ; =>This Inner Loop Header: Depth=1
	v_mov_b32_e32 v114, s62
	v_add_nc_u32_e32 v111, -1, v111
	s_add_i32 s62, s62, 16
	s_clause 0x3
	buffer_load_dword v112, v114, s[0:3], 0 offen offset:8
	buffer_load_dword v113, v114, s[0:3], 0 offen offset:12
	buffer_load_dword v120, v114, s[0:3], 0 offen
	buffer_load_dword v121, v114, s[0:3], 0 offen offset:4
	v_mov_b32_e32 v114, s61
	v_cmp_eq_u32_e32 vcc_lo, 0, v111
	s_add_i32 s61, s61, 16
	ds_read_b128 v[116:119], v114
	s_or_b32 s5, vcc_lo, s5
	s_waitcnt vmcnt(2) lgkmcnt(0)
	v_mul_f64 v[122:123], v[118:119], v[112:113]
	v_mul_f64 v[112:113], v[116:117], v[112:113]
	s_waitcnt vmcnt(0)
	v_fma_f64 v[116:117], v[116:117], v[120:121], -v[122:123]
	v_fma_f64 v[112:113], v[118:119], v[120:121], v[112:113]
	v_add_f64 v[1:2], v[1:2], v[116:117]
	v_add_f64 v[3:4], v[3:4], v[112:113]
	s_andn2_b32 exec_lo, exec_lo, s5
	s_cbranch_execnz .LBB115_312
; %bb.313:
	s_or_b32 exec_lo, exec_lo, s5
.LBB115_314:
	s_or_b32 exec_lo, exec_lo, s8
	v_mov_b32_e32 v111, 0
	ds_read_b128 v[111:114], v111 offset:192
	s_waitcnt lgkmcnt(0)
	v_mul_f64 v[116:117], v[3:4], v[113:114]
	v_mul_f64 v[113:114], v[1:2], v[113:114]
	v_fma_f64 v[1:2], v[1:2], v[111:112], -v[116:117]
	v_fma_f64 v[3:4], v[3:4], v[111:112], v[113:114]
	buffer_store_dword v2, off, s[0:3], 0 offset:196
	buffer_store_dword v1, off, s[0:3], 0 offset:192
	;; [unrolled: 1-line block ×4, first 2 shown]
.LBB115_315:
	s_or_b32 exec_lo, exec_lo, s6
	v_mov_b32_e32 v4, s49
	v_cmp_lt_u32_e64 s5, 11, v0
	s_clause 0x3
	buffer_load_dword v1, v4, s[0:3], 0 offen
	buffer_load_dword v2, v4, s[0:3], 0 offen offset:4
	buffer_load_dword v3, v4, s[0:3], 0 offen offset:8
	;; [unrolled: 1-line block ×3, first 2 shown]
	s_waitcnt vmcnt(0)
	ds_write_b128 v110, v[1:4]
	s_waitcnt lgkmcnt(0)
	s_waitcnt_vscnt null, 0x0
	s_barrier
	buffer_gl0_inv
	s_and_saveexec_b32 s6, s5
	s_cbranch_execz .LBB115_323
; %bb.316:
	ds_read_b128 v[1:4], v110
	s_andn2_b32 vcc_lo, exec_lo, s60
	s_cbranch_vccnz .LBB115_318
; %bb.317:
	s_clause 0x3
	buffer_load_dword v111, v109, s[0:3], 0 offen offset:8
	buffer_load_dword v112, v109, s[0:3], 0 offen offset:12
	buffer_load_dword v113, v109, s[0:3], 0 offen
	buffer_load_dword v114, v109, s[0:3], 0 offen offset:4
	s_waitcnt vmcnt(2) lgkmcnt(0)
	v_mul_f64 v[116:117], v[3:4], v[111:112]
	v_mul_f64 v[111:112], v[1:2], v[111:112]
	s_waitcnt vmcnt(0)
	v_fma_f64 v[1:2], v[1:2], v[113:114], -v[116:117]
	v_fma_f64 v[3:4], v[3:4], v[113:114], v[111:112]
.LBB115_318:
	s_and_saveexec_b32 s8, s4
	s_cbranch_execz .LBB115_322
; %bb.319:
	v_add_nc_u32_e32 v111, -12, v0
	s_movk_i32 s61, 0x400
	s_mov_b32 s4, 0
	s_mov_b32 s62, s48
	.p2align	6
.LBB115_320:                            ; =>This Inner Loop Header: Depth=1
	v_mov_b32_e32 v114, s62
	v_add_nc_u32_e32 v111, -1, v111
	s_add_i32 s62, s62, 16
	s_clause 0x3
	buffer_load_dword v112, v114, s[0:3], 0 offen offset:8
	buffer_load_dword v113, v114, s[0:3], 0 offen offset:12
	buffer_load_dword v120, v114, s[0:3], 0 offen
	buffer_load_dword v121, v114, s[0:3], 0 offen offset:4
	v_mov_b32_e32 v114, s61
	v_cmp_eq_u32_e32 vcc_lo, 0, v111
	s_add_i32 s61, s61, 16
	ds_read_b128 v[116:119], v114
	s_or_b32 s4, vcc_lo, s4
	s_waitcnt vmcnt(2) lgkmcnt(0)
	v_mul_f64 v[122:123], v[118:119], v[112:113]
	v_mul_f64 v[112:113], v[116:117], v[112:113]
	s_waitcnt vmcnt(0)
	v_fma_f64 v[116:117], v[116:117], v[120:121], -v[122:123]
	v_fma_f64 v[112:113], v[118:119], v[120:121], v[112:113]
	v_add_f64 v[1:2], v[1:2], v[116:117]
	v_add_f64 v[3:4], v[3:4], v[112:113]
	s_andn2_b32 exec_lo, exec_lo, s4
	s_cbranch_execnz .LBB115_320
; %bb.321:
	s_or_b32 exec_lo, exec_lo, s4
.LBB115_322:
	s_or_b32 exec_lo, exec_lo, s8
	v_mov_b32_e32 v111, 0
	ds_read_b128 v[111:114], v111 offset:176
	s_waitcnt lgkmcnt(0)
	v_mul_f64 v[116:117], v[3:4], v[113:114]
	v_mul_f64 v[113:114], v[1:2], v[113:114]
	v_fma_f64 v[1:2], v[1:2], v[111:112], -v[116:117]
	v_fma_f64 v[3:4], v[3:4], v[111:112], v[113:114]
	buffer_store_dword v2, off, s[0:3], 0 offset:180
	buffer_store_dword v1, off, s[0:3], 0 offset:176
	buffer_store_dword v4, off, s[0:3], 0 offset:188
	buffer_store_dword v3, off, s[0:3], 0 offset:184
.LBB115_323:
	s_or_b32 exec_lo, exec_lo, s6
	v_mov_b32_e32 v4, s50
	v_cmp_lt_u32_e64 s4, 10, v0
	s_clause 0x3
	buffer_load_dword v1, v4, s[0:3], 0 offen
	buffer_load_dword v2, v4, s[0:3], 0 offen offset:4
	buffer_load_dword v3, v4, s[0:3], 0 offen offset:8
	;; [unrolled: 1-line block ×3, first 2 shown]
	s_waitcnt vmcnt(0)
	ds_write_b128 v110, v[1:4]
	s_waitcnt lgkmcnt(0)
	s_waitcnt_vscnt null, 0x0
	s_barrier
	buffer_gl0_inv
	s_and_saveexec_b32 s6, s4
	s_cbranch_execz .LBB115_331
; %bb.324:
	ds_read_b128 v[1:4], v110
	s_andn2_b32 vcc_lo, exec_lo, s60
	s_cbranch_vccnz .LBB115_326
; %bb.325:
	s_clause 0x3
	buffer_load_dword v111, v109, s[0:3], 0 offen offset:8
	buffer_load_dword v112, v109, s[0:3], 0 offen offset:12
	buffer_load_dword v113, v109, s[0:3], 0 offen
	buffer_load_dword v114, v109, s[0:3], 0 offen offset:4
	s_waitcnt vmcnt(2) lgkmcnt(0)
	v_mul_f64 v[116:117], v[3:4], v[111:112]
	v_mul_f64 v[111:112], v[1:2], v[111:112]
	s_waitcnt vmcnt(0)
	v_fma_f64 v[1:2], v[1:2], v[113:114], -v[116:117]
	v_fma_f64 v[3:4], v[3:4], v[113:114], v[111:112]
.LBB115_326:
	s_and_saveexec_b32 s8, s5
	s_cbranch_execz .LBB115_330
; %bb.327:
	v_add_nc_u32_e32 v111, -11, v0
	s_movk_i32 s61, 0x3f0
	s_mov_b32 s5, 0
	s_mov_b32 s62, s49
	.p2align	6
.LBB115_328:                            ; =>This Inner Loop Header: Depth=1
	v_mov_b32_e32 v114, s62
	v_add_nc_u32_e32 v111, -1, v111
	s_add_i32 s62, s62, 16
	s_clause 0x3
	buffer_load_dword v112, v114, s[0:3], 0 offen offset:8
	buffer_load_dword v113, v114, s[0:3], 0 offen offset:12
	buffer_load_dword v120, v114, s[0:3], 0 offen
	buffer_load_dword v121, v114, s[0:3], 0 offen offset:4
	v_mov_b32_e32 v114, s61
	v_cmp_eq_u32_e32 vcc_lo, 0, v111
	s_add_i32 s61, s61, 16
	ds_read_b128 v[116:119], v114
	s_or_b32 s5, vcc_lo, s5
	s_waitcnt vmcnt(2) lgkmcnt(0)
	v_mul_f64 v[122:123], v[118:119], v[112:113]
	v_mul_f64 v[112:113], v[116:117], v[112:113]
	s_waitcnt vmcnt(0)
	v_fma_f64 v[116:117], v[116:117], v[120:121], -v[122:123]
	v_fma_f64 v[112:113], v[118:119], v[120:121], v[112:113]
	v_add_f64 v[1:2], v[1:2], v[116:117]
	v_add_f64 v[3:4], v[3:4], v[112:113]
	s_andn2_b32 exec_lo, exec_lo, s5
	s_cbranch_execnz .LBB115_328
; %bb.329:
	s_or_b32 exec_lo, exec_lo, s5
.LBB115_330:
	s_or_b32 exec_lo, exec_lo, s8
	v_mov_b32_e32 v111, 0
	ds_read_b128 v[111:114], v111 offset:160
	s_waitcnt lgkmcnt(0)
	v_mul_f64 v[116:117], v[3:4], v[113:114]
	v_mul_f64 v[113:114], v[1:2], v[113:114]
	v_fma_f64 v[1:2], v[1:2], v[111:112], -v[116:117]
	v_fma_f64 v[3:4], v[3:4], v[111:112], v[113:114]
	buffer_store_dword v2, off, s[0:3], 0 offset:164
	buffer_store_dword v1, off, s[0:3], 0 offset:160
	;; [unrolled: 1-line block ×4, first 2 shown]
.LBB115_331:
	s_or_b32 exec_lo, exec_lo, s6
	v_mov_b32_e32 v4, s51
	v_cmp_lt_u32_e64 s5, 9, v0
	s_clause 0x3
	buffer_load_dword v1, v4, s[0:3], 0 offen
	buffer_load_dword v2, v4, s[0:3], 0 offen offset:4
	buffer_load_dword v3, v4, s[0:3], 0 offen offset:8
	;; [unrolled: 1-line block ×3, first 2 shown]
	s_waitcnt vmcnt(0)
	ds_write_b128 v110, v[1:4]
	s_waitcnt lgkmcnt(0)
	s_waitcnt_vscnt null, 0x0
	s_barrier
	buffer_gl0_inv
	s_and_saveexec_b32 s6, s5
	s_cbranch_execz .LBB115_339
; %bb.332:
	ds_read_b128 v[1:4], v110
	s_andn2_b32 vcc_lo, exec_lo, s60
	s_cbranch_vccnz .LBB115_334
; %bb.333:
	s_clause 0x3
	buffer_load_dword v111, v109, s[0:3], 0 offen offset:8
	buffer_load_dword v112, v109, s[0:3], 0 offen offset:12
	buffer_load_dword v113, v109, s[0:3], 0 offen
	buffer_load_dword v114, v109, s[0:3], 0 offen offset:4
	s_waitcnt vmcnt(2) lgkmcnt(0)
	v_mul_f64 v[116:117], v[3:4], v[111:112]
	v_mul_f64 v[111:112], v[1:2], v[111:112]
	s_waitcnt vmcnt(0)
	v_fma_f64 v[1:2], v[1:2], v[113:114], -v[116:117]
	v_fma_f64 v[3:4], v[3:4], v[113:114], v[111:112]
.LBB115_334:
	s_and_saveexec_b32 s8, s4
	s_cbranch_execz .LBB115_338
; %bb.335:
	v_add_nc_u32_e32 v111, -10, v0
	s_movk_i32 s61, 0x3e0
	s_mov_b32 s4, 0
	s_mov_b32 s62, s50
	.p2align	6
.LBB115_336:                            ; =>This Inner Loop Header: Depth=1
	v_mov_b32_e32 v114, s62
	v_add_nc_u32_e32 v111, -1, v111
	s_add_i32 s62, s62, 16
	s_clause 0x3
	buffer_load_dword v112, v114, s[0:3], 0 offen offset:8
	buffer_load_dword v113, v114, s[0:3], 0 offen offset:12
	buffer_load_dword v120, v114, s[0:3], 0 offen
	buffer_load_dword v121, v114, s[0:3], 0 offen offset:4
	v_mov_b32_e32 v114, s61
	v_cmp_eq_u32_e32 vcc_lo, 0, v111
	s_add_i32 s61, s61, 16
	ds_read_b128 v[116:119], v114
	s_or_b32 s4, vcc_lo, s4
	s_waitcnt vmcnt(2) lgkmcnt(0)
	v_mul_f64 v[122:123], v[118:119], v[112:113]
	v_mul_f64 v[112:113], v[116:117], v[112:113]
	s_waitcnt vmcnt(0)
	v_fma_f64 v[116:117], v[116:117], v[120:121], -v[122:123]
	v_fma_f64 v[112:113], v[118:119], v[120:121], v[112:113]
	v_add_f64 v[1:2], v[1:2], v[116:117]
	v_add_f64 v[3:4], v[3:4], v[112:113]
	s_andn2_b32 exec_lo, exec_lo, s4
	s_cbranch_execnz .LBB115_336
; %bb.337:
	s_or_b32 exec_lo, exec_lo, s4
.LBB115_338:
	s_or_b32 exec_lo, exec_lo, s8
	v_mov_b32_e32 v111, 0
	ds_read_b128 v[111:114], v111 offset:144
	s_waitcnt lgkmcnt(0)
	v_mul_f64 v[116:117], v[3:4], v[113:114]
	v_mul_f64 v[113:114], v[1:2], v[113:114]
	v_fma_f64 v[1:2], v[1:2], v[111:112], -v[116:117]
	v_fma_f64 v[3:4], v[3:4], v[111:112], v[113:114]
	buffer_store_dword v2, off, s[0:3], 0 offset:148
	buffer_store_dword v1, off, s[0:3], 0 offset:144
	;; [unrolled: 1-line block ×4, first 2 shown]
.LBB115_339:
	s_or_b32 exec_lo, exec_lo, s6
	v_mov_b32_e32 v4, s52
	v_cmp_lt_u32_e64 s4, 8, v0
	s_clause 0x3
	buffer_load_dword v1, v4, s[0:3], 0 offen
	buffer_load_dword v2, v4, s[0:3], 0 offen offset:4
	buffer_load_dword v3, v4, s[0:3], 0 offen offset:8
	;; [unrolled: 1-line block ×3, first 2 shown]
	s_waitcnt vmcnt(0)
	ds_write_b128 v110, v[1:4]
	s_waitcnt lgkmcnt(0)
	s_waitcnt_vscnt null, 0x0
	s_barrier
	buffer_gl0_inv
	s_and_saveexec_b32 s6, s4
	s_cbranch_execz .LBB115_347
; %bb.340:
	ds_read_b128 v[1:4], v110
	s_andn2_b32 vcc_lo, exec_lo, s60
	s_cbranch_vccnz .LBB115_342
; %bb.341:
	s_clause 0x3
	buffer_load_dword v111, v109, s[0:3], 0 offen offset:8
	buffer_load_dword v112, v109, s[0:3], 0 offen offset:12
	buffer_load_dword v113, v109, s[0:3], 0 offen
	buffer_load_dword v114, v109, s[0:3], 0 offen offset:4
	s_waitcnt vmcnt(2) lgkmcnt(0)
	v_mul_f64 v[116:117], v[3:4], v[111:112]
	v_mul_f64 v[111:112], v[1:2], v[111:112]
	s_waitcnt vmcnt(0)
	v_fma_f64 v[1:2], v[1:2], v[113:114], -v[116:117]
	v_fma_f64 v[3:4], v[3:4], v[113:114], v[111:112]
.LBB115_342:
	s_and_saveexec_b32 s8, s5
	s_cbranch_execz .LBB115_346
; %bb.343:
	v_add_nc_u32_e32 v111, -9, v0
	s_movk_i32 s61, 0x3d0
	s_mov_b32 s5, 0
	s_mov_b32 s62, s51
	.p2align	6
.LBB115_344:                            ; =>This Inner Loop Header: Depth=1
	v_mov_b32_e32 v114, s62
	v_add_nc_u32_e32 v111, -1, v111
	s_add_i32 s62, s62, 16
	s_clause 0x3
	buffer_load_dword v112, v114, s[0:3], 0 offen offset:8
	buffer_load_dword v113, v114, s[0:3], 0 offen offset:12
	buffer_load_dword v120, v114, s[0:3], 0 offen
	buffer_load_dword v121, v114, s[0:3], 0 offen offset:4
	v_mov_b32_e32 v114, s61
	v_cmp_eq_u32_e32 vcc_lo, 0, v111
	s_add_i32 s61, s61, 16
	ds_read_b128 v[116:119], v114
	s_or_b32 s5, vcc_lo, s5
	s_waitcnt vmcnt(2) lgkmcnt(0)
	v_mul_f64 v[122:123], v[118:119], v[112:113]
	v_mul_f64 v[112:113], v[116:117], v[112:113]
	s_waitcnt vmcnt(0)
	v_fma_f64 v[116:117], v[116:117], v[120:121], -v[122:123]
	v_fma_f64 v[112:113], v[118:119], v[120:121], v[112:113]
	v_add_f64 v[1:2], v[1:2], v[116:117]
	v_add_f64 v[3:4], v[3:4], v[112:113]
	s_andn2_b32 exec_lo, exec_lo, s5
	s_cbranch_execnz .LBB115_344
; %bb.345:
	s_or_b32 exec_lo, exec_lo, s5
.LBB115_346:
	s_or_b32 exec_lo, exec_lo, s8
	v_mov_b32_e32 v111, 0
	ds_read_b128 v[111:114], v111 offset:128
	s_waitcnt lgkmcnt(0)
	v_mul_f64 v[116:117], v[3:4], v[113:114]
	v_mul_f64 v[113:114], v[1:2], v[113:114]
	v_fma_f64 v[1:2], v[1:2], v[111:112], -v[116:117]
	v_fma_f64 v[3:4], v[3:4], v[111:112], v[113:114]
	buffer_store_dword v2, off, s[0:3], 0 offset:132
	buffer_store_dword v1, off, s[0:3], 0 offset:128
	;; [unrolled: 1-line block ×4, first 2 shown]
.LBB115_347:
	s_or_b32 exec_lo, exec_lo, s6
	v_mov_b32_e32 v4, s53
	v_cmp_lt_u32_e64 s5, 7, v0
	s_clause 0x3
	buffer_load_dword v1, v4, s[0:3], 0 offen
	buffer_load_dword v2, v4, s[0:3], 0 offen offset:4
	buffer_load_dword v3, v4, s[0:3], 0 offen offset:8
	;; [unrolled: 1-line block ×3, first 2 shown]
	s_waitcnt vmcnt(0)
	ds_write_b128 v110, v[1:4]
	s_waitcnt lgkmcnt(0)
	s_waitcnt_vscnt null, 0x0
	s_barrier
	buffer_gl0_inv
	s_and_saveexec_b32 s6, s5
	s_cbranch_execz .LBB115_355
; %bb.348:
	ds_read_b128 v[1:4], v110
	s_andn2_b32 vcc_lo, exec_lo, s60
	s_cbranch_vccnz .LBB115_350
; %bb.349:
	s_clause 0x3
	buffer_load_dword v111, v109, s[0:3], 0 offen offset:8
	buffer_load_dword v112, v109, s[0:3], 0 offen offset:12
	buffer_load_dword v113, v109, s[0:3], 0 offen
	buffer_load_dword v114, v109, s[0:3], 0 offen offset:4
	s_waitcnt vmcnt(2) lgkmcnt(0)
	v_mul_f64 v[116:117], v[3:4], v[111:112]
	v_mul_f64 v[111:112], v[1:2], v[111:112]
	s_waitcnt vmcnt(0)
	v_fma_f64 v[1:2], v[1:2], v[113:114], -v[116:117]
	v_fma_f64 v[3:4], v[3:4], v[113:114], v[111:112]
.LBB115_350:
	s_and_saveexec_b32 s8, s4
	s_cbranch_execz .LBB115_354
; %bb.351:
	v_add_nc_u32_e32 v111, -8, v0
	s_movk_i32 s61, 0x3c0
	s_mov_b32 s4, 0
	s_mov_b32 s62, s52
	.p2align	6
.LBB115_352:                            ; =>This Inner Loop Header: Depth=1
	v_mov_b32_e32 v114, s62
	v_add_nc_u32_e32 v111, -1, v111
	s_add_i32 s62, s62, 16
	s_clause 0x3
	buffer_load_dword v112, v114, s[0:3], 0 offen offset:8
	buffer_load_dword v113, v114, s[0:3], 0 offen offset:12
	buffer_load_dword v120, v114, s[0:3], 0 offen
	buffer_load_dword v121, v114, s[0:3], 0 offen offset:4
	v_mov_b32_e32 v114, s61
	v_cmp_eq_u32_e32 vcc_lo, 0, v111
	s_add_i32 s61, s61, 16
	ds_read_b128 v[116:119], v114
	s_or_b32 s4, vcc_lo, s4
	s_waitcnt vmcnt(2) lgkmcnt(0)
	v_mul_f64 v[122:123], v[118:119], v[112:113]
	v_mul_f64 v[112:113], v[116:117], v[112:113]
	s_waitcnt vmcnt(0)
	v_fma_f64 v[116:117], v[116:117], v[120:121], -v[122:123]
	v_fma_f64 v[112:113], v[118:119], v[120:121], v[112:113]
	v_add_f64 v[1:2], v[1:2], v[116:117]
	v_add_f64 v[3:4], v[3:4], v[112:113]
	s_andn2_b32 exec_lo, exec_lo, s4
	s_cbranch_execnz .LBB115_352
; %bb.353:
	s_or_b32 exec_lo, exec_lo, s4
.LBB115_354:
	s_or_b32 exec_lo, exec_lo, s8
	v_mov_b32_e32 v111, 0
	ds_read_b128 v[111:114], v111 offset:112
	s_waitcnt lgkmcnt(0)
	v_mul_f64 v[116:117], v[3:4], v[113:114]
	v_mul_f64 v[113:114], v[1:2], v[113:114]
	v_fma_f64 v[1:2], v[1:2], v[111:112], -v[116:117]
	v_fma_f64 v[3:4], v[3:4], v[111:112], v[113:114]
	buffer_store_dword v2, off, s[0:3], 0 offset:116
	buffer_store_dword v1, off, s[0:3], 0 offset:112
	;; [unrolled: 1-line block ×4, first 2 shown]
.LBB115_355:
	s_or_b32 exec_lo, exec_lo, s6
	v_mov_b32_e32 v4, s54
	v_cmp_lt_u32_e64 s4, 6, v0
	s_clause 0x3
	buffer_load_dword v1, v4, s[0:3], 0 offen
	buffer_load_dword v2, v4, s[0:3], 0 offen offset:4
	buffer_load_dword v3, v4, s[0:3], 0 offen offset:8
	;; [unrolled: 1-line block ×3, first 2 shown]
	s_waitcnt vmcnt(0)
	ds_write_b128 v110, v[1:4]
	s_waitcnt lgkmcnt(0)
	s_waitcnt_vscnt null, 0x0
	s_barrier
	buffer_gl0_inv
	s_and_saveexec_b32 s6, s4
	s_cbranch_execz .LBB115_363
; %bb.356:
	ds_read_b128 v[1:4], v110
	s_andn2_b32 vcc_lo, exec_lo, s60
	s_cbranch_vccnz .LBB115_358
; %bb.357:
	s_clause 0x3
	buffer_load_dword v111, v109, s[0:3], 0 offen offset:8
	buffer_load_dword v112, v109, s[0:3], 0 offen offset:12
	buffer_load_dword v113, v109, s[0:3], 0 offen
	buffer_load_dword v114, v109, s[0:3], 0 offen offset:4
	s_waitcnt vmcnt(2) lgkmcnt(0)
	v_mul_f64 v[116:117], v[3:4], v[111:112]
	v_mul_f64 v[111:112], v[1:2], v[111:112]
	s_waitcnt vmcnt(0)
	v_fma_f64 v[1:2], v[1:2], v[113:114], -v[116:117]
	v_fma_f64 v[3:4], v[3:4], v[113:114], v[111:112]
.LBB115_358:
	s_and_saveexec_b32 s8, s5
	s_cbranch_execz .LBB115_362
; %bb.359:
	v_add_nc_u32_e32 v111, -7, v0
	s_movk_i32 s61, 0x3b0
	s_mov_b32 s5, 0
	s_mov_b32 s62, s53
	.p2align	6
.LBB115_360:                            ; =>This Inner Loop Header: Depth=1
	v_mov_b32_e32 v114, s62
	v_add_nc_u32_e32 v111, -1, v111
	s_add_i32 s62, s62, 16
	s_clause 0x3
	buffer_load_dword v112, v114, s[0:3], 0 offen offset:8
	buffer_load_dword v113, v114, s[0:3], 0 offen offset:12
	buffer_load_dword v120, v114, s[0:3], 0 offen
	buffer_load_dword v121, v114, s[0:3], 0 offen offset:4
	v_mov_b32_e32 v114, s61
	v_cmp_eq_u32_e32 vcc_lo, 0, v111
	s_add_i32 s61, s61, 16
	ds_read_b128 v[116:119], v114
	s_or_b32 s5, vcc_lo, s5
	s_waitcnt vmcnt(2) lgkmcnt(0)
	v_mul_f64 v[122:123], v[118:119], v[112:113]
	v_mul_f64 v[112:113], v[116:117], v[112:113]
	s_waitcnt vmcnt(0)
	v_fma_f64 v[116:117], v[116:117], v[120:121], -v[122:123]
	v_fma_f64 v[112:113], v[118:119], v[120:121], v[112:113]
	v_add_f64 v[1:2], v[1:2], v[116:117]
	v_add_f64 v[3:4], v[3:4], v[112:113]
	s_andn2_b32 exec_lo, exec_lo, s5
	s_cbranch_execnz .LBB115_360
; %bb.361:
	s_or_b32 exec_lo, exec_lo, s5
.LBB115_362:
	s_or_b32 exec_lo, exec_lo, s8
	v_mov_b32_e32 v111, 0
	ds_read_b128 v[111:114], v111 offset:96
	s_waitcnt lgkmcnt(0)
	v_mul_f64 v[116:117], v[3:4], v[113:114]
	v_mul_f64 v[113:114], v[1:2], v[113:114]
	v_fma_f64 v[1:2], v[1:2], v[111:112], -v[116:117]
	v_fma_f64 v[3:4], v[3:4], v[111:112], v[113:114]
	buffer_store_dword v2, off, s[0:3], 0 offset:100
	buffer_store_dword v1, off, s[0:3], 0 offset:96
	;; [unrolled: 1-line block ×4, first 2 shown]
.LBB115_363:
	s_or_b32 exec_lo, exec_lo, s6
	v_mov_b32_e32 v4, s55
	v_cmp_lt_u32_e64 s5, 5, v0
	s_clause 0x3
	buffer_load_dword v1, v4, s[0:3], 0 offen
	buffer_load_dword v2, v4, s[0:3], 0 offen offset:4
	buffer_load_dword v3, v4, s[0:3], 0 offen offset:8
	;; [unrolled: 1-line block ×3, first 2 shown]
	s_waitcnt vmcnt(0)
	ds_write_b128 v110, v[1:4]
	s_waitcnt lgkmcnt(0)
	s_waitcnt_vscnt null, 0x0
	s_barrier
	buffer_gl0_inv
	s_and_saveexec_b32 s6, s5
	s_cbranch_execz .LBB115_371
; %bb.364:
	ds_read_b128 v[1:4], v110
	s_andn2_b32 vcc_lo, exec_lo, s60
	s_cbranch_vccnz .LBB115_366
; %bb.365:
	s_clause 0x3
	buffer_load_dword v111, v109, s[0:3], 0 offen offset:8
	buffer_load_dword v112, v109, s[0:3], 0 offen offset:12
	buffer_load_dword v113, v109, s[0:3], 0 offen
	buffer_load_dword v114, v109, s[0:3], 0 offen offset:4
	s_waitcnt vmcnt(2) lgkmcnt(0)
	v_mul_f64 v[116:117], v[3:4], v[111:112]
	v_mul_f64 v[111:112], v[1:2], v[111:112]
	s_waitcnt vmcnt(0)
	v_fma_f64 v[1:2], v[1:2], v[113:114], -v[116:117]
	v_fma_f64 v[3:4], v[3:4], v[113:114], v[111:112]
.LBB115_366:
	s_and_saveexec_b32 s8, s4
	s_cbranch_execz .LBB115_370
; %bb.367:
	v_add_nc_u32_e32 v111, -6, v0
	s_movk_i32 s61, 0x3a0
	s_mov_b32 s4, 0
	s_mov_b32 s62, s54
	.p2align	6
.LBB115_368:                            ; =>This Inner Loop Header: Depth=1
	v_mov_b32_e32 v114, s62
	v_add_nc_u32_e32 v111, -1, v111
	s_add_i32 s62, s62, 16
	s_clause 0x3
	buffer_load_dword v112, v114, s[0:3], 0 offen offset:8
	buffer_load_dword v113, v114, s[0:3], 0 offen offset:12
	buffer_load_dword v120, v114, s[0:3], 0 offen
	buffer_load_dword v121, v114, s[0:3], 0 offen offset:4
	v_mov_b32_e32 v114, s61
	v_cmp_eq_u32_e32 vcc_lo, 0, v111
	s_add_i32 s61, s61, 16
	ds_read_b128 v[116:119], v114
	s_or_b32 s4, vcc_lo, s4
	s_waitcnt vmcnt(2) lgkmcnt(0)
	v_mul_f64 v[122:123], v[118:119], v[112:113]
	v_mul_f64 v[112:113], v[116:117], v[112:113]
	s_waitcnt vmcnt(0)
	v_fma_f64 v[116:117], v[116:117], v[120:121], -v[122:123]
	v_fma_f64 v[112:113], v[118:119], v[120:121], v[112:113]
	v_add_f64 v[1:2], v[1:2], v[116:117]
	v_add_f64 v[3:4], v[3:4], v[112:113]
	s_andn2_b32 exec_lo, exec_lo, s4
	s_cbranch_execnz .LBB115_368
; %bb.369:
	s_or_b32 exec_lo, exec_lo, s4
.LBB115_370:
	s_or_b32 exec_lo, exec_lo, s8
	v_mov_b32_e32 v111, 0
	ds_read_b128 v[111:114], v111 offset:80
	s_waitcnt lgkmcnt(0)
	v_mul_f64 v[116:117], v[3:4], v[113:114]
	v_mul_f64 v[113:114], v[1:2], v[113:114]
	v_fma_f64 v[1:2], v[1:2], v[111:112], -v[116:117]
	v_fma_f64 v[3:4], v[3:4], v[111:112], v[113:114]
	buffer_store_dword v2, off, s[0:3], 0 offset:84
	buffer_store_dword v1, off, s[0:3], 0 offset:80
	;; [unrolled: 1-line block ×4, first 2 shown]
.LBB115_371:
	s_or_b32 exec_lo, exec_lo, s6
	v_mov_b32_e32 v4, s56
	v_cmp_lt_u32_e64 s4, 4, v0
	s_clause 0x3
	buffer_load_dword v1, v4, s[0:3], 0 offen
	buffer_load_dword v2, v4, s[0:3], 0 offen offset:4
	buffer_load_dword v3, v4, s[0:3], 0 offen offset:8
	;; [unrolled: 1-line block ×3, first 2 shown]
	s_waitcnt vmcnt(0)
	ds_write_b128 v110, v[1:4]
	s_waitcnt lgkmcnt(0)
	s_waitcnt_vscnt null, 0x0
	s_barrier
	buffer_gl0_inv
	s_and_saveexec_b32 s6, s4
	s_cbranch_execz .LBB115_379
; %bb.372:
	ds_read_b128 v[1:4], v110
	s_andn2_b32 vcc_lo, exec_lo, s60
	s_cbranch_vccnz .LBB115_374
; %bb.373:
	s_clause 0x3
	buffer_load_dword v111, v109, s[0:3], 0 offen offset:8
	buffer_load_dword v112, v109, s[0:3], 0 offen offset:12
	buffer_load_dword v113, v109, s[0:3], 0 offen
	buffer_load_dword v114, v109, s[0:3], 0 offen offset:4
	s_waitcnt vmcnt(2) lgkmcnt(0)
	v_mul_f64 v[116:117], v[3:4], v[111:112]
	v_mul_f64 v[111:112], v[1:2], v[111:112]
	s_waitcnt vmcnt(0)
	v_fma_f64 v[1:2], v[1:2], v[113:114], -v[116:117]
	v_fma_f64 v[3:4], v[3:4], v[113:114], v[111:112]
.LBB115_374:
	s_and_saveexec_b32 s8, s5
	s_cbranch_execz .LBB115_378
; %bb.375:
	v_add_nc_u32_e32 v111, -5, v0
	s_movk_i32 s61, 0x390
	s_mov_b32 s5, 0
	s_mov_b32 s62, s55
	.p2align	6
.LBB115_376:                            ; =>This Inner Loop Header: Depth=1
	v_mov_b32_e32 v114, s62
	v_add_nc_u32_e32 v111, -1, v111
	s_add_i32 s62, s62, 16
	s_clause 0x3
	buffer_load_dword v112, v114, s[0:3], 0 offen offset:8
	buffer_load_dword v113, v114, s[0:3], 0 offen offset:12
	buffer_load_dword v120, v114, s[0:3], 0 offen
	buffer_load_dword v121, v114, s[0:3], 0 offen offset:4
	v_mov_b32_e32 v114, s61
	v_cmp_eq_u32_e32 vcc_lo, 0, v111
	s_add_i32 s61, s61, 16
	ds_read_b128 v[116:119], v114
	s_or_b32 s5, vcc_lo, s5
	s_waitcnt vmcnt(2) lgkmcnt(0)
	v_mul_f64 v[122:123], v[118:119], v[112:113]
	v_mul_f64 v[112:113], v[116:117], v[112:113]
	s_waitcnt vmcnt(0)
	v_fma_f64 v[116:117], v[116:117], v[120:121], -v[122:123]
	v_fma_f64 v[112:113], v[118:119], v[120:121], v[112:113]
	v_add_f64 v[1:2], v[1:2], v[116:117]
	v_add_f64 v[3:4], v[3:4], v[112:113]
	s_andn2_b32 exec_lo, exec_lo, s5
	s_cbranch_execnz .LBB115_376
; %bb.377:
	s_or_b32 exec_lo, exec_lo, s5
.LBB115_378:
	s_or_b32 exec_lo, exec_lo, s8
	v_mov_b32_e32 v111, 0
	ds_read_b128 v[111:114], v111 offset:64
	s_waitcnt lgkmcnt(0)
	v_mul_f64 v[116:117], v[3:4], v[113:114]
	v_mul_f64 v[113:114], v[1:2], v[113:114]
	v_fma_f64 v[1:2], v[1:2], v[111:112], -v[116:117]
	v_fma_f64 v[3:4], v[3:4], v[111:112], v[113:114]
	buffer_store_dword v2, off, s[0:3], 0 offset:68
	buffer_store_dword v1, off, s[0:3], 0 offset:64
	;; [unrolled: 1-line block ×4, first 2 shown]
.LBB115_379:
	s_or_b32 exec_lo, exec_lo, s6
	v_mov_b32_e32 v4, s57
	v_cmp_lt_u32_e64 s5, 3, v0
	s_clause 0x3
	buffer_load_dword v1, v4, s[0:3], 0 offen
	buffer_load_dword v2, v4, s[0:3], 0 offen offset:4
	buffer_load_dword v3, v4, s[0:3], 0 offen offset:8
	;; [unrolled: 1-line block ×3, first 2 shown]
	s_waitcnt vmcnt(0)
	ds_write_b128 v110, v[1:4]
	s_waitcnt lgkmcnt(0)
	s_waitcnt_vscnt null, 0x0
	s_barrier
	buffer_gl0_inv
	s_and_saveexec_b32 s6, s5
	s_cbranch_execz .LBB115_387
; %bb.380:
	ds_read_b128 v[1:4], v110
	s_andn2_b32 vcc_lo, exec_lo, s60
	s_cbranch_vccnz .LBB115_382
; %bb.381:
	s_clause 0x3
	buffer_load_dword v111, v109, s[0:3], 0 offen offset:8
	buffer_load_dword v112, v109, s[0:3], 0 offen offset:12
	buffer_load_dword v113, v109, s[0:3], 0 offen
	buffer_load_dword v114, v109, s[0:3], 0 offen offset:4
	s_waitcnt vmcnt(2) lgkmcnt(0)
	v_mul_f64 v[116:117], v[3:4], v[111:112]
	v_mul_f64 v[111:112], v[1:2], v[111:112]
	s_waitcnt vmcnt(0)
	v_fma_f64 v[1:2], v[1:2], v[113:114], -v[116:117]
	v_fma_f64 v[3:4], v[3:4], v[113:114], v[111:112]
.LBB115_382:
	s_and_saveexec_b32 s8, s4
	s_cbranch_execz .LBB115_386
; %bb.383:
	v_add_nc_u32_e32 v111, -4, v0
	s_movk_i32 s61, 0x380
	s_mov_b32 s4, 0
	s_mov_b32 s62, s56
	.p2align	6
.LBB115_384:                            ; =>This Inner Loop Header: Depth=1
	v_mov_b32_e32 v114, s62
	v_add_nc_u32_e32 v111, -1, v111
	s_add_i32 s62, s62, 16
	s_clause 0x3
	buffer_load_dword v112, v114, s[0:3], 0 offen offset:8
	buffer_load_dword v113, v114, s[0:3], 0 offen offset:12
	buffer_load_dword v120, v114, s[0:3], 0 offen
	buffer_load_dword v121, v114, s[0:3], 0 offen offset:4
	v_mov_b32_e32 v114, s61
	v_cmp_eq_u32_e32 vcc_lo, 0, v111
	s_add_i32 s61, s61, 16
	ds_read_b128 v[116:119], v114
	s_or_b32 s4, vcc_lo, s4
	s_waitcnt vmcnt(2) lgkmcnt(0)
	v_mul_f64 v[122:123], v[118:119], v[112:113]
	v_mul_f64 v[112:113], v[116:117], v[112:113]
	s_waitcnt vmcnt(0)
	v_fma_f64 v[116:117], v[116:117], v[120:121], -v[122:123]
	v_fma_f64 v[112:113], v[118:119], v[120:121], v[112:113]
	v_add_f64 v[1:2], v[1:2], v[116:117]
	v_add_f64 v[3:4], v[3:4], v[112:113]
	s_andn2_b32 exec_lo, exec_lo, s4
	s_cbranch_execnz .LBB115_384
; %bb.385:
	s_or_b32 exec_lo, exec_lo, s4
.LBB115_386:
	s_or_b32 exec_lo, exec_lo, s8
	v_mov_b32_e32 v111, 0
	ds_read_b128 v[111:114], v111 offset:48
	s_waitcnt lgkmcnt(0)
	v_mul_f64 v[116:117], v[3:4], v[113:114]
	v_mul_f64 v[113:114], v[1:2], v[113:114]
	v_fma_f64 v[1:2], v[1:2], v[111:112], -v[116:117]
	v_fma_f64 v[3:4], v[3:4], v[111:112], v[113:114]
	buffer_store_dword v2, off, s[0:3], 0 offset:52
	buffer_store_dword v1, off, s[0:3], 0 offset:48
	buffer_store_dword v4, off, s[0:3], 0 offset:60
	buffer_store_dword v3, off, s[0:3], 0 offset:56
.LBB115_387:
	s_or_b32 exec_lo, exec_lo, s6
	v_mov_b32_e32 v4, s58
	v_cmp_lt_u32_e64 s6, 2, v0
	s_clause 0x3
	buffer_load_dword v1, v4, s[0:3], 0 offen
	buffer_load_dword v2, v4, s[0:3], 0 offen offset:4
	buffer_load_dword v3, v4, s[0:3], 0 offen offset:8
	;; [unrolled: 1-line block ×3, first 2 shown]
	s_waitcnt vmcnt(0)
	ds_write_b128 v110, v[1:4]
	s_waitcnt lgkmcnt(0)
	s_waitcnt_vscnt null, 0x0
	s_barrier
	buffer_gl0_inv
	s_and_saveexec_b32 s4, s6
	s_cbranch_execz .LBB115_395
; %bb.388:
	ds_read_b128 v[1:4], v110
	s_andn2_b32 vcc_lo, exec_lo, s60
	s_cbranch_vccnz .LBB115_390
; %bb.389:
	s_clause 0x3
	buffer_load_dword v111, v109, s[0:3], 0 offen offset:8
	buffer_load_dword v112, v109, s[0:3], 0 offen offset:12
	buffer_load_dword v113, v109, s[0:3], 0 offen
	buffer_load_dword v114, v109, s[0:3], 0 offen offset:4
	s_waitcnt vmcnt(2) lgkmcnt(0)
	v_mul_f64 v[116:117], v[3:4], v[111:112]
	v_mul_f64 v[111:112], v[1:2], v[111:112]
	s_waitcnt vmcnt(0)
	v_fma_f64 v[1:2], v[1:2], v[113:114], -v[116:117]
	v_fma_f64 v[3:4], v[3:4], v[113:114], v[111:112]
.LBB115_390:
	s_and_saveexec_b32 s8, s5
	s_cbranch_execz .LBB115_394
; %bb.391:
	v_add_nc_u32_e32 v111, -3, v0
	s_movk_i32 s61, 0x370
	s_mov_b32 s5, 0
	s_mov_b32 s62, s57
	.p2align	6
.LBB115_392:                            ; =>This Inner Loop Header: Depth=1
	v_mov_b32_e32 v114, s62
	v_add_nc_u32_e32 v111, -1, v111
	s_add_i32 s62, s62, 16
	s_clause 0x3
	buffer_load_dword v112, v114, s[0:3], 0 offen offset:8
	buffer_load_dword v113, v114, s[0:3], 0 offen offset:12
	buffer_load_dword v120, v114, s[0:3], 0 offen
	buffer_load_dword v121, v114, s[0:3], 0 offen offset:4
	v_mov_b32_e32 v114, s61
	v_cmp_eq_u32_e32 vcc_lo, 0, v111
	s_add_i32 s61, s61, 16
	ds_read_b128 v[116:119], v114
	s_or_b32 s5, vcc_lo, s5
	s_waitcnt vmcnt(2) lgkmcnt(0)
	v_mul_f64 v[122:123], v[118:119], v[112:113]
	v_mul_f64 v[112:113], v[116:117], v[112:113]
	s_waitcnt vmcnt(0)
	v_fma_f64 v[116:117], v[116:117], v[120:121], -v[122:123]
	v_fma_f64 v[112:113], v[118:119], v[120:121], v[112:113]
	v_add_f64 v[1:2], v[1:2], v[116:117]
	v_add_f64 v[3:4], v[3:4], v[112:113]
	s_andn2_b32 exec_lo, exec_lo, s5
	s_cbranch_execnz .LBB115_392
; %bb.393:
	s_or_b32 exec_lo, exec_lo, s5
.LBB115_394:
	s_or_b32 exec_lo, exec_lo, s8
	v_mov_b32_e32 v111, 0
	ds_read_b128 v[111:114], v111 offset:32
	s_waitcnt lgkmcnt(0)
	v_mul_f64 v[116:117], v[3:4], v[113:114]
	v_mul_f64 v[113:114], v[1:2], v[113:114]
	v_fma_f64 v[1:2], v[1:2], v[111:112], -v[116:117]
	v_fma_f64 v[3:4], v[3:4], v[111:112], v[113:114]
	buffer_store_dword v2, off, s[0:3], 0 offset:36
	buffer_store_dword v1, off, s[0:3], 0 offset:32
	;; [unrolled: 1-line block ×4, first 2 shown]
.LBB115_395:
	s_or_b32 exec_lo, exec_lo, s4
	v_mov_b32_e32 v4, s59
	v_cmp_lt_u32_e64 s4, 1, v0
	s_clause 0x3
	buffer_load_dword v1, v4, s[0:3], 0 offen
	buffer_load_dword v2, v4, s[0:3], 0 offen offset:4
	buffer_load_dword v3, v4, s[0:3], 0 offen offset:8
	;; [unrolled: 1-line block ×3, first 2 shown]
	s_waitcnt vmcnt(0)
	ds_write_b128 v110, v[1:4]
	s_waitcnt lgkmcnt(0)
	s_waitcnt_vscnt null, 0x0
	s_barrier
	buffer_gl0_inv
	s_and_saveexec_b32 s5, s4
	s_cbranch_execz .LBB115_403
; %bb.396:
	ds_read_b128 v[1:4], v110
	s_andn2_b32 vcc_lo, exec_lo, s60
	s_cbranch_vccnz .LBB115_398
; %bb.397:
	s_clause 0x3
	buffer_load_dword v111, v109, s[0:3], 0 offen offset:8
	buffer_load_dword v112, v109, s[0:3], 0 offen offset:12
	buffer_load_dword v113, v109, s[0:3], 0 offen
	buffer_load_dword v114, v109, s[0:3], 0 offen offset:4
	s_waitcnt vmcnt(2) lgkmcnt(0)
	v_mul_f64 v[116:117], v[3:4], v[111:112]
	v_mul_f64 v[111:112], v[1:2], v[111:112]
	s_waitcnt vmcnt(0)
	v_fma_f64 v[1:2], v[1:2], v[113:114], -v[116:117]
	v_fma_f64 v[3:4], v[3:4], v[113:114], v[111:112]
.LBB115_398:
	s_and_saveexec_b32 s8, s6
	s_cbranch_execz .LBB115_402
; %bb.399:
	v_add_nc_u32_e32 v111, -2, v0
	s_movk_i32 s61, 0x360
	s_mov_b32 s6, 0
	s_mov_b32 s62, s58
	.p2align	6
.LBB115_400:                            ; =>This Inner Loop Header: Depth=1
	v_mov_b32_e32 v114, s62
	v_add_nc_u32_e32 v111, -1, v111
	s_add_i32 s62, s62, 16
	s_clause 0x3
	buffer_load_dword v112, v114, s[0:3], 0 offen offset:8
	buffer_load_dword v113, v114, s[0:3], 0 offen offset:12
	buffer_load_dword v120, v114, s[0:3], 0 offen
	buffer_load_dword v121, v114, s[0:3], 0 offen offset:4
	v_mov_b32_e32 v114, s61
	v_cmp_eq_u32_e32 vcc_lo, 0, v111
	s_add_i32 s61, s61, 16
	ds_read_b128 v[116:119], v114
	s_or_b32 s6, vcc_lo, s6
	s_waitcnt vmcnt(2) lgkmcnt(0)
	v_mul_f64 v[122:123], v[118:119], v[112:113]
	v_mul_f64 v[112:113], v[116:117], v[112:113]
	s_waitcnt vmcnt(0)
	v_fma_f64 v[116:117], v[116:117], v[120:121], -v[122:123]
	v_fma_f64 v[112:113], v[118:119], v[120:121], v[112:113]
	v_add_f64 v[1:2], v[1:2], v[116:117]
	v_add_f64 v[3:4], v[3:4], v[112:113]
	s_andn2_b32 exec_lo, exec_lo, s6
	s_cbranch_execnz .LBB115_400
; %bb.401:
	s_or_b32 exec_lo, exec_lo, s6
.LBB115_402:
	s_or_b32 exec_lo, exec_lo, s8
	v_mov_b32_e32 v111, 0
	ds_read_b128 v[111:114], v111 offset:16
	s_waitcnt lgkmcnt(0)
	v_mul_f64 v[116:117], v[3:4], v[113:114]
	v_mul_f64 v[113:114], v[1:2], v[113:114]
	v_fma_f64 v[1:2], v[1:2], v[111:112], -v[116:117]
	v_fma_f64 v[3:4], v[3:4], v[111:112], v[113:114]
	buffer_store_dword v2, off, s[0:3], 0 offset:20
	buffer_store_dword v1, off, s[0:3], 0 offset:16
	;; [unrolled: 1-line block ×4, first 2 shown]
.LBB115_403:
	s_or_b32 exec_lo, exec_lo, s5
	s_clause 0x3
	buffer_load_dword v1, off, s[0:3], 0
	buffer_load_dword v2, off, s[0:3], 0 offset:4
	buffer_load_dword v3, off, s[0:3], 0 offset:8
	;; [unrolled: 1-line block ×3, first 2 shown]
	s_mov_b32 s6, 0
	s_mov_b32 s5, 0
	s_mov_b32 s8, exec_lo
                                        ; implicit-def: $sgpr61
	s_waitcnt vmcnt(0)
	ds_write_b128 v110, v[1:4]
	s_waitcnt lgkmcnt(0)
	s_waitcnt_vscnt null, 0x0
	s_barrier
	buffer_gl0_inv
                                        ; implicit-def: $vgpr1_vgpr2
	v_cmpx_ne_u32_e32 0, v0
	s_cbranch_execz .LBB115_411
; %bb.404:
	ds_read_b128 v[1:4], v110
	s_andn2_b32 vcc_lo, exec_lo, s60
	s_cbranch_vccnz .LBB115_406
; %bb.405:
	s_clause 0x3
	buffer_load_dword v111, v109, s[0:3], 0 offen offset:8
	buffer_load_dword v112, v109, s[0:3], 0 offen offset:12
	buffer_load_dword v113, v109, s[0:3], 0 offen
	buffer_load_dword v114, v109, s[0:3], 0 offen offset:4
	s_waitcnt vmcnt(2) lgkmcnt(0)
	v_mul_f64 v[116:117], v[3:4], v[111:112]
	v_mul_f64 v[111:112], v[1:2], v[111:112]
	s_waitcnt vmcnt(0)
	v_fma_f64 v[1:2], v[1:2], v[113:114], -v[116:117]
	v_fma_f64 v[3:4], v[3:4], v[113:114], v[111:112]
.LBB115_406:
	s_and_saveexec_b32 s5, s4
	s_cbranch_execz .LBB115_410
; %bb.407:
	v_add_nc_u32_e32 v111, -1, v0
	s_movk_i32 s61, 0x350
	s_mov_b32 s4, 0
	s_mov_b32 s62, s59
	.p2align	6
.LBB115_408:                            ; =>This Inner Loop Header: Depth=1
	v_mov_b32_e32 v114, s62
	v_add_nc_u32_e32 v111, -1, v111
	s_add_i32 s62, s62, 16
	s_clause 0x3
	buffer_load_dword v112, v114, s[0:3], 0 offen offset:8
	buffer_load_dword v113, v114, s[0:3], 0 offen offset:12
	buffer_load_dword v120, v114, s[0:3], 0 offen
	buffer_load_dword v121, v114, s[0:3], 0 offen offset:4
	v_mov_b32_e32 v114, s61
	v_cmp_eq_u32_e32 vcc_lo, 0, v111
	s_add_i32 s61, s61, 16
	ds_read_b128 v[116:119], v114
	s_or_b32 s4, vcc_lo, s4
	s_waitcnt vmcnt(2) lgkmcnt(0)
	v_mul_f64 v[122:123], v[118:119], v[112:113]
	v_mul_f64 v[112:113], v[116:117], v[112:113]
	s_waitcnt vmcnt(0)
	v_fma_f64 v[116:117], v[116:117], v[120:121], -v[122:123]
	v_fma_f64 v[112:113], v[118:119], v[120:121], v[112:113]
	v_add_f64 v[1:2], v[1:2], v[116:117]
	v_add_f64 v[3:4], v[3:4], v[112:113]
	s_andn2_b32 exec_lo, exec_lo, s4
	s_cbranch_execnz .LBB115_408
; %bb.409:
	s_or_b32 exec_lo, exec_lo, s4
.LBB115_410:
	s_or_b32 exec_lo, exec_lo, s5
	v_mov_b32_e32 v111, 0
	s_mov_b32 s5, exec_lo
	s_or_b32 s61, 0, 8
	ds_read_b128 v[111:114], v111
	s_waitcnt lgkmcnt(0)
	v_mul_f64 v[116:117], v[3:4], v[113:114]
	v_mul_f64 v[113:114], v[1:2], v[113:114]
	v_fma_f64 v[116:117], v[1:2], v[111:112], -v[116:117]
	v_fma_f64 v[1:2], v[3:4], v[111:112], v[113:114]
	buffer_store_dword v117, off, s[0:3], 0 offset:4
	buffer_store_dword v116, off, s[0:3], 0
.LBB115_411:
	s_or_b32 exec_lo, exec_lo, s8
	s_and_b32 vcc_lo, exec_lo, s6
	s_cbranch_vccnz .LBB115_413
	s_branch .LBB115_816
.LBB115_412:
	s_mov_b32 s5, 0
                                        ; implicit-def: $vgpr1_vgpr2
                                        ; implicit-def: $sgpr61
	s_cbranch_execz .LBB115_816
.LBB115_413:
	v_mov_b32_e32 v4, s59
	v_cmp_eq_u32_e64 s4, 0, v0
	v_cndmask_b32_e64 v111, 0, 1, s60
	s_clause 0x3
	buffer_load_dword v1, v4, s[0:3], 0 offen
	buffer_load_dword v2, v4, s[0:3], 0 offen offset:4
	buffer_load_dword v3, v4, s[0:3], 0 offen offset:8
	;; [unrolled: 1-line block ×3, first 2 shown]
	s_waitcnt vmcnt(0)
	ds_write_b128 v110, v[1:4]
	s_waitcnt lgkmcnt(0)
	s_waitcnt_vscnt null, 0x0
	s_barrier
	buffer_gl0_inv
	s_and_saveexec_b32 s6, s4
	s_cbranch_execz .LBB115_417
; %bb.414:
	ds_read_b128 v[1:4], v110
	s_andn2_b32 vcc_lo, exec_lo, s60
	s_cbranch_vccnz .LBB115_416
; %bb.415:
	s_clause 0x3
	buffer_load_dword v112, v109, s[0:3], 0 offen offset:8
	buffer_load_dword v113, v109, s[0:3], 0 offen offset:12
	buffer_load_dword v116, v109, s[0:3], 0 offen
	buffer_load_dword v117, v109, s[0:3], 0 offen offset:4
	s_waitcnt vmcnt(2) lgkmcnt(0)
	v_mul_f64 v[118:119], v[3:4], v[112:113]
	v_mul_f64 v[112:113], v[1:2], v[112:113]
	s_waitcnt vmcnt(0)
	v_fma_f64 v[1:2], v[1:2], v[116:117], -v[118:119]
	v_fma_f64 v[3:4], v[3:4], v[116:117], v[112:113]
.LBB115_416:
	v_mov_b32_e32 v112, 0
	ds_read_b128 v[116:119], v112 offset:16
	s_waitcnt lgkmcnt(0)
	v_mul_f64 v[112:113], v[3:4], v[118:119]
	v_mul_f64 v[118:119], v[1:2], v[118:119]
	v_fma_f64 v[1:2], v[1:2], v[116:117], -v[112:113]
	v_fma_f64 v[3:4], v[3:4], v[116:117], v[118:119]
	buffer_store_dword v2, off, s[0:3], 0 offset:20
	buffer_store_dword v1, off, s[0:3], 0 offset:16
	;; [unrolled: 1-line block ×4, first 2 shown]
.LBB115_417:
	s_or_b32 exec_lo, exec_lo, s6
	v_mov_b32_e32 v4, s58
	s_mov_b32 s6, exec_lo
	s_clause 0x3
	buffer_load_dword v1, v4, s[0:3], 0 offen
	buffer_load_dword v2, v4, s[0:3], 0 offen offset:4
	buffer_load_dword v3, v4, s[0:3], 0 offen offset:8
	;; [unrolled: 1-line block ×3, first 2 shown]
	s_waitcnt vmcnt(0)
	ds_write_b128 v110, v[1:4]
	s_waitcnt lgkmcnt(0)
	s_waitcnt_vscnt null, 0x0
	s_barrier
	buffer_gl0_inv
	v_cmpx_gt_u32_e32 2, v0
	s_cbranch_execz .LBB115_423
; %bb.418:
	ds_read_b128 v[1:4], v110
	v_cmp_ne_u32_e32 vcc_lo, 1, v111
	s_cbranch_vccnz .LBB115_420
; %bb.419:
	s_clause 0x3
	buffer_load_dword v112, v109, s[0:3], 0 offen offset:8
	buffer_load_dword v113, v109, s[0:3], 0 offen offset:12
	buffer_load_dword v116, v109, s[0:3], 0 offen
	buffer_load_dword v117, v109, s[0:3], 0 offen offset:4
	s_waitcnt vmcnt(2) lgkmcnt(0)
	v_mul_f64 v[118:119], v[3:4], v[112:113]
	v_mul_f64 v[112:113], v[1:2], v[112:113]
	s_waitcnt vmcnt(0)
	v_fma_f64 v[1:2], v[1:2], v[116:117], -v[118:119]
	v_fma_f64 v[3:4], v[3:4], v[116:117], v[112:113]
.LBB115_420:
	s_and_saveexec_b32 s8, s4
	s_cbranch_execz .LBB115_422
; %bb.421:
	s_clause 0x3
	buffer_load_dword v112, off, s[0:3], 0 offset:24
	buffer_load_dword v113, off, s[0:3], 0 offset:28
	buffer_load_dword v120, off, s[0:3], 0 offset:16
	buffer_load_dword v121, off, s[0:3], 0 offset:20
	v_mov_b32_e32 v114, 0
	ds_read_b128 v[116:119], v114 offset:848
	s_waitcnt vmcnt(2) lgkmcnt(0)
	v_mul_f64 v[122:123], v[118:119], v[112:113]
	v_mul_f64 v[112:113], v[116:117], v[112:113]
	s_waitcnt vmcnt(0)
	v_fma_f64 v[116:117], v[116:117], v[120:121], -v[122:123]
	v_fma_f64 v[112:113], v[118:119], v[120:121], v[112:113]
	v_add_f64 v[1:2], v[1:2], v[116:117]
	v_add_f64 v[3:4], v[3:4], v[112:113]
.LBB115_422:
	s_or_b32 exec_lo, exec_lo, s8
	v_mov_b32_e32 v112, 0
	ds_read_b128 v[116:119], v112 offset:32
	s_waitcnt lgkmcnt(0)
	v_mul_f64 v[112:113], v[3:4], v[118:119]
	v_mul_f64 v[118:119], v[1:2], v[118:119]
	v_fma_f64 v[1:2], v[1:2], v[116:117], -v[112:113]
	v_fma_f64 v[3:4], v[3:4], v[116:117], v[118:119]
	buffer_store_dword v2, off, s[0:3], 0 offset:36
	buffer_store_dword v1, off, s[0:3], 0 offset:32
	;; [unrolled: 1-line block ×4, first 2 shown]
.LBB115_423:
	s_or_b32 exec_lo, exec_lo, s6
	v_mov_b32_e32 v4, s57
	s_mov_b32 s6, exec_lo
	s_clause 0x3
	buffer_load_dword v1, v4, s[0:3], 0 offen
	buffer_load_dword v2, v4, s[0:3], 0 offen offset:4
	buffer_load_dword v3, v4, s[0:3], 0 offen offset:8
	;; [unrolled: 1-line block ×3, first 2 shown]
	s_waitcnt vmcnt(0)
	ds_write_b128 v110, v[1:4]
	s_waitcnt lgkmcnt(0)
	s_waitcnt_vscnt null, 0x0
	s_barrier
	buffer_gl0_inv
	v_cmpx_gt_u32_e32 3, v0
	s_cbranch_execz .LBB115_431
; %bb.424:
	ds_read_b128 v[1:4], v110
	v_cmp_ne_u32_e32 vcc_lo, 1, v111
	s_cbranch_vccnz .LBB115_426
; %bb.425:
	s_clause 0x3
	buffer_load_dword v112, v109, s[0:3], 0 offen offset:8
	buffer_load_dword v113, v109, s[0:3], 0 offen offset:12
	buffer_load_dword v116, v109, s[0:3], 0 offen
	buffer_load_dword v117, v109, s[0:3], 0 offen offset:4
	s_waitcnt vmcnt(2) lgkmcnt(0)
	v_mul_f64 v[118:119], v[3:4], v[112:113]
	v_mul_f64 v[112:113], v[1:2], v[112:113]
	s_waitcnt vmcnt(0)
	v_fma_f64 v[1:2], v[1:2], v[116:117], -v[118:119]
	v_fma_f64 v[3:4], v[3:4], v[116:117], v[112:113]
.LBB115_426:
	s_mov_b32 s8, exec_lo
	v_cmpx_ne_u32_e32 2, v0
	s_cbranch_execz .LBB115_430
; %bb.427:
	s_clause 0x3
	buffer_load_dword v112, v109, s[0:3], 0 offen offset:24
	buffer_load_dword v113, v109, s[0:3], 0 offen offset:28
	;; [unrolled: 1-line block ×4, first 2 shown]
	ds_read_b128 v[116:119], v110 offset:16
	s_waitcnt vmcnt(2) lgkmcnt(0)
	v_mul_f64 v[122:123], v[118:119], v[112:113]
	v_mul_f64 v[112:113], v[116:117], v[112:113]
	s_waitcnt vmcnt(0)
	v_fma_f64 v[116:117], v[116:117], v[120:121], -v[122:123]
	v_fma_f64 v[112:113], v[118:119], v[120:121], v[112:113]
	v_add_f64 v[1:2], v[1:2], v[116:117]
	v_add_f64 v[3:4], v[3:4], v[112:113]
	s_and_saveexec_b32 s60, s4
	s_cbranch_execz .LBB115_429
; %bb.428:
	s_clause 0x3
	buffer_load_dword v112, off, s[0:3], 0 offset:40
	buffer_load_dword v113, off, s[0:3], 0 offset:44
	;; [unrolled: 1-line block ×4, first 2 shown]
	v_mov_b32_e32 v114, 0
	ds_read_b128 v[116:119], v114 offset:864
	s_waitcnt vmcnt(2) lgkmcnt(0)
	v_mul_f64 v[122:123], v[116:117], v[112:113]
	v_mul_f64 v[112:113], v[118:119], v[112:113]
	s_waitcnt vmcnt(0)
	v_fma_f64 v[118:119], v[118:119], v[120:121], v[122:123]
	v_fma_f64 v[112:113], v[116:117], v[120:121], -v[112:113]
	v_add_f64 v[3:4], v[3:4], v[118:119]
	v_add_f64 v[1:2], v[1:2], v[112:113]
.LBB115_429:
	s_or_b32 exec_lo, exec_lo, s60
.LBB115_430:
	s_or_b32 exec_lo, exec_lo, s8
	v_mov_b32_e32 v112, 0
	ds_read_b128 v[116:119], v112 offset:48
	s_waitcnt lgkmcnt(0)
	v_mul_f64 v[112:113], v[3:4], v[118:119]
	v_mul_f64 v[118:119], v[1:2], v[118:119]
	v_fma_f64 v[1:2], v[1:2], v[116:117], -v[112:113]
	v_fma_f64 v[3:4], v[3:4], v[116:117], v[118:119]
	buffer_store_dword v2, off, s[0:3], 0 offset:52
	buffer_store_dword v1, off, s[0:3], 0 offset:48
	;; [unrolled: 1-line block ×4, first 2 shown]
.LBB115_431:
	s_or_b32 exec_lo, exec_lo, s6
	v_mov_b32_e32 v4, s56
	s_mov_b32 s4, exec_lo
	s_clause 0x3
	buffer_load_dword v1, v4, s[0:3], 0 offen
	buffer_load_dword v2, v4, s[0:3], 0 offen offset:4
	buffer_load_dword v3, v4, s[0:3], 0 offen offset:8
	;; [unrolled: 1-line block ×3, first 2 shown]
	s_waitcnt vmcnt(0)
	ds_write_b128 v110, v[1:4]
	s_waitcnt lgkmcnt(0)
	s_waitcnt_vscnt null, 0x0
	s_barrier
	buffer_gl0_inv
	v_cmpx_gt_u32_e32 4, v0
	s_cbranch_execz .LBB115_439
; %bb.432:
	ds_read_b128 v[1:4], v110
	v_cmp_ne_u32_e32 vcc_lo, 1, v111
	s_cbranch_vccnz .LBB115_434
; %bb.433:
	s_clause 0x3
	buffer_load_dword v112, v109, s[0:3], 0 offen offset:8
	buffer_load_dword v113, v109, s[0:3], 0 offen offset:12
	buffer_load_dword v116, v109, s[0:3], 0 offen
	buffer_load_dword v117, v109, s[0:3], 0 offen offset:4
	s_waitcnt vmcnt(2) lgkmcnt(0)
	v_mul_f64 v[118:119], v[3:4], v[112:113]
	v_mul_f64 v[112:113], v[1:2], v[112:113]
	s_waitcnt vmcnt(0)
	v_fma_f64 v[1:2], v[1:2], v[116:117], -v[118:119]
	v_fma_f64 v[3:4], v[3:4], v[116:117], v[112:113]
.LBB115_434:
	s_mov_b32 s6, exec_lo
	v_cmpx_ne_u32_e32 3, v0
	s_cbranch_execz .LBB115_438
; %bb.435:
	v_add_nc_u32_e32 v112, 0x350, v115
	v_add3_u32 v113, 0, v115, 16
	v_mov_b32_e32 v114, v0
	s_mov_b32 s8, 0
	.p2align	6
.LBB115_436:                            ; =>This Inner Loop Header: Depth=1
	s_clause 0x3
	buffer_load_dword v120, v113, s[0:3], 0 offen offset:8
	buffer_load_dword v121, v113, s[0:3], 0 offen offset:12
	buffer_load_dword v122, v113, s[0:3], 0 offen
	buffer_load_dword v123, v113, s[0:3], 0 offen offset:4
	ds_read_b128 v[116:119], v112
	v_add_nc_u32_e32 v114, 1, v114
	v_add_nc_u32_e32 v112, 16, v112
	;; [unrolled: 1-line block ×3, first 2 shown]
	v_cmp_lt_u32_e32 vcc_lo, 2, v114
	s_or_b32 s8, vcc_lo, s8
	s_waitcnt vmcnt(2) lgkmcnt(0)
	v_mul_f64 v[124:125], v[118:119], v[120:121]
	v_mul_f64 v[120:121], v[116:117], v[120:121]
	s_waitcnt vmcnt(0)
	v_fma_f64 v[116:117], v[116:117], v[122:123], -v[124:125]
	v_fma_f64 v[118:119], v[118:119], v[122:123], v[120:121]
	v_add_f64 v[1:2], v[1:2], v[116:117]
	v_add_f64 v[3:4], v[3:4], v[118:119]
	s_andn2_b32 exec_lo, exec_lo, s8
	s_cbranch_execnz .LBB115_436
; %bb.437:
	s_or_b32 exec_lo, exec_lo, s8
.LBB115_438:
	s_or_b32 exec_lo, exec_lo, s6
	v_mov_b32_e32 v112, 0
	ds_read_b128 v[116:119], v112 offset:64
	s_waitcnt lgkmcnt(0)
	v_mul_f64 v[112:113], v[3:4], v[118:119]
	v_mul_f64 v[118:119], v[1:2], v[118:119]
	v_fma_f64 v[1:2], v[1:2], v[116:117], -v[112:113]
	v_fma_f64 v[3:4], v[3:4], v[116:117], v[118:119]
	buffer_store_dword v2, off, s[0:3], 0 offset:68
	buffer_store_dword v1, off, s[0:3], 0 offset:64
	;; [unrolled: 1-line block ×4, first 2 shown]
.LBB115_439:
	s_or_b32 exec_lo, exec_lo, s4
	v_mov_b32_e32 v4, s55
	s_mov_b32 s4, exec_lo
	s_clause 0x3
	buffer_load_dword v1, v4, s[0:3], 0 offen
	buffer_load_dword v2, v4, s[0:3], 0 offen offset:4
	buffer_load_dword v3, v4, s[0:3], 0 offen offset:8
	;; [unrolled: 1-line block ×3, first 2 shown]
	s_waitcnt vmcnt(0)
	ds_write_b128 v110, v[1:4]
	s_waitcnt lgkmcnt(0)
	s_waitcnt_vscnt null, 0x0
	s_barrier
	buffer_gl0_inv
	v_cmpx_gt_u32_e32 5, v0
	s_cbranch_execz .LBB115_447
; %bb.440:
	ds_read_b128 v[1:4], v110
	v_cmp_ne_u32_e32 vcc_lo, 1, v111
	s_cbranch_vccnz .LBB115_442
; %bb.441:
	s_clause 0x3
	buffer_load_dword v112, v109, s[0:3], 0 offen offset:8
	buffer_load_dword v113, v109, s[0:3], 0 offen offset:12
	buffer_load_dword v116, v109, s[0:3], 0 offen
	buffer_load_dword v117, v109, s[0:3], 0 offen offset:4
	s_waitcnt vmcnt(2) lgkmcnt(0)
	v_mul_f64 v[118:119], v[3:4], v[112:113]
	v_mul_f64 v[112:113], v[1:2], v[112:113]
	s_waitcnt vmcnt(0)
	v_fma_f64 v[1:2], v[1:2], v[116:117], -v[118:119]
	v_fma_f64 v[3:4], v[3:4], v[116:117], v[112:113]
.LBB115_442:
	s_mov_b32 s6, exec_lo
	v_cmpx_ne_u32_e32 4, v0
	s_cbranch_execz .LBB115_446
; %bb.443:
	v_add_nc_u32_e32 v112, 0x350, v115
	v_add3_u32 v113, 0, v115, 16
	v_mov_b32_e32 v114, v0
	s_mov_b32 s8, 0
	.p2align	6
.LBB115_444:                            ; =>This Inner Loop Header: Depth=1
	s_clause 0x3
	buffer_load_dword v120, v113, s[0:3], 0 offen offset:8
	buffer_load_dword v121, v113, s[0:3], 0 offen offset:12
	buffer_load_dword v122, v113, s[0:3], 0 offen
	buffer_load_dword v123, v113, s[0:3], 0 offen offset:4
	ds_read_b128 v[116:119], v112
	v_add_nc_u32_e32 v114, 1, v114
	v_add_nc_u32_e32 v112, 16, v112
	;; [unrolled: 1-line block ×3, first 2 shown]
	v_cmp_lt_u32_e32 vcc_lo, 3, v114
	s_or_b32 s8, vcc_lo, s8
	s_waitcnt vmcnt(2) lgkmcnt(0)
	v_mul_f64 v[124:125], v[118:119], v[120:121]
	v_mul_f64 v[120:121], v[116:117], v[120:121]
	s_waitcnt vmcnt(0)
	v_fma_f64 v[116:117], v[116:117], v[122:123], -v[124:125]
	v_fma_f64 v[118:119], v[118:119], v[122:123], v[120:121]
	v_add_f64 v[1:2], v[1:2], v[116:117]
	v_add_f64 v[3:4], v[3:4], v[118:119]
	s_andn2_b32 exec_lo, exec_lo, s8
	s_cbranch_execnz .LBB115_444
; %bb.445:
	s_or_b32 exec_lo, exec_lo, s8
.LBB115_446:
	s_or_b32 exec_lo, exec_lo, s6
	v_mov_b32_e32 v112, 0
	ds_read_b128 v[116:119], v112 offset:80
	s_waitcnt lgkmcnt(0)
	v_mul_f64 v[112:113], v[3:4], v[118:119]
	v_mul_f64 v[118:119], v[1:2], v[118:119]
	v_fma_f64 v[1:2], v[1:2], v[116:117], -v[112:113]
	v_fma_f64 v[3:4], v[3:4], v[116:117], v[118:119]
	buffer_store_dword v2, off, s[0:3], 0 offset:84
	buffer_store_dword v1, off, s[0:3], 0 offset:80
	buffer_store_dword v4, off, s[0:3], 0 offset:92
	buffer_store_dword v3, off, s[0:3], 0 offset:88
.LBB115_447:
	s_or_b32 exec_lo, exec_lo, s4
	v_mov_b32_e32 v4, s54
	s_mov_b32 s4, exec_lo
	s_clause 0x3
	buffer_load_dword v1, v4, s[0:3], 0 offen
	buffer_load_dword v2, v4, s[0:3], 0 offen offset:4
	buffer_load_dword v3, v4, s[0:3], 0 offen offset:8
	;; [unrolled: 1-line block ×3, first 2 shown]
	s_waitcnt vmcnt(0)
	ds_write_b128 v110, v[1:4]
	s_waitcnt lgkmcnt(0)
	s_waitcnt_vscnt null, 0x0
	s_barrier
	buffer_gl0_inv
	v_cmpx_gt_u32_e32 6, v0
	s_cbranch_execz .LBB115_455
; %bb.448:
	ds_read_b128 v[1:4], v110
	v_cmp_ne_u32_e32 vcc_lo, 1, v111
	s_cbranch_vccnz .LBB115_450
; %bb.449:
	s_clause 0x3
	buffer_load_dword v112, v109, s[0:3], 0 offen offset:8
	buffer_load_dword v113, v109, s[0:3], 0 offen offset:12
	buffer_load_dword v116, v109, s[0:3], 0 offen
	buffer_load_dword v117, v109, s[0:3], 0 offen offset:4
	s_waitcnt vmcnt(2) lgkmcnt(0)
	v_mul_f64 v[118:119], v[3:4], v[112:113]
	v_mul_f64 v[112:113], v[1:2], v[112:113]
	s_waitcnt vmcnt(0)
	v_fma_f64 v[1:2], v[1:2], v[116:117], -v[118:119]
	v_fma_f64 v[3:4], v[3:4], v[116:117], v[112:113]
.LBB115_450:
	s_mov_b32 s6, exec_lo
	v_cmpx_ne_u32_e32 5, v0
	s_cbranch_execz .LBB115_454
; %bb.451:
	v_add_nc_u32_e32 v112, 0x350, v115
	v_add3_u32 v113, 0, v115, 16
	v_mov_b32_e32 v114, v0
	s_mov_b32 s8, 0
	.p2align	6
.LBB115_452:                            ; =>This Inner Loop Header: Depth=1
	s_clause 0x3
	buffer_load_dword v120, v113, s[0:3], 0 offen offset:8
	buffer_load_dword v121, v113, s[0:3], 0 offen offset:12
	buffer_load_dword v122, v113, s[0:3], 0 offen
	buffer_load_dword v123, v113, s[0:3], 0 offen offset:4
	ds_read_b128 v[116:119], v112
	v_add_nc_u32_e32 v114, 1, v114
	v_add_nc_u32_e32 v112, 16, v112
	;; [unrolled: 1-line block ×3, first 2 shown]
	v_cmp_lt_u32_e32 vcc_lo, 4, v114
	s_or_b32 s8, vcc_lo, s8
	s_waitcnt vmcnt(2) lgkmcnt(0)
	v_mul_f64 v[124:125], v[118:119], v[120:121]
	v_mul_f64 v[120:121], v[116:117], v[120:121]
	s_waitcnt vmcnt(0)
	v_fma_f64 v[116:117], v[116:117], v[122:123], -v[124:125]
	v_fma_f64 v[118:119], v[118:119], v[122:123], v[120:121]
	v_add_f64 v[1:2], v[1:2], v[116:117]
	v_add_f64 v[3:4], v[3:4], v[118:119]
	s_andn2_b32 exec_lo, exec_lo, s8
	s_cbranch_execnz .LBB115_452
; %bb.453:
	s_or_b32 exec_lo, exec_lo, s8
.LBB115_454:
	s_or_b32 exec_lo, exec_lo, s6
	v_mov_b32_e32 v112, 0
	ds_read_b128 v[116:119], v112 offset:96
	s_waitcnt lgkmcnt(0)
	v_mul_f64 v[112:113], v[3:4], v[118:119]
	v_mul_f64 v[118:119], v[1:2], v[118:119]
	v_fma_f64 v[1:2], v[1:2], v[116:117], -v[112:113]
	v_fma_f64 v[3:4], v[3:4], v[116:117], v[118:119]
	buffer_store_dword v2, off, s[0:3], 0 offset:100
	buffer_store_dword v1, off, s[0:3], 0 offset:96
	;; [unrolled: 1-line block ×4, first 2 shown]
.LBB115_455:
	s_or_b32 exec_lo, exec_lo, s4
	v_mov_b32_e32 v4, s53
	s_mov_b32 s4, exec_lo
	s_clause 0x3
	buffer_load_dword v1, v4, s[0:3], 0 offen
	buffer_load_dword v2, v4, s[0:3], 0 offen offset:4
	buffer_load_dword v3, v4, s[0:3], 0 offen offset:8
	buffer_load_dword v4, v4, s[0:3], 0 offen offset:12
	s_waitcnt vmcnt(0)
	ds_write_b128 v110, v[1:4]
	s_waitcnt lgkmcnt(0)
	s_waitcnt_vscnt null, 0x0
	s_barrier
	buffer_gl0_inv
	v_cmpx_gt_u32_e32 7, v0
	s_cbranch_execz .LBB115_463
; %bb.456:
	ds_read_b128 v[1:4], v110
	v_cmp_ne_u32_e32 vcc_lo, 1, v111
	s_cbranch_vccnz .LBB115_458
; %bb.457:
	s_clause 0x3
	buffer_load_dword v112, v109, s[0:3], 0 offen offset:8
	buffer_load_dword v113, v109, s[0:3], 0 offen offset:12
	buffer_load_dword v116, v109, s[0:3], 0 offen
	buffer_load_dword v117, v109, s[0:3], 0 offen offset:4
	s_waitcnt vmcnt(2) lgkmcnt(0)
	v_mul_f64 v[118:119], v[3:4], v[112:113]
	v_mul_f64 v[112:113], v[1:2], v[112:113]
	s_waitcnt vmcnt(0)
	v_fma_f64 v[1:2], v[1:2], v[116:117], -v[118:119]
	v_fma_f64 v[3:4], v[3:4], v[116:117], v[112:113]
.LBB115_458:
	s_mov_b32 s6, exec_lo
	v_cmpx_ne_u32_e32 6, v0
	s_cbranch_execz .LBB115_462
; %bb.459:
	v_add_nc_u32_e32 v112, 0x350, v115
	v_add3_u32 v113, 0, v115, 16
	v_mov_b32_e32 v114, v0
	s_mov_b32 s8, 0
	.p2align	6
.LBB115_460:                            ; =>This Inner Loop Header: Depth=1
	s_clause 0x3
	buffer_load_dword v120, v113, s[0:3], 0 offen offset:8
	buffer_load_dword v121, v113, s[0:3], 0 offen offset:12
	buffer_load_dword v122, v113, s[0:3], 0 offen
	buffer_load_dword v123, v113, s[0:3], 0 offen offset:4
	ds_read_b128 v[116:119], v112
	v_add_nc_u32_e32 v114, 1, v114
	v_add_nc_u32_e32 v112, 16, v112
	;; [unrolled: 1-line block ×3, first 2 shown]
	v_cmp_lt_u32_e32 vcc_lo, 5, v114
	s_or_b32 s8, vcc_lo, s8
	s_waitcnt vmcnt(2) lgkmcnt(0)
	v_mul_f64 v[124:125], v[118:119], v[120:121]
	v_mul_f64 v[120:121], v[116:117], v[120:121]
	s_waitcnt vmcnt(0)
	v_fma_f64 v[116:117], v[116:117], v[122:123], -v[124:125]
	v_fma_f64 v[118:119], v[118:119], v[122:123], v[120:121]
	v_add_f64 v[1:2], v[1:2], v[116:117]
	v_add_f64 v[3:4], v[3:4], v[118:119]
	s_andn2_b32 exec_lo, exec_lo, s8
	s_cbranch_execnz .LBB115_460
; %bb.461:
	s_or_b32 exec_lo, exec_lo, s8
.LBB115_462:
	s_or_b32 exec_lo, exec_lo, s6
	v_mov_b32_e32 v112, 0
	ds_read_b128 v[116:119], v112 offset:112
	s_waitcnt lgkmcnt(0)
	v_mul_f64 v[112:113], v[3:4], v[118:119]
	v_mul_f64 v[118:119], v[1:2], v[118:119]
	v_fma_f64 v[1:2], v[1:2], v[116:117], -v[112:113]
	v_fma_f64 v[3:4], v[3:4], v[116:117], v[118:119]
	buffer_store_dword v2, off, s[0:3], 0 offset:116
	buffer_store_dword v1, off, s[0:3], 0 offset:112
	;; [unrolled: 1-line block ×4, first 2 shown]
.LBB115_463:
	s_or_b32 exec_lo, exec_lo, s4
	v_mov_b32_e32 v4, s52
	s_mov_b32 s4, exec_lo
	s_clause 0x3
	buffer_load_dword v1, v4, s[0:3], 0 offen
	buffer_load_dword v2, v4, s[0:3], 0 offen offset:4
	buffer_load_dword v3, v4, s[0:3], 0 offen offset:8
	;; [unrolled: 1-line block ×3, first 2 shown]
	s_waitcnt vmcnt(0)
	ds_write_b128 v110, v[1:4]
	s_waitcnt lgkmcnt(0)
	s_waitcnt_vscnt null, 0x0
	s_barrier
	buffer_gl0_inv
	v_cmpx_gt_u32_e32 8, v0
	s_cbranch_execz .LBB115_471
; %bb.464:
	ds_read_b128 v[1:4], v110
	v_cmp_ne_u32_e32 vcc_lo, 1, v111
	s_cbranch_vccnz .LBB115_466
; %bb.465:
	s_clause 0x3
	buffer_load_dword v112, v109, s[0:3], 0 offen offset:8
	buffer_load_dword v113, v109, s[0:3], 0 offen offset:12
	buffer_load_dword v116, v109, s[0:3], 0 offen
	buffer_load_dword v117, v109, s[0:3], 0 offen offset:4
	s_waitcnt vmcnt(2) lgkmcnt(0)
	v_mul_f64 v[118:119], v[3:4], v[112:113]
	v_mul_f64 v[112:113], v[1:2], v[112:113]
	s_waitcnt vmcnt(0)
	v_fma_f64 v[1:2], v[1:2], v[116:117], -v[118:119]
	v_fma_f64 v[3:4], v[3:4], v[116:117], v[112:113]
.LBB115_466:
	s_mov_b32 s6, exec_lo
	v_cmpx_ne_u32_e32 7, v0
	s_cbranch_execz .LBB115_470
; %bb.467:
	v_add_nc_u32_e32 v112, 0x350, v115
	v_add3_u32 v113, 0, v115, 16
	v_mov_b32_e32 v114, v0
	s_mov_b32 s8, 0
	.p2align	6
.LBB115_468:                            ; =>This Inner Loop Header: Depth=1
	s_clause 0x3
	buffer_load_dword v120, v113, s[0:3], 0 offen offset:8
	buffer_load_dword v121, v113, s[0:3], 0 offen offset:12
	buffer_load_dword v122, v113, s[0:3], 0 offen
	buffer_load_dword v123, v113, s[0:3], 0 offen offset:4
	ds_read_b128 v[116:119], v112
	v_add_nc_u32_e32 v114, 1, v114
	v_add_nc_u32_e32 v112, 16, v112
	;; [unrolled: 1-line block ×3, first 2 shown]
	v_cmp_lt_u32_e32 vcc_lo, 6, v114
	s_or_b32 s8, vcc_lo, s8
	s_waitcnt vmcnt(2) lgkmcnt(0)
	v_mul_f64 v[124:125], v[118:119], v[120:121]
	v_mul_f64 v[120:121], v[116:117], v[120:121]
	s_waitcnt vmcnt(0)
	v_fma_f64 v[116:117], v[116:117], v[122:123], -v[124:125]
	v_fma_f64 v[118:119], v[118:119], v[122:123], v[120:121]
	v_add_f64 v[1:2], v[1:2], v[116:117]
	v_add_f64 v[3:4], v[3:4], v[118:119]
	s_andn2_b32 exec_lo, exec_lo, s8
	s_cbranch_execnz .LBB115_468
; %bb.469:
	s_or_b32 exec_lo, exec_lo, s8
.LBB115_470:
	s_or_b32 exec_lo, exec_lo, s6
	v_mov_b32_e32 v112, 0
	ds_read_b128 v[116:119], v112 offset:128
	s_waitcnt lgkmcnt(0)
	v_mul_f64 v[112:113], v[3:4], v[118:119]
	v_mul_f64 v[118:119], v[1:2], v[118:119]
	v_fma_f64 v[1:2], v[1:2], v[116:117], -v[112:113]
	v_fma_f64 v[3:4], v[3:4], v[116:117], v[118:119]
	buffer_store_dword v2, off, s[0:3], 0 offset:132
	buffer_store_dword v1, off, s[0:3], 0 offset:128
	;; [unrolled: 1-line block ×4, first 2 shown]
.LBB115_471:
	s_or_b32 exec_lo, exec_lo, s4
	v_mov_b32_e32 v4, s51
	s_mov_b32 s4, exec_lo
	s_clause 0x3
	buffer_load_dword v1, v4, s[0:3], 0 offen
	buffer_load_dword v2, v4, s[0:3], 0 offen offset:4
	buffer_load_dword v3, v4, s[0:3], 0 offen offset:8
	;; [unrolled: 1-line block ×3, first 2 shown]
	s_waitcnt vmcnt(0)
	ds_write_b128 v110, v[1:4]
	s_waitcnt lgkmcnt(0)
	s_waitcnt_vscnt null, 0x0
	s_barrier
	buffer_gl0_inv
	v_cmpx_gt_u32_e32 9, v0
	s_cbranch_execz .LBB115_479
; %bb.472:
	ds_read_b128 v[1:4], v110
	v_cmp_ne_u32_e32 vcc_lo, 1, v111
	s_cbranch_vccnz .LBB115_474
; %bb.473:
	s_clause 0x3
	buffer_load_dword v112, v109, s[0:3], 0 offen offset:8
	buffer_load_dword v113, v109, s[0:3], 0 offen offset:12
	buffer_load_dword v116, v109, s[0:3], 0 offen
	buffer_load_dword v117, v109, s[0:3], 0 offen offset:4
	s_waitcnt vmcnt(2) lgkmcnt(0)
	v_mul_f64 v[118:119], v[3:4], v[112:113]
	v_mul_f64 v[112:113], v[1:2], v[112:113]
	s_waitcnt vmcnt(0)
	v_fma_f64 v[1:2], v[1:2], v[116:117], -v[118:119]
	v_fma_f64 v[3:4], v[3:4], v[116:117], v[112:113]
.LBB115_474:
	s_mov_b32 s6, exec_lo
	v_cmpx_ne_u32_e32 8, v0
	s_cbranch_execz .LBB115_478
; %bb.475:
	v_add_nc_u32_e32 v112, 0x350, v115
	v_add3_u32 v113, 0, v115, 16
	v_mov_b32_e32 v114, v0
	s_mov_b32 s8, 0
	.p2align	6
.LBB115_476:                            ; =>This Inner Loop Header: Depth=1
	s_clause 0x3
	buffer_load_dword v120, v113, s[0:3], 0 offen offset:8
	buffer_load_dword v121, v113, s[0:3], 0 offen offset:12
	buffer_load_dword v122, v113, s[0:3], 0 offen
	buffer_load_dword v123, v113, s[0:3], 0 offen offset:4
	ds_read_b128 v[116:119], v112
	v_add_nc_u32_e32 v114, 1, v114
	v_add_nc_u32_e32 v112, 16, v112
	;; [unrolled: 1-line block ×3, first 2 shown]
	v_cmp_lt_u32_e32 vcc_lo, 7, v114
	s_or_b32 s8, vcc_lo, s8
	s_waitcnt vmcnt(2) lgkmcnt(0)
	v_mul_f64 v[124:125], v[118:119], v[120:121]
	v_mul_f64 v[120:121], v[116:117], v[120:121]
	s_waitcnt vmcnt(0)
	v_fma_f64 v[116:117], v[116:117], v[122:123], -v[124:125]
	v_fma_f64 v[118:119], v[118:119], v[122:123], v[120:121]
	v_add_f64 v[1:2], v[1:2], v[116:117]
	v_add_f64 v[3:4], v[3:4], v[118:119]
	s_andn2_b32 exec_lo, exec_lo, s8
	s_cbranch_execnz .LBB115_476
; %bb.477:
	s_or_b32 exec_lo, exec_lo, s8
.LBB115_478:
	s_or_b32 exec_lo, exec_lo, s6
	v_mov_b32_e32 v112, 0
	ds_read_b128 v[116:119], v112 offset:144
	s_waitcnt lgkmcnt(0)
	v_mul_f64 v[112:113], v[3:4], v[118:119]
	v_mul_f64 v[118:119], v[1:2], v[118:119]
	v_fma_f64 v[1:2], v[1:2], v[116:117], -v[112:113]
	v_fma_f64 v[3:4], v[3:4], v[116:117], v[118:119]
	buffer_store_dword v2, off, s[0:3], 0 offset:148
	buffer_store_dword v1, off, s[0:3], 0 offset:144
	;; [unrolled: 1-line block ×4, first 2 shown]
.LBB115_479:
	s_or_b32 exec_lo, exec_lo, s4
	v_mov_b32_e32 v4, s50
	s_mov_b32 s4, exec_lo
	s_clause 0x3
	buffer_load_dword v1, v4, s[0:3], 0 offen
	buffer_load_dword v2, v4, s[0:3], 0 offen offset:4
	buffer_load_dword v3, v4, s[0:3], 0 offen offset:8
	;; [unrolled: 1-line block ×3, first 2 shown]
	s_waitcnt vmcnt(0)
	ds_write_b128 v110, v[1:4]
	s_waitcnt lgkmcnt(0)
	s_waitcnt_vscnt null, 0x0
	s_barrier
	buffer_gl0_inv
	v_cmpx_gt_u32_e32 10, v0
	s_cbranch_execz .LBB115_487
; %bb.480:
	ds_read_b128 v[1:4], v110
	v_cmp_ne_u32_e32 vcc_lo, 1, v111
	s_cbranch_vccnz .LBB115_482
; %bb.481:
	s_clause 0x3
	buffer_load_dword v112, v109, s[0:3], 0 offen offset:8
	buffer_load_dword v113, v109, s[0:3], 0 offen offset:12
	buffer_load_dword v116, v109, s[0:3], 0 offen
	buffer_load_dword v117, v109, s[0:3], 0 offen offset:4
	s_waitcnt vmcnt(2) lgkmcnt(0)
	v_mul_f64 v[118:119], v[3:4], v[112:113]
	v_mul_f64 v[112:113], v[1:2], v[112:113]
	s_waitcnt vmcnt(0)
	v_fma_f64 v[1:2], v[1:2], v[116:117], -v[118:119]
	v_fma_f64 v[3:4], v[3:4], v[116:117], v[112:113]
.LBB115_482:
	s_mov_b32 s6, exec_lo
	v_cmpx_ne_u32_e32 9, v0
	s_cbranch_execz .LBB115_486
; %bb.483:
	v_add_nc_u32_e32 v112, 0x350, v115
	v_add3_u32 v113, 0, v115, 16
	v_mov_b32_e32 v114, v0
	s_mov_b32 s8, 0
	.p2align	6
.LBB115_484:                            ; =>This Inner Loop Header: Depth=1
	s_clause 0x3
	buffer_load_dword v120, v113, s[0:3], 0 offen offset:8
	buffer_load_dword v121, v113, s[0:3], 0 offen offset:12
	buffer_load_dword v122, v113, s[0:3], 0 offen
	buffer_load_dword v123, v113, s[0:3], 0 offen offset:4
	ds_read_b128 v[116:119], v112
	v_add_nc_u32_e32 v114, 1, v114
	v_add_nc_u32_e32 v112, 16, v112
	;; [unrolled: 1-line block ×3, first 2 shown]
	v_cmp_lt_u32_e32 vcc_lo, 8, v114
	s_or_b32 s8, vcc_lo, s8
	s_waitcnt vmcnt(2) lgkmcnt(0)
	v_mul_f64 v[124:125], v[118:119], v[120:121]
	v_mul_f64 v[120:121], v[116:117], v[120:121]
	s_waitcnt vmcnt(0)
	v_fma_f64 v[116:117], v[116:117], v[122:123], -v[124:125]
	v_fma_f64 v[118:119], v[118:119], v[122:123], v[120:121]
	v_add_f64 v[1:2], v[1:2], v[116:117]
	v_add_f64 v[3:4], v[3:4], v[118:119]
	s_andn2_b32 exec_lo, exec_lo, s8
	s_cbranch_execnz .LBB115_484
; %bb.485:
	s_or_b32 exec_lo, exec_lo, s8
.LBB115_486:
	s_or_b32 exec_lo, exec_lo, s6
	v_mov_b32_e32 v112, 0
	ds_read_b128 v[116:119], v112 offset:160
	s_waitcnt lgkmcnt(0)
	v_mul_f64 v[112:113], v[3:4], v[118:119]
	v_mul_f64 v[118:119], v[1:2], v[118:119]
	v_fma_f64 v[1:2], v[1:2], v[116:117], -v[112:113]
	v_fma_f64 v[3:4], v[3:4], v[116:117], v[118:119]
	buffer_store_dword v2, off, s[0:3], 0 offset:164
	buffer_store_dword v1, off, s[0:3], 0 offset:160
	;; [unrolled: 1-line block ×4, first 2 shown]
.LBB115_487:
	s_or_b32 exec_lo, exec_lo, s4
	v_mov_b32_e32 v4, s49
	s_mov_b32 s4, exec_lo
	s_clause 0x3
	buffer_load_dword v1, v4, s[0:3], 0 offen
	buffer_load_dword v2, v4, s[0:3], 0 offen offset:4
	buffer_load_dword v3, v4, s[0:3], 0 offen offset:8
	;; [unrolled: 1-line block ×3, first 2 shown]
	s_waitcnt vmcnt(0)
	ds_write_b128 v110, v[1:4]
	s_waitcnt lgkmcnt(0)
	s_waitcnt_vscnt null, 0x0
	s_barrier
	buffer_gl0_inv
	v_cmpx_gt_u32_e32 11, v0
	s_cbranch_execz .LBB115_495
; %bb.488:
	ds_read_b128 v[1:4], v110
	v_cmp_ne_u32_e32 vcc_lo, 1, v111
	s_cbranch_vccnz .LBB115_490
; %bb.489:
	s_clause 0x3
	buffer_load_dword v112, v109, s[0:3], 0 offen offset:8
	buffer_load_dword v113, v109, s[0:3], 0 offen offset:12
	buffer_load_dword v116, v109, s[0:3], 0 offen
	buffer_load_dword v117, v109, s[0:3], 0 offen offset:4
	s_waitcnt vmcnt(2) lgkmcnt(0)
	v_mul_f64 v[118:119], v[3:4], v[112:113]
	v_mul_f64 v[112:113], v[1:2], v[112:113]
	s_waitcnt vmcnt(0)
	v_fma_f64 v[1:2], v[1:2], v[116:117], -v[118:119]
	v_fma_f64 v[3:4], v[3:4], v[116:117], v[112:113]
.LBB115_490:
	s_mov_b32 s6, exec_lo
	v_cmpx_ne_u32_e32 10, v0
	s_cbranch_execz .LBB115_494
; %bb.491:
	v_add_nc_u32_e32 v112, 0x350, v115
	v_add3_u32 v113, 0, v115, 16
	v_mov_b32_e32 v114, v0
	s_mov_b32 s8, 0
	.p2align	6
.LBB115_492:                            ; =>This Inner Loop Header: Depth=1
	s_clause 0x3
	buffer_load_dword v120, v113, s[0:3], 0 offen offset:8
	buffer_load_dword v121, v113, s[0:3], 0 offen offset:12
	buffer_load_dword v122, v113, s[0:3], 0 offen
	buffer_load_dword v123, v113, s[0:3], 0 offen offset:4
	ds_read_b128 v[116:119], v112
	v_add_nc_u32_e32 v114, 1, v114
	v_add_nc_u32_e32 v112, 16, v112
	;; [unrolled: 1-line block ×3, first 2 shown]
	v_cmp_lt_u32_e32 vcc_lo, 9, v114
	s_or_b32 s8, vcc_lo, s8
	s_waitcnt vmcnt(2) lgkmcnt(0)
	v_mul_f64 v[124:125], v[118:119], v[120:121]
	v_mul_f64 v[120:121], v[116:117], v[120:121]
	s_waitcnt vmcnt(0)
	v_fma_f64 v[116:117], v[116:117], v[122:123], -v[124:125]
	v_fma_f64 v[118:119], v[118:119], v[122:123], v[120:121]
	v_add_f64 v[1:2], v[1:2], v[116:117]
	v_add_f64 v[3:4], v[3:4], v[118:119]
	s_andn2_b32 exec_lo, exec_lo, s8
	s_cbranch_execnz .LBB115_492
; %bb.493:
	s_or_b32 exec_lo, exec_lo, s8
.LBB115_494:
	s_or_b32 exec_lo, exec_lo, s6
	v_mov_b32_e32 v112, 0
	ds_read_b128 v[116:119], v112 offset:176
	s_waitcnt lgkmcnt(0)
	v_mul_f64 v[112:113], v[3:4], v[118:119]
	v_mul_f64 v[118:119], v[1:2], v[118:119]
	v_fma_f64 v[1:2], v[1:2], v[116:117], -v[112:113]
	v_fma_f64 v[3:4], v[3:4], v[116:117], v[118:119]
	buffer_store_dword v2, off, s[0:3], 0 offset:180
	buffer_store_dword v1, off, s[0:3], 0 offset:176
	;; [unrolled: 1-line block ×4, first 2 shown]
.LBB115_495:
	s_or_b32 exec_lo, exec_lo, s4
	v_mov_b32_e32 v4, s48
	s_mov_b32 s4, exec_lo
	s_clause 0x3
	buffer_load_dword v1, v4, s[0:3], 0 offen
	buffer_load_dword v2, v4, s[0:3], 0 offen offset:4
	buffer_load_dword v3, v4, s[0:3], 0 offen offset:8
	;; [unrolled: 1-line block ×3, first 2 shown]
	s_waitcnt vmcnt(0)
	ds_write_b128 v110, v[1:4]
	s_waitcnt lgkmcnt(0)
	s_waitcnt_vscnt null, 0x0
	s_barrier
	buffer_gl0_inv
	v_cmpx_gt_u32_e32 12, v0
	s_cbranch_execz .LBB115_503
; %bb.496:
	ds_read_b128 v[1:4], v110
	v_cmp_ne_u32_e32 vcc_lo, 1, v111
	s_cbranch_vccnz .LBB115_498
; %bb.497:
	s_clause 0x3
	buffer_load_dword v112, v109, s[0:3], 0 offen offset:8
	buffer_load_dword v113, v109, s[0:3], 0 offen offset:12
	buffer_load_dword v116, v109, s[0:3], 0 offen
	buffer_load_dword v117, v109, s[0:3], 0 offen offset:4
	s_waitcnt vmcnt(2) lgkmcnt(0)
	v_mul_f64 v[118:119], v[3:4], v[112:113]
	v_mul_f64 v[112:113], v[1:2], v[112:113]
	s_waitcnt vmcnt(0)
	v_fma_f64 v[1:2], v[1:2], v[116:117], -v[118:119]
	v_fma_f64 v[3:4], v[3:4], v[116:117], v[112:113]
.LBB115_498:
	s_mov_b32 s6, exec_lo
	v_cmpx_ne_u32_e32 11, v0
	s_cbranch_execz .LBB115_502
; %bb.499:
	v_add_nc_u32_e32 v112, 0x350, v115
	v_add3_u32 v113, 0, v115, 16
	v_mov_b32_e32 v114, v0
	s_mov_b32 s8, 0
	.p2align	6
.LBB115_500:                            ; =>This Inner Loop Header: Depth=1
	s_clause 0x3
	buffer_load_dword v120, v113, s[0:3], 0 offen offset:8
	buffer_load_dword v121, v113, s[0:3], 0 offen offset:12
	buffer_load_dword v122, v113, s[0:3], 0 offen
	buffer_load_dword v123, v113, s[0:3], 0 offen offset:4
	ds_read_b128 v[116:119], v112
	v_add_nc_u32_e32 v114, 1, v114
	v_add_nc_u32_e32 v112, 16, v112
	;; [unrolled: 1-line block ×3, first 2 shown]
	v_cmp_lt_u32_e32 vcc_lo, 10, v114
	s_or_b32 s8, vcc_lo, s8
	s_waitcnt vmcnt(2) lgkmcnt(0)
	v_mul_f64 v[124:125], v[118:119], v[120:121]
	v_mul_f64 v[120:121], v[116:117], v[120:121]
	s_waitcnt vmcnt(0)
	v_fma_f64 v[116:117], v[116:117], v[122:123], -v[124:125]
	v_fma_f64 v[118:119], v[118:119], v[122:123], v[120:121]
	v_add_f64 v[1:2], v[1:2], v[116:117]
	v_add_f64 v[3:4], v[3:4], v[118:119]
	s_andn2_b32 exec_lo, exec_lo, s8
	s_cbranch_execnz .LBB115_500
; %bb.501:
	s_or_b32 exec_lo, exec_lo, s8
.LBB115_502:
	s_or_b32 exec_lo, exec_lo, s6
	v_mov_b32_e32 v112, 0
	ds_read_b128 v[116:119], v112 offset:192
	s_waitcnt lgkmcnt(0)
	v_mul_f64 v[112:113], v[3:4], v[118:119]
	v_mul_f64 v[118:119], v[1:2], v[118:119]
	v_fma_f64 v[1:2], v[1:2], v[116:117], -v[112:113]
	v_fma_f64 v[3:4], v[3:4], v[116:117], v[118:119]
	buffer_store_dword v2, off, s[0:3], 0 offset:196
	buffer_store_dword v1, off, s[0:3], 0 offset:192
	;; [unrolled: 1-line block ×4, first 2 shown]
.LBB115_503:
	s_or_b32 exec_lo, exec_lo, s4
	v_mov_b32_e32 v4, s47
	s_mov_b32 s4, exec_lo
	s_clause 0x3
	buffer_load_dword v1, v4, s[0:3], 0 offen
	buffer_load_dword v2, v4, s[0:3], 0 offen offset:4
	buffer_load_dword v3, v4, s[0:3], 0 offen offset:8
	;; [unrolled: 1-line block ×3, first 2 shown]
	s_waitcnt vmcnt(0)
	ds_write_b128 v110, v[1:4]
	s_waitcnt lgkmcnt(0)
	s_waitcnt_vscnt null, 0x0
	s_barrier
	buffer_gl0_inv
	v_cmpx_gt_u32_e32 13, v0
	s_cbranch_execz .LBB115_511
; %bb.504:
	ds_read_b128 v[1:4], v110
	v_cmp_ne_u32_e32 vcc_lo, 1, v111
	s_cbranch_vccnz .LBB115_506
; %bb.505:
	s_clause 0x3
	buffer_load_dword v112, v109, s[0:3], 0 offen offset:8
	buffer_load_dword v113, v109, s[0:3], 0 offen offset:12
	buffer_load_dword v116, v109, s[0:3], 0 offen
	buffer_load_dword v117, v109, s[0:3], 0 offen offset:4
	s_waitcnt vmcnt(2) lgkmcnt(0)
	v_mul_f64 v[118:119], v[3:4], v[112:113]
	v_mul_f64 v[112:113], v[1:2], v[112:113]
	s_waitcnt vmcnt(0)
	v_fma_f64 v[1:2], v[1:2], v[116:117], -v[118:119]
	v_fma_f64 v[3:4], v[3:4], v[116:117], v[112:113]
.LBB115_506:
	s_mov_b32 s6, exec_lo
	v_cmpx_ne_u32_e32 12, v0
	s_cbranch_execz .LBB115_510
; %bb.507:
	v_add_nc_u32_e32 v112, 0x350, v115
	v_add3_u32 v113, 0, v115, 16
	v_mov_b32_e32 v114, v0
	s_mov_b32 s8, 0
	.p2align	6
.LBB115_508:                            ; =>This Inner Loop Header: Depth=1
	s_clause 0x3
	buffer_load_dword v120, v113, s[0:3], 0 offen offset:8
	buffer_load_dword v121, v113, s[0:3], 0 offen offset:12
	buffer_load_dword v122, v113, s[0:3], 0 offen
	buffer_load_dword v123, v113, s[0:3], 0 offen offset:4
	ds_read_b128 v[116:119], v112
	v_add_nc_u32_e32 v114, 1, v114
	v_add_nc_u32_e32 v112, 16, v112
	;; [unrolled: 1-line block ×3, first 2 shown]
	v_cmp_lt_u32_e32 vcc_lo, 11, v114
	s_or_b32 s8, vcc_lo, s8
	s_waitcnt vmcnt(2) lgkmcnt(0)
	v_mul_f64 v[124:125], v[118:119], v[120:121]
	v_mul_f64 v[120:121], v[116:117], v[120:121]
	s_waitcnt vmcnt(0)
	v_fma_f64 v[116:117], v[116:117], v[122:123], -v[124:125]
	v_fma_f64 v[118:119], v[118:119], v[122:123], v[120:121]
	v_add_f64 v[1:2], v[1:2], v[116:117]
	v_add_f64 v[3:4], v[3:4], v[118:119]
	s_andn2_b32 exec_lo, exec_lo, s8
	s_cbranch_execnz .LBB115_508
; %bb.509:
	s_or_b32 exec_lo, exec_lo, s8
.LBB115_510:
	s_or_b32 exec_lo, exec_lo, s6
	v_mov_b32_e32 v112, 0
	ds_read_b128 v[116:119], v112 offset:208
	s_waitcnt lgkmcnt(0)
	v_mul_f64 v[112:113], v[3:4], v[118:119]
	v_mul_f64 v[118:119], v[1:2], v[118:119]
	v_fma_f64 v[1:2], v[1:2], v[116:117], -v[112:113]
	v_fma_f64 v[3:4], v[3:4], v[116:117], v[118:119]
	buffer_store_dword v2, off, s[0:3], 0 offset:212
	buffer_store_dword v1, off, s[0:3], 0 offset:208
	;; [unrolled: 1-line block ×4, first 2 shown]
.LBB115_511:
	s_or_b32 exec_lo, exec_lo, s4
	v_mov_b32_e32 v4, s46
	s_mov_b32 s4, exec_lo
	s_clause 0x3
	buffer_load_dword v1, v4, s[0:3], 0 offen
	buffer_load_dword v2, v4, s[0:3], 0 offen offset:4
	buffer_load_dword v3, v4, s[0:3], 0 offen offset:8
	;; [unrolled: 1-line block ×3, first 2 shown]
	s_waitcnt vmcnt(0)
	ds_write_b128 v110, v[1:4]
	s_waitcnt lgkmcnt(0)
	s_waitcnt_vscnt null, 0x0
	s_barrier
	buffer_gl0_inv
	v_cmpx_gt_u32_e32 14, v0
	s_cbranch_execz .LBB115_519
; %bb.512:
	ds_read_b128 v[1:4], v110
	v_cmp_ne_u32_e32 vcc_lo, 1, v111
	s_cbranch_vccnz .LBB115_514
; %bb.513:
	s_clause 0x3
	buffer_load_dword v112, v109, s[0:3], 0 offen offset:8
	buffer_load_dword v113, v109, s[0:3], 0 offen offset:12
	buffer_load_dword v116, v109, s[0:3], 0 offen
	buffer_load_dword v117, v109, s[0:3], 0 offen offset:4
	s_waitcnt vmcnt(2) lgkmcnt(0)
	v_mul_f64 v[118:119], v[3:4], v[112:113]
	v_mul_f64 v[112:113], v[1:2], v[112:113]
	s_waitcnt vmcnt(0)
	v_fma_f64 v[1:2], v[1:2], v[116:117], -v[118:119]
	v_fma_f64 v[3:4], v[3:4], v[116:117], v[112:113]
.LBB115_514:
	s_mov_b32 s6, exec_lo
	v_cmpx_ne_u32_e32 13, v0
	s_cbranch_execz .LBB115_518
; %bb.515:
	v_add_nc_u32_e32 v112, 0x350, v115
	v_add3_u32 v113, 0, v115, 16
	v_mov_b32_e32 v114, v0
	s_mov_b32 s8, 0
	.p2align	6
.LBB115_516:                            ; =>This Inner Loop Header: Depth=1
	s_clause 0x3
	buffer_load_dword v120, v113, s[0:3], 0 offen offset:8
	buffer_load_dword v121, v113, s[0:3], 0 offen offset:12
	buffer_load_dword v122, v113, s[0:3], 0 offen
	buffer_load_dword v123, v113, s[0:3], 0 offen offset:4
	ds_read_b128 v[116:119], v112
	v_add_nc_u32_e32 v114, 1, v114
	v_add_nc_u32_e32 v112, 16, v112
	;; [unrolled: 1-line block ×3, first 2 shown]
	v_cmp_lt_u32_e32 vcc_lo, 12, v114
	s_or_b32 s8, vcc_lo, s8
	s_waitcnt vmcnt(2) lgkmcnt(0)
	v_mul_f64 v[124:125], v[118:119], v[120:121]
	v_mul_f64 v[120:121], v[116:117], v[120:121]
	s_waitcnt vmcnt(0)
	v_fma_f64 v[116:117], v[116:117], v[122:123], -v[124:125]
	v_fma_f64 v[118:119], v[118:119], v[122:123], v[120:121]
	v_add_f64 v[1:2], v[1:2], v[116:117]
	v_add_f64 v[3:4], v[3:4], v[118:119]
	s_andn2_b32 exec_lo, exec_lo, s8
	s_cbranch_execnz .LBB115_516
; %bb.517:
	s_or_b32 exec_lo, exec_lo, s8
.LBB115_518:
	s_or_b32 exec_lo, exec_lo, s6
	v_mov_b32_e32 v112, 0
	ds_read_b128 v[116:119], v112 offset:224
	s_waitcnt lgkmcnt(0)
	v_mul_f64 v[112:113], v[3:4], v[118:119]
	v_mul_f64 v[118:119], v[1:2], v[118:119]
	v_fma_f64 v[1:2], v[1:2], v[116:117], -v[112:113]
	v_fma_f64 v[3:4], v[3:4], v[116:117], v[118:119]
	buffer_store_dword v2, off, s[0:3], 0 offset:228
	buffer_store_dword v1, off, s[0:3], 0 offset:224
	buffer_store_dword v4, off, s[0:3], 0 offset:236
	buffer_store_dword v3, off, s[0:3], 0 offset:232
.LBB115_519:
	s_or_b32 exec_lo, exec_lo, s4
	v_mov_b32_e32 v4, s45
	s_mov_b32 s4, exec_lo
	s_clause 0x3
	buffer_load_dword v1, v4, s[0:3], 0 offen
	buffer_load_dword v2, v4, s[0:3], 0 offen offset:4
	buffer_load_dword v3, v4, s[0:3], 0 offen offset:8
	;; [unrolled: 1-line block ×3, first 2 shown]
	s_waitcnt vmcnt(0)
	ds_write_b128 v110, v[1:4]
	s_waitcnt lgkmcnt(0)
	s_waitcnt_vscnt null, 0x0
	s_barrier
	buffer_gl0_inv
	v_cmpx_gt_u32_e32 15, v0
	s_cbranch_execz .LBB115_527
; %bb.520:
	ds_read_b128 v[1:4], v110
	v_cmp_ne_u32_e32 vcc_lo, 1, v111
	s_cbranch_vccnz .LBB115_522
; %bb.521:
	s_clause 0x3
	buffer_load_dword v112, v109, s[0:3], 0 offen offset:8
	buffer_load_dword v113, v109, s[0:3], 0 offen offset:12
	buffer_load_dword v116, v109, s[0:3], 0 offen
	buffer_load_dword v117, v109, s[0:3], 0 offen offset:4
	s_waitcnt vmcnt(2) lgkmcnt(0)
	v_mul_f64 v[118:119], v[3:4], v[112:113]
	v_mul_f64 v[112:113], v[1:2], v[112:113]
	s_waitcnt vmcnt(0)
	v_fma_f64 v[1:2], v[1:2], v[116:117], -v[118:119]
	v_fma_f64 v[3:4], v[3:4], v[116:117], v[112:113]
.LBB115_522:
	s_mov_b32 s6, exec_lo
	v_cmpx_ne_u32_e32 14, v0
	s_cbranch_execz .LBB115_526
; %bb.523:
	v_add_nc_u32_e32 v112, 0x350, v115
	v_add3_u32 v113, 0, v115, 16
	v_mov_b32_e32 v114, v0
	s_mov_b32 s8, 0
	.p2align	6
.LBB115_524:                            ; =>This Inner Loop Header: Depth=1
	s_clause 0x3
	buffer_load_dword v120, v113, s[0:3], 0 offen offset:8
	buffer_load_dword v121, v113, s[0:3], 0 offen offset:12
	buffer_load_dword v122, v113, s[0:3], 0 offen
	buffer_load_dword v123, v113, s[0:3], 0 offen offset:4
	ds_read_b128 v[116:119], v112
	v_add_nc_u32_e32 v114, 1, v114
	v_add_nc_u32_e32 v112, 16, v112
	;; [unrolled: 1-line block ×3, first 2 shown]
	v_cmp_lt_u32_e32 vcc_lo, 13, v114
	s_or_b32 s8, vcc_lo, s8
	s_waitcnt vmcnt(2) lgkmcnt(0)
	v_mul_f64 v[124:125], v[118:119], v[120:121]
	v_mul_f64 v[120:121], v[116:117], v[120:121]
	s_waitcnt vmcnt(0)
	v_fma_f64 v[116:117], v[116:117], v[122:123], -v[124:125]
	v_fma_f64 v[118:119], v[118:119], v[122:123], v[120:121]
	v_add_f64 v[1:2], v[1:2], v[116:117]
	v_add_f64 v[3:4], v[3:4], v[118:119]
	s_andn2_b32 exec_lo, exec_lo, s8
	s_cbranch_execnz .LBB115_524
; %bb.525:
	s_or_b32 exec_lo, exec_lo, s8
.LBB115_526:
	s_or_b32 exec_lo, exec_lo, s6
	v_mov_b32_e32 v112, 0
	ds_read_b128 v[116:119], v112 offset:240
	s_waitcnt lgkmcnt(0)
	v_mul_f64 v[112:113], v[3:4], v[118:119]
	v_mul_f64 v[118:119], v[1:2], v[118:119]
	v_fma_f64 v[1:2], v[1:2], v[116:117], -v[112:113]
	v_fma_f64 v[3:4], v[3:4], v[116:117], v[118:119]
	buffer_store_dword v2, off, s[0:3], 0 offset:244
	buffer_store_dword v1, off, s[0:3], 0 offset:240
	;; [unrolled: 1-line block ×4, first 2 shown]
.LBB115_527:
	s_or_b32 exec_lo, exec_lo, s4
	v_mov_b32_e32 v4, s44
	s_mov_b32 s4, exec_lo
	s_clause 0x3
	buffer_load_dword v1, v4, s[0:3], 0 offen
	buffer_load_dword v2, v4, s[0:3], 0 offen offset:4
	buffer_load_dword v3, v4, s[0:3], 0 offen offset:8
	;; [unrolled: 1-line block ×3, first 2 shown]
	s_waitcnt vmcnt(0)
	ds_write_b128 v110, v[1:4]
	s_waitcnt lgkmcnt(0)
	s_waitcnt_vscnt null, 0x0
	s_barrier
	buffer_gl0_inv
	v_cmpx_gt_u32_e32 16, v0
	s_cbranch_execz .LBB115_535
; %bb.528:
	ds_read_b128 v[1:4], v110
	v_cmp_ne_u32_e32 vcc_lo, 1, v111
	s_cbranch_vccnz .LBB115_530
; %bb.529:
	s_clause 0x3
	buffer_load_dword v112, v109, s[0:3], 0 offen offset:8
	buffer_load_dword v113, v109, s[0:3], 0 offen offset:12
	buffer_load_dword v116, v109, s[0:3], 0 offen
	buffer_load_dword v117, v109, s[0:3], 0 offen offset:4
	s_waitcnt vmcnt(2) lgkmcnt(0)
	v_mul_f64 v[118:119], v[3:4], v[112:113]
	v_mul_f64 v[112:113], v[1:2], v[112:113]
	s_waitcnt vmcnt(0)
	v_fma_f64 v[1:2], v[1:2], v[116:117], -v[118:119]
	v_fma_f64 v[3:4], v[3:4], v[116:117], v[112:113]
.LBB115_530:
	s_mov_b32 s6, exec_lo
	v_cmpx_ne_u32_e32 15, v0
	s_cbranch_execz .LBB115_534
; %bb.531:
	v_add_nc_u32_e32 v112, 0x350, v115
	v_add3_u32 v113, 0, v115, 16
	v_mov_b32_e32 v114, v0
	s_mov_b32 s8, 0
	.p2align	6
.LBB115_532:                            ; =>This Inner Loop Header: Depth=1
	s_clause 0x3
	buffer_load_dword v120, v113, s[0:3], 0 offen offset:8
	buffer_load_dword v121, v113, s[0:3], 0 offen offset:12
	buffer_load_dword v122, v113, s[0:3], 0 offen
	buffer_load_dword v123, v113, s[0:3], 0 offen offset:4
	ds_read_b128 v[116:119], v112
	v_add_nc_u32_e32 v114, 1, v114
	v_add_nc_u32_e32 v112, 16, v112
	v_add_nc_u32_e32 v113, 16, v113
	v_cmp_lt_u32_e32 vcc_lo, 14, v114
	s_or_b32 s8, vcc_lo, s8
	s_waitcnt vmcnt(2) lgkmcnt(0)
	v_mul_f64 v[124:125], v[118:119], v[120:121]
	v_mul_f64 v[120:121], v[116:117], v[120:121]
	s_waitcnt vmcnt(0)
	v_fma_f64 v[116:117], v[116:117], v[122:123], -v[124:125]
	v_fma_f64 v[118:119], v[118:119], v[122:123], v[120:121]
	v_add_f64 v[1:2], v[1:2], v[116:117]
	v_add_f64 v[3:4], v[3:4], v[118:119]
	s_andn2_b32 exec_lo, exec_lo, s8
	s_cbranch_execnz .LBB115_532
; %bb.533:
	s_or_b32 exec_lo, exec_lo, s8
.LBB115_534:
	s_or_b32 exec_lo, exec_lo, s6
	v_mov_b32_e32 v112, 0
	ds_read_b128 v[116:119], v112 offset:256
	s_waitcnt lgkmcnt(0)
	v_mul_f64 v[112:113], v[3:4], v[118:119]
	v_mul_f64 v[118:119], v[1:2], v[118:119]
	v_fma_f64 v[1:2], v[1:2], v[116:117], -v[112:113]
	v_fma_f64 v[3:4], v[3:4], v[116:117], v[118:119]
	buffer_store_dword v2, off, s[0:3], 0 offset:260
	buffer_store_dword v1, off, s[0:3], 0 offset:256
	;; [unrolled: 1-line block ×4, first 2 shown]
.LBB115_535:
	s_or_b32 exec_lo, exec_lo, s4
	v_mov_b32_e32 v4, s43
	s_mov_b32 s4, exec_lo
	s_clause 0x3
	buffer_load_dword v1, v4, s[0:3], 0 offen
	buffer_load_dword v2, v4, s[0:3], 0 offen offset:4
	buffer_load_dword v3, v4, s[0:3], 0 offen offset:8
	;; [unrolled: 1-line block ×3, first 2 shown]
	s_waitcnt vmcnt(0)
	ds_write_b128 v110, v[1:4]
	s_waitcnt lgkmcnt(0)
	s_waitcnt_vscnt null, 0x0
	s_barrier
	buffer_gl0_inv
	v_cmpx_gt_u32_e32 17, v0
	s_cbranch_execz .LBB115_543
; %bb.536:
	ds_read_b128 v[1:4], v110
	v_cmp_ne_u32_e32 vcc_lo, 1, v111
	s_cbranch_vccnz .LBB115_538
; %bb.537:
	s_clause 0x3
	buffer_load_dword v112, v109, s[0:3], 0 offen offset:8
	buffer_load_dword v113, v109, s[0:3], 0 offen offset:12
	buffer_load_dword v116, v109, s[0:3], 0 offen
	buffer_load_dword v117, v109, s[0:3], 0 offen offset:4
	s_waitcnt vmcnt(2) lgkmcnt(0)
	v_mul_f64 v[118:119], v[3:4], v[112:113]
	v_mul_f64 v[112:113], v[1:2], v[112:113]
	s_waitcnt vmcnt(0)
	v_fma_f64 v[1:2], v[1:2], v[116:117], -v[118:119]
	v_fma_f64 v[3:4], v[3:4], v[116:117], v[112:113]
.LBB115_538:
	s_mov_b32 s6, exec_lo
	v_cmpx_ne_u32_e32 16, v0
	s_cbranch_execz .LBB115_542
; %bb.539:
	v_add_nc_u32_e32 v112, 0x350, v115
	v_add3_u32 v113, 0, v115, 16
	v_mov_b32_e32 v114, v0
	s_mov_b32 s8, 0
	.p2align	6
.LBB115_540:                            ; =>This Inner Loop Header: Depth=1
	s_clause 0x3
	buffer_load_dword v120, v113, s[0:3], 0 offen offset:8
	buffer_load_dword v121, v113, s[0:3], 0 offen offset:12
	buffer_load_dword v122, v113, s[0:3], 0 offen
	buffer_load_dword v123, v113, s[0:3], 0 offen offset:4
	ds_read_b128 v[116:119], v112
	v_add_nc_u32_e32 v114, 1, v114
	v_add_nc_u32_e32 v112, 16, v112
	;; [unrolled: 1-line block ×3, first 2 shown]
	v_cmp_lt_u32_e32 vcc_lo, 15, v114
	s_or_b32 s8, vcc_lo, s8
	s_waitcnt vmcnt(2) lgkmcnt(0)
	v_mul_f64 v[124:125], v[118:119], v[120:121]
	v_mul_f64 v[120:121], v[116:117], v[120:121]
	s_waitcnt vmcnt(0)
	v_fma_f64 v[116:117], v[116:117], v[122:123], -v[124:125]
	v_fma_f64 v[118:119], v[118:119], v[122:123], v[120:121]
	v_add_f64 v[1:2], v[1:2], v[116:117]
	v_add_f64 v[3:4], v[3:4], v[118:119]
	s_andn2_b32 exec_lo, exec_lo, s8
	s_cbranch_execnz .LBB115_540
; %bb.541:
	s_or_b32 exec_lo, exec_lo, s8
.LBB115_542:
	s_or_b32 exec_lo, exec_lo, s6
	v_mov_b32_e32 v112, 0
	ds_read_b128 v[116:119], v112 offset:272
	s_waitcnt lgkmcnt(0)
	v_mul_f64 v[112:113], v[3:4], v[118:119]
	v_mul_f64 v[118:119], v[1:2], v[118:119]
	v_fma_f64 v[1:2], v[1:2], v[116:117], -v[112:113]
	v_fma_f64 v[3:4], v[3:4], v[116:117], v[118:119]
	buffer_store_dword v2, off, s[0:3], 0 offset:276
	buffer_store_dword v1, off, s[0:3], 0 offset:272
	;; [unrolled: 1-line block ×4, first 2 shown]
.LBB115_543:
	s_or_b32 exec_lo, exec_lo, s4
	v_mov_b32_e32 v4, s42
	s_mov_b32 s4, exec_lo
	s_clause 0x3
	buffer_load_dword v1, v4, s[0:3], 0 offen
	buffer_load_dword v2, v4, s[0:3], 0 offen offset:4
	buffer_load_dword v3, v4, s[0:3], 0 offen offset:8
	buffer_load_dword v4, v4, s[0:3], 0 offen offset:12
	s_waitcnt vmcnt(0)
	ds_write_b128 v110, v[1:4]
	s_waitcnt lgkmcnt(0)
	s_waitcnt_vscnt null, 0x0
	s_barrier
	buffer_gl0_inv
	v_cmpx_gt_u32_e32 18, v0
	s_cbranch_execz .LBB115_551
; %bb.544:
	ds_read_b128 v[1:4], v110
	v_cmp_ne_u32_e32 vcc_lo, 1, v111
	s_cbranch_vccnz .LBB115_546
; %bb.545:
	s_clause 0x3
	buffer_load_dword v112, v109, s[0:3], 0 offen offset:8
	buffer_load_dword v113, v109, s[0:3], 0 offen offset:12
	buffer_load_dword v116, v109, s[0:3], 0 offen
	buffer_load_dword v117, v109, s[0:3], 0 offen offset:4
	s_waitcnt vmcnt(2) lgkmcnt(0)
	v_mul_f64 v[118:119], v[3:4], v[112:113]
	v_mul_f64 v[112:113], v[1:2], v[112:113]
	s_waitcnt vmcnt(0)
	v_fma_f64 v[1:2], v[1:2], v[116:117], -v[118:119]
	v_fma_f64 v[3:4], v[3:4], v[116:117], v[112:113]
.LBB115_546:
	s_mov_b32 s6, exec_lo
	v_cmpx_ne_u32_e32 17, v0
	s_cbranch_execz .LBB115_550
; %bb.547:
	v_add_nc_u32_e32 v112, 0x350, v115
	v_add3_u32 v113, 0, v115, 16
	v_mov_b32_e32 v114, v0
	s_mov_b32 s8, 0
	.p2align	6
.LBB115_548:                            ; =>This Inner Loop Header: Depth=1
	s_clause 0x3
	buffer_load_dword v120, v113, s[0:3], 0 offen offset:8
	buffer_load_dword v121, v113, s[0:3], 0 offen offset:12
	buffer_load_dword v122, v113, s[0:3], 0 offen
	buffer_load_dword v123, v113, s[0:3], 0 offen offset:4
	ds_read_b128 v[116:119], v112
	v_add_nc_u32_e32 v114, 1, v114
	v_add_nc_u32_e32 v112, 16, v112
	;; [unrolled: 1-line block ×3, first 2 shown]
	v_cmp_lt_u32_e32 vcc_lo, 16, v114
	s_or_b32 s8, vcc_lo, s8
	s_waitcnt vmcnt(2) lgkmcnt(0)
	v_mul_f64 v[124:125], v[118:119], v[120:121]
	v_mul_f64 v[120:121], v[116:117], v[120:121]
	s_waitcnt vmcnt(0)
	v_fma_f64 v[116:117], v[116:117], v[122:123], -v[124:125]
	v_fma_f64 v[118:119], v[118:119], v[122:123], v[120:121]
	v_add_f64 v[1:2], v[1:2], v[116:117]
	v_add_f64 v[3:4], v[3:4], v[118:119]
	s_andn2_b32 exec_lo, exec_lo, s8
	s_cbranch_execnz .LBB115_548
; %bb.549:
	s_or_b32 exec_lo, exec_lo, s8
.LBB115_550:
	s_or_b32 exec_lo, exec_lo, s6
	v_mov_b32_e32 v112, 0
	ds_read_b128 v[116:119], v112 offset:288
	s_waitcnt lgkmcnt(0)
	v_mul_f64 v[112:113], v[3:4], v[118:119]
	v_mul_f64 v[118:119], v[1:2], v[118:119]
	v_fma_f64 v[1:2], v[1:2], v[116:117], -v[112:113]
	v_fma_f64 v[3:4], v[3:4], v[116:117], v[118:119]
	buffer_store_dword v2, off, s[0:3], 0 offset:292
	buffer_store_dword v1, off, s[0:3], 0 offset:288
	;; [unrolled: 1-line block ×4, first 2 shown]
.LBB115_551:
	s_or_b32 exec_lo, exec_lo, s4
	v_mov_b32_e32 v4, s41
	s_mov_b32 s4, exec_lo
	s_clause 0x3
	buffer_load_dword v1, v4, s[0:3], 0 offen
	buffer_load_dword v2, v4, s[0:3], 0 offen offset:4
	buffer_load_dword v3, v4, s[0:3], 0 offen offset:8
	;; [unrolled: 1-line block ×3, first 2 shown]
	s_waitcnt vmcnt(0)
	ds_write_b128 v110, v[1:4]
	s_waitcnt lgkmcnt(0)
	s_waitcnt_vscnt null, 0x0
	s_barrier
	buffer_gl0_inv
	v_cmpx_gt_u32_e32 19, v0
	s_cbranch_execz .LBB115_559
; %bb.552:
	ds_read_b128 v[1:4], v110
	v_cmp_ne_u32_e32 vcc_lo, 1, v111
	s_cbranch_vccnz .LBB115_554
; %bb.553:
	s_clause 0x3
	buffer_load_dword v112, v109, s[0:3], 0 offen offset:8
	buffer_load_dword v113, v109, s[0:3], 0 offen offset:12
	buffer_load_dword v116, v109, s[0:3], 0 offen
	buffer_load_dword v117, v109, s[0:3], 0 offen offset:4
	s_waitcnt vmcnt(2) lgkmcnt(0)
	v_mul_f64 v[118:119], v[3:4], v[112:113]
	v_mul_f64 v[112:113], v[1:2], v[112:113]
	s_waitcnt vmcnt(0)
	v_fma_f64 v[1:2], v[1:2], v[116:117], -v[118:119]
	v_fma_f64 v[3:4], v[3:4], v[116:117], v[112:113]
.LBB115_554:
	s_mov_b32 s6, exec_lo
	v_cmpx_ne_u32_e32 18, v0
	s_cbranch_execz .LBB115_558
; %bb.555:
	v_add_nc_u32_e32 v112, 0x350, v115
	v_add3_u32 v113, 0, v115, 16
	v_mov_b32_e32 v114, v0
	s_mov_b32 s8, 0
	.p2align	6
.LBB115_556:                            ; =>This Inner Loop Header: Depth=1
	s_clause 0x3
	buffer_load_dword v120, v113, s[0:3], 0 offen offset:8
	buffer_load_dword v121, v113, s[0:3], 0 offen offset:12
	buffer_load_dword v122, v113, s[0:3], 0 offen
	buffer_load_dword v123, v113, s[0:3], 0 offen offset:4
	ds_read_b128 v[116:119], v112
	v_add_nc_u32_e32 v114, 1, v114
	v_add_nc_u32_e32 v112, 16, v112
	;; [unrolled: 1-line block ×3, first 2 shown]
	v_cmp_lt_u32_e32 vcc_lo, 17, v114
	s_or_b32 s8, vcc_lo, s8
	s_waitcnt vmcnt(2) lgkmcnt(0)
	v_mul_f64 v[124:125], v[118:119], v[120:121]
	v_mul_f64 v[120:121], v[116:117], v[120:121]
	s_waitcnt vmcnt(0)
	v_fma_f64 v[116:117], v[116:117], v[122:123], -v[124:125]
	v_fma_f64 v[118:119], v[118:119], v[122:123], v[120:121]
	v_add_f64 v[1:2], v[1:2], v[116:117]
	v_add_f64 v[3:4], v[3:4], v[118:119]
	s_andn2_b32 exec_lo, exec_lo, s8
	s_cbranch_execnz .LBB115_556
; %bb.557:
	s_or_b32 exec_lo, exec_lo, s8
.LBB115_558:
	s_or_b32 exec_lo, exec_lo, s6
	v_mov_b32_e32 v112, 0
	ds_read_b128 v[116:119], v112 offset:304
	s_waitcnt lgkmcnt(0)
	v_mul_f64 v[112:113], v[3:4], v[118:119]
	v_mul_f64 v[118:119], v[1:2], v[118:119]
	v_fma_f64 v[1:2], v[1:2], v[116:117], -v[112:113]
	v_fma_f64 v[3:4], v[3:4], v[116:117], v[118:119]
	buffer_store_dword v2, off, s[0:3], 0 offset:308
	buffer_store_dword v1, off, s[0:3], 0 offset:304
	buffer_store_dword v4, off, s[0:3], 0 offset:316
	buffer_store_dword v3, off, s[0:3], 0 offset:312
.LBB115_559:
	s_or_b32 exec_lo, exec_lo, s4
	v_mov_b32_e32 v4, s40
	s_mov_b32 s4, exec_lo
	s_clause 0x3
	buffer_load_dword v1, v4, s[0:3], 0 offen
	buffer_load_dword v2, v4, s[0:3], 0 offen offset:4
	buffer_load_dword v3, v4, s[0:3], 0 offen offset:8
	;; [unrolled: 1-line block ×3, first 2 shown]
	s_waitcnt vmcnt(0)
	ds_write_b128 v110, v[1:4]
	s_waitcnt lgkmcnt(0)
	s_waitcnt_vscnt null, 0x0
	s_barrier
	buffer_gl0_inv
	v_cmpx_gt_u32_e32 20, v0
	s_cbranch_execz .LBB115_567
; %bb.560:
	ds_read_b128 v[1:4], v110
	v_cmp_ne_u32_e32 vcc_lo, 1, v111
	s_cbranch_vccnz .LBB115_562
; %bb.561:
	s_clause 0x3
	buffer_load_dword v112, v109, s[0:3], 0 offen offset:8
	buffer_load_dword v113, v109, s[0:3], 0 offen offset:12
	buffer_load_dword v116, v109, s[0:3], 0 offen
	buffer_load_dword v117, v109, s[0:3], 0 offen offset:4
	s_waitcnt vmcnt(2) lgkmcnt(0)
	v_mul_f64 v[118:119], v[3:4], v[112:113]
	v_mul_f64 v[112:113], v[1:2], v[112:113]
	s_waitcnt vmcnt(0)
	v_fma_f64 v[1:2], v[1:2], v[116:117], -v[118:119]
	v_fma_f64 v[3:4], v[3:4], v[116:117], v[112:113]
.LBB115_562:
	s_mov_b32 s6, exec_lo
	v_cmpx_ne_u32_e32 19, v0
	s_cbranch_execz .LBB115_566
; %bb.563:
	v_add_nc_u32_e32 v112, 0x350, v115
	v_add3_u32 v113, 0, v115, 16
	v_mov_b32_e32 v114, v0
	s_mov_b32 s8, 0
	.p2align	6
.LBB115_564:                            ; =>This Inner Loop Header: Depth=1
	s_clause 0x3
	buffer_load_dword v120, v113, s[0:3], 0 offen offset:8
	buffer_load_dword v121, v113, s[0:3], 0 offen offset:12
	buffer_load_dword v122, v113, s[0:3], 0 offen
	buffer_load_dword v123, v113, s[0:3], 0 offen offset:4
	ds_read_b128 v[116:119], v112
	v_add_nc_u32_e32 v114, 1, v114
	v_add_nc_u32_e32 v112, 16, v112
	;; [unrolled: 1-line block ×3, first 2 shown]
	v_cmp_lt_u32_e32 vcc_lo, 18, v114
	s_or_b32 s8, vcc_lo, s8
	s_waitcnt vmcnt(2) lgkmcnt(0)
	v_mul_f64 v[124:125], v[118:119], v[120:121]
	v_mul_f64 v[120:121], v[116:117], v[120:121]
	s_waitcnt vmcnt(0)
	v_fma_f64 v[116:117], v[116:117], v[122:123], -v[124:125]
	v_fma_f64 v[118:119], v[118:119], v[122:123], v[120:121]
	v_add_f64 v[1:2], v[1:2], v[116:117]
	v_add_f64 v[3:4], v[3:4], v[118:119]
	s_andn2_b32 exec_lo, exec_lo, s8
	s_cbranch_execnz .LBB115_564
; %bb.565:
	s_or_b32 exec_lo, exec_lo, s8
.LBB115_566:
	s_or_b32 exec_lo, exec_lo, s6
	v_mov_b32_e32 v112, 0
	ds_read_b128 v[116:119], v112 offset:320
	s_waitcnt lgkmcnt(0)
	v_mul_f64 v[112:113], v[3:4], v[118:119]
	v_mul_f64 v[118:119], v[1:2], v[118:119]
	v_fma_f64 v[1:2], v[1:2], v[116:117], -v[112:113]
	v_fma_f64 v[3:4], v[3:4], v[116:117], v[118:119]
	buffer_store_dword v2, off, s[0:3], 0 offset:324
	buffer_store_dword v1, off, s[0:3], 0 offset:320
	;; [unrolled: 1-line block ×4, first 2 shown]
.LBB115_567:
	s_or_b32 exec_lo, exec_lo, s4
	v_mov_b32_e32 v4, s39
	s_mov_b32 s4, exec_lo
	s_clause 0x3
	buffer_load_dword v1, v4, s[0:3], 0 offen
	buffer_load_dword v2, v4, s[0:3], 0 offen offset:4
	buffer_load_dword v3, v4, s[0:3], 0 offen offset:8
	;; [unrolled: 1-line block ×3, first 2 shown]
	s_waitcnt vmcnt(0)
	ds_write_b128 v110, v[1:4]
	s_waitcnt lgkmcnt(0)
	s_waitcnt_vscnt null, 0x0
	s_barrier
	buffer_gl0_inv
	v_cmpx_gt_u32_e32 21, v0
	s_cbranch_execz .LBB115_575
; %bb.568:
	ds_read_b128 v[1:4], v110
	v_cmp_ne_u32_e32 vcc_lo, 1, v111
	s_cbranch_vccnz .LBB115_570
; %bb.569:
	s_clause 0x3
	buffer_load_dword v112, v109, s[0:3], 0 offen offset:8
	buffer_load_dword v113, v109, s[0:3], 0 offen offset:12
	buffer_load_dword v116, v109, s[0:3], 0 offen
	buffer_load_dword v117, v109, s[0:3], 0 offen offset:4
	s_waitcnt vmcnt(2) lgkmcnt(0)
	v_mul_f64 v[118:119], v[3:4], v[112:113]
	v_mul_f64 v[112:113], v[1:2], v[112:113]
	s_waitcnt vmcnt(0)
	v_fma_f64 v[1:2], v[1:2], v[116:117], -v[118:119]
	v_fma_f64 v[3:4], v[3:4], v[116:117], v[112:113]
.LBB115_570:
	s_mov_b32 s6, exec_lo
	v_cmpx_ne_u32_e32 20, v0
	s_cbranch_execz .LBB115_574
; %bb.571:
	v_add_nc_u32_e32 v112, 0x350, v115
	v_add3_u32 v113, 0, v115, 16
	v_mov_b32_e32 v114, v0
	s_mov_b32 s8, 0
	.p2align	6
.LBB115_572:                            ; =>This Inner Loop Header: Depth=1
	s_clause 0x3
	buffer_load_dword v120, v113, s[0:3], 0 offen offset:8
	buffer_load_dword v121, v113, s[0:3], 0 offen offset:12
	buffer_load_dword v122, v113, s[0:3], 0 offen
	buffer_load_dword v123, v113, s[0:3], 0 offen offset:4
	ds_read_b128 v[116:119], v112
	v_add_nc_u32_e32 v114, 1, v114
	v_add_nc_u32_e32 v112, 16, v112
	;; [unrolled: 1-line block ×3, first 2 shown]
	v_cmp_lt_u32_e32 vcc_lo, 19, v114
	s_or_b32 s8, vcc_lo, s8
	s_waitcnt vmcnt(2) lgkmcnt(0)
	v_mul_f64 v[124:125], v[118:119], v[120:121]
	v_mul_f64 v[120:121], v[116:117], v[120:121]
	s_waitcnt vmcnt(0)
	v_fma_f64 v[116:117], v[116:117], v[122:123], -v[124:125]
	v_fma_f64 v[118:119], v[118:119], v[122:123], v[120:121]
	v_add_f64 v[1:2], v[1:2], v[116:117]
	v_add_f64 v[3:4], v[3:4], v[118:119]
	s_andn2_b32 exec_lo, exec_lo, s8
	s_cbranch_execnz .LBB115_572
; %bb.573:
	s_or_b32 exec_lo, exec_lo, s8
.LBB115_574:
	s_or_b32 exec_lo, exec_lo, s6
	v_mov_b32_e32 v112, 0
	ds_read_b128 v[116:119], v112 offset:336
	s_waitcnt lgkmcnt(0)
	v_mul_f64 v[112:113], v[3:4], v[118:119]
	v_mul_f64 v[118:119], v[1:2], v[118:119]
	v_fma_f64 v[1:2], v[1:2], v[116:117], -v[112:113]
	v_fma_f64 v[3:4], v[3:4], v[116:117], v[118:119]
	buffer_store_dword v2, off, s[0:3], 0 offset:340
	buffer_store_dword v1, off, s[0:3], 0 offset:336
	;; [unrolled: 1-line block ×4, first 2 shown]
.LBB115_575:
	s_or_b32 exec_lo, exec_lo, s4
	v_mov_b32_e32 v4, s38
	s_mov_b32 s4, exec_lo
	s_clause 0x3
	buffer_load_dword v1, v4, s[0:3], 0 offen
	buffer_load_dword v2, v4, s[0:3], 0 offen offset:4
	buffer_load_dword v3, v4, s[0:3], 0 offen offset:8
	buffer_load_dword v4, v4, s[0:3], 0 offen offset:12
	s_waitcnt vmcnt(0)
	ds_write_b128 v110, v[1:4]
	s_waitcnt lgkmcnt(0)
	s_waitcnt_vscnt null, 0x0
	s_barrier
	buffer_gl0_inv
	v_cmpx_gt_u32_e32 22, v0
	s_cbranch_execz .LBB115_583
; %bb.576:
	ds_read_b128 v[1:4], v110
	v_cmp_ne_u32_e32 vcc_lo, 1, v111
	s_cbranch_vccnz .LBB115_578
; %bb.577:
	s_clause 0x3
	buffer_load_dword v112, v109, s[0:3], 0 offen offset:8
	buffer_load_dword v113, v109, s[0:3], 0 offen offset:12
	buffer_load_dword v116, v109, s[0:3], 0 offen
	buffer_load_dword v117, v109, s[0:3], 0 offen offset:4
	s_waitcnt vmcnt(2) lgkmcnt(0)
	v_mul_f64 v[118:119], v[3:4], v[112:113]
	v_mul_f64 v[112:113], v[1:2], v[112:113]
	s_waitcnt vmcnt(0)
	v_fma_f64 v[1:2], v[1:2], v[116:117], -v[118:119]
	v_fma_f64 v[3:4], v[3:4], v[116:117], v[112:113]
.LBB115_578:
	s_mov_b32 s6, exec_lo
	v_cmpx_ne_u32_e32 21, v0
	s_cbranch_execz .LBB115_582
; %bb.579:
	v_add_nc_u32_e32 v112, 0x350, v115
	v_add3_u32 v113, 0, v115, 16
	v_mov_b32_e32 v114, v0
	s_mov_b32 s8, 0
	.p2align	6
.LBB115_580:                            ; =>This Inner Loop Header: Depth=1
	s_clause 0x3
	buffer_load_dword v120, v113, s[0:3], 0 offen offset:8
	buffer_load_dword v121, v113, s[0:3], 0 offen offset:12
	buffer_load_dword v122, v113, s[0:3], 0 offen
	buffer_load_dword v123, v113, s[0:3], 0 offen offset:4
	ds_read_b128 v[116:119], v112
	v_add_nc_u32_e32 v114, 1, v114
	v_add_nc_u32_e32 v112, 16, v112
	;; [unrolled: 1-line block ×3, first 2 shown]
	v_cmp_lt_u32_e32 vcc_lo, 20, v114
	s_or_b32 s8, vcc_lo, s8
	s_waitcnt vmcnt(2) lgkmcnt(0)
	v_mul_f64 v[124:125], v[118:119], v[120:121]
	v_mul_f64 v[120:121], v[116:117], v[120:121]
	s_waitcnt vmcnt(0)
	v_fma_f64 v[116:117], v[116:117], v[122:123], -v[124:125]
	v_fma_f64 v[118:119], v[118:119], v[122:123], v[120:121]
	v_add_f64 v[1:2], v[1:2], v[116:117]
	v_add_f64 v[3:4], v[3:4], v[118:119]
	s_andn2_b32 exec_lo, exec_lo, s8
	s_cbranch_execnz .LBB115_580
; %bb.581:
	s_or_b32 exec_lo, exec_lo, s8
.LBB115_582:
	s_or_b32 exec_lo, exec_lo, s6
	v_mov_b32_e32 v112, 0
	ds_read_b128 v[116:119], v112 offset:352
	s_waitcnt lgkmcnt(0)
	v_mul_f64 v[112:113], v[3:4], v[118:119]
	v_mul_f64 v[118:119], v[1:2], v[118:119]
	v_fma_f64 v[1:2], v[1:2], v[116:117], -v[112:113]
	v_fma_f64 v[3:4], v[3:4], v[116:117], v[118:119]
	buffer_store_dword v2, off, s[0:3], 0 offset:356
	buffer_store_dword v1, off, s[0:3], 0 offset:352
	;; [unrolled: 1-line block ×4, first 2 shown]
.LBB115_583:
	s_or_b32 exec_lo, exec_lo, s4
	v_mov_b32_e32 v4, s37
	s_mov_b32 s4, exec_lo
	s_clause 0x3
	buffer_load_dword v1, v4, s[0:3], 0 offen
	buffer_load_dword v2, v4, s[0:3], 0 offen offset:4
	buffer_load_dword v3, v4, s[0:3], 0 offen offset:8
	;; [unrolled: 1-line block ×3, first 2 shown]
	s_waitcnt vmcnt(0)
	ds_write_b128 v110, v[1:4]
	s_waitcnt lgkmcnt(0)
	s_waitcnt_vscnt null, 0x0
	s_barrier
	buffer_gl0_inv
	v_cmpx_gt_u32_e32 23, v0
	s_cbranch_execz .LBB115_591
; %bb.584:
	ds_read_b128 v[1:4], v110
	v_cmp_ne_u32_e32 vcc_lo, 1, v111
	s_cbranch_vccnz .LBB115_586
; %bb.585:
	s_clause 0x3
	buffer_load_dword v112, v109, s[0:3], 0 offen offset:8
	buffer_load_dword v113, v109, s[0:3], 0 offen offset:12
	buffer_load_dword v116, v109, s[0:3], 0 offen
	buffer_load_dword v117, v109, s[0:3], 0 offen offset:4
	s_waitcnt vmcnt(2) lgkmcnt(0)
	v_mul_f64 v[118:119], v[3:4], v[112:113]
	v_mul_f64 v[112:113], v[1:2], v[112:113]
	s_waitcnt vmcnt(0)
	v_fma_f64 v[1:2], v[1:2], v[116:117], -v[118:119]
	v_fma_f64 v[3:4], v[3:4], v[116:117], v[112:113]
.LBB115_586:
	s_mov_b32 s6, exec_lo
	v_cmpx_ne_u32_e32 22, v0
	s_cbranch_execz .LBB115_590
; %bb.587:
	v_add_nc_u32_e32 v112, 0x350, v115
	v_add3_u32 v113, 0, v115, 16
	v_mov_b32_e32 v114, v0
	s_mov_b32 s8, 0
	.p2align	6
.LBB115_588:                            ; =>This Inner Loop Header: Depth=1
	s_clause 0x3
	buffer_load_dword v120, v113, s[0:3], 0 offen offset:8
	buffer_load_dword v121, v113, s[0:3], 0 offen offset:12
	buffer_load_dword v122, v113, s[0:3], 0 offen
	buffer_load_dword v123, v113, s[0:3], 0 offen offset:4
	ds_read_b128 v[116:119], v112
	v_add_nc_u32_e32 v114, 1, v114
	v_add_nc_u32_e32 v112, 16, v112
	;; [unrolled: 1-line block ×3, first 2 shown]
	v_cmp_lt_u32_e32 vcc_lo, 21, v114
	s_or_b32 s8, vcc_lo, s8
	s_waitcnt vmcnt(2) lgkmcnt(0)
	v_mul_f64 v[124:125], v[118:119], v[120:121]
	v_mul_f64 v[120:121], v[116:117], v[120:121]
	s_waitcnt vmcnt(0)
	v_fma_f64 v[116:117], v[116:117], v[122:123], -v[124:125]
	v_fma_f64 v[118:119], v[118:119], v[122:123], v[120:121]
	v_add_f64 v[1:2], v[1:2], v[116:117]
	v_add_f64 v[3:4], v[3:4], v[118:119]
	s_andn2_b32 exec_lo, exec_lo, s8
	s_cbranch_execnz .LBB115_588
; %bb.589:
	s_or_b32 exec_lo, exec_lo, s8
.LBB115_590:
	s_or_b32 exec_lo, exec_lo, s6
	v_mov_b32_e32 v112, 0
	ds_read_b128 v[116:119], v112 offset:368
	s_waitcnt lgkmcnt(0)
	v_mul_f64 v[112:113], v[3:4], v[118:119]
	v_mul_f64 v[118:119], v[1:2], v[118:119]
	v_fma_f64 v[1:2], v[1:2], v[116:117], -v[112:113]
	v_fma_f64 v[3:4], v[3:4], v[116:117], v[118:119]
	buffer_store_dword v2, off, s[0:3], 0 offset:372
	buffer_store_dword v1, off, s[0:3], 0 offset:368
	;; [unrolled: 1-line block ×4, first 2 shown]
.LBB115_591:
	s_or_b32 exec_lo, exec_lo, s4
	v_mov_b32_e32 v4, s36
	s_mov_b32 s4, exec_lo
	s_clause 0x3
	buffer_load_dword v1, v4, s[0:3], 0 offen
	buffer_load_dword v2, v4, s[0:3], 0 offen offset:4
	buffer_load_dword v3, v4, s[0:3], 0 offen offset:8
	;; [unrolled: 1-line block ×3, first 2 shown]
	s_waitcnt vmcnt(0)
	ds_write_b128 v110, v[1:4]
	s_waitcnt lgkmcnt(0)
	s_waitcnt_vscnt null, 0x0
	s_barrier
	buffer_gl0_inv
	v_cmpx_gt_u32_e32 24, v0
	s_cbranch_execz .LBB115_599
; %bb.592:
	ds_read_b128 v[1:4], v110
	v_cmp_ne_u32_e32 vcc_lo, 1, v111
	s_cbranch_vccnz .LBB115_594
; %bb.593:
	s_clause 0x3
	buffer_load_dword v112, v109, s[0:3], 0 offen offset:8
	buffer_load_dword v113, v109, s[0:3], 0 offen offset:12
	buffer_load_dword v116, v109, s[0:3], 0 offen
	buffer_load_dword v117, v109, s[0:3], 0 offen offset:4
	s_waitcnt vmcnt(2) lgkmcnt(0)
	v_mul_f64 v[118:119], v[3:4], v[112:113]
	v_mul_f64 v[112:113], v[1:2], v[112:113]
	s_waitcnt vmcnt(0)
	v_fma_f64 v[1:2], v[1:2], v[116:117], -v[118:119]
	v_fma_f64 v[3:4], v[3:4], v[116:117], v[112:113]
.LBB115_594:
	s_mov_b32 s6, exec_lo
	v_cmpx_ne_u32_e32 23, v0
	s_cbranch_execz .LBB115_598
; %bb.595:
	v_add_nc_u32_e32 v112, 0x350, v115
	v_add3_u32 v113, 0, v115, 16
	v_mov_b32_e32 v114, v0
	s_mov_b32 s8, 0
	.p2align	6
.LBB115_596:                            ; =>This Inner Loop Header: Depth=1
	s_clause 0x3
	buffer_load_dword v120, v113, s[0:3], 0 offen offset:8
	buffer_load_dword v121, v113, s[0:3], 0 offen offset:12
	buffer_load_dword v122, v113, s[0:3], 0 offen
	buffer_load_dword v123, v113, s[0:3], 0 offen offset:4
	ds_read_b128 v[116:119], v112
	v_add_nc_u32_e32 v114, 1, v114
	v_add_nc_u32_e32 v112, 16, v112
	;; [unrolled: 1-line block ×3, first 2 shown]
	v_cmp_lt_u32_e32 vcc_lo, 22, v114
	s_or_b32 s8, vcc_lo, s8
	s_waitcnt vmcnt(2) lgkmcnt(0)
	v_mul_f64 v[124:125], v[118:119], v[120:121]
	v_mul_f64 v[120:121], v[116:117], v[120:121]
	s_waitcnt vmcnt(0)
	v_fma_f64 v[116:117], v[116:117], v[122:123], -v[124:125]
	v_fma_f64 v[118:119], v[118:119], v[122:123], v[120:121]
	v_add_f64 v[1:2], v[1:2], v[116:117]
	v_add_f64 v[3:4], v[3:4], v[118:119]
	s_andn2_b32 exec_lo, exec_lo, s8
	s_cbranch_execnz .LBB115_596
; %bb.597:
	s_or_b32 exec_lo, exec_lo, s8
.LBB115_598:
	s_or_b32 exec_lo, exec_lo, s6
	v_mov_b32_e32 v112, 0
	ds_read_b128 v[116:119], v112 offset:384
	s_waitcnt lgkmcnt(0)
	v_mul_f64 v[112:113], v[3:4], v[118:119]
	v_mul_f64 v[118:119], v[1:2], v[118:119]
	v_fma_f64 v[1:2], v[1:2], v[116:117], -v[112:113]
	v_fma_f64 v[3:4], v[3:4], v[116:117], v[118:119]
	buffer_store_dword v2, off, s[0:3], 0 offset:388
	buffer_store_dword v1, off, s[0:3], 0 offset:384
	;; [unrolled: 1-line block ×4, first 2 shown]
.LBB115_599:
	s_or_b32 exec_lo, exec_lo, s4
	v_mov_b32_e32 v4, s35
	s_mov_b32 s4, exec_lo
	s_clause 0x3
	buffer_load_dword v1, v4, s[0:3], 0 offen
	buffer_load_dword v2, v4, s[0:3], 0 offen offset:4
	buffer_load_dword v3, v4, s[0:3], 0 offen offset:8
	;; [unrolled: 1-line block ×3, first 2 shown]
	s_waitcnt vmcnt(0)
	ds_write_b128 v110, v[1:4]
	s_waitcnt lgkmcnt(0)
	s_waitcnt_vscnt null, 0x0
	s_barrier
	buffer_gl0_inv
	v_cmpx_gt_u32_e32 25, v0
	s_cbranch_execz .LBB115_607
; %bb.600:
	ds_read_b128 v[1:4], v110
	v_cmp_ne_u32_e32 vcc_lo, 1, v111
	s_cbranch_vccnz .LBB115_602
; %bb.601:
	s_clause 0x3
	buffer_load_dword v112, v109, s[0:3], 0 offen offset:8
	buffer_load_dword v113, v109, s[0:3], 0 offen offset:12
	buffer_load_dword v116, v109, s[0:3], 0 offen
	buffer_load_dword v117, v109, s[0:3], 0 offen offset:4
	s_waitcnt vmcnt(2) lgkmcnt(0)
	v_mul_f64 v[118:119], v[3:4], v[112:113]
	v_mul_f64 v[112:113], v[1:2], v[112:113]
	s_waitcnt vmcnt(0)
	v_fma_f64 v[1:2], v[1:2], v[116:117], -v[118:119]
	v_fma_f64 v[3:4], v[3:4], v[116:117], v[112:113]
.LBB115_602:
	s_mov_b32 s6, exec_lo
	v_cmpx_ne_u32_e32 24, v0
	s_cbranch_execz .LBB115_606
; %bb.603:
	v_add_nc_u32_e32 v112, 0x350, v115
	v_add3_u32 v113, 0, v115, 16
	v_mov_b32_e32 v114, v0
	s_mov_b32 s8, 0
	.p2align	6
.LBB115_604:                            ; =>This Inner Loop Header: Depth=1
	s_clause 0x3
	buffer_load_dword v120, v113, s[0:3], 0 offen offset:8
	buffer_load_dword v121, v113, s[0:3], 0 offen offset:12
	buffer_load_dword v122, v113, s[0:3], 0 offen
	buffer_load_dword v123, v113, s[0:3], 0 offen offset:4
	ds_read_b128 v[116:119], v112
	v_add_nc_u32_e32 v114, 1, v114
	v_add_nc_u32_e32 v112, 16, v112
	;; [unrolled: 1-line block ×3, first 2 shown]
	v_cmp_lt_u32_e32 vcc_lo, 23, v114
	s_or_b32 s8, vcc_lo, s8
	s_waitcnt vmcnt(2) lgkmcnt(0)
	v_mul_f64 v[124:125], v[118:119], v[120:121]
	v_mul_f64 v[120:121], v[116:117], v[120:121]
	s_waitcnt vmcnt(0)
	v_fma_f64 v[116:117], v[116:117], v[122:123], -v[124:125]
	v_fma_f64 v[118:119], v[118:119], v[122:123], v[120:121]
	v_add_f64 v[1:2], v[1:2], v[116:117]
	v_add_f64 v[3:4], v[3:4], v[118:119]
	s_andn2_b32 exec_lo, exec_lo, s8
	s_cbranch_execnz .LBB115_604
; %bb.605:
	s_or_b32 exec_lo, exec_lo, s8
.LBB115_606:
	s_or_b32 exec_lo, exec_lo, s6
	v_mov_b32_e32 v112, 0
	ds_read_b128 v[116:119], v112 offset:400
	s_waitcnt lgkmcnt(0)
	v_mul_f64 v[112:113], v[3:4], v[118:119]
	v_mul_f64 v[118:119], v[1:2], v[118:119]
	v_fma_f64 v[1:2], v[1:2], v[116:117], -v[112:113]
	v_fma_f64 v[3:4], v[3:4], v[116:117], v[118:119]
	buffer_store_dword v2, off, s[0:3], 0 offset:404
	buffer_store_dword v1, off, s[0:3], 0 offset:400
	;; [unrolled: 1-line block ×4, first 2 shown]
.LBB115_607:
	s_or_b32 exec_lo, exec_lo, s4
	v_mov_b32_e32 v4, s34
	s_mov_b32 s4, exec_lo
	s_clause 0x3
	buffer_load_dword v1, v4, s[0:3], 0 offen
	buffer_load_dword v2, v4, s[0:3], 0 offen offset:4
	buffer_load_dword v3, v4, s[0:3], 0 offen offset:8
	;; [unrolled: 1-line block ×3, first 2 shown]
	s_waitcnt vmcnt(0)
	ds_write_b128 v110, v[1:4]
	s_waitcnt lgkmcnt(0)
	s_waitcnt_vscnt null, 0x0
	s_barrier
	buffer_gl0_inv
	v_cmpx_gt_u32_e32 26, v0
	s_cbranch_execz .LBB115_615
; %bb.608:
	ds_read_b128 v[1:4], v110
	v_cmp_ne_u32_e32 vcc_lo, 1, v111
	s_cbranch_vccnz .LBB115_610
; %bb.609:
	s_clause 0x3
	buffer_load_dword v112, v109, s[0:3], 0 offen offset:8
	buffer_load_dword v113, v109, s[0:3], 0 offen offset:12
	buffer_load_dword v116, v109, s[0:3], 0 offen
	buffer_load_dword v117, v109, s[0:3], 0 offen offset:4
	s_waitcnt vmcnt(2) lgkmcnt(0)
	v_mul_f64 v[118:119], v[3:4], v[112:113]
	v_mul_f64 v[112:113], v[1:2], v[112:113]
	s_waitcnt vmcnt(0)
	v_fma_f64 v[1:2], v[1:2], v[116:117], -v[118:119]
	v_fma_f64 v[3:4], v[3:4], v[116:117], v[112:113]
.LBB115_610:
	s_mov_b32 s6, exec_lo
	v_cmpx_ne_u32_e32 25, v0
	s_cbranch_execz .LBB115_614
; %bb.611:
	v_add_nc_u32_e32 v112, 0x350, v115
	v_add3_u32 v113, 0, v115, 16
	v_mov_b32_e32 v114, v0
	s_mov_b32 s8, 0
	.p2align	6
.LBB115_612:                            ; =>This Inner Loop Header: Depth=1
	s_clause 0x3
	buffer_load_dword v120, v113, s[0:3], 0 offen offset:8
	buffer_load_dword v121, v113, s[0:3], 0 offen offset:12
	buffer_load_dword v122, v113, s[0:3], 0 offen
	buffer_load_dword v123, v113, s[0:3], 0 offen offset:4
	ds_read_b128 v[116:119], v112
	v_add_nc_u32_e32 v114, 1, v114
	v_add_nc_u32_e32 v112, 16, v112
	;; [unrolled: 1-line block ×3, first 2 shown]
	v_cmp_lt_u32_e32 vcc_lo, 24, v114
	s_or_b32 s8, vcc_lo, s8
	s_waitcnt vmcnt(2) lgkmcnt(0)
	v_mul_f64 v[124:125], v[118:119], v[120:121]
	v_mul_f64 v[120:121], v[116:117], v[120:121]
	s_waitcnt vmcnt(0)
	v_fma_f64 v[116:117], v[116:117], v[122:123], -v[124:125]
	v_fma_f64 v[118:119], v[118:119], v[122:123], v[120:121]
	v_add_f64 v[1:2], v[1:2], v[116:117]
	v_add_f64 v[3:4], v[3:4], v[118:119]
	s_andn2_b32 exec_lo, exec_lo, s8
	s_cbranch_execnz .LBB115_612
; %bb.613:
	s_or_b32 exec_lo, exec_lo, s8
.LBB115_614:
	s_or_b32 exec_lo, exec_lo, s6
	v_mov_b32_e32 v112, 0
	ds_read_b128 v[116:119], v112 offset:416
	s_waitcnt lgkmcnt(0)
	v_mul_f64 v[112:113], v[3:4], v[118:119]
	v_mul_f64 v[118:119], v[1:2], v[118:119]
	v_fma_f64 v[1:2], v[1:2], v[116:117], -v[112:113]
	v_fma_f64 v[3:4], v[3:4], v[116:117], v[118:119]
	buffer_store_dword v2, off, s[0:3], 0 offset:420
	buffer_store_dword v1, off, s[0:3], 0 offset:416
	;; [unrolled: 1-line block ×4, first 2 shown]
.LBB115_615:
	s_or_b32 exec_lo, exec_lo, s4
	v_mov_b32_e32 v4, s33
	s_mov_b32 s4, exec_lo
	s_clause 0x3
	buffer_load_dword v1, v4, s[0:3], 0 offen
	buffer_load_dword v2, v4, s[0:3], 0 offen offset:4
	buffer_load_dword v3, v4, s[0:3], 0 offen offset:8
	;; [unrolled: 1-line block ×3, first 2 shown]
	s_waitcnt vmcnt(0)
	ds_write_b128 v110, v[1:4]
	s_waitcnt lgkmcnt(0)
	s_waitcnt_vscnt null, 0x0
	s_barrier
	buffer_gl0_inv
	v_cmpx_gt_u32_e32 27, v0
	s_cbranch_execz .LBB115_623
; %bb.616:
	ds_read_b128 v[1:4], v110
	v_cmp_ne_u32_e32 vcc_lo, 1, v111
	s_cbranch_vccnz .LBB115_618
; %bb.617:
	s_clause 0x3
	buffer_load_dword v112, v109, s[0:3], 0 offen offset:8
	buffer_load_dword v113, v109, s[0:3], 0 offen offset:12
	buffer_load_dword v116, v109, s[0:3], 0 offen
	buffer_load_dword v117, v109, s[0:3], 0 offen offset:4
	s_waitcnt vmcnt(2) lgkmcnt(0)
	v_mul_f64 v[118:119], v[3:4], v[112:113]
	v_mul_f64 v[112:113], v[1:2], v[112:113]
	s_waitcnt vmcnt(0)
	v_fma_f64 v[1:2], v[1:2], v[116:117], -v[118:119]
	v_fma_f64 v[3:4], v[3:4], v[116:117], v[112:113]
.LBB115_618:
	s_mov_b32 s6, exec_lo
	v_cmpx_ne_u32_e32 26, v0
	s_cbranch_execz .LBB115_622
; %bb.619:
	v_add_nc_u32_e32 v112, 0x350, v115
	v_add3_u32 v113, 0, v115, 16
	v_mov_b32_e32 v114, v0
	s_mov_b32 s8, 0
	.p2align	6
.LBB115_620:                            ; =>This Inner Loop Header: Depth=1
	s_clause 0x3
	buffer_load_dword v120, v113, s[0:3], 0 offen offset:8
	buffer_load_dword v121, v113, s[0:3], 0 offen offset:12
	buffer_load_dword v122, v113, s[0:3], 0 offen
	buffer_load_dword v123, v113, s[0:3], 0 offen offset:4
	ds_read_b128 v[116:119], v112
	v_add_nc_u32_e32 v114, 1, v114
	v_add_nc_u32_e32 v112, 16, v112
	;; [unrolled: 1-line block ×3, first 2 shown]
	v_cmp_lt_u32_e32 vcc_lo, 25, v114
	s_or_b32 s8, vcc_lo, s8
	s_waitcnt vmcnt(2) lgkmcnt(0)
	v_mul_f64 v[124:125], v[118:119], v[120:121]
	v_mul_f64 v[120:121], v[116:117], v[120:121]
	s_waitcnt vmcnt(0)
	v_fma_f64 v[116:117], v[116:117], v[122:123], -v[124:125]
	v_fma_f64 v[118:119], v[118:119], v[122:123], v[120:121]
	v_add_f64 v[1:2], v[1:2], v[116:117]
	v_add_f64 v[3:4], v[3:4], v[118:119]
	s_andn2_b32 exec_lo, exec_lo, s8
	s_cbranch_execnz .LBB115_620
; %bb.621:
	s_or_b32 exec_lo, exec_lo, s8
.LBB115_622:
	s_or_b32 exec_lo, exec_lo, s6
	v_mov_b32_e32 v112, 0
	ds_read_b128 v[116:119], v112 offset:432
	s_waitcnt lgkmcnt(0)
	v_mul_f64 v[112:113], v[3:4], v[118:119]
	v_mul_f64 v[118:119], v[1:2], v[118:119]
	v_fma_f64 v[1:2], v[1:2], v[116:117], -v[112:113]
	v_fma_f64 v[3:4], v[3:4], v[116:117], v[118:119]
	buffer_store_dword v2, off, s[0:3], 0 offset:436
	buffer_store_dword v1, off, s[0:3], 0 offset:432
	;; [unrolled: 1-line block ×4, first 2 shown]
.LBB115_623:
	s_or_b32 exec_lo, exec_lo, s4
	v_mov_b32_e32 v4, s31
	s_mov_b32 s4, exec_lo
	s_clause 0x3
	buffer_load_dword v1, v4, s[0:3], 0 offen
	buffer_load_dword v2, v4, s[0:3], 0 offen offset:4
	buffer_load_dword v3, v4, s[0:3], 0 offen offset:8
	;; [unrolled: 1-line block ×3, first 2 shown]
	s_waitcnt vmcnt(0)
	ds_write_b128 v110, v[1:4]
	s_waitcnt lgkmcnt(0)
	s_waitcnt_vscnt null, 0x0
	s_barrier
	buffer_gl0_inv
	v_cmpx_gt_u32_e32 28, v0
	s_cbranch_execz .LBB115_631
; %bb.624:
	ds_read_b128 v[1:4], v110
	v_cmp_ne_u32_e32 vcc_lo, 1, v111
	s_cbranch_vccnz .LBB115_626
; %bb.625:
	s_clause 0x3
	buffer_load_dword v112, v109, s[0:3], 0 offen offset:8
	buffer_load_dword v113, v109, s[0:3], 0 offen offset:12
	buffer_load_dword v116, v109, s[0:3], 0 offen
	buffer_load_dword v117, v109, s[0:3], 0 offen offset:4
	s_waitcnt vmcnt(2) lgkmcnt(0)
	v_mul_f64 v[118:119], v[3:4], v[112:113]
	v_mul_f64 v[112:113], v[1:2], v[112:113]
	s_waitcnt vmcnt(0)
	v_fma_f64 v[1:2], v[1:2], v[116:117], -v[118:119]
	v_fma_f64 v[3:4], v[3:4], v[116:117], v[112:113]
.LBB115_626:
	s_mov_b32 s6, exec_lo
	v_cmpx_ne_u32_e32 27, v0
	s_cbranch_execz .LBB115_630
; %bb.627:
	v_add_nc_u32_e32 v112, 0x350, v115
	v_add3_u32 v113, 0, v115, 16
	v_mov_b32_e32 v114, v0
	s_mov_b32 s8, 0
	.p2align	6
.LBB115_628:                            ; =>This Inner Loop Header: Depth=1
	s_clause 0x3
	buffer_load_dword v120, v113, s[0:3], 0 offen offset:8
	buffer_load_dword v121, v113, s[0:3], 0 offen offset:12
	buffer_load_dword v122, v113, s[0:3], 0 offen
	buffer_load_dword v123, v113, s[0:3], 0 offen offset:4
	ds_read_b128 v[116:119], v112
	v_add_nc_u32_e32 v114, 1, v114
	v_add_nc_u32_e32 v112, 16, v112
	;; [unrolled: 1-line block ×3, first 2 shown]
	v_cmp_lt_u32_e32 vcc_lo, 26, v114
	s_or_b32 s8, vcc_lo, s8
	s_waitcnt vmcnt(2) lgkmcnt(0)
	v_mul_f64 v[124:125], v[118:119], v[120:121]
	v_mul_f64 v[120:121], v[116:117], v[120:121]
	s_waitcnt vmcnt(0)
	v_fma_f64 v[116:117], v[116:117], v[122:123], -v[124:125]
	v_fma_f64 v[118:119], v[118:119], v[122:123], v[120:121]
	v_add_f64 v[1:2], v[1:2], v[116:117]
	v_add_f64 v[3:4], v[3:4], v[118:119]
	s_andn2_b32 exec_lo, exec_lo, s8
	s_cbranch_execnz .LBB115_628
; %bb.629:
	s_or_b32 exec_lo, exec_lo, s8
.LBB115_630:
	s_or_b32 exec_lo, exec_lo, s6
	v_mov_b32_e32 v112, 0
	ds_read_b128 v[116:119], v112 offset:448
	s_waitcnt lgkmcnt(0)
	v_mul_f64 v[112:113], v[3:4], v[118:119]
	v_mul_f64 v[118:119], v[1:2], v[118:119]
	v_fma_f64 v[1:2], v[1:2], v[116:117], -v[112:113]
	v_fma_f64 v[3:4], v[3:4], v[116:117], v[118:119]
	buffer_store_dword v2, off, s[0:3], 0 offset:452
	buffer_store_dword v1, off, s[0:3], 0 offset:448
	;; [unrolled: 1-line block ×4, first 2 shown]
.LBB115_631:
	s_or_b32 exec_lo, exec_lo, s4
	v_mov_b32_e32 v4, s30
	s_mov_b32 s4, exec_lo
	s_clause 0x3
	buffer_load_dword v1, v4, s[0:3], 0 offen
	buffer_load_dword v2, v4, s[0:3], 0 offen offset:4
	buffer_load_dword v3, v4, s[0:3], 0 offen offset:8
	;; [unrolled: 1-line block ×3, first 2 shown]
	s_waitcnt vmcnt(0)
	ds_write_b128 v110, v[1:4]
	s_waitcnt lgkmcnt(0)
	s_waitcnt_vscnt null, 0x0
	s_barrier
	buffer_gl0_inv
	v_cmpx_gt_u32_e32 29, v0
	s_cbranch_execz .LBB115_639
; %bb.632:
	ds_read_b128 v[1:4], v110
	v_cmp_ne_u32_e32 vcc_lo, 1, v111
	s_cbranch_vccnz .LBB115_634
; %bb.633:
	s_clause 0x3
	buffer_load_dword v112, v109, s[0:3], 0 offen offset:8
	buffer_load_dword v113, v109, s[0:3], 0 offen offset:12
	buffer_load_dword v116, v109, s[0:3], 0 offen
	buffer_load_dword v117, v109, s[0:3], 0 offen offset:4
	s_waitcnt vmcnt(2) lgkmcnt(0)
	v_mul_f64 v[118:119], v[3:4], v[112:113]
	v_mul_f64 v[112:113], v[1:2], v[112:113]
	s_waitcnt vmcnt(0)
	v_fma_f64 v[1:2], v[1:2], v[116:117], -v[118:119]
	v_fma_f64 v[3:4], v[3:4], v[116:117], v[112:113]
.LBB115_634:
	s_mov_b32 s6, exec_lo
	v_cmpx_ne_u32_e32 28, v0
	s_cbranch_execz .LBB115_638
; %bb.635:
	v_add_nc_u32_e32 v112, 0x350, v115
	v_add3_u32 v113, 0, v115, 16
	v_mov_b32_e32 v114, v0
	s_mov_b32 s8, 0
	.p2align	6
.LBB115_636:                            ; =>This Inner Loop Header: Depth=1
	s_clause 0x3
	buffer_load_dword v120, v113, s[0:3], 0 offen offset:8
	buffer_load_dword v121, v113, s[0:3], 0 offen offset:12
	buffer_load_dword v122, v113, s[0:3], 0 offen
	buffer_load_dword v123, v113, s[0:3], 0 offen offset:4
	ds_read_b128 v[116:119], v112
	v_add_nc_u32_e32 v114, 1, v114
	v_add_nc_u32_e32 v112, 16, v112
	;; [unrolled: 1-line block ×3, first 2 shown]
	v_cmp_lt_u32_e32 vcc_lo, 27, v114
	s_or_b32 s8, vcc_lo, s8
	s_waitcnt vmcnt(2) lgkmcnt(0)
	v_mul_f64 v[124:125], v[118:119], v[120:121]
	v_mul_f64 v[120:121], v[116:117], v[120:121]
	s_waitcnt vmcnt(0)
	v_fma_f64 v[116:117], v[116:117], v[122:123], -v[124:125]
	v_fma_f64 v[118:119], v[118:119], v[122:123], v[120:121]
	v_add_f64 v[1:2], v[1:2], v[116:117]
	v_add_f64 v[3:4], v[3:4], v[118:119]
	s_andn2_b32 exec_lo, exec_lo, s8
	s_cbranch_execnz .LBB115_636
; %bb.637:
	s_or_b32 exec_lo, exec_lo, s8
.LBB115_638:
	s_or_b32 exec_lo, exec_lo, s6
	v_mov_b32_e32 v112, 0
	ds_read_b128 v[116:119], v112 offset:464
	s_waitcnt lgkmcnt(0)
	v_mul_f64 v[112:113], v[3:4], v[118:119]
	v_mul_f64 v[118:119], v[1:2], v[118:119]
	v_fma_f64 v[1:2], v[1:2], v[116:117], -v[112:113]
	v_fma_f64 v[3:4], v[3:4], v[116:117], v[118:119]
	buffer_store_dword v2, off, s[0:3], 0 offset:468
	buffer_store_dword v1, off, s[0:3], 0 offset:464
	;; [unrolled: 1-line block ×4, first 2 shown]
.LBB115_639:
	s_or_b32 exec_lo, exec_lo, s4
	v_mov_b32_e32 v4, s29
	s_mov_b32 s4, exec_lo
	s_clause 0x3
	buffer_load_dword v1, v4, s[0:3], 0 offen
	buffer_load_dword v2, v4, s[0:3], 0 offen offset:4
	buffer_load_dword v3, v4, s[0:3], 0 offen offset:8
	buffer_load_dword v4, v4, s[0:3], 0 offen offset:12
	s_waitcnt vmcnt(0)
	ds_write_b128 v110, v[1:4]
	s_waitcnt lgkmcnt(0)
	s_waitcnt_vscnt null, 0x0
	s_barrier
	buffer_gl0_inv
	v_cmpx_gt_u32_e32 30, v0
	s_cbranch_execz .LBB115_647
; %bb.640:
	ds_read_b128 v[1:4], v110
	v_cmp_ne_u32_e32 vcc_lo, 1, v111
	s_cbranch_vccnz .LBB115_642
; %bb.641:
	s_clause 0x3
	buffer_load_dword v112, v109, s[0:3], 0 offen offset:8
	buffer_load_dword v113, v109, s[0:3], 0 offen offset:12
	buffer_load_dword v116, v109, s[0:3], 0 offen
	buffer_load_dword v117, v109, s[0:3], 0 offen offset:4
	s_waitcnt vmcnt(2) lgkmcnt(0)
	v_mul_f64 v[118:119], v[3:4], v[112:113]
	v_mul_f64 v[112:113], v[1:2], v[112:113]
	s_waitcnt vmcnt(0)
	v_fma_f64 v[1:2], v[1:2], v[116:117], -v[118:119]
	v_fma_f64 v[3:4], v[3:4], v[116:117], v[112:113]
.LBB115_642:
	s_mov_b32 s6, exec_lo
	v_cmpx_ne_u32_e32 29, v0
	s_cbranch_execz .LBB115_646
; %bb.643:
	v_add_nc_u32_e32 v112, 0x350, v115
	v_add3_u32 v113, 0, v115, 16
	v_mov_b32_e32 v114, v0
	s_mov_b32 s8, 0
	.p2align	6
.LBB115_644:                            ; =>This Inner Loop Header: Depth=1
	s_clause 0x3
	buffer_load_dword v120, v113, s[0:3], 0 offen offset:8
	buffer_load_dword v121, v113, s[0:3], 0 offen offset:12
	buffer_load_dword v122, v113, s[0:3], 0 offen
	buffer_load_dword v123, v113, s[0:3], 0 offen offset:4
	ds_read_b128 v[116:119], v112
	v_add_nc_u32_e32 v114, 1, v114
	v_add_nc_u32_e32 v112, 16, v112
	;; [unrolled: 1-line block ×3, first 2 shown]
	v_cmp_lt_u32_e32 vcc_lo, 28, v114
	s_or_b32 s8, vcc_lo, s8
	s_waitcnt vmcnt(2) lgkmcnt(0)
	v_mul_f64 v[124:125], v[118:119], v[120:121]
	v_mul_f64 v[120:121], v[116:117], v[120:121]
	s_waitcnt vmcnt(0)
	v_fma_f64 v[116:117], v[116:117], v[122:123], -v[124:125]
	v_fma_f64 v[118:119], v[118:119], v[122:123], v[120:121]
	v_add_f64 v[1:2], v[1:2], v[116:117]
	v_add_f64 v[3:4], v[3:4], v[118:119]
	s_andn2_b32 exec_lo, exec_lo, s8
	s_cbranch_execnz .LBB115_644
; %bb.645:
	s_or_b32 exec_lo, exec_lo, s8
.LBB115_646:
	s_or_b32 exec_lo, exec_lo, s6
	v_mov_b32_e32 v112, 0
	ds_read_b128 v[116:119], v112 offset:480
	s_waitcnt lgkmcnt(0)
	v_mul_f64 v[112:113], v[3:4], v[118:119]
	v_mul_f64 v[118:119], v[1:2], v[118:119]
	v_fma_f64 v[1:2], v[1:2], v[116:117], -v[112:113]
	v_fma_f64 v[3:4], v[3:4], v[116:117], v[118:119]
	buffer_store_dword v2, off, s[0:3], 0 offset:484
	buffer_store_dword v1, off, s[0:3], 0 offset:480
	;; [unrolled: 1-line block ×4, first 2 shown]
.LBB115_647:
	s_or_b32 exec_lo, exec_lo, s4
	v_mov_b32_e32 v4, s28
	s_mov_b32 s4, exec_lo
	s_clause 0x3
	buffer_load_dword v1, v4, s[0:3], 0 offen
	buffer_load_dword v2, v4, s[0:3], 0 offen offset:4
	buffer_load_dword v3, v4, s[0:3], 0 offen offset:8
	;; [unrolled: 1-line block ×3, first 2 shown]
	s_waitcnt vmcnt(0)
	ds_write_b128 v110, v[1:4]
	s_waitcnt lgkmcnt(0)
	s_waitcnt_vscnt null, 0x0
	s_barrier
	buffer_gl0_inv
	v_cmpx_gt_u32_e32 31, v0
	s_cbranch_execz .LBB115_655
; %bb.648:
	ds_read_b128 v[1:4], v110
	v_cmp_ne_u32_e32 vcc_lo, 1, v111
	s_cbranch_vccnz .LBB115_650
; %bb.649:
	s_clause 0x3
	buffer_load_dword v112, v109, s[0:3], 0 offen offset:8
	buffer_load_dword v113, v109, s[0:3], 0 offen offset:12
	buffer_load_dword v116, v109, s[0:3], 0 offen
	buffer_load_dword v117, v109, s[0:3], 0 offen offset:4
	s_waitcnt vmcnt(2) lgkmcnt(0)
	v_mul_f64 v[118:119], v[3:4], v[112:113]
	v_mul_f64 v[112:113], v[1:2], v[112:113]
	s_waitcnt vmcnt(0)
	v_fma_f64 v[1:2], v[1:2], v[116:117], -v[118:119]
	v_fma_f64 v[3:4], v[3:4], v[116:117], v[112:113]
.LBB115_650:
	s_mov_b32 s6, exec_lo
	v_cmpx_ne_u32_e32 30, v0
	s_cbranch_execz .LBB115_654
; %bb.651:
	v_add_nc_u32_e32 v112, 0x350, v115
	v_add3_u32 v113, 0, v115, 16
	v_mov_b32_e32 v114, v0
	s_mov_b32 s8, 0
	.p2align	6
.LBB115_652:                            ; =>This Inner Loop Header: Depth=1
	s_clause 0x3
	buffer_load_dword v120, v113, s[0:3], 0 offen offset:8
	buffer_load_dword v121, v113, s[0:3], 0 offen offset:12
	buffer_load_dword v122, v113, s[0:3], 0 offen
	buffer_load_dword v123, v113, s[0:3], 0 offen offset:4
	ds_read_b128 v[116:119], v112
	v_add_nc_u32_e32 v114, 1, v114
	v_add_nc_u32_e32 v112, 16, v112
	;; [unrolled: 1-line block ×3, first 2 shown]
	v_cmp_lt_u32_e32 vcc_lo, 29, v114
	s_or_b32 s8, vcc_lo, s8
	s_waitcnt vmcnt(2) lgkmcnt(0)
	v_mul_f64 v[124:125], v[118:119], v[120:121]
	v_mul_f64 v[120:121], v[116:117], v[120:121]
	s_waitcnt vmcnt(0)
	v_fma_f64 v[116:117], v[116:117], v[122:123], -v[124:125]
	v_fma_f64 v[118:119], v[118:119], v[122:123], v[120:121]
	v_add_f64 v[1:2], v[1:2], v[116:117]
	v_add_f64 v[3:4], v[3:4], v[118:119]
	s_andn2_b32 exec_lo, exec_lo, s8
	s_cbranch_execnz .LBB115_652
; %bb.653:
	s_or_b32 exec_lo, exec_lo, s8
.LBB115_654:
	s_or_b32 exec_lo, exec_lo, s6
	v_mov_b32_e32 v112, 0
	ds_read_b128 v[116:119], v112 offset:496
	s_waitcnt lgkmcnt(0)
	v_mul_f64 v[112:113], v[3:4], v[118:119]
	v_mul_f64 v[118:119], v[1:2], v[118:119]
	v_fma_f64 v[1:2], v[1:2], v[116:117], -v[112:113]
	v_fma_f64 v[3:4], v[3:4], v[116:117], v[118:119]
	buffer_store_dword v2, off, s[0:3], 0 offset:500
	buffer_store_dword v1, off, s[0:3], 0 offset:496
	;; [unrolled: 1-line block ×4, first 2 shown]
.LBB115_655:
	s_or_b32 exec_lo, exec_lo, s4
	v_mov_b32_e32 v4, s27
	s_mov_b32 s4, exec_lo
	s_clause 0x3
	buffer_load_dword v1, v4, s[0:3], 0 offen
	buffer_load_dword v2, v4, s[0:3], 0 offen offset:4
	buffer_load_dword v3, v4, s[0:3], 0 offen offset:8
	buffer_load_dword v4, v4, s[0:3], 0 offen offset:12
	s_waitcnt vmcnt(0)
	ds_write_b128 v110, v[1:4]
	s_waitcnt lgkmcnt(0)
	s_waitcnt_vscnt null, 0x0
	s_barrier
	buffer_gl0_inv
	v_cmpx_gt_u32_e32 32, v0
	s_cbranch_execz .LBB115_663
; %bb.656:
	ds_read_b128 v[1:4], v110
	v_cmp_ne_u32_e32 vcc_lo, 1, v111
	s_cbranch_vccnz .LBB115_658
; %bb.657:
	s_clause 0x3
	buffer_load_dword v112, v109, s[0:3], 0 offen offset:8
	buffer_load_dword v113, v109, s[0:3], 0 offen offset:12
	buffer_load_dword v116, v109, s[0:3], 0 offen
	buffer_load_dword v117, v109, s[0:3], 0 offen offset:4
	s_waitcnt vmcnt(2) lgkmcnt(0)
	v_mul_f64 v[118:119], v[3:4], v[112:113]
	v_mul_f64 v[112:113], v[1:2], v[112:113]
	s_waitcnt vmcnt(0)
	v_fma_f64 v[1:2], v[1:2], v[116:117], -v[118:119]
	v_fma_f64 v[3:4], v[3:4], v[116:117], v[112:113]
.LBB115_658:
	s_mov_b32 s6, exec_lo
	v_cmpx_ne_u32_e32 31, v0
	s_cbranch_execz .LBB115_662
; %bb.659:
	v_add_nc_u32_e32 v112, 0x350, v115
	v_add3_u32 v113, 0, v115, 16
	v_mov_b32_e32 v114, v0
	s_mov_b32 s8, 0
	.p2align	6
.LBB115_660:                            ; =>This Inner Loop Header: Depth=1
	s_clause 0x3
	buffer_load_dword v120, v113, s[0:3], 0 offen offset:8
	buffer_load_dword v121, v113, s[0:3], 0 offen offset:12
	buffer_load_dword v122, v113, s[0:3], 0 offen
	buffer_load_dword v123, v113, s[0:3], 0 offen offset:4
	ds_read_b128 v[116:119], v112
	v_add_nc_u32_e32 v114, 1, v114
	v_add_nc_u32_e32 v112, 16, v112
	v_add_nc_u32_e32 v113, 16, v113
	v_cmp_lt_u32_e32 vcc_lo, 30, v114
	s_or_b32 s8, vcc_lo, s8
	s_waitcnt vmcnt(2) lgkmcnt(0)
	v_mul_f64 v[124:125], v[118:119], v[120:121]
	v_mul_f64 v[120:121], v[116:117], v[120:121]
	s_waitcnt vmcnt(0)
	v_fma_f64 v[116:117], v[116:117], v[122:123], -v[124:125]
	v_fma_f64 v[118:119], v[118:119], v[122:123], v[120:121]
	v_add_f64 v[1:2], v[1:2], v[116:117]
	v_add_f64 v[3:4], v[3:4], v[118:119]
	s_andn2_b32 exec_lo, exec_lo, s8
	s_cbranch_execnz .LBB115_660
; %bb.661:
	s_or_b32 exec_lo, exec_lo, s8
.LBB115_662:
	s_or_b32 exec_lo, exec_lo, s6
	v_mov_b32_e32 v112, 0
	ds_read_b128 v[116:119], v112 offset:512
	s_waitcnt lgkmcnt(0)
	v_mul_f64 v[112:113], v[3:4], v[118:119]
	v_mul_f64 v[118:119], v[1:2], v[118:119]
	v_fma_f64 v[1:2], v[1:2], v[116:117], -v[112:113]
	v_fma_f64 v[3:4], v[3:4], v[116:117], v[118:119]
	buffer_store_dword v2, off, s[0:3], 0 offset:516
	buffer_store_dword v1, off, s[0:3], 0 offset:512
	;; [unrolled: 1-line block ×4, first 2 shown]
.LBB115_663:
	s_or_b32 exec_lo, exec_lo, s4
	v_mov_b32_e32 v4, s26
	s_mov_b32 s4, exec_lo
	s_clause 0x3
	buffer_load_dword v1, v4, s[0:3], 0 offen
	buffer_load_dword v2, v4, s[0:3], 0 offen offset:4
	buffer_load_dword v3, v4, s[0:3], 0 offen offset:8
	;; [unrolled: 1-line block ×3, first 2 shown]
	s_waitcnt vmcnt(0)
	ds_write_b128 v110, v[1:4]
	s_waitcnt lgkmcnt(0)
	s_waitcnt_vscnt null, 0x0
	s_barrier
	buffer_gl0_inv
	v_cmpx_gt_u32_e32 33, v0
	s_cbranch_execz .LBB115_671
; %bb.664:
	ds_read_b128 v[1:4], v110
	v_cmp_ne_u32_e32 vcc_lo, 1, v111
	s_cbranch_vccnz .LBB115_666
; %bb.665:
	s_clause 0x3
	buffer_load_dword v112, v109, s[0:3], 0 offen offset:8
	buffer_load_dword v113, v109, s[0:3], 0 offen offset:12
	buffer_load_dword v116, v109, s[0:3], 0 offen
	buffer_load_dword v117, v109, s[0:3], 0 offen offset:4
	s_waitcnt vmcnt(2) lgkmcnt(0)
	v_mul_f64 v[118:119], v[3:4], v[112:113]
	v_mul_f64 v[112:113], v[1:2], v[112:113]
	s_waitcnt vmcnt(0)
	v_fma_f64 v[1:2], v[1:2], v[116:117], -v[118:119]
	v_fma_f64 v[3:4], v[3:4], v[116:117], v[112:113]
.LBB115_666:
	s_mov_b32 s6, exec_lo
	v_cmpx_ne_u32_e32 32, v0
	s_cbranch_execz .LBB115_670
; %bb.667:
	v_add_nc_u32_e32 v112, 0x350, v115
	v_add3_u32 v113, 0, v115, 16
	v_mov_b32_e32 v114, v0
	s_mov_b32 s8, 0
	.p2align	6
.LBB115_668:                            ; =>This Inner Loop Header: Depth=1
	s_clause 0x3
	buffer_load_dword v120, v113, s[0:3], 0 offen offset:8
	buffer_load_dword v121, v113, s[0:3], 0 offen offset:12
	buffer_load_dword v122, v113, s[0:3], 0 offen
	buffer_load_dword v123, v113, s[0:3], 0 offen offset:4
	ds_read_b128 v[116:119], v112
	v_add_nc_u32_e32 v114, 1, v114
	v_add_nc_u32_e32 v112, 16, v112
	;; [unrolled: 1-line block ×3, first 2 shown]
	v_cmp_lt_u32_e32 vcc_lo, 31, v114
	s_or_b32 s8, vcc_lo, s8
	s_waitcnt vmcnt(2) lgkmcnt(0)
	v_mul_f64 v[124:125], v[118:119], v[120:121]
	v_mul_f64 v[120:121], v[116:117], v[120:121]
	s_waitcnt vmcnt(0)
	v_fma_f64 v[116:117], v[116:117], v[122:123], -v[124:125]
	v_fma_f64 v[118:119], v[118:119], v[122:123], v[120:121]
	v_add_f64 v[1:2], v[1:2], v[116:117]
	v_add_f64 v[3:4], v[3:4], v[118:119]
	s_andn2_b32 exec_lo, exec_lo, s8
	s_cbranch_execnz .LBB115_668
; %bb.669:
	s_or_b32 exec_lo, exec_lo, s8
.LBB115_670:
	s_or_b32 exec_lo, exec_lo, s6
	v_mov_b32_e32 v112, 0
	ds_read_b128 v[116:119], v112 offset:528
	s_waitcnt lgkmcnt(0)
	v_mul_f64 v[112:113], v[3:4], v[118:119]
	v_mul_f64 v[118:119], v[1:2], v[118:119]
	v_fma_f64 v[1:2], v[1:2], v[116:117], -v[112:113]
	v_fma_f64 v[3:4], v[3:4], v[116:117], v[118:119]
	buffer_store_dword v2, off, s[0:3], 0 offset:532
	buffer_store_dword v1, off, s[0:3], 0 offset:528
	;; [unrolled: 1-line block ×4, first 2 shown]
.LBB115_671:
	s_or_b32 exec_lo, exec_lo, s4
	v_mov_b32_e32 v4, s25
	s_mov_b32 s4, exec_lo
	s_clause 0x3
	buffer_load_dword v1, v4, s[0:3], 0 offen
	buffer_load_dword v2, v4, s[0:3], 0 offen offset:4
	buffer_load_dword v3, v4, s[0:3], 0 offen offset:8
	buffer_load_dword v4, v4, s[0:3], 0 offen offset:12
	s_waitcnt vmcnt(0)
	ds_write_b128 v110, v[1:4]
	s_waitcnt lgkmcnt(0)
	s_waitcnt_vscnt null, 0x0
	s_barrier
	buffer_gl0_inv
	v_cmpx_gt_u32_e32 34, v0
	s_cbranch_execz .LBB115_679
; %bb.672:
	ds_read_b128 v[1:4], v110
	v_cmp_ne_u32_e32 vcc_lo, 1, v111
	s_cbranch_vccnz .LBB115_674
; %bb.673:
	s_clause 0x3
	buffer_load_dword v112, v109, s[0:3], 0 offen offset:8
	buffer_load_dword v113, v109, s[0:3], 0 offen offset:12
	buffer_load_dword v116, v109, s[0:3], 0 offen
	buffer_load_dword v117, v109, s[0:3], 0 offen offset:4
	s_waitcnt vmcnt(2) lgkmcnt(0)
	v_mul_f64 v[118:119], v[3:4], v[112:113]
	v_mul_f64 v[112:113], v[1:2], v[112:113]
	s_waitcnt vmcnt(0)
	v_fma_f64 v[1:2], v[1:2], v[116:117], -v[118:119]
	v_fma_f64 v[3:4], v[3:4], v[116:117], v[112:113]
.LBB115_674:
	s_mov_b32 s6, exec_lo
	v_cmpx_ne_u32_e32 33, v0
	s_cbranch_execz .LBB115_678
; %bb.675:
	v_add_nc_u32_e32 v112, 0x350, v115
	v_add3_u32 v113, 0, v115, 16
	v_mov_b32_e32 v114, v0
	s_mov_b32 s8, 0
	.p2align	6
.LBB115_676:                            ; =>This Inner Loop Header: Depth=1
	s_clause 0x3
	buffer_load_dword v120, v113, s[0:3], 0 offen offset:8
	buffer_load_dword v121, v113, s[0:3], 0 offen offset:12
	buffer_load_dword v122, v113, s[0:3], 0 offen
	buffer_load_dword v123, v113, s[0:3], 0 offen offset:4
	ds_read_b128 v[116:119], v112
	v_add_nc_u32_e32 v114, 1, v114
	v_add_nc_u32_e32 v112, 16, v112
	;; [unrolled: 1-line block ×3, first 2 shown]
	v_cmp_lt_u32_e32 vcc_lo, 32, v114
	s_or_b32 s8, vcc_lo, s8
	s_waitcnt vmcnt(2) lgkmcnt(0)
	v_mul_f64 v[124:125], v[118:119], v[120:121]
	v_mul_f64 v[120:121], v[116:117], v[120:121]
	s_waitcnt vmcnt(0)
	v_fma_f64 v[116:117], v[116:117], v[122:123], -v[124:125]
	v_fma_f64 v[118:119], v[118:119], v[122:123], v[120:121]
	v_add_f64 v[1:2], v[1:2], v[116:117]
	v_add_f64 v[3:4], v[3:4], v[118:119]
	s_andn2_b32 exec_lo, exec_lo, s8
	s_cbranch_execnz .LBB115_676
; %bb.677:
	s_or_b32 exec_lo, exec_lo, s8
.LBB115_678:
	s_or_b32 exec_lo, exec_lo, s6
	v_mov_b32_e32 v112, 0
	ds_read_b128 v[116:119], v112 offset:544
	s_waitcnt lgkmcnt(0)
	v_mul_f64 v[112:113], v[3:4], v[118:119]
	v_mul_f64 v[118:119], v[1:2], v[118:119]
	v_fma_f64 v[1:2], v[1:2], v[116:117], -v[112:113]
	v_fma_f64 v[3:4], v[3:4], v[116:117], v[118:119]
	buffer_store_dword v2, off, s[0:3], 0 offset:548
	buffer_store_dword v1, off, s[0:3], 0 offset:544
	;; [unrolled: 1-line block ×4, first 2 shown]
.LBB115_679:
	s_or_b32 exec_lo, exec_lo, s4
	v_mov_b32_e32 v4, s24
	s_mov_b32 s4, exec_lo
	s_clause 0x3
	buffer_load_dword v1, v4, s[0:3], 0 offen
	buffer_load_dword v2, v4, s[0:3], 0 offen offset:4
	buffer_load_dword v3, v4, s[0:3], 0 offen offset:8
	;; [unrolled: 1-line block ×3, first 2 shown]
	s_waitcnt vmcnt(0)
	ds_write_b128 v110, v[1:4]
	s_waitcnt lgkmcnt(0)
	s_waitcnt_vscnt null, 0x0
	s_barrier
	buffer_gl0_inv
	v_cmpx_gt_u32_e32 35, v0
	s_cbranch_execz .LBB115_687
; %bb.680:
	ds_read_b128 v[1:4], v110
	v_cmp_ne_u32_e32 vcc_lo, 1, v111
	s_cbranch_vccnz .LBB115_682
; %bb.681:
	s_clause 0x3
	buffer_load_dword v112, v109, s[0:3], 0 offen offset:8
	buffer_load_dword v113, v109, s[0:3], 0 offen offset:12
	buffer_load_dword v116, v109, s[0:3], 0 offen
	buffer_load_dword v117, v109, s[0:3], 0 offen offset:4
	s_waitcnt vmcnt(2) lgkmcnt(0)
	v_mul_f64 v[118:119], v[3:4], v[112:113]
	v_mul_f64 v[112:113], v[1:2], v[112:113]
	s_waitcnt vmcnt(0)
	v_fma_f64 v[1:2], v[1:2], v[116:117], -v[118:119]
	v_fma_f64 v[3:4], v[3:4], v[116:117], v[112:113]
.LBB115_682:
	s_mov_b32 s6, exec_lo
	v_cmpx_ne_u32_e32 34, v0
	s_cbranch_execz .LBB115_686
; %bb.683:
	v_add_nc_u32_e32 v112, 0x350, v115
	v_add3_u32 v113, 0, v115, 16
	v_mov_b32_e32 v114, v0
	s_mov_b32 s8, 0
	.p2align	6
.LBB115_684:                            ; =>This Inner Loop Header: Depth=1
	s_clause 0x3
	buffer_load_dword v120, v113, s[0:3], 0 offen offset:8
	buffer_load_dword v121, v113, s[0:3], 0 offen offset:12
	buffer_load_dword v122, v113, s[0:3], 0 offen
	buffer_load_dword v123, v113, s[0:3], 0 offen offset:4
	ds_read_b128 v[116:119], v112
	v_add_nc_u32_e32 v114, 1, v114
	v_add_nc_u32_e32 v112, 16, v112
	;; [unrolled: 1-line block ×3, first 2 shown]
	v_cmp_lt_u32_e32 vcc_lo, 33, v114
	s_or_b32 s8, vcc_lo, s8
	s_waitcnt vmcnt(2) lgkmcnt(0)
	v_mul_f64 v[124:125], v[118:119], v[120:121]
	v_mul_f64 v[120:121], v[116:117], v[120:121]
	s_waitcnt vmcnt(0)
	v_fma_f64 v[116:117], v[116:117], v[122:123], -v[124:125]
	v_fma_f64 v[118:119], v[118:119], v[122:123], v[120:121]
	v_add_f64 v[1:2], v[1:2], v[116:117]
	v_add_f64 v[3:4], v[3:4], v[118:119]
	s_andn2_b32 exec_lo, exec_lo, s8
	s_cbranch_execnz .LBB115_684
; %bb.685:
	s_or_b32 exec_lo, exec_lo, s8
.LBB115_686:
	s_or_b32 exec_lo, exec_lo, s6
	v_mov_b32_e32 v112, 0
	ds_read_b128 v[116:119], v112 offset:560
	s_waitcnt lgkmcnt(0)
	v_mul_f64 v[112:113], v[3:4], v[118:119]
	v_mul_f64 v[118:119], v[1:2], v[118:119]
	v_fma_f64 v[1:2], v[1:2], v[116:117], -v[112:113]
	v_fma_f64 v[3:4], v[3:4], v[116:117], v[118:119]
	buffer_store_dword v2, off, s[0:3], 0 offset:564
	buffer_store_dword v1, off, s[0:3], 0 offset:560
	;; [unrolled: 1-line block ×4, first 2 shown]
.LBB115_687:
	s_or_b32 exec_lo, exec_lo, s4
	v_mov_b32_e32 v4, s23
	s_mov_b32 s4, exec_lo
	s_clause 0x3
	buffer_load_dword v1, v4, s[0:3], 0 offen
	buffer_load_dword v2, v4, s[0:3], 0 offen offset:4
	buffer_load_dword v3, v4, s[0:3], 0 offen offset:8
	;; [unrolled: 1-line block ×3, first 2 shown]
	s_waitcnt vmcnt(0)
	ds_write_b128 v110, v[1:4]
	s_waitcnt lgkmcnt(0)
	s_waitcnt_vscnt null, 0x0
	s_barrier
	buffer_gl0_inv
	v_cmpx_gt_u32_e32 36, v0
	s_cbranch_execz .LBB115_695
; %bb.688:
	ds_read_b128 v[1:4], v110
	v_cmp_ne_u32_e32 vcc_lo, 1, v111
	s_cbranch_vccnz .LBB115_690
; %bb.689:
	s_clause 0x3
	buffer_load_dword v112, v109, s[0:3], 0 offen offset:8
	buffer_load_dword v113, v109, s[0:3], 0 offen offset:12
	buffer_load_dword v116, v109, s[0:3], 0 offen
	buffer_load_dword v117, v109, s[0:3], 0 offen offset:4
	s_waitcnt vmcnt(2) lgkmcnt(0)
	v_mul_f64 v[118:119], v[3:4], v[112:113]
	v_mul_f64 v[112:113], v[1:2], v[112:113]
	s_waitcnt vmcnt(0)
	v_fma_f64 v[1:2], v[1:2], v[116:117], -v[118:119]
	v_fma_f64 v[3:4], v[3:4], v[116:117], v[112:113]
.LBB115_690:
	s_mov_b32 s6, exec_lo
	v_cmpx_ne_u32_e32 35, v0
	s_cbranch_execz .LBB115_694
; %bb.691:
	v_add_nc_u32_e32 v112, 0x350, v115
	v_add3_u32 v113, 0, v115, 16
	v_mov_b32_e32 v114, v0
	s_mov_b32 s8, 0
	.p2align	6
.LBB115_692:                            ; =>This Inner Loop Header: Depth=1
	s_clause 0x3
	buffer_load_dword v120, v113, s[0:3], 0 offen offset:8
	buffer_load_dword v121, v113, s[0:3], 0 offen offset:12
	buffer_load_dword v122, v113, s[0:3], 0 offen
	buffer_load_dword v123, v113, s[0:3], 0 offen offset:4
	ds_read_b128 v[116:119], v112
	v_add_nc_u32_e32 v114, 1, v114
	v_add_nc_u32_e32 v112, 16, v112
	;; [unrolled: 1-line block ×3, first 2 shown]
	v_cmp_lt_u32_e32 vcc_lo, 34, v114
	s_or_b32 s8, vcc_lo, s8
	s_waitcnt vmcnt(2) lgkmcnt(0)
	v_mul_f64 v[124:125], v[118:119], v[120:121]
	v_mul_f64 v[120:121], v[116:117], v[120:121]
	s_waitcnt vmcnt(0)
	v_fma_f64 v[116:117], v[116:117], v[122:123], -v[124:125]
	v_fma_f64 v[118:119], v[118:119], v[122:123], v[120:121]
	v_add_f64 v[1:2], v[1:2], v[116:117]
	v_add_f64 v[3:4], v[3:4], v[118:119]
	s_andn2_b32 exec_lo, exec_lo, s8
	s_cbranch_execnz .LBB115_692
; %bb.693:
	s_or_b32 exec_lo, exec_lo, s8
.LBB115_694:
	s_or_b32 exec_lo, exec_lo, s6
	v_mov_b32_e32 v112, 0
	ds_read_b128 v[116:119], v112 offset:576
	s_waitcnt lgkmcnt(0)
	v_mul_f64 v[112:113], v[3:4], v[118:119]
	v_mul_f64 v[118:119], v[1:2], v[118:119]
	v_fma_f64 v[1:2], v[1:2], v[116:117], -v[112:113]
	v_fma_f64 v[3:4], v[3:4], v[116:117], v[118:119]
	buffer_store_dword v2, off, s[0:3], 0 offset:580
	buffer_store_dword v1, off, s[0:3], 0 offset:576
	;; [unrolled: 1-line block ×4, first 2 shown]
.LBB115_695:
	s_or_b32 exec_lo, exec_lo, s4
	v_mov_b32_e32 v4, s22
	s_mov_b32 s4, exec_lo
	s_clause 0x3
	buffer_load_dword v1, v4, s[0:3], 0 offen
	buffer_load_dword v2, v4, s[0:3], 0 offen offset:4
	buffer_load_dword v3, v4, s[0:3], 0 offen offset:8
	;; [unrolled: 1-line block ×3, first 2 shown]
	s_waitcnt vmcnt(0)
	ds_write_b128 v110, v[1:4]
	s_waitcnt lgkmcnt(0)
	s_waitcnt_vscnt null, 0x0
	s_barrier
	buffer_gl0_inv
	v_cmpx_gt_u32_e32 37, v0
	s_cbranch_execz .LBB115_703
; %bb.696:
	ds_read_b128 v[1:4], v110
	v_cmp_ne_u32_e32 vcc_lo, 1, v111
	s_cbranch_vccnz .LBB115_698
; %bb.697:
	s_clause 0x3
	buffer_load_dword v112, v109, s[0:3], 0 offen offset:8
	buffer_load_dword v113, v109, s[0:3], 0 offen offset:12
	buffer_load_dword v116, v109, s[0:3], 0 offen
	buffer_load_dword v117, v109, s[0:3], 0 offen offset:4
	s_waitcnt vmcnt(2) lgkmcnt(0)
	v_mul_f64 v[118:119], v[3:4], v[112:113]
	v_mul_f64 v[112:113], v[1:2], v[112:113]
	s_waitcnt vmcnt(0)
	v_fma_f64 v[1:2], v[1:2], v[116:117], -v[118:119]
	v_fma_f64 v[3:4], v[3:4], v[116:117], v[112:113]
.LBB115_698:
	s_mov_b32 s6, exec_lo
	v_cmpx_ne_u32_e32 36, v0
	s_cbranch_execz .LBB115_702
; %bb.699:
	v_add_nc_u32_e32 v112, 0x350, v115
	v_add3_u32 v113, 0, v115, 16
	v_mov_b32_e32 v114, v0
	s_mov_b32 s8, 0
	.p2align	6
.LBB115_700:                            ; =>This Inner Loop Header: Depth=1
	s_clause 0x3
	buffer_load_dword v120, v113, s[0:3], 0 offen offset:8
	buffer_load_dword v121, v113, s[0:3], 0 offen offset:12
	buffer_load_dword v122, v113, s[0:3], 0 offen
	buffer_load_dword v123, v113, s[0:3], 0 offen offset:4
	ds_read_b128 v[116:119], v112
	v_add_nc_u32_e32 v114, 1, v114
	v_add_nc_u32_e32 v112, 16, v112
	;; [unrolled: 1-line block ×3, first 2 shown]
	v_cmp_lt_u32_e32 vcc_lo, 35, v114
	s_or_b32 s8, vcc_lo, s8
	s_waitcnt vmcnt(2) lgkmcnt(0)
	v_mul_f64 v[124:125], v[118:119], v[120:121]
	v_mul_f64 v[120:121], v[116:117], v[120:121]
	s_waitcnt vmcnt(0)
	v_fma_f64 v[116:117], v[116:117], v[122:123], -v[124:125]
	v_fma_f64 v[118:119], v[118:119], v[122:123], v[120:121]
	v_add_f64 v[1:2], v[1:2], v[116:117]
	v_add_f64 v[3:4], v[3:4], v[118:119]
	s_andn2_b32 exec_lo, exec_lo, s8
	s_cbranch_execnz .LBB115_700
; %bb.701:
	s_or_b32 exec_lo, exec_lo, s8
.LBB115_702:
	s_or_b32 exec_lo, exec_lo, s6
	v_mov_b32_e32 v112, 0
	ds_read_b128 v[116:119], v112 offset:592
	s_waitcnt lgkmcnt(0)
	v_mul_f64 v[112:113], v[3:4], v[118:119]
	v_mul_f64 v[118:119], v[1:2], v[118:119]
	v_fma_f64 v[1:2], v[1:2], v[116:117], -v[112:113]
	v_fma_f64 v[3:4], v[3:4], v[116:117], v[118:119]
	buffer_store_dword v2, off, s[0:3], 0 offset:596
	buffer_store_dword v1, off, s[0:3], 0 offset:592
	;; [unrolled: 1-line block ×4, first 2 shown]
.LBB115_703:
	s_or_b32 exec_lo, exec_lo, s4
	v_mov_b32_e32 v4, s21
	s_mov_b32 s4, exec_lo
	s_clause 0x3
	buffer_load_dword v1, v4, s[0:3], 0 offen
	buffer_load_dword v2, v4, s[0:3], 0 offen offset:4
	buffer_load_dword v3, v4, s[0:3], 0 offen offset:8
	buffer_load_dword v4, v4, s[0:3], 0 offen offset:12
	s_waitcnt vmcnt(0)
	ds_write_b128 v110, v[1:4]
	s_waitcnt lgkmcnt(0)
	s_waitcnt_vscnt null, 0x0
	s_barrier
	buffer_gl0_inv
	v_cmpx_gt_u32_e32 38, v0
	s_cbranch_execz .LBB115_711
; %bb.704:
	ds_read_b128 v[1:4], v110
	v_cmp_ne_u32_e32 vcc_lo, 1, v111
	s_cbranch_vccnz .LBB115_706
; %bb.705:
	s_clause 0x3
	buffer_load_dword v112, v109, s[0:3], 0 offen offset:8
	buffer_load_dword v113, v109, s[0:3], 0 offen offset:12
	buffer_load_dword v116, v109, s[0:3], 0 offen
	buffer_load_dword v117, v109, s[0:3], 0 offen offset:4
	s_waitcnt vmcnt(2) lgkmcnt(0)
	v_mul_f64 v[118:119], v[3:4], v[112:113]
	v_mul_f64 v[112:113], v[1:2], v[112:113]
	s_waitcnt vmcnt(0)
	v_fma_f64 v[1:2], v[1:2], v[116:117], -v[118:119]
	v_fma_f64 v[3:4], v[3:4], v[116:117], v[112:113]
.LBB115_706:
	s_mov_b32 s6, exec_lo
	v_cmpx_ne_u32_e32 37, v0
	s_cbranch_execz .LBB115_710
; %bb.707:
	v_add_nc_u32_e32 v112, 0x350, v115
	v_add3_u32 v113, 0, v115, 16
	v_mov_b32_e32 v114, v0
	s_mov_b32 s8, 0
	.p2align	6
.LBB115_708:                            ; =>This Inner Loop Header: Depth=1
	s_clause 0x3
	buffer_load_dword v120, v113, s[0:3], 0 offen offset:8
	buffer_load_dword v121, v113, s[0:3], 0 offen offset:12
	buffer_load_dword v122, v113, s[0:3], 0 offen
	buffer_load_dword v123, v113, s[0:3], 0 offen offset:4
	ds_read_b128 v[116:119], v112
	v_add_nc_u32_e32 v114, 1, v114
	v_add_nc_u32_e32 v112, 16, v112
	;; [unrolled: 1-line block ×3, first 2 shown]
	v_cmp_lt_u32_e32 vcc_lo, 36, v114
	s_or_b32 s8, vcc_lo, s8
	s_waitcnt vmcnt(2) lgkmcnt(0)
	v_mul_f64 v[124:125], v[118:119], v[120:121]
	v_mul_f64 v[120:121], v[116:117], v[120:121]
	s_waitcnt vmcnt(0)
	v_fma_f64 v[116:117], v[116:117], v[122:123], -v[124:125]
	v_fma_f64 v[118:119], v[118:119], v[122:123], v[120:121]
	v_add_f64 v[1:2], v[1:2], v[116:117]
	v_add_f64 v[3:4], v[3:4], v[118:119]
	s_andn2_b32 exec_lo, exec_lo, s8
	s_cbranch_execnz .LBB115_708
; %bb.709:
	s_or_b32 exec_lo, exec_lo, s8
.LBB115_710:
	s_or_b32 exec_lo, exec_lo, s6
	v_mov_b32_e32 v112, 0
	ds_read_b128 v[116:119], v112 offset:608
	s_waitcnt lgkmcnt(0)
	v_mul_f64 v[112:113], v[3:4], v[118:119]
	v_mul_f64 v[118:119], v[1:2], v[118:119]
	v_fma_f64 v[1:2], v[1:2], v[116:117], -v[112:113]
	v_fma_f64 v[3:4], v[3:4], v[116:117], v[118:119]
	buffer_store_dword v2, off, s[0:3], 0 offset:612
	buffer_store_dword v1, off, s[0:3], 0 offset:608
	buffer_store_dword v4, off, s[0:3], 0 offset:620
	buffer_store_dword v3, off, s[0:3], 0 offset:616
.LBB115_711:
	s_or_b32 exec_lo, exec_lo, s4
	v_mov_b32_e32 v4, s20
	s_mov_b32 s4, exec_lo
	s_clause 0x3
	buffer_load_dword v1, v4, s[0:3], 0 offen
	buffer_load_dword v2, v4, s[0:3], 0 offen offset:4
	buffer_load_dword v3, v4, s[0:3], 0 offen offset:8
	;; [unrolled: 1-line block ×3, first 2 shown]
	s_waitcnt vmcnt(0)
	ds_write_b128 v110, v[1:4]
	s_waitcnt lgkmcnt(0)
	s_waitcnt_vscnt null, 0x0
	s_barrier
	buffer_gl0_inv
	v_cmpx_gt_u32_e32 39, v0
	s_cbranch_execz .LBB115_719
; %bb.712:
	ds_read_b128 v[1:4], v110
	v_cmp_ne_u32_e32 vcc_lo, 1, v111
	s_cbranch_vccnz .LBB115_714
; %bb.713:
	s_clause 0x3
	buffer_load_dword v112, v109, s[0:3], 0 offen offset:8
	buffer_load_dword v113, v109, s[0:3], 0 offen offset:12
	buffer_load_dword v116, v109, s[0:3], 0 offen
	buffer_load_dword v117, v109, s[0:3], 0 offen offset:4
	s_waitcnt vmcnt(2) lgkmcnt(0)
	v_mul_f64 v[118:119], v[3:4], v[112:113]
	v_mul_f64 v[112:113], v[1:2], v[112:113]
	s_waitcnt vmcnt(0)
	v_fma_f64 v[1:2], v[1:2], v[116:117], -v[118:119]
	v_fma_f64 v[3:4], v[3:4], v[116:117], v[112:113]
.LBB115_714:
	s_mov_b32 s6, exec_lo
	v_cmpx_ne_u32_e32 38, v0
	s_cbranch_execz .LBB115_718
; %bb.715:
	v_add_nc_u32_e32 v112, 0x350, v115
	v_add3_u32 v113, 0, v115, 16
	v_mov_b32_e32 v114, v0
	s_mov_b32 s8, 0
	.p2align	6
.LBB115_716:                            ; =>This Inner Loop Header: Depth=1
	s_clause 0x3
	buffer_load_dword v120, v113, s[0:3], 0 offen offset:8
	buffer_load_dword v121, v113, s[0:3], 0 offen offset:12
	buffer_load_dword v122, v113, s[0:3], 0 offen
	buffer_load_dword v123, v113, s[0:3], 0 offen offset:4
	ds_read_b128 v[116:119], v112
	v_add_nc_u32_e32 v114, 1, v114
	v_add_nc_u32_e32 v112, 16, v112
	;; [unrolled: 1-line block ×3, first 2 shown]
	v_cmp_lt_u32_e32 vcc_lo, 37, v114
	s_or_b32 s8, vcc_lo, s8
	s_waitcnt vmcnt(2) lgkmcnt(0)
	v_mul_f64 v[124:125], v[118:119], v[120:121]
	v_mul_f64 v[120:121], v[116:117], v[120:121]
	s_waitcnt vmcnt(0)
	v_fma_f64 v[116:117], v[116:117], v[122:123], -v[124:125]
	v_fma_f64 v[118:119], v[118:119], v[122:123], v[120:121]
	v_add_f64 v[1:2], v[1:2], v[116:117]
	v_add_f64 v[3:4], v[3:4], v[118:119]
	s_andn2_b32 exec_lo, exec_lo, s8
	s_cbranch_execnz .LBB115_716
; %bb.717:
	s_or_b32 exec_lo, exec_lo, s8
.LBB115_718:
	s_or_b32 exec_lo, exec_lo, s6
	v_mov_b32_e32 v112, 0
	ds_read_b128 v[116:119], v112 offset:624
	s_waitcnt lgkmcnt(0)
	v_mul_f64 v[112:113], v[3:4], v[118:119]
	v_mul_f64 v[118:119], v[1:2], v[118:119]
	v_fma_f64 v[1:2], v[1:2], v[116:117], -v[112:113]
	v_fma_f64 v[3:4], v[3:4], v[116:117], v[118:119]
	buffer_store_dword v2, off, s[0:3], 0 offset:628
	buffer_store_dword v1, off, s[0:3], 0 offset:624
	;; [unrolled: 1-line block ×4, first 2 shown]
.LBB115_719:
	s_or_b32 exec_lo, exec_lo, s4
	v_mov_b32_e32 v4, s19
	s_mov_b32 s4, exec_lo
	s_clause 0x3
	buffer_load_dword v1, v4, s[0:3], 0 offen
	buffer_load_dword v2, v4, s[0:3], 0 offen offset:4
	buffer_load_dword v3, v4, s[0:3], 0 offen offset:8
	;; [unrolled: 1-line block ×3, first 2 shown]
	s_waitcnt vmcnt(0)
	ds_write_b128 v110, v[1:4]
	s_waitcnt lgkmcnt(0)
	s_waitcnt_vscnt null, 0x0
	s_barrier
	buffer_gl0_inv
	v_cmpx_gt_u32_e32 40, v0
	s_cbranch_execz .LBB115_727
; %bb.720:
	ds_read_b128 v[1:4], v110
	v_cmp_ne_u32_e32 vcc_lo, 1, v111
	s_cbranch_vccnz .LBB115_722
; %bb.721:
	s_clause 0x3
	buffer_load_dword v112, v109, s[0:3], 0 offen offset:8
	buffer_load_dword v113, v109, s[0:3], 0 offen offset:12
	buffer_load_dword v116, v109, s[0:3], 0 offen
	buffer_load_dword v117, v109, s[0:3], 0 offen offset:4
	s_waitcnt vmcnt(2) lgkmcnt(0)
	v_mul_f64 v[118:119], v[3:4], v[112:113]
	v_mul_f64 v[112:113], v[1:2], v[112:113]
	s_waitcnt vmcnt(0)
	v_fma_f64 v[1:2], v[1:2], v[116:117], -v[118:119]
	v_fma_f64 v[3:4], v[3:4], v[116:117], v[112:113]
.LBB115_722:
	s_mov_b32 s6, exec_lo
	v_cmpx_ne_u32_e32 39, v0
	s_cbranch_execz .LBB115_726
; %bb.723:
	v_add_nc_u32_e32 v112, 0x350, v115
	v_add3_u32 v113, 0, v115, 16
	v_mov_b32_e32 v114, v0
	s_mov_b32 s8, 0
	.p2align	6
.LBB115_724:                            ; =>This Inner Loop Header: Depth=1
	s_clause 0x3
	buffer_load_dword v120, v113, s[0:3], 0 offen offset:8
	buffer_load_dword v121, v113, s[0:3], 0 offen offset:12
	buffer_load_dword v122, v113, s[0:3], 0 offen
	buffer_load_dword v123, v113, s[0:3], 0 offen offset:4
	ds_read_b128 v[116:119], v112
	v_add_nc_u32_e32 v114, 1, v114
	v_add_nc_u32_e32 v112, 16, v112
	v_add_nc_u32_e32 v113, 16, v113
	v_cmp_lt_u32_e32 vcc_lo, 38, v114
	s_or_b32 s8, vcc_lo, s8
	s_waitcnt vmcnt(2) lgkmcnt(0)
	v_mul_f64 v[124:125], v[118:119], v[120:121]
	v_mul_f64 v[120:121], v[116:117], v[120:121]
	s_waitcnt vmcnt(0)
	v_fma_f64 v[116:117], v[116:117], v[122:123], -v[124:125]
	v_fma_f64 v[118:119], v[118:119], v[122:123], v[120:121]
	v_add_f64 v[1:2], v[1:2], v[116:117]
	v_add_f64 v[3:4], v[3:4], v[118:119]
	s_andn2_b32 exec_lo, exec_lo, s8
	s_cbranch_execnz .LBB115_724
; %bb.725:
	s_or_b32 exec_lo, exec_lo, s8
.LBB115_726:
	s_or_b32 exec_lo, exec_lo, s6
	v_mov_b32_e32 v112, 0
	ds_read_b128 v[116:119], v112 offset:640
	s_waitcnt lgkmcnt(0)
	v_mul_f64 v[112:113], v[3:4], v[118:119]
	v_mul_f64 v[118:119], v[1:2], v[118:119]
	v_fma_f64 v[1:2], v[1:2], v[116:117], -v[112:113]
	v_fma_f64 v[3:4], v[3:4], v[116:117], v[118:119]
	buffer_store_dword v2, off, s[0:3], 0 offset:644
	buffer_store_dword v1, off, s[0:3], 0 offset:640
	;; [unrolled: 1-line block ×4, first 2 shown]
.LBB115_727:
	s_or_b32 exec_lo, exec_lo, s4
	v_mov_b32_e32 v4, s18
	s_mov_b32 s4, exec_lo
	s_clause 0x3
	buffer_load_dword v1, v4, s[0:3], 0 offen
	buffer_load_dword v2, v4, s[0:3], 0 offen offset:4
	buffer_load_dword v3, v4, s[0:3], 0 offen offset:8
	;; [unrolled: 1-line block ×3, first 2 shown]
	s_waitcnt vmcnt(0)
	ds_write_b128 v110, v[1:4]
	s_waitcnt lgkmcnt(0)
	s_waitcnt_vscnt null, 0x0
	s_barrier
	buffer_gl0_inv
	v_cmpx_gt_u32_e32 41, v0
	s_cbranch_execz .LBB115_735
; %bb.728:
	ds_read_b128 v[1:4], v110
	v_cmp_ne_u32_e32 vcc_lo, 1, v111
	s_cbranch_vccnz .LBB115_730
; %bb.729:
	s_clause 0x3
	buffer_load_dword v112, v109, s[0:3], 0 offen offset:8
	buffer_load_dword v113, v109, s[0:3], 0 offen offset:12
	buffer_load_dword v116, v109, s[0:3], 0 offen
	buffer_load_dword v117, v109, s[0:3], 0 offen offset:4
	s_waitcnt vmcnt(2) lgkmcnt(0)
	v_mul_f64 v[118:119], v[3:4], v[112:113]
	v_mul_f64 v[112:113], v[1:2], v[112:113]
	s_waitcnt vmcnt(0)
	v_fma_f64 v[1:2], v[1:2], v[116:117], -v[118:119]
	v_fma_f64 v[3:4], v[3:4], v[116:117], v[112:113]
.LBB115_730:
	s_mov_b32 s6, exec_lo
	v_cmpx_ne_u32_e32 40, v0
	s_cbranch_execz .LBB115_734
; %bb.731:
	v_add_nc_u32_e32 v112, 0x350, v115
	v_add3_u32 v113, 0, v115, 16
	v_mov_b32_e32 v114, v0
	s_mov_b32 s8, 0
	.p2align	6
.LBB115_732:                            ; =>This Inner Loop Header: Depth=1
	s_clause 0x3
	buffer_load_dword v120, v113, s[0:3], 0 offen offset:8
	buffer_load_dword v121, v113, s[0:3], 0 offen offset:12
	buffer_load_dword v122, v113, s[0:3], 0 offen
	buffer_load_dword v123, v113, s[0:3], 0 offen offset:4
	ds_read_b128 v[116:119], v112
	v_add_nc_u32_e32 v114, 1, v114
	v_add_nc_u32_e32 v112, 16, v112
	;; [unrolled: 1-line block ×3, first 2 shown]
	v_cmp_lt_u32_e32 vcc_lo, 39, v114
	s_or_b32 s8, vcc_lo, s8
	s_waitcnt vmcnt(2) lgkmcnt(0)
	v_mul_f64 v[124:125], v[118:119], v[120:121]
	v_mul_f64 v[120:121], v[116:117], v[120:121]
	s_waitcnt vmcnt(0)
	v_fma_f64 v[116:117], v[116:117], v[122:123], -v[124:125]
	v_fma_f64 v[118:119], v[118:119], v[122:123], v[120:121]
	v_add_f64 v[1:2], v[1:2], v[116:117]
	v_add_f64 v[3:4], v[3:4], v[118:119]
	s_andn2_b32 exec_lo, exec_lo, s8
	s_cbranch_execnz .LBB115_732
; %bb.733:
	s_or_b32 exec_lo, exec_lo, s8
.LBB115_734:
	s_or_b32 exec_lo, exec_lo, s6
	v_mov_b32_e32 v112, 0
	ds_read_b128 v[116:119], v112 offset:656
	s_waitcnt lgkmcnt(0)
	v_mul_f64 v[112:113], v[3:4], v[118:119]
	v_mul_f64 v[118:119], v[1:2], v[118:119]
	v_fma_f64 v[1:2], v[1:2], v[116:117], -v[112:113]
	v_fma_f64 v[3:4], v[3:4], v[116:117], v[118:119]
	buffer_store_dword v2, off, s[0:3], 0 offset:660
	buffer_store_dword v1, off, s[0:3], 0 offset:656
	;; [unrolled: 1-line block ×4, first 2 shown]
.LBB115_735:
	s_or_b32 exec_lo, exec_lo, s4
	v_mov_b32_e32 v4, s17
	s_mov_b32 s4, exec_lo
	s_clause 0x3
	buffer_load_dword v1, v4, s[0:3], 0 offen
	buffer_load_dword v2, v4, s[0:3], 0 offen offset:4
	buffer_load_dword v3, v4, s[0:3], 0 offen offset:8
	;; [unrolled: 1-line block ×3, first 2 shown]
	s_waitcnt vmcnt(0)
	ds_write_b128 v110, v[1:4]
	s_waitcnt lgkmcnt(0)
	s_waitcnt_vscnt null, 0x0
	s_barrier
	buffer_gl0_inv
	v_cmpx_gt_u32_e32 42, v0
	s_cbranch_execz .LBB115_743
; %bb.736:
	ds_read_b128 v[1:4], v110
	v_cmp_ne_u32_e32 vcc_lo, 1, v111
	s_cbranch_vccnz .LBB115_738
; %bb.737:
	s_clause 0x3
	buffer_load_dword v112, v109, s[0:3], 0 offen offset:8
	buffer_load_dword v113, v109, s[0:3], 0 offen offset:12
	buffer_load_dword v116, v109, s[0:3], 0 offen
	buffer_load_dword v117, v109, s[0:3], 0 offen offset:4
	s_waitcnt vmcnt(2) lgkmcnt(0)
	v_mul_f64 v[118:119], v[3:4], v[112:113]
	v_mul_f64 v[112:113], v[1:2], v[112:113]
	s_waitcnt vmcnt(0)
	v_fma_f64 v[1:2], v[1:2], v[116:117], -v[118:119]
	v_fma_f64 v[3:4], v[3:4], v[116:117], v[112:113]
.LBB115_738:
	s_mov_b32 s6, exec_lo
	v_cmpx_ne_u32_e32 41, v0
	s_cbranch_execz .LBB115_742
; %bb.739:
	v_add_nc_u32_e32 v112, 0x350, v115
	v_add3_u32 v113, 0, v115, 16
	v_mov_b32_e32 v114, v0
	s_mov_b32 s8, 0
	.p2align	6
.LBB115_740:                            ; =>This Inner Loop Header: Depth=1
	s_clause 0x3
	buffer_load_dword v120, v113, s[0:3], 0 offen offset:8
	buffer_load_dword v121, v113, s[0:3], 0 offen offset:12
	buffer_load_dword v122, v113, s[0:3], 0 offen
	buffer_load_dword v123, v113, s[0:3], 0 offen offset:4
	ds_read_b128 v[116:119], v112
	v_add_nc_u32_e32 v114, 1, v114
	v_add_nc_u32_e32 v112, 16, v112
	;; [unrolled: 1-line block ×3, first 2 shown]
	v_cmp_lt_u32_e32 vcc_lo, 40, v114
	s_or_b32 s8, vcc_lo, s8
	s_waitcnt vmcnt(2) lgkmcnt(0)
	v_mul_f64 v[124:125], v[118:119], v[120:121]
	v_mul_f64 v[120:121], v[116:117], v[120:121]
	s_waitcnt vmcnt(0)
	v_fma_f64 v[116:117], v[116:117], v[122:123], -v[124:125]
	v_fma_f64 v[118:119], v[118:119], v[122:123], v[120:121]
	v_add_f64 v[1:2], v[1:2], v[116:117]
	v_add_f64 v[3:4], v[3:4], v[118:119]
	s_andn2_b32 exec_lo, exec_lo, s8
	s_cbranch_execnz .LBB115_740
; %bb.741:
	s_or_b32 exec_lo, exec_lo, s8
.LBB115_742:
	s_or_b32 exec_lo, exec_lo, s6
	v_mov_b32_e32 v112, 0
	ds_read_b128 v[116:119], v112 offset:672
	s_waitcnt lgkmcnt(0)
	v_mul_f64 v[112:113], v[3:4], v[118:119]
	v_mul_f64 v[118:119], v[1:2], v[118:119]
	v_fma_f64 v[1:2], v[1:2], v[116:117], -v[112:113]
	v_fma_f64 v[3:4], v[3:4], v[116:117], v[118:119]
	buffer_store_dword v2, off, s[0:3], 0 offset:676
	buffer_store_dword v1, off, s[0:3], 0 offset:672
	;; [unrolled: 1-line block ×4, first 2 shown]
.LBB115_743:
	s_or_b32 exec_lo, exec_lo, s4
	v_mov_b32_e32 v4, s16
	s_mov_b32 s4, exec_lo
	s_clause 0x3
	buffer_load_dword v1, v4, s[0:3], 0 offen
	buffer_load_dword v2, v4, s[0:3], 0 offen offset:4
	buffer_load_dword v3, v4, s[0:3], 0 offen offset:8
	;; [unrolled: 1-line block ×3, first 2 shown]
	s_waitcnt vmcnt(0)
	ds_write_b128 v110, v[1:4]
	s_waitcnt lgkmcnt(0)
	s_waitcnt_vscnt null, 0x0
	s_barrier
	buffer_gl0_inv
	v_cmpx_gt_u32_e32 43, v0
	s_cbranch_execz .LBB115_751
; %bb.744:
	ds_read_b128 v[1:4], v110
	v_cmp_ne_u32_e32 vcc_lo, 1, v111
	s_cbranch_vccnz .LBB115_746
; %bb.745:
	s_clause 0x3
	buffer_load_dword v112, v109, s[0:3], 0 offen offset:8
	buffer_load_dword v113, v109, s[0:3], 0 offen offset:12
	buffer_load_dword v116, v109, s[0:3], 0 offen
	buffer_load_dword v117, v109, s[0:3], 0 offen offset:4
	s_waitcnt vmcnt(2) lgkmcnt(0)
	v_mul_f64 v[118:119], v[3:4], v[112:113]
	v_mul_f64 v[112:113], v[1:2], v[112:113]
	s_waitcnt vmcnt(0)
	v_fma_f64 v[1:2], v[1:2], v[116:117], -v[118:119]
	v_fma_f64 v[3:4], v[3:4], v[116:117], v[112:113]
.LBB115_746:
	s_mov_b32 s6, exec_lo
	v_cmpx_ne_u32_e32 42, v0
	s_cbranch_execz .LBB115_750
; %bb.747:
	v_add_nc_u32_e32 v112, 0x350, v115
	v_add3_u32 v113, 0, v115, 16
	v_mov_b32_e32 v114, v0
	s_mov_b32 s8, 0
	.p2align	6
.LBB115_748:                            ; =>This Inner Loop Header: Depth=1
	s_clause 0x3
	buffer_load_dword v120, v113, s[0:3], 0 offen offset:8
	buffer_load_dword v121, v113, s[0:3], 0 offen offset:12
	buffer_load_dword v122, v113, s[0:3], 0 offen
	buffer_load_dword v123, v113, s[0:3], 0 offen offset:4
	ds_read_b128 v[116:119], v112
	v_add_nc_u32_e32 v114, 1, v114
	v_add_nc_u32_e32 v112, 16, v112
	v_add_nc_u32_e32 v113, 16, v113
	v_cmp_lt_u32_e32 vcc_lo, 41, v114
	s_or_b32 s8, vcc_lo, s8
	s_waitcnt vmcnt(2) lgkmcnt(0)
	v_mul_f64 v[124:125], v[118:119], v[120:121]
	v_mul_f64 v[120:121], v[116:117], v[120:121]
	s_waitcnt vmcnt(0)
	v_fma_f64 v[116:117], v[116:117], v[122:123], -v[124:125]
	v_fma_f64 v[118:119], v[118:119], v[122:123], v[120:121]
	v_add_f64 v[1:2], v[1:2], v[116:117]
	v_add_f64 v[3:4], v[3:4], v[118:119]
	s_andn2_b32 exec_lo, exec_lo, s8
	s_cbranch_execnz .LBB115_748
; %bb.749:
	s_or_b32 exec_lo, exec_lo, s8
.LBB115_750:
	s_or_b32 exec_lo, exec_lo, s6
	v_mov_b32_e32 v112, 0
	ds_read_b128 v[116:119], v112 offset:688
	s_waitcnt lgkmcnt(0)
	v_mul_f64 v[112:113], v[3:4], v[118:119]
	v_mul_f64 v[118:119], v[1:2], v[118:119]
	v_fma_f64 v[1:2], v[1:2], v[116:117], -v[112:113]
	v_fma_f64 v[3:4], v[3:4], v[116:117], v[118:119]
	buffer_store_dword v2, off, s[0:3], 0 offset:692
	buffer_store_dword v1, off, s[0:3], 0 offset:688
	;; [unrolled: 1-line block ×4, first 2 shown]
.LBB115_751:
	s_or_b32 exec_lo, exec_lo, s4
	v_mov_b32_e32 v4, s15
	s_mov_b32 s4, exec_lo
	s_clause 0x3
	buffer_load_dword v1, v4, s[0:3], 0 offen
	buffer_load_dword v2, v4, s[0:3], 0 offen offset:4
	buffer_load_dword v3, v4, s[0:3], 0 offen offset:8
	;; [unrolled: 1-line block ×3, first 2 shown]
	s_waitcnt vmcnt(0)
	ds_write_b128 v110, v[1:4]
	s_waitcnt lgkmcnt(0)
	s_waitcnt_vscnt null, 0x0
	s_barrier
	buffer_gl0_inv
	v_cmpx_gt_u32_e32 44, v0
	s_cbranch_execz .LBB115_759
; %bb.752:
	ds_read_b128 v[1:4], v110
	v_cmp_ne_u32_e32 vcc_lo, 1, v111
	s_cbranch_vccnz .LBB115_754
; %bb.753:
	s_clause 0x3
	buffer_load_dword v112, v109, s[0:3], 0 offen offset:8
	buffer_load_dword v113, v109, s[0:3], 0 offen offset:12
	buffer_load_dword v116, v109, s[0:3], 0 offen
	buffer_load_dword v117, v109, s[0:3], 0 offen offset:4
	s_waitcnt vmcnt(2) lgkmcnt(0)
	v_mul_f64 v[118:119], v[3:4], v[112:113]
	v_mul_f64 v[112:113], v[1:2], v[112:113]
	s_waitcnt vmcnt(0)
	v_fma_f64 v[1:2], v[1:2], v[116:117], -v[118:119]
	v_fma_f64 v[3:4], v[3:4], v[116:117], v[112:113]
.LBB115_754:
	s_mov_b32 s6, exec_lo
	v_cmpx_ne_u32_e32 43, v0
	s_cbranch_execz .LBB115_758
; %bb.755:
	v_add_nc_u32_e32 v112, 0x350, v115
	v_add3_u32 v113, 0, v115, 16
	v_mov_b32_e32 v114, v0
	s_mov_b32 s8, 0
	.p2align	6
.LBB115_756:                            ; =>This Inner Loop Header: Depth=1
	s_clause 0x3
	buffer_load_dword v120, v113, s[0:3], 0 offen offset:8
	buffer_load_dword v121, v113, s[0:3], 0 offen offset:12
	buffer_load_dword v122, v113, s[0:3], 0 offen
	buffer_load_dword v123, v113, s[0:3], 0 offen offset:4
	ds_read_b128 v[116:119], v112
	v_add_nc_u32_e32 v114, 1, v114
	v_add_nc_u32_e32 v112, 16, v112
	;; [unrolled: 1-line block ×3, first 2 shown]
	v_cmp_lt_u32_e32 vcc_lo, 42, v114
	s_or_b32 s8, vcc_lo, s8
	s_waitcnt vmcnt(2) lgkmcnt(0)
	v_mul_f64 v[124:125], v[118:119], v[120:121]
	v_mul_f64 v[120:121], v[116:117], v[120:121]
	s_waitcnt vmcnt(0)
	v_fma_f64 v[116:117], v[116:117], v[122:123], -v[124:125]
	v_fma_f64 v[118:119], v[118:119], v[122:123], v[120:121]
	v_add_f64 v[1:2], v[1:2], v[116:117]
	v_add_f64 v[3:4], v[3:4], v[118:119]
	s_andn2_b32 exec_lo, exec_lo, s8
	s_cbranch_execnz .LBB115_756
; %bb.757:
	s_or_b32 exec_lo, exec_lo, s8
.LBB115_758:
	s_or_b32 exec_lo, exec_lo, s6
	v_mov_b32_e32 v112, 0
	ds_read_b128 v[116:119], v112 offset:704
	s_waitcnt lgkmcnt(0)
	v_mul_f64 v[112:113], v[3:4], v[118:119]
	v_mul_f64 v[118:119], v[1:2], v[118:119]
	v_fma_f64 v[1:2], v[1:2], v[116:117], -v[112:113]
	v_fma_f64 v[3:4], v[3:4], v[116:117], v[118:119]
	buffer_store_dword v2, off, s[0:3], 0 offset:708
	buffer_store_dword v1, off, s[0:3], 0 offset:704
	;; [unrolled: 1-line block ×4, first 2 shown]
.LBB115_759:
	s_or_b32 exec_lo, exec_lo, s4
	v_mov_b32_e32 v4, s14
	s_mov_b32 s4, exec_lo
	s_clause 0x3
	buffer_load_dword v1, v4, s[0:3], 0 offen
	buffer_load_dword v2, v4, s[0:3], 0 offen offset:4
	buffer_load_dword v3, v4, s[0:3], 0 offen offset:8
	buffer_load_dword v4, v4, s[0:3], 0 offen offset:12
	s_waitcnt vmcnt(0)
	ds_write_b128 v110, v[1:4]
	s_waitcnt lgkmcnt(0)
	s_waitcnt_vscnt null, 0x0
	s_barrier
	buffer_gl0_inv
	v_cmpx_gt_u32_e32 45, v0
	s_cbranch_execz .LBB115_767
; %bb.760:
	ds_read_b128 v[1:4], v110
	v_cmp_ne_u32_e32 vcc_lo, 1, v111
	s_cbranch_vccnz .LBB115_762
; %bb.761:
	s_clause 0x3
	buffer_load_dword v112, v109, s[0:3], 0 offen offset:8
	buffer_load_dword v113, v109, s[0:3], 0 offen offset:12
	buffer_load_dword v116, v109, s[0:3], 0 offen
	buffer_load_dword v117, v109, s[0:3], 0 offen offset:4
	s_waitcnt vmcnt(2) lgkmcnt(0)
	v_mul_f64 v[118:119], v[3:4], v[112:113]
	v_mul_f64 v[112:113], v[1:2], v[112:113]
	s_waitcnt vmcnt(0)
	v_fma_f64 v[1:2], v[1:2], v[116:117], -v[118:119]
	v_fma_f64 v[3:4], v[3:4], v[116:117], v[112:113]
.LBB115_762:
	s_mov_b32 s6, exec_lo
	v_cmpx_ne_u32_e32 44, v0
	s_cbranch_execz .LBB115_766
; %bb.763:
	v_add_nc_u32_e32 v112, 0x350, v115
	v_add3_u32 v113, 0, v115, 16
	v_mov_b32_e32 v114, v0
	s_mov_b32 s8, 0
	.p2align	6
.LBB115_764:                            ; =>This Inner Loop Header: Depth=1
	s_clause 0x3
	buffer_load_dword v120, v113, s[0:3], 0 offen offset:8
	buffer_load_dword v121, v113, s[0:3], 0 offen offset:12
	buffer_load_dword v122, v113, s[0:3], 0 offen
	buffer_load_dword v123, v113, s[0:3], 0 offen offset:4
	ds_read_b128 v[116:119], v112
	v_add_nc_u32_e32 v114, 1, v114
	v_add_nc_u32_e32 v112, 16, v112
	;; [unrolled: 1-line block ×3, first 2 shown]
	v_cmp_lt_u32_e32 vcc_lo, 43, v114
	s_or_b32 s8, vcc_lo, s8
	s_waitcnt vmcnt(2) lgkmcnt(0)
	v_mul_f64 v[124:125], v[118:119], v[120:121]
	v_mul_f64 v[120:121], v[116:117], v[120:121]
	s_waitcnt vmcnt(0)
	v_fma_f64 v[116:117], v[116:117], v[122:123], -v[124:125]
	v_fma_f64 v[118:119], v[118:119], v[122:123], v[120:121]
	v_add_f64 v[1:2], v[1:2], v[116:117]
	v_add_f64 v[3:4], v[3:4], v[118:119]
	s_andn2_b32 exec_lo, exec_lo, s8
	s_cbranch_execnz .LBB115_764
; %bb.765:
	s_or_b32 exec_lo, exec_lo, s8
.LBB115_766:
	s_or_b32 exec_lo, exec_lo, s6
	v_mov_b32_e32 v112, 0
	ds_read_b128 v[116:119], v112 offset:720
	s_waitcnt lgkmcnt(0)
	v_mul_f64 v[112:113], v[3:4], v[118:119]
	v_mul_f64 v[118:119], v[1:2], v[118:119]
	v_fma_f64 v[1:2], v[1:2], v[116:117], -v[112:113]
	v_fma_f64 v[3:4], v[3:4], v[116:117], v[118:119]
	buffer_store_dword v2, off, s[0:3], 0 offset:724
	buffer_store_dword v1, off, s[0:3], 0 offset:720
	;; [unrolled: 1-line block ×4, first 2 shown]
.LBB115_767:
	s_or_b32 exec_lo, exec_lo, s4
	v_mov_b32_e32 v4, s13
	s_mov_b32 s4, exec_lo
	s_clause 0x3
	buffer_load_dword v1, v4, s[0:3], 0 offen
	buffer_load_dword v2, v4, s[0:3], 0 offen offset:4
	buffer_load_dword v3, v4, s[0:3], 0 offen offset:8
	;; [unrolled: 1-line block ×3, first 2 shown]
	s_waitcnt vmcnt(0)
	ds_write_b128 v110, v[1:4]
	s_waitcnt lgkmcnt(0)
	s_waitcnt_vscnt null, 0x0
	s_barrier
	buffer_gl0_inv
	v_cmpx_gt_u32_e32 46, v0
	s_cbranch_execz .LBB115_775
; %bb.768:
	ds_read_b128 v[1:4], v110
	v_cmp_ne_u32_e32 vcc_lo, 1, v111
	s_cbranch_vccnz .LBB115_770
; %bb.769:
	s_clause 0x3
	buffer_load_dword v112, v109, s[0:3], 0 offen offset:8
	buffer_load_dword v113, v109, s[0:3], 0 offen offset:12
	buffer_load_dword v116, v109, s[0:3], 0 offen
	buffer_load_dword v117, v109, s[0:3], 0 offen offset:4
	s_waitcnt vmcnt(2) lgkmcnt(0)
	v_mul_f64 v[118:119], v[3:4], v[112:113]
	v_mul_f64 v[112:113], v[1:2], v[112:113]
	s_waitcnt vmcnt(0)
	v_fma_f64 v[1:2], v[1:2], v[116:117], -v[118:119]
	v_fma_f64 v[3:4], v[3:4], v[116:117], v[112:113]
.LBB115_770:
	s_mov_b32 s6, exec_lo
	v_cmpx_ne_u32_e32 45, v0
	s_cbranch_execz .LBB115_774
; %bb.771:
	v_add_nc_u32_e32 v112, 0x350, v115
	v_add3_u32 v113, 0, v115, 16
	v_mov_b32_e32 v114, v0
	s_mov_b32 s8, 0
	.p2align	6
.LBB115_772:                            ; =>This Inner Loop Header: Depth=1
	s_clause 0x3
	buffer_load_dword v120, v113, s[0:3], 0 offen offset:8
	buffer_load_dword v121, v113, s[0:3], 0 offen offset:12
	buffer_load_dword v122, v113, s[0:3], 0 offen
	buffer_load_dword v123, v113, s[0:3], 0 offen offset:4
	ds_read_b128 v[116:119], v112
	v_add_nc_u32_e32 v114, 1, v114
	v_add_nc_u32_e32 v112, 16, v112
	;; [unrolled: 1-line block ×3, first 2 shown]
	v_cmp_lt_u32_e32 vcc_lo, 44, v114
	s_or_b32 s8, vcc_lo, s8
	s_waitcnt vmcnt(2) lgkmcnt(0)
	v_mul_f64 v[124:125], v[118:119], v[120:121]
	v_mul_f64 v[120:121], v[116:117], v[120:121]
	s_waitcnt vmcnt(0)
	v_fma_f64 v[116:117], v[116:117], v[122:123], -v[124:125]
	v_fma_f64 v[118:119], v[118:119], v[122:123], v[120:121]
	v_add_f64 v[1:2], v[1:2], v[116:117]
	v_add_f64 v[3:4], v[3:4], v[118:119]
	s_andn2_b32 exec_lo, exec_lo, s8
	s_cbranch_execnz .LBB115_772
; %bb.773:
	s_or_b32 exec_lo, exec_lo, s8
.LBB115_774:
	s_or_b32 exec_lo, exec_lo, s6
	v_mov_b32_e32 v112, 0
	ds_read_b128 v[116:119], v112 offset:736
	s_waitcnt lgkmcnt(0)
	v_mul_f64 v[112:113], v[3:4], v[118:119]
	v_mul_f64 v[118:119], v[1:2], v[118:119]
	v_fma_f64 v[1:2], v[1:2], v[116:117], -v[112:113]
	v_fma_f64 v[3:4], v[3:4], v[116:117], v[118:119]
	buffer_store_dword v2, off, s[0:3], 0 offset:740
	buffer_store_dword v1, off, s[0:3], 0 offset:736
	;; [unrolled: 1-line block ×4, first 2 shown]
.LBB115_775:
	s_or_b32 exec_lo, exec_lo, s4
	v_mov_b32_e32 v4, s12
	s_mov_b32 s4, exec_lo
	s_clause 0x3
	buffer_load_dword v1, v4, s[0:3], 0 offen
	buffer_load_dword v2, v4, s[0:3], 0 offen offset:4
	buffer_load_dword v3, v4, s[0:3], 0 offen offset:8
	;; [unrolled: 1-line block ×3, first 2 shown]
	s_waitcnt vmcnt(0)
	ds_write_b128 v110, v[1:4]
	s_waitcnt lgkmcnt(0)
	s_waitcnt_vscnt null, 0x0
	s_barrier
	buffer_gl0_inv
	v_cmpx_gt_u32_e32 47, v0
	s_cbranch_execz .LBB115_783
; %bb.776:
	ds_read_b128 v[1:4], v110
	v_cmp_ne_u32_e32 vcc_lo, 1, v111
	s_cbranch_vccnz .LBB115_778
; %bb.777:
	s_clause 0x3
	buffer_load_dword v112, v109, s[0:3], 0 offen offset:8
	buffer_load_dword v113, v109, s[0:3], 0 offen offset:12
	buffer_load_dword v116, v109, s[0:3], 0 offen
	buffer_load_dword v117, v109, s[0:3], 0 offen offset:4
	s_waitcnt vmcnt(2) lgkmcnt(0)
	v_mul_f64 v[118:119], v[3:4], v[112:113]
	v_mul_f64 v[112:113], v[1:2], v[112:113]
	s_waitcnt vmcnt(0)
	v_fma_f64 v[1:2], v[1:2], v[116:117], -v[118:119]
	v_fma_f64 v[3:4], v[3:4], v[116:117], v[112:113]
.LBB115_778:
	s_mov_b32 s6, exec_lo
	v_cmpx_ne_u32_e32 46, v0
	s_cbranch_execz .LBB115_782
; %bb.779:
	v_add_nc_u32_e32 v112, 0x350, v115
	v_add3_u32 v113, 0, v115, 16
	v_mov_b32_e32 v114, v0
	s_mov_b32 s8, 0
	.p2align	6
.LBB115_780:                            ; =>This Inner Loop Header: Depth=1
	s_clause 0x3
	buffer_load_dword v120, v113, s[0:3], 0 offen offset:8
	buffer_load_dword v121, v113, s[0:3], 0 offen offset:12
	buffer_load_dword v122, v113, s[0:3], 0 offen
	buffer_load_dword v123, v113, s[0:3], 0 offen offset:4
	ds_read_b128 v[116:119], v112
	v_add_nc_u32_e32 v114, 1, v114
	v_add_nc_u32_e32 v112, 16, v112
	;; [unrolled: 1-line block ×3, first 2 shown]
	v_cmp_lt_u32_e32 vcc_lo, 45, v114
	s_or_b32 s8, vcc_lo, s8
	s_waitcnt vmcnt(2) lgkmcnt(0)
	v_mul_f64 v[124:125], v[118:119], v[120:121]
	v_mul_f64 v[120:121], v[116:117], v[120:121]
	s_waitcnt vmcnt(0)
	v_fma_f64 v[116:117], v[116:117], v[122:123], -v[124:125]
	v_fma_f64 v[118:119], v[118:119], v[122:123], v[120:121]
	v_add_f64 v[1:2], v[1:2], v[116:117]
	v_add_f64 v[3:4], v[3:4], v[118:119]
	s_andn2_b32 exec_lo, exec_lo, s8
	s_cbranch_execnz .LBB115_780
; %bb.781:
	s_or_b32 exec_lo, exec_lo, s8
.LBB115_782:
	s_or_b32 exec_lo, exec_lo, s6
	v_mov_b32_e32 v112, 0
	ds_read_b128 v[116:119], v112 offset:752
	s_waitcnt lgkmcnt(0)
	v_mul_f64 v[112:113], v[3:4], v[118:119]
	v_mul_f64 v[118:119], v[1:2], v[118:119]
	v_fma_f64 v[1:2], v[1:2], v[116:117], -v[112:113]
	v_fma_f64 v[3:4], v[3:4], v[116:117], v[118:119]
	buffer_store_dword v2, off, s[0:3], 0 offset:756
	buffer_store_dword v1, off, s[0:3], 0 offset:752
	;; [unrolled: 1-line block ×4, first 2 shown]
.LBB115_783:
	s_or_b32 exec_lo, exec_lo, s4
	v_mov_b32_e32 v4, s11
	s_mov_b32 s4, exec_lo
	s_clause 0x3
	buffer_load_dword v1, v4, s[0:3], 0 offen
	buffer_load_dword v2, v4, s[0:3], 0 offen offset:4
	buffer_load_dword v3, v4, s[0:3], 0 offen offset:8
	;; [unrolled: 1-line block ×3, first 2 shown]
	s_waitcnt vmcnt(0)
	ds_write_b128 v110, v[1:4]
	s_waitcnt lgkmcnt(0)
	s_waitcnt_vscnt null, 0x0
	s_barrier
	buffer_gl0_inv
	v_cmpx_gt_u32_e32 48, v0
	s_cbranch_execz .LBB115_791
; %bb.784:
	ds_read_b128 v[1:4], v110
	v_cmp_ne_u32_e32 vcc_lo, 1, v111
	s_cbranch_vccnz .LBB115_786
; %bb.785:
	s_clause 0x3
	buffer_load_dword v112, v109, s[0:3], 0 offen offset:8
	buffer_load_dword v113, v109, s[0:3], 0 offen offset:12
	buffer_load_dword v116, v109, s[0:3], 0 offen
	buffer_load_dword v117, v109, s[0:3], 0 offen offset:4
	s_waitcnt vmcnt(2) lgkmcnt(0)
	v_mul_f64 v[118:119], v[3:4], v[112:113]
	v_mul_f64 v[112:113], v[1:2], v[112:113]
	s_waitcnt vmcnt(0)
	v_fma_f64 v[1:2], v[1:2], v[116:117], -v[118:119]
	v_fma_f64 v[3:4], v[3:4], v[116:117], v[112:113]
.LBB115_786:
	s_mov_b32 s6, exec_lo
	v_cmpx_ne_u32_e32 47, v0
	s_cbranch_execz .LBB115_790
; %bb.787:
	v_add_nc_u32_e32 v112, 0x350, v115
	v_add3_u32 v113, 0, v115, 16
	v_mov_b32_e32 v114, v0
	s_mov_b32 s8, 0
	.p2align	6
.LBB115_788:                            ; =>This Inner Loop Header: Depth=1
	s_clause 0x3
	buffer_load_dword v120, v113, s[0:3], 0 offen offset:8
	buffer_load_dword v121, v113, s[0:3], 0 offen offset:12
	buffer_load_dword v122, v113, s[0:3], 0 offen
	buffer_load_dword v123, v113, s[0:3], 0 offen offset:4
	ds_read_b128 v[116:119], v112
	v_add_nc_u32_e32 v114, 1, v114
	v_add_nc_u32_e32 v112, 16, v112
	;; [unrolled: 1-line block ×3, first 2 shown]
	v_cmp_lt_u32_e32 vcc_lo, 46, v114
	s_or_b32 s8, vcc_lo, s8
	s_waitcnt vmcnt(2) lgkmcnt(0)
	v_mul_f64 v[124:125], v[118:119], v[120:121]
	v_mul_f64 v[120:121], v[116:117], v[120:121]
	s_waitcnt vmcnt(0)
	v_fma_f64 v[116:117], v[116:117], v[122:123], -v[124:125]
	v_fma_f64 v[118:119], v[118:119], v[122:123], v[120:121]
	v_add_f64 v[1:2], v[1:2], v[116:117]
	v_add_f64 v[3:4], v[3:4], v[118:119]
	s_andn2_b32 exec_lo, exec_lo, s8
	s_cbranch_execnz .LBB115_788
; %bb.789:
	s_or_b32 exec_lo, exec_lo, s8
.LBB115_790:
	s_or_b32 exec_lo, exec_lo, s6
	v_mov_b32_e32 v112, 0
	ds_read_b128 v[116:119], v112 offset:768
	s_waitcnt lgkmcnt(0)
	v_mul_f64 v[112:113], v[3:4], v[118:119]
	v_mul_f64 v[118:119], v[1:2], v[118:119]
	v_fma_f64 v[1:2], v[1:2], v[116:117], -v[112:113]
	v_fma_f64 v[3:4], v[3:4], v[116:117], v[118:119]
	buffer_store_dword v2, off, s[0:3], 0 offset:772
	buffer_store_dword v1, off, s[0:3], 0 offset:768
	;; [unrolled: 1-line block ×4, first 2 shown]
.LBB115_791:
	s_or_b32 exec_lo, exec_lo, s4
	v_mov_b32_e32 v4, s10
	s_mov_b32 s4, exec_lo
	s_clause 0x3
	buffer_load_dword v1, v4, s[0:3], 0 offen
	buffer_load_dword v2, v4, s[0:3], 0 offen offset:4
	buffer_load_dword v3, v4, s[0:3], 0 offen offset:8
	;; [unrolled: 1-line block ×3, first 2 shown]
	s_waitcnt vmcnt(0)
	ds_write_b128 v110, v[1:4]
	s_waitcnt lgkmcnt(0)
	s_waitcnt_vscnt null, 0x0
	s_barrier
	buffer_gl0_inv
	v_cmpx_gt_u32_e32 49, v0
	s_cbranch_execz .LBB115_799
; %bb.792:
	ds_read_b128 v[1:4], v110
	v_cmp_ne_u32_e32 vcc_lo, 1, v111
	s_cbranch_vccnz .LBB115_794
; %bb.793:
	s_clause 0x3
	buffer_load_dword v112, v109, s[0:3], 0 offen offset:8
	buffer_load_dword v113, v109, s[0:3], 0 offen offset:12
	buffer_load_dword v116, v109, s[0:3], 0 offen
	buffer_load_dword v117, v109, s[0:3], 0 offen offset:4
	s_waitcnt vmcnt(2) lgkmcnt(0)
	v_mul_f64 v[118:119], v[3:4], v[112:113]
	v_mul_f64 v[112:113], v[1:2], v[112:113]
	s_waitcnt vmcnt(0)
	v_fma_f64 v[1:2], v[1:2], v[116:117], -v[118:119]
	v_fma_f64 v[3:4], v[3:4], v[116:117], v[112:113]
.LBB115_794:
	s_mov_b32 s6, exec_lo
	v_cmpx_ne_u32_e32 48, v0
	s_cbranch_execz .LBB115_798
; %bb.795:
	v_add_nc_u32_e32 v112, 0x350, v115
	v_add3_u32 v113, 0, v115, 16
	v_mov_b32_e32 v114, v0
	s_mov_b32 s8, 0
	.p2align	6
.LBB115_796:                            ; =>This Inner Loop Header: Depth=1
	s_clause 0x3
	buffer_load_dword v120, v113, s[0:3], 0 offen offset:8
	buffer_load_dword v121, v113, s[0:3], 0 offen offset:12
	buffer_load_dword v122, v113, s[0:3], 0 offen
	buffer_load_dword v123, v113, s[0:3], 0 offen offset:4
	ds_read_b128 v[116:119], v112
	v_add_nc_u32_e32 v114, 1, v114
	v_add_nc_u32_e32 v112, 16, v112
	;; [unrolled: 1-line block ×3, first 2 shown]
	v_cmp_lt_u32_e32 vcc_lo, 47, v114
	s_or_b32 s8, vcc_lo, s8
	s_waitcnt vmcnt(2) lgkmcnt(0)
	v_mul_f64 v[124:125], v[118:119], v[120:121]
	v_mul_f64 v[120:121], v[116:117], v[120:121]
	s_waitcnt vmcnt(0)
	v_fma_f64 v[116:117], v[116:117], v[122:123], -v[124:125]
	v_fma_f64 v[118:119], v[118:119], v[122:123], v[120:121]
	v_add_f64 v[1:2], v[1:2], v[116:117]
	v_add_f64 v[3:4], v[3:4], v[118:119]
	s_andn2_b32 exec_lo, exec_lo, s8
	s_cbranch_execnz .LBB115_796
; %bb.797:
	s_or_b32 exec_lo, exec_lo, s8
.LBB115_798:
	s_or_b32 exec_lo, exec_lo, s6
	v_mov_b32_e32 v112, 0
	ds_read_b128 v[116:119], v112 offset:784
	s_waitcnt lgkmcnt(0)
	v_mul_f64 v[112:113], v[3:4], v[118:119]
	v_mul_f64 v[118:119], v[1:2], v[118:119]
	v_fma_f64 v[1:2], v[1:2], v[116:117], -v[112:113]
	v_fma_f64 v[3:4], v[3:4], v[116:117], v[118:119]
	buffer_store_dword v2, off, s[0:3], 0 offset:788
	buffer_store_dword v1, off, s[0:3], 0 offset:784
	;; [unrolled: 1-line block ×4, first 2 shown]
.LBB115_799:
	s_or_b32 exec_lo, exec_lo, s4
	v_mov_b32_e32 v4, s9
	v_cmp_gt_u32_e64 s4, 50, v0
	s_clause 0x3
	buffer_load_dword v1, v4, s[0:3], 0 offen
	buffer_load_dword v2, v4, s[0:3], 0 offen offset:4
	buffer_load_dword v3, v4, s[0:3], 0 offen offset:8
	buffer_load_dword v4, v4, s[0:3], 0 offen offset:12
	s_waitcnt vmcnt(0)
	ds_write_b128 v110, v[1:4]
	s_waitcnt lgkmcnt(0)
	s_waitcnt_vscnt null, 0x0
	s_barrier
	buffer_gl0_inv
	s_and_saveexec_b32 s6, s4
	s_cbranch_execz .LBB115_807
; %bb.800:
	ds_read_b128 v[1:4], v110
	v_cmp_ne_u32_e32 vcc_lo, 1, v111
	s_cbranch_vccnz .LBB115_802
; %bb.801:
	s_clause 0x3
	buffer_load_dword v112, v109, s[0:3], 0 offen offset:8
	buffer_load_dword v113, v109, s[0:3], 0 offen offset:12
	buffer_load_dword v116, v109, s[0:3], 0 offen
	buffer_load_dword v117, v109, s[0:3], 0 offen offset:4
	s_waitcnt vmcnt(2) lgkmcnt(0)
	v_mul_f64 v[118:119], v[3:4], v[112:113]
	v_mul_f64 v[112:113], v[1:2], v[112:113]
	s_waitcnt vmcnt(0)
	v_fma_f64 v[1:2], v[1:2], v[116:117], -v[118:119]
	v_fma_f64 v[3:4], v[3:4], v[116:117], v[112:113]
.LBB115_802:
	s_mov_b32 s8, exec_lo
	v_cmpx_ne_u32_e32 49, v0
	s_cbranch_execz .LBB115_806
; %bb.803:
	v_add_nc_u32_e32 v112, 0x350, v115
	v_add3_u32 v113, 0, v115, 16
	v_mov_b32_e32 v114, v0
	s_mov_b32 s60, 0
	.p2align	6
.LBB115_804:                            ; =>This Inner Loop Header: Depth=1
	s_clause 0x3
	buffer_load_dword v120, v113, s[0:3], 0 offen offset:8
	buffer_load_dword v121, v113, s[0:3], 0 offen offset:12
	buffer_load_dword v122, v113, s[0:3], 0 offen
	buffer_load_dword v123, v113, s[0:3], 0 offen offset:4
	ds_read_b128 v[116:119], v112
	v_add_nc_u32_e32 v114, 1, v114
	v_add_nc_u32_e32 v112, 16, v112
	;; [unrolled: 1-line block ×3, first 2 shown]
	v_cmp_lt_u32_e32 vcc_lo, 48, v114
	s_or_b32 s60, vcc_lo, s60
	s_waitcnt vmcnt(2) lgkmcnt(0)
	v_mul_f64 v[124:125], v[118:119], v[120:121]
	v_mul_f64 v[120:121], v[116:117], v[120:121]
	s_waitcnt vmcnt(0)
	v_fma_f64 v[116:117], v[116:117], v[122:123], -v[124:125]
	v_fma_f64 v[118:119], v[118:119], v[122:123], v[120:121]
	v_add_f64 v[1:2], v[1:2], v[116:117]
	v_add_f64 v[3:4], v[3:4], v[118:119]
	s_andn2_b32 exec_lo, exec_lo, s60
	s_cbranch_execnz .LBB115_804
; %bb.805:
	s_or_b32 exec_lo, exec_lo, s60
.LBB115_806:
	s_or_b32 exec_lo, exec_lo, s8
	v_mov_b32_e32 v112, 0
	ds_read_b128 v[116:119], v112 offset:800
	s_waitcnt lgkmcnt(0)
	v_mul_f64 v[112:113], v[3:4], v[118:119]
	v_mul_f64 v[118:119], v[1:2], v[118:119]
	v_fma_f64 v[1:2], v[1:2], v[116:117], -v[112:113]
	v_fma_f64 v[3:4], v[3:4], v[116:117], v[118:119]
	buffer_store_dword v2, off, s[0:3], 0 offset:804
	buffer_store_dword v1, off, s[0:3], 0 offset:800
	;; [unrolled: 1-line block ×4, first 2 shown]
.LBB115_807:
	s_or_b32 exec_lo, exec_lo, s6
	v_mov_b32_e32 v4, s7
	s_mov_b32 s6, exec_lo
                                        ; implicit-def: $sgpr61
	s_clause 0x3
	buffer_load_dword v1, v4, s[0:3], 0 offen
	buffer_load_dword v2, v4, s[0:3], 0 offen offset:4
	buffer_load_dword v3, v4, s[0:3], 0 offen offset:8
	;; [unrolled: 1-line block ×3, first 2 shown]
	s_waitcnt vmcnt(0)
	ds_write_b128 v110, v[1:4]
	s_waitcnt lgkmcnt(0)
	s_waitcnt_vscnt null, 0x0
	s_barrier
	buffer_gl0_inv
                                        ; implicit-def: $vgpr1_vgpr2
	v_cmpx_ne_u32_e32 51, v0
	s_cbranch_execz .LBB115_815
; %bb.808:
	ds_read_b128 v[1:4], v110
	v_cmp_ne_u32_e32 vcc_lo, 1, v111
	s_cbranch_vccnz .LBB115_810
; %bb.809:
	s_clause 0x3
	buffer_load_dword v110, v109, s[0:3], 0 offen offset:8
	buffer_load_dword v111, v109, s[0:3], 0 offen offset:12
	buffer_load_dword v112, v109, s[0:3], 0 offen
	buffer_load_dword v113, v109, s[0:3], 0 offen offset:4
	s_waitcnt vmcnt(2) lgkmcnt(0)
	v_mul_f64 v[116:117], v[3:4], v[110:111]
	v_mul_f64 v[109:110], v[1:2], v[110:111]
	s_waitcnt vmcnt(0)
	v_fma_f64 v[1:2], v[1:2], v[112:113], -v[116:117]
	v_fma_f64 v[3:4], v[3:4], v[112:113], v[109:110]
.LBB115_810:
	s_and_saveexec_b32 s8, s4
	s_cbranch_execz .LBB115_814
; %bb.811:
	v_add_nc_u32_e32 v109, 0x350, v115
	v_add3_u32 v110, 0, v115, 16
	s_mov_b32 s4, 0
	.p2align	6
.LBB115_812:                            ; =>This Inner Loop Header: Depth=1
	s_clause 0x3
	buffer_load_dword v115, v110, s[0:3], 0 offen offset:8
	buffer_load_dword v116, v110, s[0:3], 0 offen offset:12
	buffer_load_dword v117, v110, s[0:3], 0 offen
	buffer_load_dword v118, v110, s[0:3], 0 offen offset:4
	ds_read_b128 v[111:114], v109
	v_add_nc_u32_e32 v0, 1, v0
	v_add_nc_u32_e32 v109, 16, v109
	;; [unrolled: 1-line block ×3, first 2 shown]
	v_cmp_lt_u32_e32 vcc_lo, 49, v0
	s_or_b32 s4, vcc_lo, s4
	s_waitcnt vmcnt(2) lgkmcnt(0)
	v_mul_f64 v[119:120], v[113:114], v[115:116]
	v_mul_f64 v[115:116], v[111:112], v[115:116]
	s_waitcnt vmcnt(0)
	v_fma_f64 v[111:112], v[111:112], v[117:118], -v[119:120]
	v_fma_f64 v[113:114], v[113:114], v[117:118], v[115:116]
	v_add_f64 v[1:2], v[1:2], v[111:112]
	v_add_f64 v[3:4], v[3:4], v[113:114]
	s_andn2_b32 exec_lo, exec_lo, s4
	s_cbranch_execnz .LBB115_812
; %bb.813:
	s_or_b32 exec_lo, exec_lo, s4
.LBB115_814:
	s_or_b32 exec_lo, exec_lo, s8
	v_mov_b32_e32 v0, 0
	s_movk_i32 s61, 0x338
	s_or_b32 s5, s5, exec_lo
	ds_read_b128 v[109:112], v0 offset:816
	s_waitcnt lgkmcnt(0)
	v_mul_f64 v[113:114], v[3:4], v[111:112]
	v_mul_f64 v[111:112], v[1:2], v[111:112]
	v_fma_f64 v[113:114], v[1:2], v[109:110], -v[113:114]
	v_fma_f64 v[1:2], v[3:4], v[109:110], v[111:112]
	buffer_store_dword v114, off, s[0:3], 0 offset:820
	buffer_store_dword v113, off, s[0:3], 0 offset:816
.LBB115_815:
	s_or_b32 exec_lo, exec_lo, s6
.LBB115_816:
	s_and_saveexec_b32 s4, s5
	s_cbranch_execz .LBB115_818
; %bb.817:
	v_mov_b32_e32 v0, s61
	buffer_store_dword v2, v0, s[0:3], 0 offen offset:4
	buffer_store_dword v1, v0, s[0:3], 0 offen
.LBB115_818:
	s_or_b32 exec_lo, exec_lo, s4
	s_clause 0x3
	buffer_load_dword v0, off, s[0:3], 0
	buffer_load_dword v1, off, s[0:3], 0 offset:4
	buffer_load_dword v2, off, s[0:3], 0 offset:8
	;; [unrolled: 1-line block ×3, first 2 shown]
	v_mov_b32_e32 v4, s59
	s_waitcnt vmcnt(0)
	flat_store_dwordx4 v[5:6], v[0:3]
	s_clause 0x3
	buffer_load_dword v0, v4, s[0:3], 0 offen
	buffer_load_dword v1, v4, s[0:3], 0 offen offset:4
	buffer_load_dword v2, v4, s[0:3], 0 offen offset:8
	buffer_load_dword v3, v4, s[0:3], 0 offen offset:12
	v_mov_b32_e32 v4, s58
	s_waitcnt vmcnt(0)
	flat_store_dwordx4 v[59:60], v[0:3]
	s_clause 0x3
	buffer_load_dword v0, v4, s[0:3], 0 offen
	buffer_load_dword v1, v4, s[0:3], 0 offen offset:4
	buffer_load_dword v2, v4, s[0:3], 0 offen offset:8
	buffer_load_dword v3, v4, s[0:3], 0 offen offset:12
	;; [unrolled: 8-line block ×51, first 2 shown]
	s_waitcnt vmcnt(0)
	flat_store_dwordx4 v[107:108], v[0:3]
.LBB115_819:
	s_endpgm
	.section	.rodata,"a",@progbits
	.p2align	6, 0x0
	.amdhsa_kernel _ZN9rocsolver6v33100L18trti2_kernel_smallILi52E19rocblas_complex_numIdEPKPS3_EEv13rocblas_fill_17rocblas_diagonal_T1_iil
		.amdhsa_group_segment_fixed_size 1664
		.amdhsa_private_segment_fixed_size 848
		.amdhsa_kernarg_size 32
		.amdhsa_user_sgpr_count 6
		.amdhsa_user_sgpr_private_segment_buffer 1
		.amdhsa_user_sgpr_dispatch_ptr 0
		.amdhsa_user_sgpr_queue_ptr 0
		.amdhsa_user_sgpr_kernarg_segment_ptr 1
		.amdhsa_user_sgpr_dispatch_id 0
		.amdhsa_user_sgpr_flat_scratch_init 0
		.amdhsa_user_sgpr_private_segment_size 0
		.amdhsa_wavefront_size32 1
		.amdhsa_uses_dynamic_stack 0
		.amdhsa_system_sgpr_private_segment_wavefront_offset 1
		.amdhsa_system_sgpr_workgroup_id_x 1
		.amdhsa_system_sgpr_workgroup_id_y 0
		.amdhsa_system_sgpr_workgroup_id_z 0
		.amdhsa_system_sgpr_workgroup_info 0
		.amdhsa_system_vgpr_workitem_id 0
		.amdhsa_next_free_vgpr 126
		.amdhsa_next_free_sgpr 83
		.amdhsa_reserve_vcc 1
		.amdhsa_reserve_flat_scratch 0
		.amdhsa_float_round_mode_32 0
		.amdhsa_float_round_mode_16_64 0
		.amdhsa_float_denorm_mode_32 3
		.amdhsa_float_denorm_mode_16_64 3
		.amdhsa_dx10_clamp 1
		.amdhsa_ieee_mode 1
		.amdhsa_fp16_overflow 0
		.amdhsa_workgroup_processor_mode 1
		.amdhsa_memory_ordered 1
		.amdhsa_forward_progress 1
		.amdhsa_shared_vgpr_count 0
		.amdhsa_exception_fp_ieee_invalid_op 0
		.amdhsa_exception_fp_denorm_src 0
		.amdhsa_exception_fp_ieee_div_zero 0
		.amdhsa_exception_fp_ieee_overflow 0
		.amdhsa_exception_fp_ieee_underflow 0
		.amdhsa_exception_fp_ieee_inexact 0
		.amdhsa_exception_int_div_zero 0
	.end_amdhsa_kernel
	.section	.text._ZN9rocsolver6v33100L18trti2_kernel_smallILi52E19rocblas_complex_numIdEPKPS3_EEv13rocblas_fill_17rocblas_diagonal_T1_iil,"axG",@progbits,_ZN9rocsolver6v33100L18trti2_kernel_smallILi52E19rocblas_complex_numIdEPKPS3_EEv13rocblas_fill_17rocblas_diagonal_T1_iil,comdat
.Lfunc_end115:
	.size	_ZN9rocsolver6v33100L18trti2_kernel_smallILi52E19rocblas_complex_numIdEPKPS3_EEv13rocblas_fill_17rocblas_diagonal_T1_iil, .Lfunc_end115-_ZN9rocsolver6v33100L18trti2_kernel_smallILi52E19rocblas_complex_numIdEPKPS3_EEv13rocblas_fill_17rocblas_diagonal_T1_iil
                                        ; -- End function
	.set _ZN9rocsolver6v33100L18trti2_kernel_smallILi52E19rocblas_complex_numIdEPKPS3_EEv13rocblas_fill_17rocblas_diagonal_T1_iil.num_vgpr, 126
	.set _ZN9rocsolver6v33100L18trti2_kernel_smallILi52E19rocblas_complex_numIdEPKPS3_EEv13rocblas_fill_17rocblas_diagonal_T1_iil.num_agpr, 0
	.set _ZN9rocsolver6v33100L18trti2_kernel_smallILi52E19rocblas_complex_numIdEPKPS3_EEv13rocblas_fill_17rocblas_diagonal_T1_iil.numbered_sgpr, 83
	.set _ZN9rocsolver6v33100L18trti2_kernel_smallILi52E19rocblas_complex_numIdEPKPS3_EEv13rocblas_fill_17rocblas_diagonal_T1_iil.num_named_barrier, 0
	.set _ZN9rocsolver6v33100L18trti2_kernel_smallILi52E19rocblas_complex_numIdEPKPS3_EEv13rocblas_fill_17rocblas_diagonal_T1_iil.private_seg_size, 848
	.set _ZN9rocsolver6v33100L18trti2_kernel_smallILi52E19rocblas_complex_numIdEPKPS3_EEv13rocblas_fill_17rocblas_diagonal_T1_iil.uses_vcc, 1
	.set _ZN9rocsolver6v33100L18trti2_kernel_smallILi52E19rocblas_complex_numIdEPKPS3_EEv13rocblas_fill_17rocblas_diagonal_T1_iil.uses_flat_scratch, 0
	.set _ZN9rocsolver6v33100L18trti2_kernel_smallILi52E19rocblas_complex_numIdEPKPS3_EEv13rocblas_fill_17rocblas_diagonal_T1_iil.has_dyn_sized_stack, 0
	.set _ZN9rocsolver6v33100L18trti2_kernel_smallILi52E19rocblas_complex_numIdEPKPS3_EEv13rocblas_fill_17rocblas_diagonal_T1_iil.has_recursion, 0
	.set _ZN9rocsolver6v33100L18trti2_kernel_smallILi52E19rocblas_complex_numIdEPKPS3_EEv13rocblas_fill_17rocblas_diagonal_T1_iil.has_indirect_call, 0
	.section	.AMDGPU.csdata,"",@progbits
; Kernel info:
; codeLenInByte = 52996
; TotalNumSgprs: 85
; NumVgprs: 126
; ScratchSize: 848
; MemoryBound: 0
; FloatMode: 240
; IeeeMode: 1
; LDSByteSize: 1664 bytes/workgroup (compile time only)
; SGPRBlocks: 0
; VGPRBlocks: 15
; NumSGPRsForWavesPerEU: 85
; NumVGPRsForWavesPerEU: 126
; Occupancy: 8
; WaveLimiterHint : 1
; COMPUTE_PGM_RSRC2:SCRATCH_EN: 1
; COMPUTE_PGM_RSRC2:USER_SGPR: 6
; COMPUTE_PGM_RSRC2:TRAP_HANDLER: 0
; COMPUTE_PGM_RSRC2:TGID_X_EN: 1
; COMPUTE_PGM_RSRC2:TGID_Y_EN: 0
; COMPUTE_PGM_RSRC2:TGID_Z_EN: 0
; COMPUTE_PGM_RSRC2:TIDIG_COMP_CNT: 0
	.section	.text._ZN9rocsolver6v33100L18trti2_kernel_smallILi53E19rocblas_complex_numIdEPKPS3_EEv13rocblas_fill_17rocblas_diagonal_T1_iil,"axG",@progbits,_ZN9rocsolver6v33100L18trti2_kernel_smallILi53E19rocblas_complex_numIdEPKPS3_EEv13rocblas_fill_17rocblas_diagonal_T1_iil,comdat
	.globl	_ZN9rocsolver6v33100L18trti2_kernel_smallILi53E19rocblas_complex_numIdEPKPS3_EEv13rocblas_fill_17rocblas_diagonal_T1_iil ; -- Begin function _ZN9rocsolver6v33100L18trti2_kernel_smallILi53E19rocblas_complex_numIdEPKPS3_EEv13rocblas_fill_17rocblas_diagonal_T1_iil
	.p2align	8
	.type	_ZN9rocsolver6v33100L18trti2_kernel_smallILi53E19rocblas_complex_numIdEPKPS3_EEv13rocblas_fill_17rocblas_diagonal_T1_iil,@function
_ZN9rocsolver6v33100L18trti2_kernel_smallILi53E19rocblas_complex_numIdEPKPS3_EEv13rocblas_fill_17rocblas_diagonal_T1_iil: ; @_ZN9rocsolver6v33100L18trti2_kernel_smallILi53E19rocblas_complex_numIdEPKPS3_EEv13rocblas_fill_17rocblas_diagonal_T1_iil
; %bb.0:
	s_add_u32 s0, s0, s7
	s_addc_u32 s1, s1, 0
	s_mov_b32 s7, exec_lo
	v_cmpx_gt_u32_e32 53, v0
	s_cbranch_execz .LBB116_835
; %bb.1:
	s_clause 0x1
	s_load_dwordx2 s[12:13], s[4:5], 0x10
	s_load_dwordx4 s[8:11], s[4:5], 0x0
	s_ashr_i32 s7, s6, 31
	v_lshlrev_b32_e32 v117, 4, v0
	s_lshl_b64 s[4:5], s[6:7], 3
	s_movk_i32 s14, 0xd0
	s_movk_i32 s15, 0xe0
	;; [unrolled: 1-line block ×15, first 2 shown]
	s_waitcnt lgkmcnt(0)
	s_ashr_i32 s7, s12, 31
	s_add_u32 s4, s10, s4
	s_addc_u32 s5, s11, s5
	s_mov_b32 s6, s12
	s_load_dwordx2 s[4:5], s[4:5], 0x0
	s_lshl_b64 s[6:7], s[6:7], 4
	v_add3_u32 v7, s13, s13, v0
	s_movk_i32 s10, 0x90
	s_movk_i32 s11, 0xa0
	;; [unrolled: 1-line block ×4, first 2 shown]
	v_ashrrev_i32_e32 v8, 31, v7
	s_movk_i32 s30, 0x1d0
	s_movk_i32 s61, 0x1e0
	;; [unrolled: 1-line block ×4, first 2 shown]
	v_lshlrev_b64 v[8:9], 4, v[7:8]
	v_add_nc_u32_e32 v7, s13, v7
	s_movk_i32 s64, 0x210
	s_movk_i32 s65, 0x220
	;; [unrolled: 1-line block ×6, first 2 shown]
	s_waitcnt lgkmcnt(0)
	s_add_u32 s6, s4, s6
	s_addc_u32 s7, s5, s7
	v_add_co_u32 v5, s4, s6, v117
	v_add_co_ci_u32_e64 v6, null, s7, 0, s4
	s_mov_b32 s4, s13
	s_ashr_i32 s5, s13, 31
	s_movk_i32 s70, 0x270
	flat_load_dwordx4 v[1:4], v[5:6]
	s_lshl_b64 s[4:5], s[4:5], 4
	s_cmpk_lg_i32 s9, 0x84
	v_add_co_u32 v59, vcc_lo, v5, s4
	v_add_co_ci_u32_e64 v60, null, s5, v6, vcc_lo
	v_add_co_u32 v57, vcc_lo, s6, v8
	v_add_co_ci_u32_e64 v58, null, s7, v9, vcc_lo
	v_ashrrev_i32_e32 v8, 31, v7
	s_movk_i32 s4, 0x50
	s_movk_i32 s5, 0x60
	;; [unrolled: 1-line block ×4, first 2 shown]
	v_lshlrev_b64 v[8:9], 4, v[7:8]
	v_add_nc_u32_e32 v7, s13, v7
	s_movk_i32 s73, 0x2a0
	s_movk_i32 s74, 0x2b0
	;; [unrolled: 1-line block ×4, first 2 shown]
	v_add_co_u32 v55, vcc_lo, s6, v8
	v_add_co_ci_u32_e64 v56, null, s7, v9, vcc_lo
	v_ashrrev_i32_e32 v8, 31, v7
	s_movk_i32 s77, 0x2e0
	s_movk_i32 s78, 0x2f0
	;; [unrolled: 1-line block ×4, first 2 shown]
	v_lshlrev_b64 v[8:9], 4, v[7:8]
	v_add_nc_u32_e32 v7, s13, v7
	s_movk_i32 s81, 0x320
	s_movk_i32 s82, 0x330
	;; [unrolled: 1-line block ×3, first 2 shown]
	s_cselect_b32 s60, -1, 0
	v_add_co_u32 v53, vcc_lo, s6, v8
	v_add_co_ci_u32_e64 v54, null, s7, v9, vcc_lo
	v_ashrrev_i32_e32 v8, 31, v7
	s_cmpk_eq_i32 s9, 0x84
	s_waitcnt vmcnt(0) lgkmcnt(0)
	buffer_store_dword v4, off, s[0:3], 0 offset:12
	buffer_store_dword v3, off, s[0:3], 0 offset:8
	;; [unrolled: 1-line block ×3, first 2 shown]
	buffer_store_dword v1, off, s[0:3], 0
	flat_load_dwordx4 v[1:4], v[59:60]
	v_lshlrev_b64 v[8:9], 4, v[7:8]
	v_add_nc_u32_e32 v7, s13, v7
	s_waitcnt vmcnt(0) lgkmcnt(0)
	buffer_store_dword v4, off, s[0:3], 0 offset:28
	buffer_store_dword v3, off, s[0:3], 0 offset:24
	buffer_store_dword v2, off, s[0:3], 0 offset:20
	buffer_store_dword v1, off, s[0:3], 0 offset:16
	flat_load_dwordx4 v[1:4], v[57:58]
	v_add_co_u32 v49, vcc_lo, s6, v8
	v_add_co_ci_u32_e64 v50, null, s7, v9, vcc_lo
	v_ashrrev_i32_e32 v8, 31, v7
	s_waitcnt vmcnt(0) lgkmcnt(0)
	buffer_store_dword v4, off, s[0:3], 0 offset:44
	buffer_store_dword v3, off, s[0:3], 0 offset:40
	buffer_store_dword v2, off, s[0:3], 0 offset:36
	buffer_store_dword v1, off, s[0:3], 0 offset:32
	flat_load_dwordx4 v[1:4], v[55:56]
	v_lshlrev_b64 v[8:9], 4, v[7:8]
	v_add_nc_u32_e32 v7, s13, v7
	s_waitcnt vmcnt(0) lgkmcnt(0)
	buffer_store_dword v4, off, s[0:3], 0 offset:60
	buffer_store_dword v3, off, s[0:3], 0 offset:56
	buffer_store_dword v2, off, s[0:3], 0 offset:52
	buffer_store_dword v1, off, s[0:3], 0 offset:48
	flat_load_dwordx4 v[1:4], v[53:54]
	v_add_co_u32 v47, vcc_lo, s6, v8
	v_add_co_ci_u32_e64 v48, null, s7, v9, vcc_lo
	v_ashrrev_i32_e32 v8, 31, v7
	s_waitcnt vmcnt(0) lgkmcnt(0)
	buffer_store_dword v4, off, s[0:3], 0 offset:76
	buffer_store_dword v3, off, s[0:3], 0 offset:72
	buffer_store_dword v2, off, s[0:3], 0 offset:68
	buffer_store_dword v1, off, s[0:3], 0 offset:64
	;; [unrolled: 17-line block ×3, first 2 shown]
	flat_load_dwordx4 v[1:4], v[45:46]
	v_lshlrev_b64 v[8:9], 4, v[7:8]
	v_add_nc_u32_e32 v7, s13, v7
	s_waitcnt vmcnt(0) lgkmcnt(0)
	buffer_store_dword v4, off, s[0:3], 0 offset:124
	buffer_store_dword v3, off, s[0:3], 0 offset:120
	;; [unrolled: 1-line block ×4, first 2 shown]
	v_add_co_u32 v43, vcc_lo, s6, v8
	v_add_co_ci_u32_e64 v44, null, s7, v9, vcc_lo
	v_ashrrev_i32_e32 v8, 31, v7
	flat_load_dwordx4 v[1:4], v[43:44]
	s_waitcnt vmcnt(0) lgkmcnt(0)
	buffer_store_dword v4, off, s[0:3], 0 offset:140
	buffer_store_dword v3, off, s[0:3], 0 offset:136
	buffer_store_dword v2, off, s[0:3], 0 offset:132
	buffer_store_dword v1, off, s[0:3], 0 offset:128
	v_lshlrev_b64 v[8:9], 4, v[7:8]
	v_add_nc_u32_e32 v7, s13, v7
	v_add_co_u32 v41, vcc_lo, s6, v8
	v_add_co_ci_u32_e64 v42, null, s7, v9, vcc_lo
	v_ashrrev_i32_e32 v8, 31, v7
	flat_load_dwordx4 v[1:4], v[41:42]
	s_waitcnt vmcnt(0) lgkmcnt(0)
	buffer_store_dword v4, off, s[0:3], 0 offset:156
	buffer_store_dword v3, off, s[0:3], 0 offset:152
	buffer_store_dword v2, off, s[0:3], 0 offset:148
	buffer_store_dword v1, off, s[0:3], 0 offset:144
	v_lshlrev_b64 v[8:9], 4, v[7:8]
	v_add_nc_u32_e32 v7, s13, v7
	;; [unrolled: 11-line block ×15, first 2 shown]
	v_add_co_u32 v11, vcc_lo, s6, v8
	v_add_co_ci_u32_e64 v12, null, s7, v9, vcc_lo
	v_ashrrev_i32_e32 v8, 31, v7
	v_add_nc_u32_e32 v33, s13, v7
	flat_load_dwordx4 v[1:4], v[11:12]
	s_waitcnt vmcnt(0) lgkmcnt(0)
	buffer_store_dword v4, off, s[0:3], 0 offset:380
	buffer_store_dword v3, off, s[0:3], 0 offset:376
	;; [unrolled: 1-line block ×4, first 2 shown]
	v_lshlrev_b64 v[9:10], 4, v[7:8]
	v_ashrrev_i32_e32 v34, 31, v33
	v_add_nc_u32_e32 v51, s13, v33
	v_add_co_u32 v9, vcc_lo, s6, v9
	v_add_co_ci_u32_e64 v10, null, s7, v10, vcc_lo
	v_lshlrev_b64 v[7:8], 4, v[33:34]
	v_ashrrev_i32_e32 v52, 31, v51
	v_add_nc_u32_e32 v61, s13, v51
	flat_load_dwordx4 v[1:4], v[9:10]
	s_waitcnt vmcnt(0) lgkmcnt(0)
	buffer_store_dword v4, off, s[0:3], 0 offset:396
	buffer_store_dword v3, off, s[0:3], 0 offset:392
	buffer_store_dword v2, off, s[0:3], 0 offset:388
	buffer_store_dword v1, off, s[0:3], 0 offset:384
	v_add_co_u32 v7, vcc_lo, s6, v7
	v_add_co_ci_u32_e64 v8, null, s7, v8, vcc_lo
	v_lshlrev_b64 v[33:34], 4, v[51:52]
	v_ashrrev_i32_e32 v62, 31, v61
	v_add_nc_u32_e32 v63, s13, v61
	flat_load_dwordx4 v[1:4], v[7:8]
	s_waitcnt vmcnt(0) lgkmcnt(0)
	buffer_store_dword v4, off, s[0:3], 0 offset:412
	buffer_store_dword v3, off, s[0:3], 0 offset:408
	buffer_store_dword v2, off, s[0:3], 0 offset:404
	buffer_store_dword v1, off, s[0:3], 0 offset:400
	;; [unrolled: 11-line block ×25, first 2 shown]
	v_add_co_u32 v103, vcc_lo, s6, v103
	v_add_co_ci_u32_e64 v104, null, s7, v104, vcc_lo
	v_lshlrev_b64 v[105:106], 4, v[107:108]
	v_ashrrev_i32_e32 v110, 31, v109
	flat_load_dwordx4 v[1:4], v[103:104]
	s_waitcnt vmcnt(0) lgkmcnt(0)
	buffer_store_dword v4, off, s[0:3], 0 offset:796
	buffer_store_dword v3, off, s[0:3], 0 offset:792
	buffer_store_dword v2, off, s[0:3], 0 offset:788
	buffer_store_dword v1, off, s[0:3], 0 offset:784
	v_add_co_u32 v105, vcc_lo, s6, v105
	v_add_co_ci_u32_e64 v106, null, s7, v106, vcc_lo
	v_lshlrev_b64 v[107:108], 4, v[109:110]
	v_add_nc_u32_e32 v109, s13, v109
	s_movk_i32 s13, 0xc0
	flat_load_dwordx4 v[1:4], v[105:106]
	s_waitcnt vmcnt(0) lgkmcnt(0)
	buffer_store_dword v4, off, s[0:3], 0 offset:812
	buffer_store_dword v3, off, s[0:3], 0 offset:808
	;; [unrolled: 1-line block ×4, first 2 shown]
	v_add_co_u32 v107, vcc_lo, s6, v107
	v_add_co_ci_u32_e64 v108, null, s7, v108, vcc_lo
	v_ashrrev_i32_e32 v110, 31, v109
	flat_load_dwordx4 v[1:4], v[107:108]
	s_waitcnt vmcnt(0) lgkmcnt(0)
	buffer_store_dword v4, off, s[0:3], 0 offset:828
	buffer_store_dword v3, off, s[0:3], 0 offset:824
	;; [unrolled: 1-line block ×4, first 2 shown]
	v_lshlrev_b64 v[109:110], 4, v[109:110]
	v_add_co_u32 v109, vcc_lo, s6, v109
	v_add_co_ci_u32_e64 v110, null, s7, v110, vcc_lo
	s_movk_i32 s6, 0x70
	s_movk_i32 s7, 0x80
	flat_load_dwordx4 v[1:4], v[109:110]
	s_waitcnt vmcnt(0) lgkmcnt(0)
	buffer_store_dword v4, off, s[0:3], 0 offset:844
	buffer_store_dword v3, off, s[0:3], 0 offset:840
	buffer_store_dword v2, off, s[0:3], 0 offset:836
	buffer_store_dword v1, off, s[0:3], 0 offset:832
	s_cbranch_scc1 .LBB116_7
; %bb.2:
	v_lshl_add_u32 v118, v0, 4, 0
                                        ; implicit-def: $vgpr113_vgpr114
                                        ; implicit-def: $vgpr3_vgpr4
	s_clause 0x3
	buffer_load_dword v111, v118, s[0:3], 0 offen
	buffer_load_dword v112, v118, s[0:3], 0 offen offset:4
	buffer_load_dword v115, v118, s[0:3], 0 offen offset:8
	;; [unrolled: 1-line block ×3, first 2 shown]
	s_waitcnt vmcnt(0)
	v_cmp_ngt_f64_e64 s9, |v[111:112]|, |v[115:116]|
	s_and_saveexec_b32 s31, s9
	s_xor_b32 s9, exec_lo, s31
	s_cbranch_execz .LBB116_4
; %bb.3:
	v_div_scale_f64 v[1:2], null, v[115:116], v[115:116], v[111:112]
	v_div_scale_f64 v[119:120], vcc_lo, v[111:112], v[115:116], v[111:112]
	v_rcp_f64_e32 v[3:4], v[1:2]
	v_fma_f64 v[113:114], -v[1:2], v[3:4], 1.0
	v_fma_f64 v[3:4], v[3:4], v[113:114], v[3:4]
	v_fma_f64 v[113:114], -v[1:2], v[3:4], 1.0
	v_fma_f64 v[3:4], v[3:4], v[113:114], v[3:4]
	v_mul_f64 v[113:114], v[119:120], v[3:4]
	v_fma_f64 v[1:2], -v[1:2], v[113:114], v[119:120]
	v_div_fmas_f64 v[1:2], v[1:2], v[3:4], v[113:114]
	v_div_fixup_f64 v[1:2], v[1:2], v[115:116], v[111:112]
	v_fma_f64 v[3:4], v[111:112], v[1:2], v[115:116]
	v_div_scale_f64 v[111:112], null, v[3:4], v[3:4], 1.0
	v_div_scale_f64 v[119:120], vcc_lo, 1.0, v[3:4], 1.0
	v_rcp_f64_e32 v[113:114], v[111:112]
	v_fma_f64 v[115:116], -v[111:112], v[113:114], 1.0
	v_fma_f64 v[113:114], v[113:114], v[115:116], v[113:114]
	v_fma_f64 v[115:116], -v[111:112], v[113:114], 1.0
	v_fma_f64 v[113:114], v[113:114], v[115:116], v[113:114]
	v_mul_f64 v[115:116], v[119:120], v[113:114]
	v_fma_f64 v[111:112], -v[111:112], v[115:116], v[119:120]
	v_div_fmas_f64 v[111:112], v[111:112], v[113:114], v[115:116]
                                        ; implicit-def: $vgpr115_vgpr116
	v_div_fixup_f64 v[3:4], v[111:112], v[3:4], 1.0
                                        ; implicit-def: $vgpr111_vgpr112
	v_mul_f64 v[113:114], v[1:2], v[3:4]
	v_xor_b32_e32 v4, 0x80000000, v4
	v_xor_b32_e32 v2, 0x80000000, v114
	v_mov_b32_e32 v1, v113
.LBB116_4:
	s_andn2_saveexec_b32 s9, s9
	s_cbranch_execz .LBB116_6
; %bb.5:
	v_div_scale_f64 v[1:2], null, v[111:112], v[111:112], v[115:116]
	v_div_scale_f64 v[119:120], vcc_lo, v[115:116], v[111:112], v[115:116]
	v_rcp_f64_e32 v[3:4], v[1:2]
	v_fma_f64 v[113:114], -v[1:2], v[3:4], 1.0
	v_fma_f64 v[3:4], v[3:4], v[113:114], v[3:4]
	v_fma_f64 v[113:114], -v[1:2], v[3:4], 1.0
	v_fma_f64 v[3:4], v[3:4], v[113:114], v[3:4]
	v_mul_f64 v[113:114], v[119:120], v[3:4]
	v_fma_f64 v[1:2], -v[1:2], v[113:114], v[119:120]
	v_div_fmas_f64 v[1:2], v[1:2], v[3:4], v[113:114]
	v_div_fixup_f64 v[1:2], v[1:2], v[111:112], v[115:116]
	v_fma_f64 v[3:4], v[115:116], v[1:2], v[111:112]
	v_div_scale_f64 v[111:112], null, v[3:4], v[3:4], 1.0
	v_rcp_f64_e32 v[113:114], v[111:112]
	v_fma_f64 v[115:116], -v[111:112], v[113:114], 1.0
	v_fma_f64 v[113:114], v[113:114], v[115:116], v[113:114]
	v_fma_f64 v[115:116], -v[111:112], v[113:114], 1.0
	v_fma_f64 v[113:114], v[113:114], v[115:116], v[113:114]
	v_div_scale_f64 v[115:116], vcc_lo, 1.0, v[3:4], 1.0
	v_mul_f64 v[119:120], v[115:116], v[113:114]
	v_fma_f64 v[111:112], -v[111:112], v[119:120], v[115:116]
	v_div_fmas_f64 v[111:112], v[111:112], v[113:114], v[119:120]
	v_div_fixup_f64 v[113:114], v[111:112], v[3:4], 1.0
	v_mul_f64 v[3:4], v[1:2], -v[113:114]
	v_xor_b32_e32 v2, 0x80000000, v114
	v_mov_b32_e32 v1, v113
.LBB116_6:
	s_or_b32 exec_lo, exec_lo, s9
	buffer_store_dword v4, v118, s[0:3], 0 offen offset:12
	v_xor_b32_e32 v4, 0x80000000, v4
	buffer_store_dword v114, v118, s[0:3], 0 offen offset:4
	buffer_store_dword v113, v118, s[0:3], 0 offen
	buffer_store_dword v3, v118, s[0:3], 0 offen offset:8
	s_branch .LBB116_8
.LBB116_7:
	v_mov_b32_e32 v1, 0
	v_mov_b32_e32 v3, 0
	;; [unrolled: 1-line block ×4, first 2 shown]
.LBB116_8:
	v_add_nc_u32_e32 v112, 0x350, v117
	v_mov_b32_e32 v111, v117
	s_mov_b32 s59, 16
	s_mov_b32 s58, 32
	;; [unrolled: 1-line block ×51, first 2 shown]
	s_cmpk_eq_i32 s8, 0x79
	ds_write_b128 v117, v[1:4]
	s_cbranch_scc1 .LBB116_420
; %bb.9:
	v_mov_b32_e32 v4, s7
	v_cmp_eq_u32_e64 s4, 52, v0
	s_clause 0x3
	buffer_load_dword v1, v4, s[0:3], 0 offen
	buffer_load_dword v2, v4, s[0:3], 0 offen offset:4
	buffer_load_dword v3, v4, s[0:3], 0 offen offset:8
	;; [unrolled: 1-line block ×3, first 2 shown]
	s_waitcnt vmcnt(0)
	ds_write_b128 v112, v[1:4]
	s_waitcnt lgkmcnt(0)
	s_waitcnt_vscnt null, 0x0
	s_barrier
	buffer_gl0_inv
	s_and_saveexec_b32 s5, s4
	s_cbranch_execz .LBB116_13
; %bb.10:
	ds_read_b128 v[1:4], v112
	s_andn2_b32 vcc_lo, exec_lo, s60
	s_cbranch_vccnz .LBB116_12
; %bb.11:
	s_clause 0x3
	buffer_load_dword v113, v111, s[0:3], 0 offen offset:8
	buffer_load_dword v114, v111, s[0:3], 0 offen offset:12
	buffer_load_dword v115, v111, s[0:3], 0 offen
	buffer_load_dword v116, v111, s[0:3], 0 offen offset:4
	s_waitcnt vmcnt(2) lgkmcnt(0)
	v_mul_f64 v[118:119], v[3:4], v[113:114]
	v_mul_f64 v[113:114], v[1:2], v[113:114]
	s_waitcnt vmcnt(0)
	v_fma_f64 v[1:2], v[1:2], v[115:116], -v[118:119]
	v_fma_f64 v[3:4], v[3:4], v[115:116], v[113:114]
.LBB116_12:
	v_mov_b32_e32 v113, 0
	ds_read_b128 v[113:116], v113 offset:816
	s_waitcnt lgkmcnt(0)
	v_mul_f64 v[118:119], v[3:4], v[115:116]
	v_mul_f64 v[115:116], v[1:2], v[115:116]
	v_fma_f64 v[1:2], v[1:2], v[113:114], -v[118:119]
	v_fma_f64 v[3:4], v[3:4], v[113:114], v[115:116]
	buffer_store_dword v2, off, s[0:3], 0 offset:820
	buffer_store_dword v1, off, s[0:3], 0 offset:816
	;; [unrolled: 1-line block ×4, first 2 shown]
.LBB116_13:
	s_or_b32 exec_lo, exec_lo, s5
	v_mov_b32_e32 v4, s9
	v_cmp_lt_u32_e64 s5, 50, v0
	s_clause 0x3
	buffer_load_dword v1, v4, s[0:3], 0 offen
	buffer_load_dword v2, v4, s[0:3], 0 offen offset:4
	buffer_load_dword v3, v4, s[0:3], 0 offen offset:8
	;; [unrolled: 1-line block ×3, first 2 shown]
	s_waitcnt vmcnt(0)
	ds_write_b128 v112, v[1:4]
	s_waitcnt lgkmcnt(0)
	s_waitcnt_vscnt null, 0x0
	s_barrier
	buffer_gl0_inv
	s_and_saveexec_b32 s8, s5
	s_cbranch_execz .LBB116_19
; %bb.14:
	ds_read_b128 v[1:4], v112
	s_andn2_b32 vcc_lo, exec_lo, s60
	s_cbranch_vccnz .LBB116_16
; %bb.15:
	s_clause 0x3
	buffer_load_dword v113, v111, s[0:3], 0 offen offset:8
	buffer_load_dword v114, v111, s[0:3], 0 offen offset:12
	buffer_load_dword v115, v111, s[0:3], 0 offen
	buffer_load_dword v116, v111, s[0:3], 0 offen offset:4
	s_waitcnt vmcnt(2) lgkmcnt(0)
	v_mul_f64 v[118:119], v[3:4], v[113:114]
	v_mul_f64 v[113:114], v[1:2], v[113:114]
	s_waitcnt vmcnt(0)
	v_fma_f64 v[1:2], v[1:2], v[115:116], -v[118:119]
	v_fma_f64 v[3:4], v[3:4], v[115:116], v[113:114]
.LBB116_16:
	s_and_saveexec_b32 s61, s4
	s_cbranch_execz .LBB116_18
; %bb.17:
	s_clause 0x3
	buffer_load_dword v118, off, s[0:3], 0 offset:824
	buffer_load_dword v119, off, s[0:3], 0 offset:828
	;; [unrolled: 1-line block ×4, first 2 shown]
	v_mov_b32_e32 v113, 0
	ds_read_b128 v[113:116], v113 offset:1664
	s_waitcnt vmcnt(2) lgkmcnt(0)
	v_mul_f64 v[122:123], v[113:114], v[118:119]
	v_mul_f64 v[118:119], v[115:116], v[118:119]
	s_waitcnt vmcnt(0)
	v_fma_f64 v[115:116], v[115:116], v[120:121], v[122:123]
	v_fma_f64 v[113:114], v[113:114], v[120:121], -v[118:119]
	v_add_f64 v[3:4], v[3:4], v[115:116]
	v_add_f64 v[1:2], v[1:2], v[113:114]
.LBB116_18:
	s_or_b32 exec_lo, exec_lo, s61
	v_mov_b32_e32 v113, 0
	ds_read_b128 v[113:116], v113 offset:800
	s_waitcnt lgkmcnt(0)
	v_mul_f64 v[118:119], v[3:4], v[115:116]
	v_mul_f64 v[115:116], v[1:2], v[115:116]
	v_fma_f64 v[1:2], v[1:2], v[113:114], -v[118:119]
	v_fma_f64 v[3:4], v[3:4], v[113:114], v[115:116]
	buffer_store_dword v2, off, s[0:3], 0 offset:804
	buffer_store_dword v1, off, s[0:3], 0 offset:800
	buffer_store_dword v4, off, s[0:3], 0 offset:812
	buffer_store_dword v3, off, s[0:3], 0 offset:808
.LBB116_19:
	s_or_b32 exec_lo, exec_lo, s8
	v_mov_b32_e32 v4, s10
	v_cmp_lt_u32_e64 s4, 49, v0
	s_clause 0x3
	buffer_load_dword v1, v4, s[0:3], 0 offen
	buffer_load_dword v2, v4, s[0:3], 0 offen offset:4
	buffer_load_dword v3, v4, s[0:3], 0 offen offset:8
	;; [unrolled: 1-line block ×3, first 2 shown]
	s_waitcnt vmcnt(0)
	ds_write_b128 v112, v[1:4]
	s_waitcnt lgkmcnt(0)
	s_waitcnt_vscnt null, 0x0
	s_barrier
	buffer_gl0_inv
	s_and_saveexec_b32 s8, s4
	s_cbranch_execz .LBB116_27
; %bb.20:
	ds_read_b128 v[1:4], v112
	s_andn2_b32 vcc_lo, exec_lo, s60
	s_cbranch_vccnz .LBB116_22
; %bb.21:
	s_clause 0x3
	buffer_load_dword v113, v111, s[0:3], 0 offen offset:8
	buffer_load_dword v114, v111, s[0:3], 0 offen offset:12
	buffer_load_dword v115, v111, s[0:3], 0 offen
	buffer_load_dword v116, v111, s[0:3], 0 offen offset:4
	s_waitcnt vmcnt(2) lgkmcnt(0)
	v_mul_f64 v[118:119], v[3:4], v[113:114]
	v_mul_f64 v[113:114], v[1:2], v[113:114]
	s_waitcnt vmcnt(0)
	v_fma_f64 v[1:2], v[1:2], v[115:116], -v[118:119]
	v_fma_f64 v[3:4], v[3:4], v[115:116], v[113:114]
.LBB116_22:
	s_and_saveexec_b32 s61, s5
	s_cbranch_execz .LBB116_26
; %bb.23:
	v_subrev_nc_u32_e32 v113, 50, v0
	s_movk_i32 s62, 0x670
	s_mov_b32 s5, 0
	s_mov_b32 s63, s9
	.p2align	6
.LBB116_24:                             ; =>This Inner Loop Header: Depth=1
	v_mov_b32_e32 v116, s63
	v_add_nc_u32_e32 v113, -1, v113
	s_add_i32 s63, s63, 16
	s_clause 0x3
	buffer_load_dword v114, v116, s[0:3], 0 offen offset:8
	buffer_load_dword v115, v116, s[0:3], 0 offen offset:12
	buffer_load_dword v122, v116, s[0:3], 0 offen
	buffer_load_dword v123, v116, s[0:3], 0 offen offset:4
	v_mov_b32_e32 v116, s62
	v_cmp_eq_u32_e32 vcc_lo, 0, v113
	s_add_i32 s62, s62, 16
	ds_read_b128 v[118:121], v116
	s_or_b32 s5, vcc_lo, s5
	s_waitcnt vmcnt(2) lgkmcnt(0)
	v_mul_f64 v[124:125], v[120:121], v[114:115]
	v_mul_f64 v[114:115], v[118:119], v[114:115]
	s_waitcnt vmcnt(0)
	v_fma_f64 v[118:119], v[118:119], v[122:123], -v[124:125]
	v_fma_f64 v[114:115], v[120:121], v[122:123], v[114:115]
	v_add_f64 v[1:2], v[1:2], v[118:119]
	v_add_f64 v[3:4], v[3:4], v[114:115]
	s_andn2_b32 exec_lo, exec_lo, s5
	s_cbranch_execnz .LBB116_24
; %bb.25:
	s_or_b32 exec_lo, exec_lo, s5
.LBB116_26:
	s_or_b32 exec_lo, exec_lo, s61
	v_mov_b32_e32 v113, 0
	ds_read_b128 v[113:116], v113 offset:784
	s_waitcnt lgkmcnt(0)
	v_mul_f64 v[118:119], v[3:4], v[115:116]
	v_mul_f64 v[115:116], v[1:2], v[115:116]
	v_fma_f64 v[1:2], v[1:2], v[113:114], -v[118:119]
	v_fma_f64 v[3:4], v[3:4], v[113:114], v[115:116]
	buffer_store_dword v2, off, s[0:3], 0 offset:788
	buffer_store_dword v1, off, s[0:3], 0 offset:784
	;; [unrolled: 1-line block ×4, first 2 shown]
.LBB116_27:
	s_or_b32 exec_lo, exec_lo, s8
	v_mov_b32_e32 v4, s11
	v_cmp_lt_u32_e64 s5, 48, v0
	s_clause 0x3
	buffer_load_dword v1, v4, s[0:3], 0 offen
	buffer_load_dword v2, v4, s[0:3], 0 offen offset:4
	buffer_load_dword v3, v4, s[0:3], 0 offen offset:8
	;; [unrolled: 1-line block ×3, first 2 shown]
	s_waitcnt vmcnt(0)
	ds_write_b128 v112, v[1:4]
	s_waitcnt lgkmcnt(0)
	s_waitcnt_vscnt null, 0x0
	s_barrier
	buffer_gl0_inv
	s_and_saveexec_b32 s8, s5
	s_cbranch_execz .LBB116_35
; %bb.28:
	ds_read_b128 v[1:4], v112
	s_andn2_b32 vcc_lo, exec_lo, s60
	s_cbranch_vccnz .LBB116_30
; %bb.29:
	s_clause 0x3
	buffer_load_dword v113, v111, s[0:3], 0 offen offset:8
	buffer_load_dword v114, v111, s[0:3], 0 offen offset:12
	buffer_load_dword v115, v111, s[0:3], 0 offen
	buffer_load_dword v116, v111, s[0:3], 0 offen offset:4
	s_waitcnt vmcnt(2) lgkmcnt(0)
	v_mul_f64 v[118:119], v[3:4], v[113:114]
	v_mul_f64 v[113:114], v[1:2], v[113:114]
	s_waitcnt vmcnt(0)
	v_fma_f64 v[1:2], v[1:2], v[115:116], -v[118:119]
	v_fma_f64 v[3:4], v[3:4], v[115:116], v[113:114]
.LBB116_30:
	s_and_saveexec_b32 s61, s4
	s_cbranch_execz .LBB116_34
; %bb.31:
	v_subrev_nc_u32_e32 v113, 49, v0
	s_movk_i32 s62, 0x660
	s_mov_b32 s4, 0
	s_mov_b32 s63, s10
	.p2align	6
.LBB116_32:                             ; =>This Inner Loop Header: Depth=1
	v_mov_b32_e32 v116, s63
	v_add_nc_u32_e32 v113, -1, v113
	s_add_i32 s63, s63, 16
	s_clause 0x3
	buffer_load_dword v114, v116, s[0:3], 0 offen offset:8
	buffer_load_dword v115, v116, s[0:3], 0 offen offset:12
	buffer_load_dword v122, v116, s[0:3], 0 offen
	buffer_load_dword v123, v116, s[0:3], 0 offen offset:4
	v_mov_b32_e32 v116, s62
	v_cmp_eq_u32_e32 vcc_lo, 0, v113
	s_add_i32 s62, s62, 16
	ds_read_b128 v[118:121], v116
	s_or_b32 s4, vcc_lo, s4
	s_waitcnt vmcnt(2) lgkmcnt(0)
	v_mul_f64 v[124:125], v[120:121], v[114:115]
	v_mul_f64 v[114:115], v[118:119], v[114:115]
	s_waitcnt vmcnt(0)
	v_fma_f64 v[118:119], v[118:119], v[122:123], -v[124:125]
	v_fma_f64 v[114:115], v[120:121], v[122:123], v[114:115]
	v_add_f64 v[1:2], v[1:2], v[118:119]
	v_add_f64 v[3:4], v[3:4], v[114:115]
	s_andn2_b32 exec_lo, exec_lo, s4
	s_cbranch_execnz .LBB116_32
; %bb.33:
	s_or_b32 exec_lo, exec_lo, s4
.LBB116_34:
	s_or_b32 exec_lo, exec_lo, s61
	v_mov_b32_e32 v113, 0
	ds_read_b128 v[113:116], v113 offset:768
	s_waitcnt lgkmcnt(0)
	v_mul_f64 v[118:119], v[3:4], v[115:116]
	v_mul_f64 v[115:116], v[1:2], v[115:116]
	v_fma_f64 v[1:2], v[1:2], v[113:114], -v[118:119]
	v_fma_f64 v[3:4], v[3:4], v[113:114], v[115:116]
	buffer_store_dword v2, off, s[0:3], 0 offset:772
	buffer_store_dword v1, off, s[0:3], 0 offset:768
	;; [unrolled: 1-line block ×4, first 2 shown]
.LBB116_35:
	s_or_b32 exec_lo, exec_lo, s8
	v_mov_b32_e32 v4, s12
	v_cmp_lt_u32_e64 s4, 47, v0
	s_clause 0x3
	buffer_load_dword v1, v4, s[0:3], 0 offen
	buffer_load_dword v2, v4, s[0:3], 0 offen offset:4
	buffer_load_dword v3, v4, s[0:3], 0 offen offset:8
	;; [unrolled: 1-line block ×3, first 2 shown]
	s_waitcnt vmcnt(0)
	ds_write_b128 v112, v[1:4]
	s_waitcnt lgkmcnt(0)
	s_waitcnt_vscnt null, 0x0
	s_barrier
	buffer_gl0_inv
	s_and_saveexec_b32 s8, s4
	s_cbranch_execz .LBB116_43
; %bb.36:
	ds_read_b128 v[1:4], v112
	s_andn2_b32 vcc_lo, exec_lo, s60
	s_cbranch_vccnz .LBB116_38
; %bb.37:
	s_clause 0x3
	buffer_load_dword v113, v111, s[0:3], 0 offen offset:8
	buffer_load_dword v114, v111, s[0:3], 0 offen offset:12
	buffer_load_dword v115, v111, s[0:3], 0 offen
	buffer_load_dword v116, v111, s[0:3], 0 offen offset:4
	s_waitcnt vmcnt(2) lgkmcnt(0)
	v_mul_f64 v[118:119], v[3:4], v[113:114]
	v_mul_f64 v[113:114], v[1:2], v[113:114]
	s_waitcnt vmcnt(0)
	v_fma_f64 v[1:2], v[1:2], v[115:116], -v[118:119]
	v_fma_f64 v[3:4], v[3:4], v[115:116], v[113:114]
.LBB116_38:
	s_and_saveexec_b32 s61, s5
	s_cbranch_execz .LBB116_42
; %bb.39:
	v_subrev_nc_u32_e32 v113, 48, v0
	s_movk_i32 s62, 0x650
	s_mov_b32 s5, 0
	s_mov_b32 s63, s11
	.p2align	6
.LBB116_40:                             ; =>This Inner Loop Header: Depth=1
	v_mov_b32_e32 v116, s63
	v_add_nc_u32_e32 v113, -1, v113
	s_add_i32 s63, s63, 16
	s_clause 0x3
	buffer_load_dword v114, v116, s[0:3], 0 offen offset:8
	buffer_load_dword v115, v116, s[0:3], 0 offen offset:12
	buffer_load_dword v122, v116, s[0:3], 0 offen
	buffer_load_dword v123, v116, s[0:3], 0 offen offset:4
	v_mov_b32_e32 v116, s62
	v_cmp_eq_u32_e32 vcc_lo, 0, v113
	s_add_i32 s62, s62, 16
	ds_read_b128 v[118:121], v116
	s_or_b32 s5, vcc_lo, s5
	s_waitcnt vmcnt(2) lgkmcnt(0)
	v_mul_f64 v[124:125], v[120:121], v[114:115]
	v_mul_f64 v[114:115], v[118:119], v[114:115]
	s_waitcnt vmcnt(0)
	v_fma_f64 v[118:119], v[118:119], v[122:123], -v[124:125]
	v_fma_f64 v[114:115], v[120:121], v[122:123], v[114:115]
	v_add_f64 v[1:2], v[1:2], v[118:119]
	v_add_f64 v[3:4], v[3:4], v[114:115]
	s_andn2_b32 exec_lo, exec_lo, s5
	s_cbranch_execnz .LBB116_40
; %bb.41:
	s_or_b32 exec_lo, exec_lo, s5
.LBB116_42:
	s_or_b32 exec_lo, exec_lo, s61
	v_mov_b32_e32 v113, 0
	ds_read_b128 v[113:116], v113 offset:752
	s_waitcnt lgkmcnt(0)
	v_mul_f64 v[118:119], v[3:4], v[115:116]
	v_mul_f64 v[115:116], v[1:2], v[115:116]
	v_fma_f64 v[1:2], v[1:2], v[113:114], -v[118:119]
	v_fma_f64 v[3:4], v[3:4], v[113:114], v[115:116]
	buffer_store_dword v2, off, s[0:3], 0 offset:756
	buffer_store_dword v1, off, s[0:3], 0 offset:752
	;; [unrolled: 1-line block ×4, first 2 shown]
.LBB116_43:
	s_or_b32 exec_lo, exec_lo, s8
	v_mov_b32_e32 v4, s13
	v_cmp_lt_u32_e64 s5, 46, v0
	s_clause 0x3
	buffer_load_dword v1, v4, s[0:3], 0 offen
	buffer_load_dword v2, v4, s[0:3], 0 offen offset:4
	buffer_load_dword v3, v4, s[0:3], 0 offen offset:8
	;; [unrolled: 1-line block ×3, first 2 shown]
	s_waitcnt vmcnt(0)
	ds_write_b128 v112, v[1:4]
	s_waitcnt lgkmcnt(0)
	s_waitcnt_vscnt null, 0x0
	s_barrier
	buffer_gl0_inv
	s_and_saveexec_b32 s8, s5
	s_cbranch_execz .LBB116_51
; %bb.44:
	ds_read_b128 v[1:4], v112
	s_andn2_b32 vcc_lo, exec_lo, s60
	s_cbranch_vccnz .LBB116_46
; %bb.45:
	s_clause 0x3
	buffer_load_dword v113, v111, s[0:3], 0 offen offset:8
	buffer_load_dword v114, v111, s[0:3], 0 offen offset:12
	buffer_load_dword v115, v111, s[0:3], 0 offen
	buffer_load_dword v116, v111, s[0:3], 0 offen offset:4
	s_waitcnt vmcnt(2) lgkmcnt(0)
	v_mul_f64 v[118:119], v[3:4], v[113:114]
	v_mul_f64 v[113:114], v[1:2], v[113:114]
	s_waitcnt vmcnt(0)
	v_fma_f64 v[1:2], v[1:2], v[115:116], -v[118:119]
	v_fma_f64 v[3:4], v[3:4], v[115:116], v[113:114]
.LBB116_46:
	s_and_saveexec_b32 s61, s4
	s_cbranch_execz .LBB116_50
; %bb.47:
	v_subrev_nc_u32_e32 v113, 47, v0
	s_movk_i32 s62, 0x640
	s_mov_b32 s4, 0
	s_mov_b32 s63, s12
	.p2align	6
.LBB116_48:                             ; =>This Inner Loop Header: Depth=1
	v_mov_b32_e32 v116, s63
	v_add_nc_u32_e32 v113, -1, v113
	s_add_i32 s63, s63, 16
	s_clause 0x3
	buffer_load_dword v114, v116, s[0:3], 0 offen offset:8
	buffer_load_dword v115, v116, s[0:3], 0 offen offset:12
	buffer_load_dword v122, v116, s[0:3], 0 offen
	buffer_load_dword v123, v116, s[0:3], 0 offen offset:4
	v_mov_b32_e32 v116, s62
	v_cmp_eq_u32_e32 vcc_lo, 0, v113
	s_add_i32 s62, s62, 16
	ds_read_b128 v[118:121], v116
	s_or_b32 s4, vcc_lo, s4
	s_waitcnt vmcnt(2) lgkmcnt(0)
	v_mul_f64 v[124:125], v[120:121], v[114:115]
	v_mul_f64 v[114:115], v[118:119], v[114:115]
	s_waitcnt vmcnt(0)
	v_fma_f64 v[118:119], v[118:119], v[122:123], -v[124:125]
	v_fma_f64 v[114:115], v[120:121], v[122:123], v[114:115]
	v_add_f64 v[1:2], v[1:2], v[118:119]
	v_add_f64 v[3:4], v[3:4], v[114:115]
	s_andn2_b32 exec_lo, exec_lo, s4
	s_cbranch_execnz .LBB116_48
; %bb.49:
	s_or_b32 exec_lo, exec_lo, s4
.LBB116_50:
	s_or_b32 exec_lo, exec_lo, s61
	v_mov_b32_e32 v113, 0
	ds_read_b128 v[113:116], v113 offset:736
	s_waitcnt lgkmcnt(0)
	v_mul_f64 v[118:119], v[3:4], v[115:116]
	v_mul_f64 v[115:116], v[1:2], v[115:116]
	v_fma_f64 v[1:2], v[1:2], v[113:114], -v[118:119]
	v_fma_f64 v[3:4], v[3:4], v[113:114], v[115:116]
	buffer_store_dword v2, off, s[0:3], 0 offset:740
	buffer_store_dword v1, off, s[0:3], 0 offset:736
	;; [unrolled: 1-line block ×4, first 2 shown]
.LBB116_51:
	s_or_b32 exec_lo, exec_lo, s8
	v_mov_b32_e32 v4, s14
	v_cmp_lt_u32_e64 s4, 45, v0
	s_clause 0x3
	buffer_load_dword v1, v4, s[0:3], 0 offen
	buffer_load_dword v2, v4, s[0:3], 0 offen offset:4
	buffer_load_dword v3, v4, s[0:3], 0 offen offset:8
	buffer_load_dword v4, v4, s[0:3], 0 offen offset:12
	s_waitcnt vmcnt(0)
	ds_write_b128 v112, v[1:4]
	s_waitcnt lgkmcnt(0)
	s_waitcnt_vscnt null, 0x0
	s_barrier
	buffer_gl0_inv
	s_and_saveexec_b32 s8, s4
	s_cbranch_execz .LBB116_59
; %bb.52:
	ds_read_b128 v[1:4], v112
	s_andn2_b32 vcc_lo, exec_lo, s60
	s_cbranch_vccnz .LBB116_54
; %bb.53:
	s_clause 0x3
	buffer_load_dword v113, v111, s[0:3], 0 offen offset:8
	buffer_load_dword v114, v111, s[0:3], 0 offen offset:12
	buffer_load_dword v115, v111, s[0:3], 0 offen
	buffer_load_dword v116, v111, s[0:3], 0 offen offset:4
	s_waitcnt vmcnt(2) lgkmcnt(0)
	v_mul_f64 v[118:119], v[3:4], v[113:114]
	v_mul_f64 v[113:114], v[1:2], v[113:114]
	s_waitcnt vmcnt(0)
	v_fma_f64 v[1:2], v[1:2], v[115:116], -v[118:119]
	v_fma_f64 v[3:4], v[3:4], v[115:116], v[113:114]
.LBB116_54:
	s_and_saveexec_b32 s61, s5
	s_cbranch_execz .LBB116_58
; %bb.55:
	v_subrev_nc_u32_e32 v113, 46, v0
	s_movk_i32 s62, 0x630
	s_mov_b32 s5, 0
	s_mov_b32 s63, s13
	.p2align	6
.LBB116_56:                             ; =>This Inner Loop Header: Depth=1
	v_mov_b32_e32 v116, s63
	v_add_nc_u32_e32 v113, -1, v113
	s_add_i32 s63, s63, 16
	s_clause 0x3
	buffer_load_dword v114, v116, s[0:3], 0 offen offset:8
	buffer_load_dword v115, v116, s[0:3], 0 offen offset:12
	buffer_load_dword v122, v116, s[0:3], 0 offen
	buffer_load_dword v123, v116, s[0:3], 0 offen offset:4
	v_mov_b32_e32 v116, s62
	v_cmp_eq_u32_e32 vcc_lo, 0, v113
	s_add_i32 s62, s62, 16
	ds_read_b128 v[118:121], v116
	s_or_b32 s5, vcc_lo, s5
	s_waitcnt vmcnt(2) lgkmcnt(0)
	v_mul_f64 v[124:125], v[120:121], v[114:115]
	v_mul_f64 v[114:115], v[118:119], v[114:115]
	s_waitcnt vmcnt(0)
	v_fma_f64 v[118:119], v[118:119], v[122:123], -v[124:125]
	v_fma_f64 v[114:115], v[120:121], v[122:123], v[114:115]
	v_add_f64 v[1:2], v[1:2], v[118:119]
	v_add_f64 v[3:4], v[3:4], v[114:115]
	s_andn2_b32 exec_lo, exec_lo, s5
	s_cbranch_execnz .LBB116_56
; %bb.57:
	s_or_b32 exec_lo, exec_lo, s5
.LBB116_58:
	s_or_b32 exec_lo, exec_lo, s61
	v_mov_b32_e32 v113, 0
	ds_read_b128 v[113:116], v113 offset:720
	s_waitcnt lgkmcnt(0)
	v_mul_f64 v[118:119], v[3:4], v[115:116]
	v_mul_f64 v[115:116], v[1:2], v[115:116]
	v_fma_f64 v[1:2], v[1:2], v[113:114], -v[118:119]
	v_fma_f64 v[3:4], v[3:4], v[113:114], v[115:116]
	buffer_store_dword v2, off, s[0:3], 0 offset:724
	buffer_store_dword v1, off, s[0:3], 0 offset:720
	;; [unrolled: 1-line block ×4, first 2 shown]
.LBB116_59:
	s_or_b32 exec_lo, exec_lo, s8
	v_mov_b32_e32 v4, s15
	v_cmp_lt_u32_e64 s5, 44, v0
	s_clause 0x3
	buffer_load_dword v1, v4, s[0:3], 0 offen
	buffer_load_dword v2, v4, s[0:3], 0 offen offset:4
	buffer_load_dword v3, v4, s[0:3], 0 offen offset:8
	;; [unrolled: 1-line block ×3, first 2 shown]
	s_waitcnt vmcnt(0)
	ds_write_b128 v112, v[1:4]
	s_waitcnt lgkmcnt(0)
	s_waitcnt_vscnt null, 0x0
	s_barrier
	buffer_gl0_inv
	s_and_saveexec_b32 s8, s5
	s_cbranch_execz .LBB116_67
; %bb.60:
	ds_read_b128 v[1:4], v112
	s_andn2_b32 vcc_lo, exec_lo, s60
	s_cbranch_vccnz .LBB116_62
; %bb.61:
	s_clause 0x3
	buffer_load_dword v113, v111, s[0:3], 0 offen offset:8
	buffer_load_dword v114, v111, s[0:3], 0 offen offset:12
	buffer_load_dword v115, v111, s[0:3], 0 offen
	buffer_load_dword v116, v111, s[0:3], 0 offen offset:4
	s_waitcnt vmcnt(2) lgkmcnt(0)
	v_mul_f64 v[118:119], v[3:4], v[113:114]
	v_mul_f64 v[113:114], v[1:2], v[113:114]
	s_waitcnt vmcnt(0)
	v_fma_f64 v[1:2], v[1:2], v[115:116], -v[118:119]
	v_fma_f64 v[3:4], v[3:4], v[115:116], v[113:114]
.LBB116_62:
	s_and_saveexec_b32 s61, s4
	s_cbranch_execz .LBB116_66
; %bb.63:
	v_subrev_nc_u32_e32 v113, 45, v0
	s_movk_i32 s62, 0x620
	s_mov_b32 s4, 0
	s_mov_b32 s63, s14
	.p2align	6
.LBB116_64:                             ; =>This Inner Loop Header: Depth=1
	v_mov_b32_e32 v116, s63
	v_add_nc_u32_e32 v113, -1, v113
	s_add_i32 s63, s63, 16
	s_clause 0x3
	buffer_load_dword v114, v116, s[0:3], 0 offen offset:8
	buffer_load_dword v115, v116, s[0:3], 0 offen offset:12
	buffer_load_dword v122, v116, s[0:3], 0 offen
	buffer_load_dword v123, v116, s[0:3], 0 offen offset:4
	v_mov_b32_e32 v116, s62
	v_cmp_eq_u32_e32 vcc_lo, 0, v113
	s_add_i32 s62, s62, 16
	ds_read_b128 v[118:121], v116
	s_or_b32 s4, vcc_lo, s4
	s_waitcnt vmcnt(2) lgkmcnt(0)
	v_mul_f64 v[124:125], v[120:121], v[114:115]
	v_mul_f64 v[114:115], v[118:119], v[114:115]
	s_waitcnt vmcnt(0)
	v_fma_f64 v[118:119], v[118:119], v[122:123], -v[124:125]
	v_fma_f64 v[114:115], v[120:121], v[122:123], v[114:115]
	v_add_f64 v[1:2], v[1:2], v[118:119]
	v_add_f64 v[3:4], v[3:4], v[114:115]
	s_andn2_b32 exec_lo, exec_lo, s4
	s_cbranch_execnz .LBB116_64
; %bb.65:
	s_or_b32 exec_lo, exec_lo, s4
.LBB116_66:
	s_or_b32 exec_lo, exec_lo, s61
	v_mov_b32_e32 v113, 0
	ds_read_b128 v[113:116], v113 offset:704
	s_waitcnt lgkmcnt(0)
	v_mul_f64 v[118:119], v[3:4], v[115:116]
	v_mul_f64 v[115:116], v[1:2], v[115:116]
	v_fma_f64 v[1:2], v[1:2], v[113:114], -v[118:119]
	v_fma_f64 v[3:4], v[3:4], v[113:114], v[115:116]
	buffer_store_dword v2, off, s[0:3], 0 offset:708
	buffer_store_dword v1, off, s[0:3], 0 offset:704
	buffer_store_dword v4, off, s[0:3], 0 offset:716
	buffer_store_dword v3, off, s[0:3], 0 offset:712
.LBB116_67:
	s_or_b32 exec_lo, exec_lo, s8
	v_mov_b32_e32 v4, s16
	v_cmp_lt_u32_e64 s4, 43, v0
	s_clause 0x3
	buffer_load_dword v1, v4, s[0:3], 0 offen
	buffer_load_dword v2, v4, s[0:3], 0 offen offset:4
	buffer_load_dword v3, v4, s[0:3], 0 offen offset:8
	;; [unrolled: 1-line block ×3, first 2 shown]
	s_waitcnt vmcnt(0)
	ds_write_b128 v112, v[1:4]
	s_waitcnt lgkmcnt(0)
	s_waitcnt_vscnt null, 0x0
	s_barrier
	buffer_gl0_inv
	s_and_saveexec_b32 s8, s4
	s_cbranch_execz .LBB116_75
; %bb.68:
	ds_read_b128 v[1:4], v112
	s_andn2_b32 vcc_lo, exec_lo, s60
	s_cbranch_vccnz .LBB116_70
; %bb.69:
	s_clause 0x3
	buffer_load_dword v113, v111, s[0:3], 0 offen offset:8
	buffer_load_dword v114, v111, s[0:3], 0 offen offset:12
	buffer_load_dword v115, v111, s[0:3], 0 offen
	buffer_load_dword v116, v111, s[0:3], 0 offen offset:4
	s_waitcnt vmcnt(2) lgkmcnt(0)
	v_mul_f64 v[118:119], v[3:4], v[113:114]
	v_mul_f64 v[113:114], v[1:2], v[113:114]
	s_waitcnt vmcnt(0)
	v_fma_f64 v[1:2], v[1:2], v[115:116], -v[118:119]
	v_fma_f64 v[3:4], v[3:4], v[115:116], v[113:114]
.LBB116_70:
	s_and_saveexec_b32 s61, s5
	s_cbranch_execz .LBB116_74
; %bb.71:
	v_subrev_nc_u32_e32 v113, 44, v0
	s_movk_i32 s62, 0x610
	s_mov_b32 s5, 0
	s_mov_b32 s63, s15
	.p2align	6
.LBB116_72:                             ; =>This Inner Loop Header: Depth=1
	v_mov_b32_e32 v116, s63
	v_add_nc_u32_e32 v113, -1, v113
	s_add_i32 s63, s63, 16
	s_clause 0x3
	buffer_load_dword v114, v116, s[0:3], 0 offen offset:8
	buffer_load_dword v115, v116, s[0:3], 0 offen offset:12
	buffer_load_dword v122, v116, s[0:3], 0 offen
	buffer_load_dword v123, v116, s[0:3], 0 offen offset:4
	v_mov_b32_e32 v116, s62
	v_cmp_eq_u32_e32 vcc_lo, 0, v113
	s_add_i32 s62, s62, 16
	ds_read_b128 v[118:121], v116
	s_or_b32 s5, vcc_lo, s5
	s_waitcnt vmcnt(2) lgkmcnt(0)
	v_mul_f64 v[124:125], v[120:121], v[114:115]
	v_mul_f64 v[114:115], v[118:119], v[114:115]
	s_waitcnt vmcnt(0)
	v_fma_f64 v[118:119], v[118:119], v[122:123], -v[124:125]
	v_fma_f64 v[114:115], v[120:121], v[122:123], v[114:115]
	v_add_f64 v[1:2], v[1:2], v[118:119]
	v_add_f64 v[3:4], v[3:4], v[114:115]
	s_andn2_b32 exec_lo, exec_lo, s5
	s_cbranch_execnz .LBB116_72
; %bb.73:
	s_or_b32 exec_lo, exec_lo, s5
.LBB116_74:
	s_or_b32 exec_lo, exec_lo, s61
	v_mov_b32_e32 v113, 0
	ds_read_b128 v[113:116], v113 offset:688
	s_waitcnt lgkmcnt(0)
	v_mul_f64 v[118:119], v[3:4], v[115:116]
	v_mul_f64 v[115:116], v[1:2], v[115:116]
	v_fma_f64 v[1:2], v[1:2], v[113:114], -v[118:119]
	v_fma_f64 v[3:4], v[3:4], v[113:114], v[115:116]
	buffer_store_dword v2, off, s[0:3], 0 offset:692
	buffer_store_dword v1, off, s[0:3], 0 offset:688
	;; [unrolled: 1-line block ×4, first 2 shown]
.LBB116_75:
	s_or_b32 exec_lo, exec_lo, s8
	v_mov_b32_e32 v4, s17
	v_cmp_lt_u32_e64 s5, 42, v0
	s_clause 0x3
	buffer_load_dword v1, v4, s[0:3], 0 offen
	buffer_load_dword v2, v4, s[0:3], 0 offen offset:4
	buffer_load_dword v3, v4, s[0:3], 0 offen offset:8
	;; [unrolled: 1-line block ×3, first 2 shown]
	s_waitcnt vmcnt(0)
	ds_write_b128 v112, v[1:4]
	s_waitcnt lgkmcnt(0)
	s_waitcnt_vscnt null, 0x0
	s_barrier
	buffer_gl0_inv
	s_and_saveexec_b32 s8, s5
	s_cbranch_execz .LBB116_83
; %bb.76:
	ds_read_b128 v[1:4], v112
	s_andn2_b32 vcc_lo, exec_lo, s60
	s_cbranch_vccnz .LBB116_78
; %bb.77:
	s_clause 0x3
	buffer_load_dword v113, v111, s[0:3], 0 offen offset:8
	buffer_load_dword v114, v111, s[0:3], 0 offen offset:12
	buffer_load_dword v115, v111, s[0:3], 0 offen
	buffer_load_dword v116, v111, s[0:3], 0 offen offset:4
	s_waitcnt vmcnt(2) lgkmcnt(0)
	v_mul_f64 v[118:119], v[3:4], v[113:114]
	v_mul_f64 v[113:114], v[1:2], v[113:114]
	s_waitcnt vmcnt(0)
	v_fma_f64 v[1:2], v[1:2], v[115:116], -v[118:119]
	v_fma_f64 v[3:4], v[3:4], v[115:116], v[113:114]
.LBB116_78:
	s_and_saveexec_b32 s61, s4
	s_cbranch_execz .LBB116_82
; %bb.79:
	v_subrev_nc_u32_e32 v113, 43, v0
	s_movk_i32 s62, 0x600
	s_mov_b32 s4, 0
	s_mov_b32 s63, s16
	.p2align	6
.LBB116_80:                             ; =>This Inner Loop Header: Depth=1
	v_mov_b32_e32 v116, s63
	v_add_nc_u32_e32 v113, -1, v113
	s_add_i32 s63, s63, 16
	s_clause 0x3
	buffer_load_dword v114, v116, s[0:3], 0 offen offset:8
	buffer_load_dword v115, v116, s[0:3], 0 offen offset:12
	buffer_load_dword v122, v116, s[0:3], 0 offen
	buffer_load_dword v123, v116, s[0:3], 0 offen offset:4
	v_mov_b32_e32 v116, s62
	v_cmp_eq_u32_e32 vcc_lo, 0, v113
	s_add_i32 s62, s62, 16
	ds_read_b128 v[118:121], v116
	s_or_b32 s4, vcc_lo, s4
	s_waitcnt vmcnt(2) lgkmcnt(0)
	v_mul_f64 v[124:125], v[120:121], v[114:115]
	v_mul_f64 v[114:115], v[118:119], v[114:115]
	s_waitcnt vmcnt(0)
	v_fma_f64 v[118:119], v[118:119], v[122:123], -v[124:125]
	v_fma_f64 v[114:115], v[120:121], v[122:123], v[114:115]
	v_add_f64 v[1:2], v[1:2], v[118:119]
	v_add_f64 v[3:4], v[3:4], v[114:115]
	s_andn2_b32 exec_lo, exec_lo, s4
	s_cbranch_execnz .LBB116_80
; %bb.81:
	s_or_b32 exec_lo, exec_lo, s4
.LBB116_82:
	s_or_b32 exec_lo, exec_lo, s61
	v_mov_b32_e32 v113, 0
	ds_read_b128 v[113:116], v113 offset:672
	s_waitcnt lgkmcnt(0)
	v_mul_f64 v[118:119], v[3:4], v[115:116]
	v_mul_f64 v[115:116], v[1:2], v[115:116]
	v_fma_f64 v[1:2], v[1:2], v[113:114], -v[118:119]
	v_fma_f64 v[3:4], v[3:4], v[113:114], v[115:116]
	buffer_store_dword v2, off, s[0:3], 0 offset:676
	buffer_store_dword v1, off, s[0:3], 0 offset:672
	;; [unrolled: 1-line block ×4, first 2 shown]
.LBB116_83:
	s_or_b32 exec_lo, exec_lo, s8
	v_mov_b32_e32 v4, s18
	v_cmp_lt_u32_e64 s4, 41, v0
	s_clause 0x3
	buffer_load_dword v1, v4, s[0:3], 0 offen
	buffer_load_dword v2, v4, s[0:3], 0 offen offset:4
	buffer_load_dword v3, v4, s[0:3], 0 offen offset:8
	buffer_load_dword v4, v4, s[0:3], 0 offen offset:12
	s_waitcnt vmcnt(0)
	ds_write_b128 v112, v[1:4]
	s_waitcnt lgkmcnt(0)
	s_waitcnt_vscnt null, 0x0
	s_barrier
	buffer_gl0_inv
	s_and_saveexec_b32 s8, s4
	s_cbranch_execz .LBB116_91
; %bb.84:
	ds_read_b128 v[1:4], v112
	s_andn2_b32 vcc_lo, exec_lo, s60
	s_cbranch_vccnz .LBB116_86
; %bb.85:
	s_clause 0x3
	buffer_load_dword v113, v111, s[0:3], 0 offen offset:8
	buffer_load_dword v114, v111, s[0:3], 0 offen offset:12
	buffer_load_dword v115, v111, s[0:3], 0 offen
	buffer_load_dword v116, v111, s[0:3], 0 offen offset:4
	s_waitcnt vmcnt(2) lgkmcnt(0)
	v_mul_f64 v[118:119], v[3:4], v[113:114]
	v_mul_f64 v[113:114], v[1:2], v[113:114]
	s_waitcnt vmcnt(0)
	v_fma_f64 v[1:2], v[1:2], v[115:116], -v[118:119]
	v_fma_f64 v[3:4], v[3:4], v[115:116], v[113:114]
.LBB116_86:
	s_and_saveexec_b32 s61, s5
	s_cbranch_execz .LBB116_90
; %bb.87:
	v_subrev_nc_u32_e32 v113, 42, v0
	s_movk_i32 s62, 0x5f0
	s_mov_b32 s5, 0
	s_mov_b32 s63, s17
	.p2align	6
.LBB116_88:                             ; =>This Inner Loop Header: Depth=1
	v_mov_b32_e32 v116, s63
	v_add_nc_u32_e32 v113, -1, v113
	s_add_i32 s63, s63, 16
	s_clause 0x3
	buffer_load_dword v114, v116, s[0:3], 0 offen offset:8
	buffer_load_dword v115, v116, s[0:3], 0 offen offset:12
	buffer_load_dword v122, v116, s[0:3], 0 offen
	buffer_load_dword v123, v116, s[0:3], 0 offen offset:4
	v_mov_b32_e32 v116, s62
	v_cmp_eq_u32_e32 vcc_lo, 0, v113
	s_add_i32 s62, s62, 16
	ds_read_b128 v[118:121], v116
	s_or_b32 s5, vcc_lo, s5
	s_waitcnt vmcnt(2) lgkmcnt(0)
	v_mul_f64 v[124:125], v[120:121], v[114:115]
	v_mul_f64 v[114:115], v[118:119], v[114:115]
	s_waitcnt vmcnt(0)
	v_fma_f64 v[118:119], v[118:119], v[122:123], -v[124:125]
	v_fma_f64 v[114:115], v[120:121], v[122:123], v[114:115]
	v_add_f64 v[1:2], v[1:2], v[118:119]
	v_add_f64 v[3:4], v[3:4], v[114:115]
	s_andn2_b32 exec_lo, exec_lo, s5
	s_cbranch_execnz .LBB116_88
; %bb.89:
	s_or_b32 exec_lo, exec_lo, s5
.LBB116_90:
	s_or_b32 exec_lo, exec_lo, s61
	v_mov_b32_e32 v113, 0
	ds_read_b128 v[113:116], v113 offset:656
	s_waitcnt lgkmcnt(0)
	v_mul_f64 v[118:119], v[3:4], v[115:116]
	v_mul_f64 v[115:116], v[1:2], v[115:116]
	v_fma_f64 v[1:2], v[1:2], v[113:114], -v[118:119]
	v_fma_f64 v[3:4], v[3:4], v[113:114], v[115:116]
	buffer_store_dword v2, off, s[0:3], 0 offset:660
	buffer_store_dword v1, off, s[0:3], 0 offset:656
	;; [unrolled: 1-line block ×4, first 2 shown]
.LBB116_91:
	s_or_b32 exec_lo, exec_lo, s8
	v_mov_b32_e32 v4, s19
	v_cmp_lt_u32_e64 s5, 40, v0
	s_clause 0x3
	buffer_load_dword v1, v4, s[0:3], 0 offen
	buffer_load_dword v2, v4, s[0:3], 0 offen offset:4
	buffer_load_dword v3, v4, s[0:3], 0 offen offset:8
	;; [unrolled: 1-line block ×3, first 2 shown]
	s_waitcnt vmcnt(0)
	ds_write_b128 v112, v[1:4]
	s_waitcnt lgkmcnt(0)
	s_waitcnt_vscnt null, 0x0
	s_barrier
	buffer_gl0_inv
	s_and_saveexec_b32 s8, s5
	s_cbranch_execz .LBB116_99
; %bb.92:
	ds_read_b128 v[1:4], v112
	s_andn2_b32 vcc_lo, exec_lo, s60
	s_cbranch_vccnz .LBB116_94
; %bb.93:
	s_clause 0x3
	buffer_load_dword v113, v111, s[0:3], 0 offen offset:8
	buffer_load_dword v114, v111, s[0:3], 0 offen offset:12
	buffer_load_dword v115, v111, s[0:3], 0 offen
	buffer_load_dword v116, v111, s[0:3], 0 offen offset:4
	s_waitcnt vmcnt(2) lgkmcnt(0)
	v_mul_f64 v[118:119], v[3:4], v[113:114]
	v_mul_f64 v[113:114], v[1:2], v[113:114]
	s_waitcnt vmcnt(0)
	v_fma_f64 v[1:2], v[1:2], v[115:116], -v[118:119]
	v_fma_f64 v[3:4], v[3:4], v[115:116], v[113:114]
.LBB116_94:
	s_and_saveexec_b32 s61, s4
	s_cbranch_execz .LBB116_98
; %bb.95:
	v_subrev_nc_u32_e32 v113, 41, v0
	s_movk_i32 s62, 0x5e0
	s_mov_b32 s4, 0
	s_mov_b32 s63, s18
	.p2align	6
.LBB116_96:                             ; =>This Inner Loop Header: Depth=1
	v_mov_b32_e32 v116, s63
	v_add_nc_u32_e32 v113, -1, v113
	s_add_i32 s63, s63, 16
	s_clause 0x3
	buffer_load_dword v114, v116, s[0:3], 0 offen offset:8
	buffer_load_dword v115, v116, s[0:3], 0 offen offset:12
	buffer_load_dword v122, v116, s[0:3], 0 offen
	buffer_load_dword v123, v116, s[0:3], 0 offen offset:4
	v_mov_b32_e32 v116, s62
	v_cmp_eq_u32_e32 vcc_lo, 0, v113
	s_add_i32 s62, s62, 16
	ds_read_b128 v[118:121], v116
	s_or_b32 s4, vcc_lo, s4
	s_waitcnt vmcnt(2) lgkmcnt(0)
	v_mul_f64 v[124:125], v[120:121], v[114:115]
	v_mul_f64 v[114:115], v[118:119], v[114:115]
	s_waitcnt vmcnt(0)
	v_fma_f64 v[118:119], v[118:119], v[122:123], -v[124:125]
	v_fma_f64 v[114:115], v[120:121], v[122:123], v[114:115]
	v_add_f64 v[1:2], v[1:2], v[118:119]
	v_add_f64 v[3:4], v[3:4], v[114:115]
	s_andn2_b32 exec_lo, exec_lo, s4
	s_cbranch_execnz .LBB116_96
; %bb.97:
	s_or_b32 exec_lo, exec_lo, s4
.LBB116_98:
	s_or_b32 exec_lo, exec_lo, s61
	v_mov_b32_e32 v113, 0
	ds_read_b128 v[113:116], v113 offset:640
	s_waitcnt lgkmcnt(0)
	v_mul_f64 v[118:119], v[3:4], v[115:116]
	v_mul_f64 v[115:116], v[1:2], v[115:116]
	v_fma_f64 v[1:2], v[1:2], v[113:114], -v[118:119]
	v_fma_f64 v[3:4], v[3:4], v[113:114], v[115:116]
	buffer_store_dword v2, off, s[0:3], 0 offset:644
	buffer_store_dword v1, off, s[0:3], 0 offset:640
	;; [unrolled: 1-line block ×4, first 2 shown]
.LBB116_99:
	s_or_b32 exec_lo, exec_lo, s8
	v_mov_b32_e32 v4, s20
	v_cmp_lt_u32_e64 s4, 39, v0
	s_clause 0x3
	buffer_load_dword v1, v4, s[0:3], 0 offen
	buffer_load_dword v2, v4, s[0:3], 0 offen offset:4
	buffer_load_dword v3, v4, s[0:3], 0 offen offset:8
	;; [unrolled: 1-line block ×3, first 2 shown]
	s_waitcnt vmcnt(0)
	ds_write_b128 v112, v[1:4]
	s_waitcnt lgkmcnt(0)
	s_waitcnt_vscnt null, 0x0
	s_barrier
	buffer_gl0_inv
	s_and_saveexec_b32 s8, s4
	s_cbranch_execz .LBB116_107
; %bb.100:
	ds_read_b128 v[1:4], v112
	s_andn2_b32 vcc_lo, exec_lo, s60
	s_cbranch_vccnz .LBB116_102
; %bb.101:
	s_clause 0x3
	buffer_load_dword v113, v111, s[0:3], 0 offen offset:8
	buffer_load_dword v114, v111, s[0:3], 0 offen offset:12
	buffer_load_dword v115, v111, s[0:3], 0 offen
	buffer_load_dword v116, v111, s[0:3], 0 offen offset:4
	s_waitcnt vmcnt(2) lgkmcnt(0)
	v_mul_f64 v[118:119], v[3:4], v[113:114]
	v_mul_f64 v[113:114], v[1:2], v[113:114]
	s_waitcnt vmcnt(0)
	v_fma_f64 v[1:2], v[1:2], v[115:116], -v[118:119]
	v_fma_f64 v[3:4], v[3:4], v[115:116], v[113:114]
.LBB116_102:
	s_and_saveexec_b32 s61, s5
	s_cbranch_execz .LBB116_106
; %bb.103:
	v_subrev_nc_u32_e32 v113, 40, v0
	s_movk_i32 s62, 0x5d0
	s_mov_b32 s5, 0
	s_mov_b32 s63, s19
	.p2align	6
.LBB116_104:                            ; =>This Inner Loop Header: Depth=1
	v_mov_b32_e32 v116, s63
	v_add_nc_u32_e32 v113, -1, v113
	s_add_i32 s63, s63, 16
	s_clause 0x3
	buffer_load_dword v114, v116, s[0:3], 0 offen offset:8
	buffer_load_dword v115, v116, s[0:3], 0 offen offset:12
	buffer_load_dword v122, v116, s[0:3], 0 offen
	buffer_load_dword v123, v116, s[0:3], 0 offen offset:4
	v_mov_b32_e32 v116, s62
	v_cmp_eq_u32_e32 vcc_lo, 0, v113
	s_add_i32 s62, s62, 16
	ds_read_b128 v[118:121], v116
	s_or_b32 s5, vcc_lo, s5
	s_waitcnt vmcnt(2) lgkmcnt(0)
	v_mul_f64 v[124:125], v[120:121], v[114:115]
	v_mul_f64 v[114:115], v[118:119], v[114:115]
	s_waitcnt vmcnt(0)
	v_fma_f64 v[118:119], v[118:119], v[122:123], -v[124:125]
	v_fma_f64 v[114:115], v[120:121], v[122:123], v[114:115]
	v_add_f64 v[1:2], v[1:2], v[118:119]
	v_add_f64 v[3:4], v[3:4], v[114:115]
	s_andn2_b32 exec_lo, exec_lo, s5
	s_cbranch_execnz .LBB116_104
; %bb.105:
	s_or_b32 exec_lo, exec_lo, s5
.LBB116_106:
	s_or_b32 exec_lo, exec_lo, s61
	v_mov_b32_e32 v113, 0
	ds_read_b128 v[113:116], v113 offset:624
	s_waitcnt lgkmcnt(0)
	v_mul_f64 v[118:119], v[3:4], v[115:116]
	v_mul_f64 v[115:116], v[1:2], v[115:116]
	v_fma_f64 v[1:2], v[1:2], v[113:114], -v[118:119]
	v_fma_f64 v[3:4], v[3:4], v[113:114], v[115:116]
	buffer_store_dword v2, off, s[0:3], 0 offset:628
	buffer_store_dword v1, off, s[0:3], 0 offset:624
	;; [unrolled: 1-line block ×4, first 2 shown]
.LBB116_107:
	s_or_b32 exec_lo, exec_lo, s8
	v_mov_b32_e32 v4, s21
	v_cmp_lt_u32_e64 s5, 38, v0
	s_clause 0x3
	buffer_load_dword v1, v4, s[0:3], 0 offen
	buffer_load_dword v2, v4, s[0:3], 0 offen offset:4
	buffer_load_dword v3, v4, s[0:3], 0 offen offset:8
	;; [unrolled: 1-line block ×3, first 2 shown]
	s_waitcnt vmcnt(0)
	ds_write_b128 v112, v[1:4]
	s_waitcnt lgkmcnt(0)
	s_waitcnt_vscnt null, 0x0
	s_barrier
	buffer_gl0_inv
	s_and_saveexec_b32 s8, s5
	s_cbranch_execz .LBB116_115
; %bb.108:
	ds_read_b128 v[1:4], v112
	s_andn2_b32 vcc_lo, exec_lo, s60
	s_cbranch_vccnz .LBB116_110
; %bb.109:
	s_clause 0x3
	buffer_load_dword v113, v111, s[0:3], 0 offen offset:8
	buffer_load_dword v114, v111, s[0:3], 0 offen offset:12
	buffer_load_dword v115, v111, s[0:3], 0 offen
	buffer_load_dword v116, v111, s[0:3], 0 offen offset:4
	s_waitcnt vmcnt(2) lgkmcnt(0)
	v_mul_f64 v[118:119], v[3:4], v[113:114]
	v_mul_f64 v[113:114], v[1:2], v[113:114]
	s_waitcnt vmcnt(0)
	v_fma_f64 v[1:2], v[1:2], v[115:116], -v[118:119]
	v_fma_f64 v[3:4], v[3:4], v[115:116], v[113:114]
.LBB116_110:
	s_and_saveexec_b32 s61, s4
	s_cbranch_execz .LBB116_114
; %bb.111:
	v_subrev_nc_u32_e32 v113, 39, v0
	s_movk_i32 s62, 0x5c0
	s_mov_b32 s4, 0
	s_mov_b32 s63, s20
	.p2align	6
.LBB116_112:                            ; =>This Inner Loop Header: Depth=1
	v_mov_b32_e32 v116, s63
	v_add_nc_u32_e32 v113, -1, v113
	s_add_i32 s63, s63, 16
	s_clause 0x3
	buffer_load_dword v114, v116, s[0:3], 0 offen offset:8
	buffer_load_dword v115, v116, s[0:3], 0 offen offset:12
	buffer_load_dword v122, v116, s[0:3], 0 offen
	buffer_load_dword v123, v116, s[0:3], 0 offen offset:4
	v_mov_b32_e32 v116, s62
	v_cmp_eq_u32_e32 vcc_lo, 0, v113
	s_add_i32 s62, s62, 16
	ds_read_b128 v[118:121], v116
	s_or_b32 s4, vcc_lo, s4
	s_waitcnt vmcnt(2) lgkmcnt(0)
	v_mul_f64 v[124:125], v[120:121], v[114:115]
	v_mul_f64 v[114:115], v[118:119], v[114:115]
	s_waitcnt vmcnt(0)
	v_fma_f64 v[118:119], v[118:119], v[122:123], -v[124:125]
	v_fma_f64 v[114:115], v[120:121], v[122:123], v[114:115]
	v_add_f64 v[1:2], v[1:2], v[118:119]
	v_add_f64 v[3:4], v[3:4], v[114:115]
	s_andn2_b32 exec_lo, exec_lo, s4
	s_cbranch_execnz .LBB116_112
; %bb.113:
	s_or_b32 exec_lo, exec_lo, s4
.LBB116_114:
	s_or_b32 exec_lo, exec_lo, s61
	v_mov_b32_e32 v113, 0
	ds_read_b128 v[113:116], v113 offset:608
	s_waitcnt lgkmcnt(0)
	v_mul_f64 v[118:119], v[3:4], v[115:116]
	v_mul_f64 v[115:116], v[1:2], v[115:116]
	v_fma_f64 v[1:2], v[1:2], v[113:114], -v[118:119]
	v_fma_f64 v[3:4], v[3:4], v[113:114], v[115:116]
	buffer_store_dword v2, off, s[0:3], 0 offset:612
	buffer_store_dword v1, off, s[0:3], 0 offset:608
	;; [unrolled: 1-line block ×4, first 2 shown]
.LBB116_115:
	s_or_b32 exec_lo, exec_lo, s8
	v_mov_b32_e32 v4, s22
	v_cmp_lt_u32_e64 s4, 37, v0
	s_clause 0x3
	buffer_load_dword v1, v4, s[0:3], 0 offen
	buffer_load_dword v2, v4, s[0:3], 0 offen offset:4
	buffer_load_dword v3, v4, s[0:3], 0 offen offset:8
	;; [unrolled: 1-line block ×3, first 2 shown]
	s_waitcnt vmcnt(0)
	ds_write_b128 v112, v[1:4]
	s_waitcnt lgkmcnt(0)
	s_waitcnt_vscnt null, 0x0
	s_barrier
	buffer_gl0_inv
	s_and_saveexec_b32 s8, s4
	s_cbranch_execz .LBB116_123
; %bb.116:
	ds_read_b128 v[1:4], v112
	s_andn2_b32 vcc_lo, exec_lo, s60
	s_cbranch_vccnz .LBB116_118
; %bb.117:
	s_clause 0x3
	buffer_load_dword v113, v111, s[0:3], 0 offen offset:8
	buffer_load_dword v114, v111, s[0:3], 0 offen offset:12
	buffer_load_dword v115, v111, s[0:3], 0 offen
	buffer_load_dword v116, v111, s[0:3], 0 offen offset:4
	s_waitcnt vmcnt(2) lgkmcnt(0)
	v_mul_f64 v[118:119], v[3:4], v[113:114]
	v_mul_f64 v[113:114], v[1:2], v[113:114]
	s_waitcnt vmcnt(0)
	v_fma_f64 v[1:2], v[1:2], v[115:116], -v[118:119]
	v_fma_f64 v[3:4], v[3:4], v[115:116], v[113:114]
.LBB116_118:
	s_and_saveexec_b32 s61, s5
	s_cbranch_execz .LBB116_122
; %bb.119:
	v_subrev_nc_u32_e32 v113, 38, v0
	s_movk_i32 s62, 0x5b0
	s_mov_b32 s5, 0
	s_mov_b32 s63, s21
	.p2align	6
.LBB116_120:                            ; =>This Inner Loop Header: Depth=1
	v_mov_b32_e32 v116, s63
	v_add_nc_u32_e32 v113, -1, v113
	s_add_i32 s63, s63, 16
	s_clause 0x3
	buffer_load_dword v114, v116, s[0:3], 0 offen offset:8
	buffer_load_dword v115, v116, s[0:3], 0 offen offset:12
	buffer_load_dword v122, v116, s[0:3], 0 offen
	buffer_load_dword v123, v116, s[0:3], 0 offen offset:4
	v_mov_b32_e32 v116, s62
	v_cmp_eq_u32_e32 vcc_lo, 0, v113
	s_add_i32 s62, s62, 16
	ds_read_b128 v[118:121], v116
	s_or_b32 s5, vcc_lo, s5
	s_waitcnt vmcnt(2) lgkmcnt(0)
	v_mul_f64 v[124:125], v[120:121], v[114:115]
	v_mul_f64 v[114:115], v[118:119], v[114:115]
	s_waitcnt vmcnt(0)
	v_fma_f64 v[118:119], v[118:119], v[122:123], -v[124:125]
	v_fma_f64 v[114:115], v[120:121], v[122:123], v[114:115]
	v_add_f64 v[1:2], v[1:2], v[118:119]
	v_add_f64 v[3:4], v[3:4], v[114:115]
	s_andn2_b32 exec_lo, exec_lo, s5
	s_cbranch_execnz .LBB116_120
; %bb.121:
	s_or_b32 exec_lo, exec_lo, s5
.LBB116_122:
	s_or_b32 exec_lo, exec_lo, s61
	v_mov_b32_e32 v113, 0
	ds_read_b128 v[113:116], v113 offset:592
	s_waitcnt lgkmcnt(0)
	v_mul_f64 v[118:119], v[3:4], v[115:116]
	v_mul_f64 v[115:116], v[1:2], v[115:116]
	v_fma_f64 v[1:2], v[1:2], v[113:114], -v[118:119]
	v_fma_f64 v[3:4], v[3:4], v[113:114], v[115:116]
	buffer_store_dword v2, off, s[0:3], 0 offset:596
	buffer_store_dword v1, off, s[0:3], 0 offset:592
	;; [unrolled: 1-line block ×4, first 2 shown]
.LBB116_123:
	s_or_b32 exec_lo, exec_lo, s8
	v_mov_b32_e32 v4, s23
	v_cmp_lt_u32_e64 s5, 36, v0
	s_clause 0x3
	buffer_load_dword v1, v4, s[0:3], 0 offen
	buffer_load_dword v2, v4, s[0:3], 0 offen offset:4
	buffer_load_dword v3, v4, s[0:3], 0 offen offset:8
	;; [unrolled: 1-line block ×3, first 2 shown]
	s_waitcnt vmcnt(0)
	ds_write_b128 v112, v[1:4]
	s_waitcnt lgkmcnt(0)
	s_waitcnt_vscnt null, 0x0
	s_barrier
	buffer_gl0_inv
	s_and_saveexec_b32 s8, s5
	s_cbranch_execz .LBB116_131
; %bb.124:
	ds_read_b128 v[1:4], v112
	s_andn2_b32 vcc_lo, exec_lo, s60
	s_cbranch_vccnz .LBB116_126
; %bb.125:
	s_clause 0x3
	buffer_load_dword v113, v111, s[0:3], 0 offen offset:8
	buffer_load_dword v114, v111, s[0:3], 0 offen offset:12
	buffer_load_dword v115, v111, s[0:3], 0 offen
	buffer_load_dword v116, v111, s[0:3], 0 offen offset:4
	s_waitcnt vmcnt(2) lgkmcnt(0)
	v_mul_f64 v[118:119], v[3:4], v[113:114]
	v_mul_f64 v[113:114], v[1:2], v[113:114]
	s_waitcnt vmcnt(0)
	v_fma_f64 v[1:2], v[1:2], v[115:116], -v[118:119]
	v_fma_f64 v[3:4], v[3:4], v[115:116], v[113:114]
.LBB116_126:
	s_and_saveexec_b32 s61, s4
	s_cbranch_execz .LBB116_130
; %bb.127:
	v_subrev_nc_u32_e32 v113, 37, v0
	s_movk_i32 s62, 0x5a0
	s_mov_b32 s4, 0
	s_mov_b32 s63, s22
	.p2align	6
.LBB116_128:                            ; =>This Inner Loop Header: Depth=1
	v_mov_b32_e32 v116, s63
	v_add_nc_u32_e32 v113, -1, v113
	s_add_i32 s63, s63, 16
	s_clause 0x3
	buffer_load_dword v114, v116, s[0:3], 0 offen offset:8
	buffer_load_dword v115, v116, s[0:3], 0 offen offset:12
	buffer_load_dword v122, v116, s[0:3], 0 offen
	buffer_load_dword v123, v116, s[0:3], 0 offen offset:4
	v_mov_b32_e32 v116, s62
	v_cmp_eq_u32_e32 vcc_lo, 0, v113
	s_add_i32 s62, s62, 16
	ds_read_b128 v[118:121], v116
	s_or_b32 s4, vcc_lo, s4
	s_waitcnt vmcnt(2) lgkmcnt(0)
	v_mul_f64 v[124:125], v[120:121], v[114:115]
	v_mul_f64 v[114:115], v[118:119], v[114:115]
	s_waitcnt vmcnt(0)
	v_fma_f64 v[118:119], v[118:119], v[122:123], -v[124:125]
	v_fma_f64 v[114:115], v[120:121], v[122:123], v[114:115]
	v_add_f64 v[1:2], v[1:2], v[118:119]
	v_add_f64 v[3:4], v[3:4], v[114:115]
	s_andn2_b32 exec_lo, exec_lo, s4
	s_cbranch_execnz .LBB116_128
; %bb.129:
	s_or_b32 exec_lo, exec_lo, s4
.LBB116_130:
	s_or_b32 exec_lo, exec_lo, s61
	v_mov_b32_e32 v113, 0
	ds_read_b128 v[113:116], v113 offset:576
	s_waitcnt lgkmcnt(0)
	v_mul_f64 v[118:119], v[3:4], v[115:116]
	v_mul_f64 v[115:116], v[1:2], v[115:116]
	v_fma_f64 v[1:2], v[1:2], v[113:114], -v[118:119]
	v_fma_f64 v[3:4], v[3:4], v[113:114], v[115:116]
	buffer_store_dword v2, off, s[0:3], 0 offset:580
	buffer_store_dword v1, off, s[0:3], 0 offset:576
	;; [unrolled: 1-line block ×4, first 2 shown]
.LBB116_131:
	s_or_b32 exec_lo, exec_lo, s8
	v_mov_b32_e32 v4, s24
	v_cmp_lt_u32_e64 s4, 35, v0
	s_clause 0x3
	buffer_load_dword v1, v4, s[0:3], 0 offen
	buffer_load_dword v2, v4, s[0:3], 0 offen offset:4
	buffer_load_dword v3, v4, s[0:3], 0 offen offset:8
	;; [unrolled: 1-line block ×3, first 2 shown]
	s_waitcnt vmcnt(0)
	ds_write_b128 v112, v[1:4]
	s_waitcnt lgkmcnt(0)
	s_waitcnt_vscnt null, 0x0
	s_barrier
	buffer_gl0_inv
	s_and_saveexec_b32 s8, s4
	s_cbranch_execz .LBB116_139
; %bb.132:
	ds_read_b128 v[1:4], v112
	s_andn2_b32 vcc_lo, exec_lo, s60
	s_cbranch_vccnz .LBB116_134
; %bb.133:
	s_clause 0x3
	buffer_load_dword v113, v111, s[0:3], 0 offen offset:8
	buffer_load_dword v114, v111, s[0:3], 0 offen offset:12
	buffer_load_dword v115, v111, s[0:3], 0 offen
	buffer_load_dword v116, v111, s[0:3], 0 offen offset:4
	s_waitcnt vmcnt(2) lgkmcnt(0)
	v_mul_f64 v[118:119], v[3:4], v[113:114]
	v_mul_f64 v[113:114], v[1:2], v[113:114]
	s_waitcnt vmcnt(0)
	v_fma_f64 v[1:2], v[1:2], v[115:116], -v[118:119]
	v_fma_f64 v[3:4], v[3:4], v[115:116], v[113:114]
.LBB116_134:
	s_and_saveexec_b32 s61, s5
	s_cbranch_execz .LBB116_138
; %bb.135:
	v_subrev_nc_u32_e32 v113, 36, v0
	s_movk_i32 s62, 0x590
	s_mov_b32 s5, 0
	s_mov_b32 s63, s23
	.p2align	6
.LBB116_136:                            ; =>This Inner Loop Header: Depth=1
	v_mov_b32_e32 v116, s63
	v_add_nc_u32_e32 v113, -1, v113
	s_add_i32 s63, s63, 16
	s_clause 0x3
	buffer_load_dword v114, v116, s[0:3], 0 offen offset:8
	buffer_load_dword v115, v116, s[0:3], 0 offen offset:12
	buffer_load_dword v122, v116, s[0:3], 0 offen
	buffer_load_dword v123, v116, s[0:3], 0 offen offset:4
	v_mov_b32_e32 v116, s62
	v_cmp_eq_u32_e32 vcc_lo, 0, v113
	s_add_i32 s62, s62, 16
	ds_read_b128 v[118:121], v116
	s_or_b32 s5, vcc_lo, s5
	s_waitcnt vmcnt(2) lgkmcnt(0)
	v_mul_f64 v[124:125], v[120:121], v[114:115]
	v_mul_f64 v[114:115], v[118:119], v[114:115]
	s_waitcnt vmcnt(0)
	v_fma_f64 v[118:119], v[118:119], v[122:123], -v[124:125]
	v_fma_f64 v[114:115], v[120:121], v[122:123], v[114:115]
	v_add_f64 v[1:2], v[1:2], v[118:119]
	v_add_f64 v[3:4], v[3:4], v[114:115]
	s_andn2_b32 exec_lo, exec_lo, s5
	s_cbranch_execnz .LBB116_136
; %bb.137:
	s_or_b32 exec_lo, exec_lo, s5
.LBB116_138:
	s_or_b32 exec_lo, exec_lo, s61
	v_mov_b32_e32 v113, 0
	ds_read_b128 v[113:116], v113 offset:560
	s_waitcnt lgkmcnt(0)
	v_mul_f64 v[118:119], v[3:4], v[115:116]
	v_mul_f64 v[115:116], v[1:2], v[115:116]
	v_fma_f64 v[1:2], v[1:2], v[113:114], -v[118:119]
	v_fma_f64 v[3:4], v[3:4], v[113:114], v[115:116]
	buffer_store_dword v2, off, s[0:3], 0 offset:564
	buffer_store_dword v1, off, s[0:3], 0 offset:560
	;; [unrolled: 1-line block ×4, first 2 shown]
.LBB116_139:
	s_or_b32 exec_lo, exec_lo, s8
	v_mov_b32_e32 v4, s25
	v_cmp_lt_u32_e64 s5, 34, v0
	s_clause 0x3
	buffer_load_dword v1, v4, s[0:3], 0 offen
	buffer_load_dword v2, v4, s[0:3], 0 offen offset:4
	buffer_load_dword v3, v4, s[0:3], 0 offen offset:8
	;; [unrolled: 1-line block ×3, first 2 shown]
	s_waitcnt vmcnt(0)
	ds_write_b128 v112, v[1:4]
	s_waitcnt lgkmcnt(0)
	s_waitcnt_vscnt null, 0x0
	s_barrier
	buffer_gl0_inv
	s_and_saveexec_b32 s8, s5
	s_cbranch_execz .LBB116_147
; %bb.140:
	ds_read_b128 v[1:4], v112
	s_andn2_b32 vcc_lo, exec_lo, s60
	s_cbranch_vccnz .LBB116_142
; %bb.141:
	s_clause 0x3
	buffer_load_dword v113, v111, s[0:3], 0 offen offset:8
	buffer_load_dword v114, v111, s[0:3], 0 offen offset:12
	buffer_load_dword v115, v111, s[0:3], 0 offen
	buffer_load_dword v116, v111, s[0:3], 0 offen offset:4
	s_waitcnt vmcnt(2) lgkmcnt(0)
	v_mul_f64 v[118:119], v[3:4], v[113:114]
	v_mul_f64 v[113:114], v[1:2], v[113:114]
	s_waitcnt vmcnt(0)
	v_fma_f64 v[1:2], v[1:2], v[115:116], -v[118:119]
	v_fma_f64 v[3:4], v[3:4], v[115:116], v[113:114]
.LBB116_142:
	s_and_saveexec_b32 s61, s4
	s_cbranch_execz .LBB116_146
; %bb.143:
	v_subrev_nc_u32_e32 v113, 35, v0
	s_movk_i32 s62, 0x580
	s_mov_b32 s4, 0
	s_mov_b32 s63, s24
	.p2align	6
.LBB116_144:                            ; =>This Inner Loop Header: Depth=1
	v_mov_b32_e32 v116, s63
	v_add_nc_u32_e32 v113, -1, v113
	s_add_i32 s63, s63, 16
	s_clause 0x3
	buffer_load_dword v114, v116, s[0:3], 0 offen offset:8
	buffer_load_dword v115, v116, s[0:3], 0 offen offset:12
	buffer_load_dword v122, v116, s[0:3], 0 offen
	buffer_load_dword v123, v116, s[0:3], 0 offen offset:4
	v_mov_b32_e32 v116, s62
	v_cmp_eq_u32_e32 vcc_lo, 0, v113
	s_add_i32 s62, s62, 16
	ds_read_b128 v[118:121], v116
	s_or_b32 s4, vcc_lo, s4
	s_waitcnt vmcnt(2) lgkmcnt(0)
	v_mul_f64 v[124:125], v[120:121], v[114:115]
	v_mul_f64 v[114:115], v[118:119], v[114:115]
	s_waitcnt vmcnt(0)
	v_fma_f64 v[118:119], v[118:119], v[122:123], -v[124:125]
	v_fma_f64 v[114:115], v[120:121], v[122:123], v[114:115]
	v_add_f64 v[1:2], v[1:2], v[118:119]
	v_add_f64 v[3:4], v[3:4], v[114:115]
	s_andn2_b32 exec_lo, exec_lo, s4
	s_cbranch_execnz .LBB116_144
; %bb.145:
	s_or_b32 exec_lo, exec_lo, s4
.LBB116_146:
	s_or_b32 exec_lo, exec_lo, s61
	v_mov_b32_e32 v113, 0
	ds_read_b128 v[113:116], v113 offset:544
	s_waitcnt lgkmcnt(0)
	v_mul_f64 v[118:119], v[3:4], v[115:116]
	v_mul_f64 v[115:116], v[1:2], v[115:116]
	v_fma_f64 v[1:2], v[1:2], v[113:114], -v[118:119]
	v_fma_f64 v[3:4], v[3:4], v[113:114], v[115:116]
	buffer_store_dword v2, off, s[0:3], 0 offset:548
	buffer_store_dword v1, off, s[0:3], 0 offset:544
	;; [unrolled: 1-line block ×4, first 2 shown]
.LBB116_147:
	s_or_b32 exec_lo, exec_lo, s8
	v_mov_b32_e32 v4, s26
	v_cmp_lt_u32_e64 s4, 33, v0
	s_clause 0x3
	buffer_load_dword v1, v4, s[0:3], 0 offen
	buffer_load_dword v2, v4, s[0:3], 0 offen offset:4
	buffer_load_dword v3, v4, s[0:3], 0 offen offset:8
	;; [unrolled: 1-line block ×3, first 2 shown]
	s_waitcnt vmcnt(0)
	ds_write_b128 v112, v[1:4]
	s_waitcnt lgkmcnt(0)
	s_waitcnt_vscnt null, 0x0
	s_barrier
	buffer_gl0_inv
	s_and_saveexec_b32 s8, s4
	s_cbranch_execz .LBB116_155
; %bb.148:
	ds_read_b128 v[1:4], v112
	s_andn2_b32 vcc_lo, exec_lo, s60
	s_cbranch_vccnz .LBB116_150
; %bb.149:
	s_clause 0x3
	buffer_load_dword v113, v111, s[0:3], 0 offen offset:8
	buffer_load_dword v114, v111, s[0:3], 0 offen offset:12
	buffer_load_dword v115, v111, s[0:3], 0 offen
	buffer_load_dword v116, v111, s[0:3], 0 offen offset:4
	s_waitcnt vmcnt(2) lgkmcnt(0)
	v_mul_f64 v[118:119], v[3:4], v[113:114]
	v_mul_f64 v[113:114], v[1:2], v[113:114]
	s_waitcnt vmcnt(0)
	v_fma_f64 v[1:2], v[1:2], v[115:116], -v[118:119]
	v_fma_f64 v[3:4], v[3:4], v[115:116], v[113:114]
.LBB116_150:
	s_and_saveexec_b32 s61, s5
	s_cbranch_execz .LBB116_154
; %bb.151:
	v_subrev_nc_u32_e32 v113, 34, v0
	s_movk_i32 s62, 0x570
	s_mov_b32 s5, 0
	s_mov_b32 s63, s25
	.p2align	6
.LBB116_152:                            ; =>This Inner Loop Header: Depth=1
	v_mov_b32_e32 v116, s63
	v_add_nc_u32_e32 v113, -1, v113
	s_add_i32 s63, s63, 16
	s_clause 0x3
	buffer_load_dword v114, v116, s[0:3], 0 offen offset:8
	buffer_load_dword v115, v116, s[0:3], 0 offen offset:12
	buffer_load_dword v122, v116, s[0:3], 0 offen
	buffer_load_dword v123, v116, s[0:3], 0 offen offset:4
	v_mov_b32_e32 v116, s62
	v_cmp_eq_u32_e32 vcc_lo, 0, v113
	s_add_i32 s62, s62, 16
	ds_read_b128 v[118:121], v116
	s_or_b32 s5, vcc_lo, s5
	s_waitcnt vmcnt(2) lgkmcnt(0)
	v_mul_f64 v[124:125], v[120:121], v[114:115]
	v_mul_f64 v[114:115], v[118:119], v[114:115]
	s_waitcnt vmcnt(0)
	v_fma_f64 v[118:119], v[118:119], v[122:123], -v[124:125]
	v_fma_f64 v[114:115], v[120:121], v[122:123], v[114:115]
	v_add_f64 v[1:2], v[1:2], v[118:119]
	v_add_f64 v[3:4], v[3:4], v[114:115]
	s_andn2_b32 exec_lo, exec_lo, s5
	s_cbranch_execnz .LBB116_152
; %bb.153:
	s_or_b32 exec_lo, exec_lo, s5
.LBB116_154:
	s_or_b32 exec_lo, exec_lo, s61
	v_mov_b32_e32 v113, 0
	ds_read_b128 v[113:116], v113 offset:528
	s_waitcnt lgkmcnt(0)
	v_mul_f64 v[118:119], v[3:4], v[115:116]
	v_mul_f64 v[115:116], v[1:2], v[115:116]
	v_fma_f64 v[1:2], v[1:2], v[113:114], -v[118:119]
	v_fma_f64 v[3:4], v[3:4], v[113:114], v[115:116]
	buffer_store_dword v2, off, s[0:3], 0 offset:532
	buffer_store_dword v1, off, s[0:3], 0 offset:528
	buffer_store_dword v4, off, s[0:3], 0 offset:540
	buffer_store_dword v3, off, s[0:3], 0 offset:536
.LBB116_155:
	s_or_b32 exec_lo, exec_lo, s8
	v_mov_b32_e32 v4, s27
	v_cmp_lt_u32_e64 s5, 32, v0
	s_clause 0x3
	buffer_load_dword v1, v4, s[0:3], 0 offen
	buffer_load_dword v2, v4, s[0:3], 0 offen offset:4
	buffer_load_dword v3, v4, s[0:3], 0 offen offset:8
	;; [unrolled: 1-line block ×3, first 2 shown]
	s_waitcnt vmcnt(0)
	ds_write_b128 v112, v[1:4]
	s_waitcnt lgkmcnt(0)
	s_waitcnt_vscnt null, 0x0
	s_barrier
	buffer_gl0_inv
	s_and_saveexec_b32 s8, s5
	s_cbranch_execz .LBB116_163
; %bb.156:
	ds_read_b128 v[1:4], v112
	s_andn2_b32 vcc_lo, exec_lo, s60
	s_cbranch_vccnz .LBB116_158
; %bb.157:
	s_clause 0x3
	buffer_load_dword v113, v111, s[0:3], 0 offen offset:8
	buffer_load_dword v114, v111, s[0:3], 0 offen offset:12
	buffer_load_dword v115, v111, s[0:3], 0 offen
	buffer_load_dword v116, v111, s[0:3], 0 offen offset:4
	s_waitcnt vmcnt(2) lgkmcnt(0)
	v_mul_f64 v[118:119], v[3:4], v[113:114]
	v_mul_f64 v[113:114], v[1:2], v[113:114]
	s_waitcnt vmcnt(0)
	v_fma_f64 v[1:2], v[1:2], v[115:116], -v[118:119]
	v_fma_f64 v[3:4], v[3:4], v[115:116], v[113:114]
.LBB116_158:
	s_and_saveexec_b32 s61, s4
	s_cbranch_execz .LBB116_162
; %bb.159:
	v_subrev_nc_u32_e32 v113, 33, v0
	s_movk_i32 s62, 0x560
	s_mov_b32 s4, 0
	s_mov_b32 s63, s26
	.p2align	6
.LBB116_160:                            ; =>This Inner Loop Header: Depth=1
	v_mov_b32_e32 v116, s63
	v_add_nc_u32_e32 v113, -1, v113
	s_add_i32 s63, s63, 16
	s_clause 0x3
	buffer_load_dword v114, v116, s[0:3], 0 offen offset:8
	buffer_load_dword v115, v116, s[0:3], 0 offen offset:12
	buffer_load_dword v122, v116, s[0:3], 0 offen
	buffer_load_dword v123, v116, s[0:3], 0 offen offset:4
	v_mov_b32_e32 v116, s62
	v_cmp_eq_u32_e32 vcc_lo, 0, v113
	s_add_i32 s62, s62, 16
	ds_read_b128 v[118:121], v116
	s_or_b32 s4, vcc_lo, s4
	s_waitcnt vmcnt(2) lgkmcnt(0)
	v_mul_f64 v[124:125], v[120:121], v[114:115]
	v_mul_f64 v[114:115], v[118:119], v[114:115]
	s_waitcnt vmcnt(0)
	v_fma_f64 v[118:119], v[118:119], v[122:123], -v[124:125]
	v_fma_f64 v[114:115], v[120:121], v[122:123], v[114:115]
	v_add_f64 v[1:2], v[1:2], v[118:119]
	v_add_f64 v[3:4], v[3:4], v[114:115]
	s_andn2_b32 exec_lo, exec_lo, s4
	s_cbranch_execnz .LBB116_160
; %bb.161:
	s_or_b32 exec_lo, exec_lo, s4
.LBB116_162:
	s_or_b32 exec_lo, exec_lo, s61
	v_mov_b32_e32 v113, 0
	ds_read_b128 v[113:116], v113 offset:512
	s_waitcnt lgkmcnt(0)
	v_mul_f64 v[118:119], v[3:4], v[115:116]
	v_mul_f64 v[115:116], v[1:2], v[115:116]
	v_fma_f64 v[1:2], v[1:2], v[113:114], -v[118:119]
	v_fma_f64 v[3:4], v[3:4], v[113:114], v[115:116]
	buffer_store_dword v2, off, s[0:3], 0 offset:516
	buffer_store_dword v1, off, s[0:3], 0 offset:512
	;; [unrolled: 1-line block ×4, first 2 shown]
.LBB116_163:
	s_or_b32 exec_lo, exec_lo, s8
	v_mov_b32_e32 v4, s28
	v_cmp_lt_u32_e64 s4, 31, v0
	s_clause 0x3
	buffer_load_dword v1, v4, s[0:3], 0 offen
	buffer_load_dword v2, v4, s[0:3], 0 offen offset:4
	buffer_load_dword v3, v4, s[0:3], 0 offen offset:8
	;; [unrolled: 1-line block ×3, first 2 shown]
	s_waitcnt vmcnt(0)
	ds_write_b128 v112, v[1:4]
	s_waitcnt lgkmcnt(0)
	s_waitcnt_vscnt null, 0x0
	s_barrier
	buffer_gl0_inv
	s_and_saveexec_b32 s8, s4
	s_cbranch_execz .LBB116_171
; %bb.164:
	ds_read_b128 v[1:4], v112
	s_andn2_b32 vcc_lo, exec_lo, s60
	s_cbranch_vccnz .LBB116_166
; %bb.165:
	s_clause 0x3
	buffer_load_dword v113, v111, s[0:3], 0 offen offset:8
	buffer_load_dword v114, v111, s[0:3], 0 offen offset:12
	buffer_load_dword v115, v111, s[0:3], 0 offen
	buffer_load_dword v116, v111, s[0:3], 0 offen offset:4
	s_waitcnt vmcnt(2) lgkmcnt(0)
	v_mul_f64 v[118:119], v[3:4], v[113:114]
	v_mul_f64 v[113:114], v[1:2], v[113:114]
	s_waitcnt vmcnt(0)
	v_fma_f64 v[1:2], v[1:2], v[115:116], -v[118:119]
	v_fma_f64 v[3:4], v[3:4], v[115:116], v[113:114]
.LBB116_166:
	s_and_saveexec_b32 s61, s5
	s_cbranch_execz .LBB116_170
; %bb.167:
	v_subrev_nc_u32_e32 v113, 32, v0
	s_movk_i32 s62, 0x550
	s_mov_b32 s5, 0
	s_mov_b32 s63, s27
	.p2align	6
.LBB116_168:                            ; =>This Inner Loop Header: Depth=1
	v_mov_b32_e32 v116, s63
	v_add_nc_u32_e32 v113, -1, v113
	s_add_i32 s63, s63, 16
	s_clause 0x3
	buffer_load_dword v114, v116, s[0:3], 0 offen offset:8
	buffer_load_dword v115, v116, s[0:3], 0 offen offset:12
	buffer_load_dword v122, v116, s[0:3], 0 offen
	buffer_load_dword v123, v116, s[0:3], 0 offen offset:4
	v_mov_b32_e32 v116, s62
	v_cmp_eq_u32_e32 vcc_lo, 0, v113
	s_add_i32 s62, s62, 16
	ds_read_b128 v[118:121], v116
	s_or_b32 s5, vcc_lo, s5
	s_waitcnt vmcnt(2) lgkmcnt(0)
	v_mul_f64 v[124:125], v[120:121], v[114:115]
	v_mul_f64 v[114:115], v[118:119], v[114:115]
	s_waitcnt vmcnt(0)
	v_fma_f64 v[118:119], v[118:119], v[122:123], -v[124:125]
	v_fma_f64 v[114:115], v[120:121], v[122:123], v[114:115]
	v_add_f64 v[1:2], v[1:2], v[118:119]
	v_add_f64 v[3:4], v[3:4], v[114:115]
	s_andn2_b32 exec_lo, exec_lo, s5
	s_cbranch_execnz .LBB116_168
; %bb.169:
	s_or_b32 exec_lo, exec_lo, s5
.LBB116_170:
	s_or_b32 exec_lo, exec_lo, s61
	v_mov_b32_e32 v113, 0
	ds_read_b128 v[113:116], v113 offset:496
	s_waitcnt lgkmcnt(0)
	v_mul_f64 v[118:119], v[3:4], v[115:116]
	v_mul_f64 v[115:116], v[1:2], v[115:116]
	v_fma_f64 v[1:2], v[1:2], v[113:114], -v[118:119]
	v_fma_f64 v[3:4], v[3:4], v[113:114], v[115:116]
	buffer_store_dword v2, off, s[0:3], 0 offset:500
	buffer_store_dword v1, off, s[0:3], 0 offset:496
	;; [unrolled: 1-line block ×4, first 2 shown]
.LBB116_171:
	s_or_b32 exec_lo, exec_lo, s8
	v_mov_b32_e32 v4, s29
	v_cmp_lt_u32_e64 s5, 30, v0
	s_clause 0x3
	buffer_load_dword v1, v4, s[0:3], 0 offen
	buffer_load_dword v2, v4, s[0:3], 0 offen offset:4
	buffer_load_dword v3, v4, s[0:3], 0 offen offset:8
	;; [unrolled: 1-line block ×3, first 2 shown]
	s_waitcnt vmcnt(0)
	ds_write_b128 v112, v[1:4]
	s_waitcnt lgkmcnt(0)
	s_waitcnt_vscnt null, 0x0
	s_barrier
	buffer_gl0_inv
	s_and_saveexec_b32 s8, s5
	s_cbranch_execz .LBB116_179
; %bb.172:
	ds_read_b128 v[1:4], v112
	s_andn2_b32 vcc_lo, exec_lo, s60
	s_cbranch_vccnz .LBB116_174
; %bb.173:
	s_clause 0x3
	buffer_load_dword v113, v111, s[0:3], 0 offen offset:8
	buffer_load_dword v114, v111, s[0:3], 0 offen offset:12
	buffer_load_dword v115, v111, s[0:3], 0 offen
	buffer_load_dword v116, v111, s[0:3], 0 offen offset:4
	s_waitcnt vmcnt(2) lgkmcnt(0)
	v_mul_f64 v[118:119], v[3:4], v[113:114]
	v_mul_f64 v[113:114], v[1:2], v[113:114]
	s_waitcnt vmcnt(0)
	v_fma_f64 v[1:2], v[1:2], v[115:116], -v[118:119]
	v_fma_f64 v[3:4], v[3:4], v[115:116], v[113:114]
.LBB116_174:
	s_and_saveexec_b32 s61, s4
	s_cbranch_execz .LBB116_178
; %bb.175:
	v_subrev_nc_u32_e32 v113, 31, v0
	s_movk_i32 s62, 0x540
	s_mov_b32 s4, 0
	s_mov_b32 s63, s28
	.p2align	6
.LBB116_176:                            ; =>This Inner Loop Header: Depth=1
	v_mov_b32_e32 v116, s63
	v_add_nc_u32_e32 v113, -1, v113
	s_add_i32 s63, s63, 16
	s_clause 0x3
	buffer_load_dword v114, v116, s[0:3], 0 offen offset:8
	buffer_load_dword v115, v116, s[0:3], 0 offen offset:12
	buffer_load_dword v122, v116, s[0:3], 0 offen
	buffer_load_dword v123, v116, s[0:3], 0 offen offset:4
	v_mov_b32_e32 v116, s62
	v_cmp_eq_u32_e32 vcc_lo, 0, v113
	s_add_i32 s62, s62, 16
	ds_read_b128 v[118:121], v116
	s_or_b32 s4, vcc_lo, s4
	s_waitcnt vmcnt(2) lgkmcnt(0)
	v_mul_f64 v[124:125], v[120:121], v[114:115]
	v_mul_f64 v[114:115], v[118:119], v[114:115]
	s_waitcnt vmcnt(0)
	v_fma_f64 v[118:119], v[118:119], v[122:123], -v[124:125]
	v_fma_f64 v[114:115], v[120:121], v[122:123], v[114:115]
	v_add_f64 v[1:2], v[1:2], v[118:119]
	v_add_f64 v[3:4], v[3:4], v[114:115]
	s_andn2_b32 exec_lo, exec_lo, s4
	s_cbranch_execnz .LBB116_176
; %bb.177:
	s_or_b32 exec_lo, exec_lo, s4
.LBB116_178:
	s_or_b32 exec_lo, exec_lo, s61
	v_mov_b32_e32 v113, 0
	ds_read_b128 v[113:116], v113 offset:480
	s_waitcnt lgkmcnt(0)
	v_mul_f64 v[118:119], v[3:4], v[115:116]
	v_mul_f64 v[115:116], v[1:2], v[115:116]
	v_fma_f64 v[1:2], v[1:2], v[113:114], -v[118:119]
	v_fma_f64 v[3:4], v[3:4], v[113:114], v[115:116]
	buffer_store_dword v2, off, s[0:3], 0 offset:484
	buffer_store_dword v1, off, s[0:3], 0 offset:480
	;; [unrolled: 1-line block ×4, first 2 shown]
.LBB116_179:
	s_or_b32 exec_lo, exec_lo, s8
	v_mov_b32_e32 v4, s30
	v_cmp_lt_u32_e64 s4, 29, v0
	s_clause 0x3
	buffer_load_dword v1, v4, s[0:3], 0 offen
	buffer_load_dword v2, v4, s[0:3], 0 offen offset:4
	buffer_load_dword v3, v4, s[0:3], 0 offen offset:8
	;; [unrolled: 1-line block ×3, first 2 shown]
	s_waitcnt vmcnt(0)
	ds_write_b128 v112, v[1:4]
	s_waitcnt lgkmcnt(0)
	s_waitcnt_vscnt null, 0x0
	s_barrier
	buffer_gl0_inv
	s_and_saveexec_b32 s8, s4
	s_cbranch_execz .LBB116_187
; %bb.180:
	ds_read_b128 v[1:4], v112
	s_andn2_b32 vcc_lo, exec_lo, s60
	s_cbranch_vccnz .LBB116_182
; %bb.181:
	s_clause 0x3
	buffer_load_dword v113, v111, s[0:3], 0 offen offset:8
	buffer_load_dword v114, v111, s[0:3], 0 offen offset:12
	buffer_load_dword v115, v111, s[0:3], 0 offen
	buffer_load_dword v116, v111, s[0:3], 0 offen offset:4
	s_waitcnt vmcnt(2) lgkmcnt(0)
	v_mul_f64 v[118:119], v[3:4], v[113:114]
	v_mul_f64 v[113:114], v[1:2], v[113:114]
	s_waitcnt vmcnt(0)
	v_fma_f64 v[1:2], v[1:2], v[115:116], -v[118:119]
	v_fma_f64 v[3:4], v[3:4], v[115:116], v[113:114]
.LBB116_182:
	s_and_saveexec_b32 s61, s5
	s_cbranch_execz .LBB116_186
; %bb.183:
	v_subrev_nc_u32_e32 v113, 30, v0
	s_movk_i32 s62, 0x530
	s_mov_b32 s5, 0
	s_mov_b32 s63, s29
	.p2align	6
.LBB116_184:                            ; =>This Inner Loop Header: Depth=1
	v_mov_b32_e32 v116, s63
	v_add_nc_u32_e32 v113, -1, v113
	s_add_i32 s63, s63, 16
	s_clause 0x3
	buffer_load_dword v114, v116, s[0:3], 0 offen offset:8
	buffer_load_dword v115, v116, s[0:3], 0 offen offset:12
	buffer_load_dword v122, v116, s[0:3], 0 offen
	buffer_load_dword v123, v116, s[0:3], 0 offen offset:4
	v_mov_b32_e32 v116, s62
	v_cmp_eq_u32_e32 vcc_lo, 0, v113
	s_add_i32 s62, s62, 16
	ds_read_b128 v[118:121], v116
	s_or_b32 s5, vcc_lo, s5
	s_waitcnt vmcnt(2) lgkmcnt(0)
	v_mul_f64 v[124:125], v[120:121], v[114:115]
	v_mul_f64 v[114:115], v[118:119], v[114:115]
	s_waitcnt vmcnt(0)
	v_fma_f64 v[118:119], v[118:119], v[122:123], -v[124:125]
	v_fma_f64 v[114:115], v[120:121], v[122:123], v[114:115]
	v_add_f64 v[1:2], v[1:2], v[118:119]
	v_add_f64 v[3:4], v[3:4], v[114:115]
	s_andn2_b32 exec_lo, exec_lo, s5
	s_cbranch_execnz .LBB116_184
; %bb.185:
	s_or_b32 exec_lo, exec_lo, s5
.LBB116_186:
	s_or_b32 exec_lo, exec_lo, s61
	v_mov_b32_e32 v113, 0
	ds_read_b128 v[113:116], v113 offset:464
	s_waitcnt lgkmcnt(0)
	v_mul_f64 v[118:119], v[3:4], v[115:116]
	v_mul_f64 v[115:116], v[1:2], v[115:116]
	v_fma_f64 v[1:2], v[1:2], v[113:114], -v[118:119]
	v_fma_f64 v[3:4], v[3:4], v[113:114], v[115:116]
	buffer_store_dword v2, off, s[0:3], 0 offset:468
	buffer_store_dword v1, off, s[0:3], 0 offset:464
	;; [unrolled: 1-line block ×4, first 2 shown]
.LBB116_187:
	s_or_b32 exec_lo, exec_lo, s8
	v_mov_b32_e32 v4, s31
	v_cmp_lt_u32_e64 s5, 28, v0
	s_clause 0x3
	buffer_load_dword v1, v4, s[0:3], 0 offen
	buffer_load_dword v2, v4, s[0:3], 0 offen offset:4
	buffer_load_dword v3, v4, s[0:3], 0 offen offset:8
	;; [unrolled: 1-line block ×3, first 2 shown]
	s_waitcnt vmcnt(0)
	ds_write_b128 v112, v[1:4]
	s_waitcnt lgkmcnt(0)
	s_waitcnt_vscnt null, 0x0
	s_barrier
	buffer_gl0_inv
	s_and_saveexec_b32 s8, s5
	s_cbranch_execz .LBB116_195
; %bb.188:
	ds_read_b128 v[1:4], v112
	s_andn2_b32 vcc_lo, exec_lo, s60
	s_cbranch_vccnz .LBB116_190
; %bb.189:
	s_clause 0x3
	buffer_load_dword v113, v111, s[0:3], 0 offen offset:8
	buffer_load_dword v114, v111, s[0:3], 0 offen offset:12
	buffer_load_dword v115, v111, s[0:3], 0 offen
	buffer_load_dword v116, v111, s[0:3], 0 offen offset:4
	s_waitcnt vmcnt(2) lgkmcnt(0)
	v_mul_f64 v[118:119], v[3:4], v[113:114]
	v_mul_f64 v[113:114], v[1:2], v[113:114]
	s_waitcnt vmcnt(0)
	v_fma_f64 v[1:2], v[1:2], v[115:116], -v[118:119]
	v_fma_f64 v[3:4], v[3:4], v[115:116], v[113:114]
.LBB116_190:
	s_and_saveexec_b32 s61, s4
	s_cbranch_execz .LBB116_194
; %bb.191:
	v_subrev_nc_u32_e32 v113, 29, v0
	s_movk_i32 s62, 0x520
	s_mov_b32 s4, 0
	s_mov_b32 s63, s30
	.p2align	6
.LBB116_192:                            ; =>This Inner Loop Header: Depth=1
	v_mov_b32_e32 v116, s63
	v_add_nc_u32_e32 v113, -1, v113
	s_add_i32 s63, s63, 16
	s_clause 0x3
	buffer_load_dword v114, v116, s[0:3], 0 offen offset:8
	buffer_load_dword v115, v116, s[0:3], 0 offen offset:12
	buffer_load_dword v122, v116, s[0:3], 0 offen
	buffer_load_dword v123, v116, s[0:3], 0 offen offset:4
	v_mov_b32_e32 v116, s62
	v_cmp_eq_u32_e32 vcc_lo, 0, v113
	s_add_i32 s62, s62, 16
	ds_read_b128 v[118:121], v116
	s_or_b32 s4, vcc_lo, s4
	s_waitcnt vmcnt(2) lgkmcnt(0)
	v_mul_f64 v[124:125], v[120:121], v[114:115]
	v_mul_f64 v[114:115], v[118:119], v[114:115]
	s_waitcnt vmcnt(0)
	v_fma_f64 v[118:119], v[118:119], v[122:123], -v[124:125]
	v_fma_f64 v[114:115], v[120:121], v[122:123], v[114:115]
	v_add_f64 v[1:2], v[1:2], v[118:119]
	v_add_f64 v[3:4], v[3:4], v[114:115]
	s_andn2_b32 exec_lo, exec_lo, s4
	s_cbranch_execnz .LBB116_192
; %bb.193:
	s_or_b32 exec_lo, exec_lo, s4
.LBB116_194:
	s_or_b32 exec_lo, exec_lo, s61
	v_mov_b32_e32 v113, 0
	ds_read_b128 v[113:116], v113 offset:448
	s_waitcnt lgkmcnt(0)
	v_mul_f64 v[118:119], v[3:4], v[115:116]
	v_mul_f64 v[115:116], v[1:2], v[115:116]
	v_fma_f64 v[1:2], v[1:2], v[113:114], -v[118:119]
	v_fma_f64 v[3:4], v[3:4], v[113:114], v[115:116]
	buffer_store_dword v2, off, s[0:3], 0 offset:452
	buffer_store_dword v1, off, s[0:3], 0 offset:448
	buffer_store_dword v4, off, s[0:3], 0 offset:460
	buffer_store_dword v3, off, s[0:3], 0 offset:456
.LBB116_195:
	s_or_b32 exec_lo, exec_lo, s8
	v_mov_b32_e32 v4, s33
	v_cmp_lt_u32_e64 s4, 27, v0
	s_clause 0x3
	buffer_load_dword v1, v4, s[0:3], 0 offen
	buffer_load_dword v2, v4, s[0:3], 0 offen offset:4
	buffer_load_dword v3, v4, s[0:3], 0 offen offset:8
	;; [unrolled: 1-line block ×3, first 2 shown]
	s_waitcnt vmcnt(0)
	ds_write_b128 v112, v[1:4]
	s_waitcnt lgkmcnt(0)
	s_waitcnt_vscnt null, 0x0
	s_barrier
	buffer_gl0_inv
	s_and_saveexec_b32 s8, s4
	s_cbranch_execz .LBB116_203
; %bb.196:
	ds_read_b128 v[1:4], v112
	s_andn2_b32 vcc_lo, exec_lo, s60
	s_cbranch_vccnz .LBB116_198
; %bb.197:
	s_clause 0x3
	buffer_load_dword v113, v111, s[0:3], 0 offen offset:8
	buffer_load_dword v114, v111, s[0:3], 0 offen offset:12
	buffer_load_dword v115, v111, s[0:3], 0 offen
	buffer_load_dword v116, v111, s[0:3], 0 offen offset:4
	s_waitcnt vmcnt(2) lgkmcnt(0)
	v_mul_f64 v[118:119], v[3:4], v[113:114]
	v_mul_f64 v[113:114], v[1:2], v[113:114]
	s_waitcnt vmcnt(0)
	v_fma_f64 v[1:2], v[1:2], v[115:116], -v[118:119]
	v_fma_f64 v[3:4], v[3:4], v[115:116], v[113:114]
.LBB116_198:
	s_and_saveexec_b32 s61, s5
	s_cbranch_execz .LBB116_202
; %bb.199:
	v_subrev_nc_u32_e32 v113, 28, v0
	s_movk_i32 s62, 0x510
	s_mov_b32 s5, 0
	s_mov_b32 s63, s31
	.p2align	6
.LBB116_200:                            ; =>This Inner Loop Header: Depth=1
	v_mov_b32_e32 v116, s63
	v_add_nc_u32_e32 v113, -1, v113
	s_add_i32 s63, s63, 16
	s_clause 0x3
	buffer_load_dword v114, v116, s[0:3], 0 offen offset:8
	buffer_load_dword v115, v116, s[0:3], 0 offen offset:12
	buffer_load_dword v122, v116, s[0:3], 0 offen
	buffer_load_dword v123, v116, s[0:3], 0 offen offset:4
	v_mov_b32_e32 v116, s62
	v_cmp_eq_u32_e32 vcc_lo, 0, v113
	s_add_i32 s62, s62, 16
	ds_read_b128 v[118:121], v116
	s_or_b32 s5, vcc_lo, s5
	s_waitcnt vmcnt(2) lgkmcnt(0)
	v_mul_f64 v[124:125], v[120:121], v[114:115]
	v_mul_f64 v[114:115], v[118:119], v[114:115]
	s_waitcnt vmcnt(0)
	v_fma_f64 v[118:119], v[118:119], v[122:123], -v[124:125]
	v_fma_f64 v[114:115], v[120:121], v[122:123], v[114:115]
	v_add_f64 v[1:2], v[1:2], v[118:119]
	v_add_f64 v[3:4], v[3:4], v[114:115]
	s_andn2_b32 exec_lo, exec_lo, s5
	s_cbranch_execnz .LBB116_200
; %bb.201:
	s_or_b32 exec_lo, exec_lo, s5
.LBB116_202:
	s_or_b32 exec_lo, exec_lo, s61
	v_mov_b32_e32 v113, 0
	ds_read_b128 v[113:116], v113 offset:432
	s_waitcnt lgkmcnt(0)
	v_mul_f64 v[118:119], v[3:4], v[115:116]
	v_mul_f64 v[115:116], v[1:2], v[115:116]
	v_fma_f64 v[1:2], v[1:2], v[113:114], -v[118:119]
	v_fma_f64 v[3:4], v[3:4], v[113:114], v[115:116]
	buffer_store_dword v2, off, s[0:3], 0 offset:436
	buffer_store_dword v1, off, s[0:3], 0 offset:432
	;; [unrolled: 1-line block ×4, first 2 shown]
.LBB116_203:
	s_or_b32 exec_lo, exec_lo, s8
	v_mov_b32_e32 v4, s34
	v_cmp_lt_u32_e64 s5, 26, v0
	s_clause 0x3
	buffer_load_dword v1, v4, s[0:3], 0 offen
	buffer_load_dword v2, v4, s[0:3], 0 offen offset:4
	buffer_load_dword v3, v4, s[0:3], 0 offen offset:8
	;; [unrolled: 1-line block ×3, first 2 shown]
	s_waitcnt vmcnt(0)
	ds_write_b128 v112, v[1:4]
	s_waitcnt lgkmcnt(0)
	s_waitcnt_vscnt null, 0x0
	s_barrier
	buffer_gl0_inv
	s_and_saveexec_b32 s8, s5
	s_cbranch_execz .LBB116_211
; %bb.204:
	ds_read_b128 v[1:4], v112
	s_andn2_b32 vcc_lo, exec_lo, s60
	s_cbranch_vccnz .LBB116_206
; %bb.205:
	s_clause 0x3
	buffer_load_dword v113, v111, s[0:3], 0 offen offset:8
	buffer_load_dword v114, v111, s[0:3], 0 offen offset:12
	buffer_load_dword v115, v111, s[0:3], 0 offen
	buffer_load_dword v116, v111, s[0:3], 0 offen offset:4
	s_waitcnt vmcnt(2) lgkmcnt(0)
	v_mul_f64 v[118:119], v[3:4], v[113:114]
	v_mul_f64 v[113:114], v[1:2], v[113:114]
	s_waitcnt vmcnt(0)
	v_fma_f64 v[1:2], v[1:2], v[115:116], -v[118:119]
	v_fma_f64 v[3:4], v[3:4], v[115:116], v[113:114]
.LBB116_206:
	s_and_saveexec_b32 s61, s4
	s_cbranch_execz .LBB116_210
; %bb.207:
	v_subrev_nc_u32_e32 v113, 27, v0
	s_movk_i32 s62, 0x500
	s_mov_b32 s4, 0
	s_mov_b32 s63, s33
	.p2align	6
.LBB116_208:                            ; =>This Inner Loop Header: Depth=1
	v_mov_b32_e32 v116, s63
	v_add_nc_u32_e32 v113, -1, v113
	s_add_i32 s63, s63, 16
	s_clause 0x3
	buffer_load_dword v114, v116, s[0:3], 0 offen offset:8
	buffer_load_dword v115, v116, s[0:3], 0 offen offset:12
	buffer_load_dword v122, v116, s[0:3], 0 offen
	buffer_load_dword v123, v116, s[0:3], 0 offen offset:4
	v_mov_b32_e32 v116, s62
	v_cmp_eq_u32_e32 vcc_lo, 0, v113
	s_add_i32 s62, s62, 16
	ds_read_b128 v[118:121], v116
	s_or_b32 s4, vcc_lo, s4
	s_waitcnt vmcnt(2) lgkmcnt(0)
	v_mul_f64 v[124:125], v[120:121], v[114:115]
	v_mul_f64 v[114:115], v[118:119], v[114:115]
	s_waitcnt vmcnt(0)
	v_fma_f64 v[118:119], v[118:119], v[122:123], -v[124:125]
	v_fma_f64 v[114:115], v[120:121], v[122:123], v[114:115]
	v_add_f64 v[1:2], v[1:2], v[118:119]
	v_add_f64 v[3:4], v[3:4], v[114:115]
	s_andn2_b32 exec_lo, exec_lo, s4
	s_cbranch_execnz .LBB116_208
; %bb.209:
	s_or_b32 exec_lo, exec_lo, s4
.LBB116_210:
	s_or_b32 exec_lo, exec_lo, s61
	v_mov_b32_e32 v113, 0
	ds_read_b128 v[113:116], v113 offset:416
	s_waitcnt lgkmcnt(0)
	v_mul_f64 v[118:119], v[3:4], v[115:116]
	v_mul_f64 v[115:116], v[1:2], v[115:116]
	v_fma_f64 v[1:2], v[1:2], v[113:114], -v[118:119]
	v_fma_f64 v[3:4], v[3:4], v[113:114], v[115:116]
	buffer_store_dword v2, off, s[0:3], 0 offset:420
	buffer_store_dword v1, off, s[0:3], 0 offset:416
	;; [unrolled: 1-line block ×4, first 2 shown]
.LBB116_211:
	s_or_b32 exec_lo, exec_lo, s8
	v_mov_b32_e32 v4, s35
	v_cmp_lt_u32_e64 s4, 25, v0
	s_clause 0x3
	buffer_load_dword v1, v4, s[0:3], 0 offen
	buffer_load_dword v2, v4, s[0:3], 0 offen offset:4
	buffer_load_dword v3, v4, s[0:3], 0 offen offset:8
	;; [unrolled: 1-line block ×3, first 2 shown]
	s_waitcnt vmcnt(0)
	ds_write_b128 v112, v[1:4]
	s_waitcnt lgkmcnt(0)
	s_waitcnt_vscnt null, 0x0
	s_barrier
	buffer_gl0_inv
	s_and_saveexec_b32 s8, s4
	s_cbranch_execz .LBB116_219
; %bb.212:
	ds_read_b128 v[1:4], v112
	s_andn2_b32 vcc_lo, exec_lo, s60
	s_cbranch_vccnz .LBB116_214
; %bb.213:
	s_clause 0x3
	buffer_load_dword v113, v111, s[0:3], 0 offen offset:8
	buffer_load_dword v114, v111, s[0:3], 0 offen offset:12
	buffer_load_dword v115, v111, s[0:3], 0 offen
	buffer_load_dword v116, v111, s[0:3], 0 offen offset:4
	s_waitcnt vmcnt(2) lgkmcnt(0)
	v_mul_f64 v[118:119], v[3:4], v[113:114]
	v_mul_f64 v[113:114], v[1:2], v[113:114]
	s_waitcnt vmcnt(0)
	v_fma_f64 v[1:2], v[1:2], v[115:116], -v[118:119]
	v_fma_f64 v[3:4], v[3:4], v[115:116], v[113:114]
.LBB116_214:
	s_and_saveexec_b32 s61, s5
	s_cbranch_execz .LBB116_218
; %bb.215:
	v_subrev_nc_u32_e32 v113, 26, v0
	s_movk_i32 s62, 0x4f0
	s_mov_b32 s5, 0
	s_mov_b32 s63, s34
	.p2align	6
.LBB116_216:                            ; =>This Inner Loop Header: Depth=1
	v_mov_b32_e32 v116, s63
	v_add_nc_u32_e32 v113, -1, v113
	s_add_i32 s63, s63, 16
	s_clause 0x3
	buffer_load_dword v114, v116, s[0:3], 0 offen offset:8
	buffer_load_dword v115, v116, s[0:3], 0 offen offset:12
	buffer_load_dword v122, v116, s[0:3], 0 offen
	buffer_load_dword v123, v116, s[0:3], 0 offen offset:4
	v_mov_b32_e32 v116, s62
	v_cmp_eq_u32_e32 vcc_lo, 0, v113
	s_add_i32 s62, s62, 16
	ds_read_b128 v[118:121], v116
	s_or_b32 s5, vcc_lo, s5
	s_waitcnt vmcnt(2) lgkmcnt(0)
	v_mul_f64 v[124:125], v[120:121], v[114:115]
	v_mul_f64 v[114:115], v[118:119], v[114:115]
	s_waitcnt vmcnt(0)
	v_fma_f64 v[118:119], v[118:119], v[122:123], -v[124:125]
	v_fma_f64 v[114:115], v[120:121], v[122:123], v[114:115]
	v_add_f64 v[1:2], v[1:2], v[118:119]
	v_add_f64 v[3:4], v[3:4], v[114:115]
	s_andn2_b32 exec_lo, exec_lo, s5
	s_cbranch_execnz .LBB116_216
; %bb.217:
	s_or_b32 exec_lo, exec_lo, s5
.LBB116_218:
	s_or_b32 exec_lo, exec_lo, s61
	v_mov_b32_e32 v113, 0
	ds_read_b128 v[113:116], v113 offset:400
	s_waitcnt lgkmcnt(0)
	v_mul_f64 v[118:119], v[3:4], v[115:116]
	v_mul_f64 v[115:116], v[1:2], v[115:116]
	v_fma_f64 v[1:2], v[1:2], v[113:114], -v[118:119]
	v_fma_f64 v[3:4], v[3:4], v[113:114], v[115:116]
	buffer_store_dword v2, off, s[0:3], 0 offset:404
	buffer_store_dword v1, off, s[0:3], 0 offset:400
	;; [unrolled: 1-line block ×4, first 2 shown]
.LBB116_219:
	s_or_b32 exec_lo, exec_lo, s8
	v_mov_b32_e32 v4, s36
	v_cmp_lt_u32_e64 s5, 24, v0
	s_clause 0x3
	buffer_load_dword v1, v4, s[0:3], 0 offen
	buffer_load_dword v2, v4, s[0:3], 0 offen offset:4
	buffer_load_dword v3, v4, s[0:3], 0 offen offset:8
	;; [unrolled: 1-line block ×3, first 2 shown]
	s_waitcnt vmcnt(0)
	ds_write_b128 v112, v[1:4]
	s_waitcnt lgkmcnt(0)
	s_waitcnt_vscnt null, 0x0
	s_barrier
	buffer_gl0_inv
	s_and_saveexec_b32 s8, s5
	s_cbranch_execz .LBB116_227
; %bb.220:
	ds_read_b128 v[1:4], v112
	s_andn2_b32 vcc_lo, exec_lo, s60
	s_cbranch_vccnz .LBB116_222
; %bb.221:
	s_clause 0x3
	buffer_load_dword v113, v111, s[0:3], 0 offen offset:8
	buffer_load_dword v114, v111, s[0:3], 0 offen offset:12
	buffer_load_dword v115, v111, s[0:3], 0 offen
	buffer_load_dword v116, v111, s[0:3], 0 offen offset:4
	s_waitcnt vmcnt(2) lgkmcnt(0)
	v_mul_f64 v[118:119], v[3:4], v[113:114]
	v_mul_f64 v[113:114], v[1:2], v[113:114]
	s_waitcnt vmcnt(0)
	v_fma_f64 v[1:2], v[1:2], v[115:116], -v[118:119]
	v_fma_f64 v[3:4], v[3:4], v[115:116], v[113:114]
.LBB116_222:
	s_and_saveexec_b32 s61, s4
	s_cbranch_execz .LBB116_226
; %bb.223:
	v_subrev_nc_u32_e32 v113, 25, v0
	s_movk_i32 s62, 0x4e0
	s_mov_b32 s4, 0
	s_mov_b32 s63, s35
	.p2align	6
.LBB116_224:                            ; =>This Inner Loop Header: Depth=1
	v_mov_b32_e32 v116, s63
	v_add_nc_u32_e32 v113, -1, v113
	s_add_i32 s63, s63, 16
	s_clause 0x3
	buffer_load_dword v114, v116, s[0:3], 0 offen offset:8
	buffer_load_dword v115, v116, s[0:3], 0 offen offset:12
	buffer_load_dword v122, v116, s[0:3], 0 offen
	buffer_load_dword v123, v116, s[0:3], 0 offen offset:4
	v_mov_b32_e32 v116, s62
	v_cmp_eq_u32_e32 vcc_lo, 0, v113
	s_add_i32 s62, s62, 16
	ds_read_b128 v[118:121], v116
	s_or_b32 s4, vcc_lo, s4
	s_waitcnt vmcnt(2) lgkmcnt(0)
	v_mul_f64 v[124:125], v[120:121], v[114:115]
	v_mul_f64 v[114:115], v[118:119], v[114:115]
	s_waitcnt vmcnt(0)
	v_fma_f64 v[118:119], v[118:119], v[122:123], -v[124:125]
	v_fma_f64 v[114:115], v[120:121], v[122:123], v[114:115]
	v_add_f64 v[1:2], v[1:2], v[118:119]
	v_add_f64 v[3:4], v[3:4], v[114:115]
	s_andn2_b32 exec_lo, exec_lo, s4
	s_cbranch_execnz .LBB116_224
; %bb.225:
	s_or_b32 exec_lo, exec_lo, s4
.LBB116_226:
	s_or_b32 exec_lo, exec_lo, s61
	v_mov_b32_e32 v113, 0
	ds_read_b128 v[113:116], v113 offset:384
	s_waitcnt lgkmcnt(0)
	v_mul_f64 v[118:119], v[3:4], v[115:116]
	v_mul_f64 v[115:116], v[1:2], v[115:116]
	v_fma_f64 v[1:2], v[1:2], v[113:114], -v[118:119]
	v_fma_f64 v[3:4], v[3:4], v[113:114], v[115:116]
	buffer_store_dword v2, off, s[0:3], 0 offset:388
	buffer_store_dword v1, off, s[0:3], 0 offset:384
	;; [unrolled: 1-line block ×4, first 2 shown]
.LBB116_227:
	s_or_b32 exec_lo, exec_lo, s8
	v_mov_b32_e32 v4, s37
	v_cmp_lt_u32_e64 s4, 23, v0
	s_clause 0x3
	buffer_load_dword v1, v4, s[0:3], 0 offen
	buffer_load_dword v2, v4, s[0:3], 0 offen offset:4
	buffer_load_dword v3, v4, s[0:3], 0 offen offset:8
	;; [unrolled: 1-line block ×3, first 2 shown]
	s_waitcnt vmcnt(0)
	ds_write_b128 v112, v[1:4]
	s_waitcnt lgkmcnt(0)
	s_waitcnt_vscnt null, 0x0
	s_barrier
	buffer_gl0_inv
	s_and_saveexec_b32 s8, s4
	s_cbranch_execz .LBB116_235
; %bb.228:
	ds_read_b128 v[1:4], v112
	s_andn2_b32 vcc_lo, exec_lo, s60
	s_cbranch_vccnz .LBB116_230
; %bb.229:
	s_clause 0x3
	buffer_load_dword v113, v111, s[0:3], 0 offen offset:8
	buffer_load_dword v114, v111, s[0:3], 0 offen offset:12
	buffer_load_dword v115, v111, s[0:3], 0 offen
	buffer_load_dword v116, v111, s[0:3], 0 offen offset:4
	s_waitcnt vmcnt(2) lgkmcnt(0)
	v_mul_f64 v[118:119], v[3:4], v[113:114]
	v_mul_f64 v[113:114], v[1:2], v[113:114]
	s_waitcnt vmcnt(0)
	v_fma_f64 v[1:2], v[1:2], v[115:116], -v[118:119]
	v_fma_f64 v[3:4], v[3:4], v[115:116], v[113:114]
.LBB116_230:
	s_and_saveexec_b32 s61, s5
	s_cbranch_execz .LBB116_234
; %bb.231:
	v_subrev_nc_u32_e32 v113, 24, v0
	s_movk_i32 s62, 0x4d0
	s_mov_b32 s5, 0
	s_mov_b32 s63, s36
	.p2align	6
.LBB116_232:                            ; =>This Inner Loop Header: Depth=1
	v_mov_b32_e32 v116, s63
	v_add_nc_u32_e32 v113, -1, v113
	s_add_i32 s63, s63, 16
	s_clause 0x3
	buffer_load_dword v114, v116, s[0:3], 0 offen offset:8
	buffer_load_dword v115, v116, s[0:3], 0 offen offset:12
	buffer_load_dword v122, v116, s[0:3], 0 offen
	buffer_load_dword v123, v116, s[0:3], 0 offen offset:4
	v_mov_b32_e32 v116, s62
	v_cmp_eq_u32_e32 vcc_lo, 0, v113
	s_add_i32 s62, s62, 16
	ds_read_b128 v[118:121], v116
	s_or_b32 s5, vcc_lo, s5
	s_waitcnt vmcnt(2) lgkmcnt(0)
	v_mul_f64 v[124:125], v[120:121], v[114:115]
	v_mul_f64 v[114:115], v[118:119], v[114:115]
	s_waitcnt vmcnt(0)
	v_fma_f64 v[118:119], v[118:119], v[122:123], -v[124:125]
	v_fma_f64 v[114:115], v[120:121], v[122:123], v[114:115]
	v_add_f64 v[1:2], v[1:2], v[118:119]
	v_add_f64 v[3:4], v[3:4], v[114:115]
	s_andn2_b32 exec_lo, exec_lo, s5
	s_cbranch_execnz .LBB116_232
; %bb.233:
	s_or_b32 exec_lo, exec_lo, s5
.LBB116_234:
	s_or_b32 exec_lo, exec_lo, s61
	v_mov_b32_e32 v113, 0
	ds_read_b128 v[113:116], v113 offset:368
	s_waitcnt lgkmcnt(0)
	v_mul_f64 v[118:119], v[3:4], v[115:116]
	v_mul_f64 v[115:116], v[1:2], v[115:116]
	v_fma_f64 v[1:2], v[1:2], v[113:114], -v[118:119]
	v_fma_f64 v[3:4], v[3:4], v[113:114], v[115:116]
	buffer_store_dword v2, off, s[0:3], 0 offset:372
	buffer_store_dword v1, off, s[0:3], 0 offset:368
	;; [unrolled: 1-line block ×4, first 2 shown]
.LBB116_235:
	s_or_b32 exec_lo, exec_lo, s8
	v_mov_b32_e32 v4, s38
	v_cmp_lt_u32_e64 s5, 22, v0
	s_clause 0x3
	buffer_load_dword v1, v4, s[0:3], 0 offen
	buffer_load_dword v2, v4, s[0:3], 0 offen offset:4
	buffer_load_dword v3, v4, s[0:3], 0 offen offset:8
	;; [unrolled: 1-line block ×3, first 2 shown]
	s_waitcnt vmcnt(0)
	ds_write_b128 v112, v[1:4]
	s_waitcnt lgkmcnt(0)
	s_waitcnt_vscnt null, 0x0
	s_barrier
	buffer_gl0_inv
	s_and_saveexec_b32 s8, s5
	s_cbranch_execz .LBB116_243
; %bb.236:
	ds_read_b128 v[1:4], v112
	s_andn2_b32 vcc_lo, exec_lo, s60
	s_cbranch_vccnz .LBB116_238
; %bb.237:
	s_clause 0x3
	buffer_load_dword v113, v111, s[0:3], 0 offen offset:8
	buffer_load_dword v114, v111, s[0:3], 0 offen offset:12
	buffer_load_dword v115, v111, s[0:3], 0 offen
	buffer_load_dword v116, v111, s[0:3], 0 offen offset:4
	s_waitcnt vmcnt(2) lgkmcnt(0)
	v_mul_f64 v[118:119], v[3:4], v[113:114]
	v_mul_f64 v[113:114], v[1:2], v[113:114]
	s_waitcnt vmcnt(0)
	v_fma_f64 v[1:2], v[1:2], v[115:116], -v[118:119]
	v_fma_f64 v[3:4], v[3:4], v[115:116], v[113:114]
.LBB116_238:
	s_and_saveexec_b32 s61, s4
	s_cbranch_execz .LBB116_242
; %bb.239:
	v_subrev_nc_u32_e32 v113, 23, v0
	s_movk_i32 s62, 0x4c0
	s_mov_b32 s4, 0
	s_mov_b32 s63, s37
	.p2align	6
.LBB116_240:                            ; =>This Inner Loop Header: Depth=1
	v_mov_b32_e32 v116, s63
	v_add_nc_u32_e32 v113, -1, v113
	s_add_i32 s63, s63, 16
	s_clause 0x3
	buffer_load_dword v114, v116, s[0:3], 0 offen offset:8
	buffer_load_dword v115, v116, s[0:3], 0 offen offset:12
	buffer_load_dword v122, v116, s[0:3], 0 offen
	buffer_load_dword v123, v116, s[0:3], 0 offen offset:4
	v_mov_b32_e32 v116, s62
	v_cmp_eq_u32_e32 vcc_lo, 0, v113
	s_add_i32 s62, s62, 16
	ds_read_b128 v[118:121], v116
	s_or_b32 s4, vcc_lo, s4
	s_waitcnt vmcnt(2) lgkmcnt(0)
	v_mul_f64 v[124:125], v[120:121], v[114:115]
	v_mul_f64 v[114:115], v[118:119], v[114:115]
	s_waitcnt vmcnt(0)
	v_fma_f64 v[118:119], v[118:119], v[122:123], -v[124:125]
	v_fma_f64 v[114:115], v[120:121], v[122:123], v[114:115]
	v_add_f64 v[1:2], v[1:2], v[118:119]
	v_add_f64 v[3:4], v[3:4], v[114:115]
	s_andn2_b32 exec_lo, exec_lo, s4
	s_cbranch_execnz .LBB116_240
; %bb.241:
	s_or_b32 exec_lo, exec_lo, s4
.LBB116_242:
	s_or_b32 exec_lo, exec_lo, s61
	v_mov_b32_e32 v113, 0
	ds_read_b128 v[113:116], v113 offset:352
	s_waitcnt lgkmcnt(0)
	v_mul_f64 v[118:119], v[3:4], v[115:116]
	v_mul_f64 v[115:116], v[1:2], v[115:116]
	v_fma_f64 v[1:2], v[1:2], v[113:114], -v[118:119]
	v_fma_f64 v[3:4], v[3:4], v[113:114], v[115:116]
	buffer_store_dword v2, off, s[0:3], 0 offset:356
	buffer_store_dword v1, off, s[0:3], 0 offset:352
	buffer_store_dword v4, off, s[0:3], 0 offset:364
	buffer_store_dword v3, off, s[0:3], 0 offset:360
.LBB116_243:
	s_or_b32 exec_lo, exec_lo, s8
	v_mov_b32_e32 v4, s39
	v_cmp_lt_u32_e64 s4, 21, v0
	s_clause 0x3
	buffer_load_dword v1, v4, s[0:3], 0 offen
	buffer_load_dword v2, v4, s[0:3], 0 offen offset:4
	buffer_load_dword v3, v4, s[0:3], 0 offen offset:8
	;; [unrolled: 1-line block ×3, first 2 shown]
	s_waitcnt vmcnt(0)
	ds_write_b128 v112, v[1:4]
	s_waitcnt lgkmcnt(0)
	s_waitcnt_vscnt null, 0x0
	s_barrier
	buffer_gl0_inv
	s_and_saveexec_b32 s8, s4
	s_cbranch_execz .LBB116_251
; %bb.244:
	ds_read_b128 v[1:4], v112
	s_andn2_b32 vcc_lo, exec_lo, s60
	s_cbranch_vccnz .LBB116_246
; %bb.245:
	s_clause 0x3
	buffer_load_dword v113, v111, s[0:3], 0 offen offset:8
	buffer_load_dword v114, v111, s[0:3], 0 offen offset:12
	buffer_load_dword v115, v111, s[0:3], 0 offen
	buffer_load_dword v116, v111, s[0:3], 0 offen offset:4
	s_waitcnt vmcnt(2) lgkmcnt(0)
	v_mul_f64 v[118:119], v[3:4], v[113:114]
	v_mul_f64 v[113:114], v[1:2], v[113:114]
	s_waitcnt vmcnt(0)
	v_fma_f64 v[1:2], v[1:2], v[115:116], -v[118:119]
	v_fma_f64 v[3:4], v[3:4], v[115:116], v[113:114]
.LBB116_246:
	s_and_saveexec_b32 s61, s5
	s_cbranch_execz .LBB116_250
; %bb.247:
	v_subrev_nc_u32_e32 v113, 22, v0
	s_movk_i32 s62, 0x4b0
	s_mov_b32 s5, 0
	s_mov_b32 s63, s38
	.p2align	6
.LBB116_248:                            ; =>This Inner Loop Header: Depth=1
	v_mov_b32_e32 v116, s63
	v_add_nc_u32_e32 v113, -1, v113
	s_add_i32 s63, s63, 16
	s_clause 0x3
	buffer_load_dword v114, v116, s[0:3], 0 offen offset:8
	buffer_load_dword v115, v116, s[0:3], 0 offen offset:12
	buffer_load_dword v122, v116, s[0:3], 0 offen
	buffer_load_dword v123, v116, s[0:3], 0 offen offset:4
	v_mov_b32_e32 v116, s62
	v_cmp_eq_u32_e32 vcc_lo, 0, v113
	s_add_i32 s62, s62, 16
	ds_read_b128 v[118:121], v116
	s_or_b32 s5, vcc_lo, s5
	s_waitcnt vmcnt(2) lgkmcnt(0)
	v_mul_f64 v[124:125], v[120:121], v[114:115]
	v_mul_f64 v[114:115], v[118:119], v[114:115]
	s_waitcnt vmcnt(0)
	v_fma_f64 v[118:119], v[118:119], v[122:123], -v[124:125]
	v_fma_f64 v[114:115], v[120:121], v[122:123], v[114:115]
	v_add_f64 v[1:2], v[1:2], v[118:119]
	v_add_f64 v[3:4], v[3:4], v[114:115]
	s_andn2_b32 exec_lo, exec_lo, s5
	s_cbranch_execnz .LBB116_248
; %bb.249:
	s_or_b32 exec_lo, exec_lo, s5
.LBB116_250:
	s_or_b32 exec_lo, exec_lo, s61
	v_mov_b32_e32 v113, 0
	ds_read_b128 v[113:116], v113 offset:336
	s_waitcnt lgkmcnt(0)
	v_mul_f64 v[118:119], v[3:4], v[115:116]
	v_mul_f64 v[115:116], v[1:2], v[115:116]
	v_fma_f64 v[1:2], v[1:2], v[113:114], -v[118:119]
	v_fma_f64 v[3:4], v[3:4], v[113:114], v[115:116]
	buffer_store_dword v2, off, s[0:3], 0 offset:340
	buffer_store_dword v1, off, s[0:3], 0 offset:336
	;; [unrolled: 1-line block ×4, first 2 shown]
.LBB116_251:
	s_or_b32 exec_lo, exec_lo, s8
	v_mov_b32_e32 v4, s40
	v_cmp_lt_u32_e64 s5, 20, v0
	s_clause 0x3
	buffer_load_dword v1, v4, s[0:3], 0 offen
	buffer_load_dword v2, v4, s[0:3], 0 offen offset:4
	buffer_load_dword v3, v4, s[0:3], 0 offen offset:8
	;; [unrolled: 1-line block ×3, first 2 shown]
	s_waitcnt vmcnt(0)
	ds_write_b128 v112, v[1:4]
	s_waitcnt lgkmcnt(0)
	s_waitcnt_vscnt null, 0x0
	s_barrier
	buffer_gl0_inv
	s_and_saveexec_b32 s8, s5
	s_cbranch_execz .LBB116_259
; %bb.252:
	ds_read_b128 v[1:4], v112
	s_andn2_b32 vcc_lo, exec_lo, s60
	s_cbranch_vccnz .LBB116_254
; %bb.253:
	s_clause 0x3
	buffer_load_dword v113, v111, s[0:3], 0 offen offset:8
	buffer_load_dword v114, v111, s[0:3], 0 offen offset:12
	buffer_load_dword v115, v111, s[0:3], 0 offen
	buffer_load_dword v116, v111, s[0:3], 0 offen offset:4
	s_waitcnt vmcnt(2) lgkmcnt(0)
	v_mul_f64 v[118:119], v[3:4], v[113:114]
	v_mul_f64 v[113:114], v[1:2], v[113:114]
	s_waitcnt vmcnt(0)
	v_fma_f64 v[1:2], v[1:2], v[115:116], -v[118:119]
	v_fma_f64 v[3:4], v[3:4], v[115:116], v[113:114]
.LBB116_254:
	s_and_saveexec_b32 s61, s4
	s_cbranch_execz .LBB116_258
; %bb.255:
	v_subrev_nc_u32_e32 v113, 21, v0
	s_movk_i32 s62, 0x4a0
	s_mov_b32 s4, 0
	s_mov_b32 s63, s39
	.p2align	6
.LBB116_256:                            ; =>This Inner Loop Header: Depth=1
	v_mov_b32_e32 v116, s63
	v_add_nc_u32_e32 v113, -1, v113
	s_add_i32 s63, s63, 16
	s_clause 0x3
	buffer_load_dword v114, v116, s[0:3], 0 offen offset:8
	buffer_load_dword v115, v116, s[0:3], 0 offen offset:12
	buffer_load_dword v122, v116, s[0:3], 0 offen
	buffer_load_dword v123, v116, s[0:3], 0 offen offset:4
	v_mov_b32_e32 v116, s62
	v_cmp_eq_u32_e32 vcc_lo, 0, v113
	s_add_i32 s62, s62, 16
	ds_read_b128 v[118:121], v116
	s_or_b32 s4, vcc_lo, s4
	s_waitcnt vmcnt(2) lgkmcnt(0)
	v_mul_f64 v[124:125], v[120:121], v[114:115]
	v_mul_f64 v[114:115], v[118:119], v[114:115]
	s_waitcnt vmcnt(0)
	v_fma_f64 v[118:119], v[118:119], v[122:123], -v[124:125]
	v_fma_f64 v[114:115], v[120:121], v[122:123], v[114:115]
	v_add_f64 v[1:2], v[1:2], v[118:119]
	v_add_f64 v[3:4], v[3:4], v[114:115]
	s_andn2_b32 exec_lo, exec_lo, s4
	s_cbranch_execnz .LBB116_256
; %bb.257:
	s_or_b32 exec_lo, exec_lo, s4
.LBB116_258:
	s_or_b32 exec_lo, exec_lo, s61
	v_mov_b32_e32 v113, 0
	ds_read_b128 v[113:116], v113 offset:320
	s_waitcnt lgkmcnt(0)
	v_mul_f64 v[118:119], v[3:4], v[115:116]
	v_mul_f64 v[115:116], v[1:2], v[115:116]
	v_fma_f64 v[1:2], v[1:2], v[113:114], -v[118:119]
	v_fma_f64 v[3:4], v[3:4], v[113:114], v[115:116]
	buffer_store_dword v2, off, s[0:3], 0 offset:324
	buffer_store_dword v1, off, s[0:3], 0 offset:320
	;; [unrolled: 1-line block ×4, first 2 shown]
.LBB116_259:
	s_or_b32 exec_lo, exec_lo, s8
	v_mov_b32_e32 v4, s41
	v_cmp_lt_u32_e64 s4, 19, v0
	s_clause 0x3
	buffer_load_dword v1, v4, s[0:3], 0 offen
	buffer_load_dword v2, v4, s[0:3], 0 offen offset:4
	buffer_load_dword v3, v4, s[0:3], 0 offen offset:8
	;; [unrolled: 1-line block ×3, first 2 shown]
	s_waitcnt vmcnt(0)
	ds_write_b128 v112, v[1:4]
	s_waitcnt lgkmcnt(0)
	s_waitcnt_vscnt null, 0x0
	s_barrier
	buffer_gl0_inv
	s_and_saveexec_b32 s8, s4
	s_cbranch_execz .LBB116_267
; %bb.260:
	ds_read_b128 v[1:4], v112
	s_andn2_b32 vcc_lo, exec_lo, s60
	s_cbranch_vccnz .LBB116_262
; %bb.261:
	s_clause 0x3
	buffer_load_dword v113, v111, s[0:3], 0 offen offset:8
	buffer_load_dword v114, v111, s[0:3], 0 offen offset:12
	buffer_load_dword v115, v111, s[0:3], 0 offen
	buffer_load_dword v116, v111, s[0:3], 0 offen offset:4
	s_waitcnt vmcnt(2) lgkmcnt(0)
	v_mul_f64 v[118:119], v[3:4], v[113:114]
	v_mul_f64 v[113:114], v[1:2], v[113:114]
	s_waitcnt vmcnt(0)
	v_fma_f64 v[1:2], v[1:2], v[115:116], -v[118:119]
	v_fma_f64 v[3:4], v[3:4], v[115:116], v[113:114]
.LBB116_262:
	s_and_saveexec_b32 s61, s5
	s_cbranch_execz .LBB116_266
; %bb.263:
	v_subrev_nc_u32_e32 v113, 20, v0
	s_movk_i32 s62, 0x490
	s_mov_b32 s5, 0
	s_mov_b32 s63, s40
	.p2align	6
.LBB116_264:                            ; =>This Inner Loop Header: Depth=1
	v_mov_b32_e32 v116, s63
	v_add_nc_u32_e32 v113, -1, v113
	s_add_i32 s63, s63, 16
	s_clause 0x3
	buffer_load_dword v114, v116, s[0:3], 0 offen offset:8
	buffer_load_dword v115, v116, s[0:3], 0 offen offset:12
	buffer_load_dword v122, v116, s[0:3], 0 offen
	buffer_load_dword v123, v116, s[0:3], 0 offen offset:4
	v_mov_b32_e32 v116, s62
	v_cmp_eq_u32_e32 vcc_lo, 0, v113
	s_add_i32 s62, s62, 16
	ds_read_b128 v[118:121], v116
	s_or_b32 s5, vcc_lo, s5
	s_waitcnt vmcnt(2) lgkmcnt(0)
	v_mul_f64 v[124:125], v[120:121], v[114:115]
	v_mul_f64 v[114:115], v[118:119], v[114:115]
	s_waitcnt vmcnt(0)
	v_fma_f64 v[118:119], v[118:119], v[122:123], -v[124:125]
	v_fma_f64 v[114:115], v[120:121], v[122:123], v[114:115]
	v_add_f64 v[1:2], v[1:2], v[118:119]
	v_add_f64 v[3:4], v[3:4], v[114:115]
	s_andn2_b32 exec_lo, exec_lo, s5
	s_cbranch_execnz .LBB116_264
; %bb.265:
	s_or_b32 exec_lo, exec_lo, s5
.LBB116_266:
	s_or_b32 exec_lo, exec_lo, s61
	v_mov_b32_e32 v113, 0
	ds_read_b128 v[113:116], v113 offset:304
	s_waitcnt lgkmcnt(0)
	v_mul_f64 v[118:119], v[3:4], v[115:116]
	v_mul_f64 v[115:116], v[1:2], v[115:116]
	v_fma_f64 v[1:2], v[1:2], v[113:114], -v[118:119]
	v_fma_f64 v[3:4], v[3:4], v[113:114], v[115:116]
	buffer_store_dword v2, off, s[0:3], 0 offset:308
	buffer_store_dword v1, off, s[0:3], 0 offset:304
	;; [unrolled: 1-line block ×4, first 2 shown]
.LBB116_267:
	s_or_b32 exec_lo, exec_lo, s8
	v_mov_b32_e32 v4, s42
	v_cmp_lt_u32_e64 s5, 18, v0
	s_clause 0x3
	buffer_load_dword v1, v4, s[0:3], 0 offen
	buffer_load_dword v2, v4, s[0:3], 0 offen offset:4
	buffer_load_dword v3, v4, s[0:3], 0 offen offset:8
	;; [unrolled: 1-line block ×3, first 2 shown]
	s_waitcnt vmcnt(0)
	ds_write_b128 v112, v[1:4]
	s_waitcnt lgkmcnt(0)
	s_waitcnt_vscnt null, 0x0
	s_barrier
	buffer_gl0_inv
	s_and_saveexec_b32 s8, s5
	s_cbranch_execz .LBB116_275
; %bb.268:
	ds_read_b128 v[1:4], v112
	s_andn2_b32 vcc_lo, exec_lo, s60
	s_cbranch_vccnz .LBB116_270
; %bb.269:
	s_clause 0x3
	buffer_load_dword v113, v111, s[0:3], 0 offen offset:8
	buffer_load_dword v114, v111, s[0:3], 0 offen offset:12
	buffer_load_dword v115, v111, s[0:3], 0 offen
	buffer_load_dword v116, v111, s[0:3], 0 offen offset:4
	s_waitcnt vmcnt(2) lgkmcnt(0)
	v_mul_f64 v[118:119], v[3:4], v[113:114]
	v_mul_f64 v[113:114], v[1:2], v[113:114]
	s_waitcnt vmcnt(0)
	v_fma_f64 v[1:2], v[1:2], v[115:116], -v[118:119]
	v_fma_f64 v[3:4], v[3:4], v[115:116], v[113:114]
.LBB116_270:
	s_and_saveexec_b32 s61, s4
	s_cbranch_execz .LBB116_274
; %bb.271:
	v_subrev_nc_u32_e32 v113, 19, v0
	s_movk_i32 s62, 0x480
	s_mov_b32 s4, 0
	s_mov_b32 s63, s41
	.p2align	6
.LBB116_272:                            ; =>This Inner Loop Header: Depth=1
	v_mov_b32_e32 v116, s63
	v_add_nc_u32_e32 v113, -1, v113
	s_add_i32 s63, s63, 16
	s_clause 0x3
	buffer_load_dword v114, v116, s[0:3], 0 offen offset:8
	buffer_load_dword v115, v116, s[0:3], 0 offen offset:12
	buffer_load_dword v122, v116, s[0:3], 0 offen
	buffer_load_dword v123, v116, s[0:3], 0 offen offset:4
	v_mov_b32_e32 v116, s62
	v_cmp_eq_u32_e32 vcc_lo, 0, v113
	s_add_i32 s62, s62, 16
	ds_read_b128 v[118:121], v116
	s_or_b32 s4, vcc_lo, s4
	s_waitcnt vmcnt(2) lgkmcnt(0)
	v_mul_f64 v[124:125], v[120:121], v[114:115]
	v_mul_f64 v[114:115], v[118:119], v[114:115]
	s_waitcnt vmcnt(0)
	v_fma_f64 v[118:119], v[118:119], v[122:123], -v[124:125]
	v_fma_f64 v[114:115], v[120:121], v[122:123], v[114:115]
	v_add_f64 v[1:2], v[1:2], v[118:119]
	v_add_f64 v[3:4], v[3:4], v[114:115]
	s_andn2_b32 exec_lo, exec_lo, s4
	s_cbranch_execnz .LBB116_272
; %bb.273:
	s_or_b32 exec_lo, exec_lo, s4
.LBB116_274:
	s_or_b32 exec_lo, exec_lo, s61
	v_mov_b32_e32 v113, 0
	ds_read_b128 v[113:116], v113 offset:288
	s_waitcnt lgkmcnt(0)
	v_mul_f64 v[118:119], v[3:4], v[115:116]
	v_mul_f64 v[115:116], v[1:2], v[115:116]
	v_fma_f64 v[1:2], v[1:2], v[113:114], -v[118:119]
	v_fma_f64 v[3:4], v[3:4], v[113:114], v[115:116]
	buffer_store_dword v2, off, s[0:3], 0 offset:292
	buffer_store_dword v1, off, s[0:3], 0 offset:288
	;; [unrolled: 1-line block ×4, first 2 shown]
.LBB116_275:
	s_or_b32 exec_lo, exec_lo, s8
	v_mov_b32_e32 v4, s43
	v_cmp_lt_u32_e64 s4, 17, v0
	s_clause 0x3
	buffer_load_dword v1, v4, s[0:3], 0 offen
	buffer_load_dword v2, v4, s[0:3], 0 offen offset:4
	buffer_load_dword v3, v4, s[0:3], 0 offen offset:8
	;; [unrolled: 1-line block ×3, first 2 shown]
	s_waitcnt vmcnt(0)
	ds_write_b128 v112, v[1:4]
	s_waitcnt lgkmcnt(0)
	s_waitcnt_vscnt null, 0x0
	s_barrier
	buffer_gl0_inv
	s_and_saveexec_b32 s8, s4
	s_cbranch_execz .LBB116_283
; %bb.276:
	ds_read_b128 v[1:4], v112
	s_andn2_b32 vcc_lo, exec_lo, s60
	s_cbranch_vccnz .LBB116_278
; %bb.277:
	s_clause 0x3
	buffer_load_dword v113, v111, s[0:3], 0 offen offset:8
	buffer_load_dword v114, v111, s[0:3], 0 offen offset:12
	buffer_load_dword v115, v111, s[0:3], 0 offen
	buffer_load_dword v116, v111, s[0:3], 0 offen offset:4
	s_waitcnt vmcnt(2) lgkmcnt(0)
	v_mul_f64 v[118:119], v[3:4], v[113:114]
	v_mul_f64 v[113:114], v[1:2], v[113:114]
	s_waitcnt vmcnt(0)
	v_fma_f64 v[1:2], v[1:2], v[115:116], -v[118:119]
	v_fma_f64 v[3:4], v[3:4], v[115:116], v[113:114]
.LBB116_278:
	s_and_saveexec_b32 s61, s5
	s_cbranch_execz .LBB116_282
; %bb.279:
	v_subrev_nc_u32_e32 v113, 18, v0
	s_movk_i32 s62, 0x470
	s_mov_b32 s5, 0
	s_mov_b32 s63, s42
	.p2align	6
.LBB116_280:                            ; =>This Inner Loop Header: Depth=1
	v_mov_b32_e32 v116, s63
	v_add_nc_u32_e32 v113, -1, v113
	s_add_i32 s63, s63, 16
	s_clause 0x3
	buffer_load_dword v114, v116, s[0:3], 0 offen offset:8
	buffer_load_dword v115, v116, s[0:3], 0 offen offset:12
	buffer_load_dword v122, v116, s[0:3], 0 offen
	buffer_load_dword v123, v116, s[0:3], 0 offen offset:4
	v_mov_b32_e32 v116, s62
	v_cmp_eq_u32_e32 vcc_lo, 0, v113
	s_add_i32 s62, s62, 16
	ds_read_b128 v[118:121], v116
	s_or_b32 s5, vcc_lo, s5
	s_waitcnt vmcnt(2) lgkmcnt(0)
	v_mul_f64 v[124:125], v[120:121], v[114:115]
	v_mul_f64 v[114:115], v[118:119], v[114:115]
	s_waitcnt vmcnt(0)
	v_fma_f64 v[118:119], v[118:119], v[122:123], -v[124:125]
	v_fma_f64 v[114:115], v[120:121], v[122:123], v[114:115]
	v_add_f64 v[1:2], v[1:2], v[118:119]
	v_add_f64 v[3:4], v[3:4], v[114:115]
	s_andn2_b32 exec_lo, exec_lo, s5
	s_cbranch_execnz .LBB116_280
; %bb.281:
	s_or_b32 exec_lo, exec_lo, s5
.LBB116_282:
	s_or_b32 exec_lo, exec_lo, s61
	v_mov_b32_e32 v113, 0
	ds_read_b128 v[113:116], v113 offset:272
	s_waitcnt lgkmcnt(0)
	v_mul_f64 v[118:119], v[3:4], v[115:116]
	v_mul_f64 v[115:116], v[1:2], v[115:116]
	v_fma_f64 v[1:2], v[1:2], v[113:114], -v[118:119]
	v_fma_f64 v[3:4], v[3:4], v[113:114], v[115:116]
	buffer_store_dword v2, off, s[0:3], 0 offset:276
	buffer_store_dword v1, off, s[0:3], 0 offset:272
	;; [unrolled: 1-line block ×4, first 2 shown]
.LBB116_283:
	s_or_b32 exec_lo, exec_lo, s8
	v_mov_b32_e32 v4, s44
	v_cmp_lt_u32_e64 s5, 16, v0
	s_clause 0x3
	buffer_load_dword v1, v4, s[0:3], 0 offen
	buffer_load_dword v2, v4, s[0:3], 0 offen offset:4
	buffer_load_dword v3, v4, s[0:3], 0 offen offset:8
	;; [unrolled: 1-line block ×3, first 2 shown]
	s_waitcnt vmcnt(0)
	ds_write_b128 v112, v[1:4]
	s_waitcnt lgkmcnt(0)
	s_waitcnt_vscnt null, 0x0
	s_barrier
	buffer_gl0_inv
	s_and_saveexec_b32 s8, s5
	s_cbranch_execz .LBB116_291
; %bb.284:
	ds_read_b128 v[1:4], v112
	s_andn2_b32 vcc_lo, exec_lo, s60
	s_cbranch_vccnz .LBB116_286
; %bb.285:
	s_clause 0x3
	buffer_load_dword v113, v111, s[0:3], 0 offen offset:8
	buffer_load_dword v114, v111, s[0:3], 0 offen offset:12
	buffer_load_dword v115, v111, s[0:3], 0 offen
	buffer_load_dword v116, v111, s[0:3], 0 offen offset:4
	s_waitcnt vmcnt(2) lgkmcnt(0)
	v_mul_f64 v[118:119], v[3:4], v[113:114]
	v_mul_f64 v[113:114], v[1:2], v[113:114]
	s_waitcnt vmcnt(0)
	v_fma_f64 v[1:2], v[1:2], v[115:116], -v[118:119]
	v_fma_f64 v[3:4], v[3:4], v[115:116], v[113:114]
.LBB116_286:
	s_and_saveexec_b32 s61, s4
	s_cbranch_execz .LBB116_290
; %bb.287:
	v_subrev_nc_u32_e32 v113, 17, v0
	s_movk_i32 s62, 0x460
	s_mov_b32 s4, 0
	s_mov_b32 s63, s43
	.p2align	6
.LBB116_288:                            ; =>This Inner Loop Header: Depth=1
	v_mov_b32_e32 v116, s63
	v_add_nc_u32_e32 v113, -1, v113
	s_add_i32 s63, s63, 16
	s_clause 0x3
	buffer_load_dword v114, v116, s[0:3], 0 offen offset:8
	buffer_load_dword v115, v116, s[0:3], 0 offen offset:12
	buffer_load_dword v122, v116, s[0:3], 0 offen
	buffer_load_dword v123, v116, s[0:3], 0 offen offset:4
	v_mov_b32_e32 v116, s62
	v_cmp_eq_u32_e32 vcc_lo, 0, v113
	s_add_i32 s62, s62, 16
	ds_read_b128 v[118:121], v116
	s_or_b32 s4, vcc_lo, s4
	s_waitcnt vmcnt(2) lgkmcnt(0)
	v_mul_f64 v[124:125], v[120:121], v[114:115]
	v_mul_f64 v[114:115], v[118:119], v[114:115]
	s_waitcnt vmcnt(0)
	v_fma_f64 v[118:119], v[118:119], v[122:123], -v[124:125]
	v_fma_f64 v[114:115], v[120:121], v[122:123], v[114:115]
	v_add_f64 v[1:2], v[1:2], v[118:119]
	v_add_f64 v[3:4], v[3:4], v[114:115]
	s_andn2_b32 exec_lo, exec_lo, s4
	s_cbranch_execnz .LBB116_288
; %bb.289:
	s_or_b32 exec_lo, exec_lo, s4
.LBB116_290:
	s_or_b32 exec_lo, exec_lo, s61
	v_mov_b32_e32 v113, 0
	ds_read_b128 v[113:116], v113 offset:256
	s_waitcnt lgkmcnt(0)
	v_mul_f64 v[118:119], v[3:4], v[115:116]
	v_mul_f64 v[115:116], v[1:2], v[115:116]
	v_fma_f64 v[1:2], v[1:2], v[113:114], -v[118:119]
	v_fma_f64 v[3:4], v[3:4], v[113:114], v[115:116]
	buffer_store_dword v2, off, s[0:3], 0 offset:260
	buffer_store_dword v1, off, s[0:3], 0 offset:256
	;; [unrolled: 1-line block ×4, first 2 shown]
.LBB116_291:
	s_or_b32 exec_lo, exec_lo, s8
	v_mov_b32_e32 v4, s45
	v_cmp_lt_u32_e64 s4, 15, v0
	s_clause 0x3
	buffer_load_dword v1, v4, s[0:3], 0 offen
	buffer_load_dword v2, v4, s[0:3], 0 offen offset:4
	buffer_load_dword v3, v4, s[0:3], 0 offen offset:8
	;; [unrolled: 1-line block ×3, first 2 shown]
	s_waitcnt vmcnt(0)
	ds_write_b128 v112, v[1:4]
	s_waitcnt lgkmcnt(0)
	s_waitcnt_vscnt null, 0x0
	s_barrier
	buffer_gl0_inv
	s_and_saveexec_b32 s8, s4
	s_cbranch_execz .LBB116_299
; %bb.292:
	ds_read_b128 v[1:4], v112
	s_andn2_b32 vcc_lo, exec_lo, s60
	s_cbranch_vccnz .LBB116_294
; %bb.293:
	s_clause 0x3
	buffer_load_dword v113, v111, s[0:3], 0 offen offset:8
	buffer_load_dword v114, v111, s[0:3], 0 offen offset:12
	buffer_load_dword v115, v111, s[0:3], 0 offen
	buffer_load_dword v116, v111, s[0:3], 0 offen offset:4
	s_waitcnt vmcnt(2) lgkmcnt(0)
	v_mul_f64 v[118:119], v[3:4], v[113:114]
	v_mul_f64 v[113:114], v[1:2], v[113:114]
	s_waitcnt vmcnt(0)
	v_fma_f64 v[1:2], v[1:2], v[115:116], -v[118:119]
	v_fma_f64 v[3:4], v[3:4], v[115:116], v[113:114]
.LBB116_294:
	s_and_saveexec_b32 s61, s5
	s_cbranch_execz .LBB116_298
; %bb.295:
	v_add_nc_u32_e32 v113, -16, v0
	s_movk_i32 s62, 0x450
	s_mov_b32 s5, 0
	s_mov_b32 s63, s44
	.p2align	6
.LBB116_296:                            ; =>This Inner Loop Header: Depth=1
	v_mov_b32_e32 v116, s63
	v_add_nc_u32_e32 v113, -1, v113
	s_add_i32 s63, s63, 16
	s_clause 0x3
	buffer_load_dword v114, v116, s[0:3], 0 offen offset:8
	buffer_load_dword v115, v116, s[0:3], 0 offen offset:12
	buffer_load_dword v122, v116, s[0:3], 0 offen
	buffer_load_dword v123, v116, s[0:3], 0 offen offset:4
	v_mov_b32_e32 v116, s62
	v_cmp_eq_u32_e32 vcc_lo, 0, v113
	s_add_i32 s62, s62, 16
	ds_read_b128 v[118:121], v116
	s_or_b32 s5, vcc_lo, s5
	s_waitcnt vmcnt(2) lgkmcnt(0)
	v_mul_f64 v[124:125], v[120:121], v[114:115]
	v_mul_f64 v[114:115], v[118:119], v[114:115]
	s_waitcnt vmcnt(0)
	v_fma_f64 v[118:119], v[118:119], v[122:123], -v[124:125]
	v_fma_f64 v[114:115], v[120:121], v[122:123], v[114:115]
	v_add_f64 v[1:2], v[1:2], v[118:119]
	v_add_f64 v[3:4], v[3:4], v[114:115]
	s_andn2_b32 exec_lo, exec_lo, s5
	s_cbranch_execnz .LBB116_296
; %bb.297:
	s_or_b32 exec_lo, exec_lo, s5
.LBB116_298:
	s_or_b32 exec_lo, exec_lo, s61
	v_mov_b32_e32 v113, 0
	ds_read_b128 v[113:116], v113 offset:240
	s_waitcnt lgkmcnt(0)
	v_mul_f64 v[118:119], v[3:4], v[115:116]
	v_mul_f64 v[115:116], v[1:2], v[115:116]
	v_fma_f64 v[1:2], v[1:2], v[113:114], -v[118:119]
	v_fma_f64 v[3:4], v[3:4], v[113:114], v[115:116]
	buffer_store_dword v2, off, s[0:3], 0 offset:244
	buffer_store_dword v1, off, s[0:3], 0 offset:240
	;; [unrolled: 1-line block ×4, first 2 shown]
.LBB116_299:
	s_or_b32 exec_lo, exec_lo, s8
	v_mov_b32_e32 v4, s46
	v_cmp_lt_u32_e64 s5, 14, v0
	s_clause 0x3
	buffer_load_dword v1, v4, s[0:3], 0 offen
	buffer_load_dword v2, v4, s[0:3], 0 offen offset:4
	buffer_load_dword v3, v4, s[0:3], 0 offen offset:8
	;; [unrolled: 1-line block ×3, first 2 shown]
	s_waitcnt vmcnt(0)
	ds_write_b128 v112, v[1:4]
	s_waitcnt lgkmcnt(0)
	s_waitcnt_vscnt null, 0x0
	s_barrier
	buffer_gl0_inv
	s_and_saveexec_b32 s8, s5
	s_cbranch_execz .LBB116_307
; %bb.300:
	ds_read_b128 v[1:4], v112
	s_andn2_b32 vcc_lo, exec_lo, s60
	s_cbranch_vccnz .LBB116_302
; %bb.301:
	s_clause 0x3
	buffer_load_dword v113, v111, s[0:3], 0 offen offset:8
	buffer_load_dword v114, v111, s[0:3], 0 offen offset:12
	buffer_load_dword v115, v111, s[0:3], 0 offen
	buffer_load_dword v116, v111, s[0:3], 0 offen offset:4
	s_waitcnt vmcnt(2) lgkmcnt(0)
	v_mul_f64 v[118:119], v[3:4], v[113:114]
	v_mul_f64 v[113:114], v[1:2], v[113:114]
	s_waitcnt vmcnt(0)
	v_fma_f64 v[1:2], v[1:2], v[115:116], -v[118:119]
	v_fma_f64 v[3:4], v[3:4], v[115:116], v[113:114]
.LBB116_302:
	s_and_saveexec_b32 s61, s4
	s_cbranch_execz .LBB116_306
; %bb.303:
	v_add_nc_u32_e32 v113, -15, v0
	s_movk_i32 s62, 0x440
	s_mov_b32 s4, 0
	s_mov_b32 s63, s45
	.p2align	6
.LBB116_304:                            ; =>This Inner Loop Header: Depth=1
	v_mov_b32_e32 v116, s63
	v_add_nc_u32_e32 v113, -1, v113
	s_add_i32 s63, s63, 16
	s_clause 0x3
	buffer_load_dword v114, v116, s[0:3], 0 offen offset:8
	buffer_load_dword v115, v116, s[0:3], 0 offen offset:12
	buffer_load_dword v122, v116, s[0:3], 0 offen
	buffer_load_dword v123, v116, s[0:3], 0 offen offset:4
	v_mov_b32_e32 v116, s62
	v_cmp_eq_u32_e32 vcc_lo, 0, v113
	s_add_i32 s62, s62, 16
	ds_read_b128 v[118:121], v116
	s_or_b32 s4, vcc_lo, s4
	s_waitcnt vmcnt(2) lgkmcnt(0)
	v_mul_f64 v[124:125], v[120:121], v[114:115]
	v_mul_f64 v[114:115], v[118:119], v[114:115]
	s_waitcnt vmcnt(0)
	v_fma_f64 v[118:119], v[118:119], v[122:123], -v[124:125]
	v_fma_f64 v[114:115], v[120:121], v[122:123], v[114:115]
	v_add_f64 v[1:2], v[1:2], v[118:119]
	v_add_f64 v[3:4], v[3:4], v[114:115]
	s_andn2_b32 exec_lo, exec_lo, s4
	s_cbranch_execnz .LBB116_304
; %bb.305:
	s_or_b32 exec_lo, exec_lo, s4
.LBB116_306:
	s_or_b32 exec_lo, exec_lo, s61
	v_mov_b32_e32 v113, 0
	ds_read_b128 v[113:116], v113 offset:224
	s_waitcnt lgkmcnt(0)
	v_mul_f64 v[118:119], v[3:4], v[115:116]
	v_mul_f64 v[115:116], v[1:2], v[115:116]
	v_fma_f64 v[1:2], v[1:2], v[113:114], -v[118:119]
	v_fma_f64 v[3:4], v[3:4], v[113:114], v[115:116]
	buffer_store_dword v2, off, s[0:3], 0 offset:228
	buffer_store_dword v1, off, s[0:3], 0 offset:224
	;; [unrolled: 1-line block ×4, first 2 shown]
.LBB116_307:
	s_or_b32 exec_lo, exec_lo, s8
	v_mov_b32_e32 v4, s47
	v_cmp_lt_u32_e64 s4, 13, v0
	s_clause 0x3
	buffer_load_dword v1, v4, s[0:3], 0 offen
	buffer_load_dword v2, v4, s[0:3], 0 offen offset:4
	buffer_load_dword v3, v4, s[0:3], 0 offen offset:8
	;; [unrolled: 1-line block ×3, first 2 shown]
	s_waitcnt vmcnt(0)
	ds_write_b128 v112, v[1:4]
	s_waitcnt lgkmcnt(0)
	s_waitcnt_vscnt null, 0x0
	s_barrier
	buffer_gl0_inv
	s_and_saveexec_b32 s8, s4
	s_cbranch_execz .LBB116_315
; %bb.308:
	ds_read_b128 v[1:4], v112
	s_andn2_b32 vcc_lo, exec_lo, s60
	s_cbranch_vccnz .LBB116_310
; %bb.309:
	s_clause 0x3
	buffer_load_dword v113, v111, s[0:3], 0 offen offset:8
	buffer_load_dword v114, v111, s[0:3], 0 offen offset:12
	buffer_load_dword v115, v111, s[0:3], 0 offen
	buffer_load_dword v116, v111, s[0:3], 0 offen offset:4
	s_waitcnt vmcnt(2) lgkmcnt(0)
	v_mul_f64 v[118:119], v[3:4], v[113:114]
	v_mul_f64 v[113:114], v[1:2], v[113:114]
	s_waitcnt vmcnt(0)
	v_fma_f64 v[1:2], v[1:2], v[115:116], -v[118:119]
	v_fma_f64 v[3:4], v[3:4], v[115:116], v[113:114]
.LBB116_310:
	s_and_saveexec_b32 s61, s5
	s_cbranch_execz .LBB116_314
; %bb.311:
	v_add_nc_u32_e32 v113, -14, v0
	s_movk_i32 s62, 0x430
	s_mov_b32 s5, 0
	s_mov_b32 s63, s46
	.p2align	6
.LBB116_312:                            ; =>This Inner Loop Header: Depth=1
	v_mov_b32_e32 v116, s63
	v_add_nc_u32_e32 v113, -1, v113
	s_add_i32 s63, s63, 16
	s_clause 0x3
	buffer_load_dword v114, v116, s[0:3], 0 offen offset:8
	buffer_load_dword v115, v116, s[0:3], 0 offen offset:12
	buffer_load_dword v122, v116, s[0:3], 0 offen
	buffer_load_dword v123, v116, s[0:3], 0 offen offset:4
	v_mov_b32_e32 v116, s62
	v_cmp_eq_u32_e32 vcc_lo, 0, v113
	s_add_i32 s62, s62, 16
	ds_read_b128 v[118:121], v116
	s_or_b32 s5, vcc_lo, s5
	s_waitcnt vmcnt(2) lgkmcnt(0)
	v_mul_f64 v[124:125], v[120:121], v[114:115]
	v_mul_f64 v[114:115], v[118:119], v[114:115]
	s_waitcnt vmcnt(0)
	v_fma_f64 v[118:119], v[118:119], v[122:123], -v[124:125]
	v_fma_f64 v[114:115], v[120:121], v[122:123], v[114:115]
	v_add_f64 v[1:2], v[1:2], v[118:119]
	v_add_f64 v[3:4], v[3:4], v[114:115]
	s_andn2_b32 exec_lo, exec_lo, s5
	s_cbranch_execnz .LBB116_312
; %bb.313:
	s_or_b32 exec_lo, exec_lo, s5
.LBB116_314:
	s_or_b32 exec_lo, exec_lo, s61
	v_mov_b32_e32 v113, 0
	ds_read_b128 v[113:116], v113 offset:208
	s_waitcnt lgkmcnt(0)
	v_mul_f64 v[118:119], v[3:4], v[115:116]
	v_mul_f64 v[115:116], v[1:2], v[115:116]
	v_fma_f64 v[1:2], v[1:2], v[113:114], -v[118:119]
	v_fma_f64 v[3:4], v[3:4], v[113:114], v[115:116]
	buffer_store_dword v2, off, s[0:3], 0 offset:212
	buffer_store_dword v1, off, s[0:3], 0 offset:208
	;; [unrolled: 1-line block ×4, first 2 shown]
.LBB116_315:
	s_or_b32 exec_lo, exec_lo, s8
	v_mov_b32_e32 v4, s48
	v_cmp_lt_u32_e64 s5, 12, v0
	s_clause 0x3
	buffer_load_dword v1, v4, s[0:3], 0 offen
	buffer_load_dword v2, v4, s[0:3], 0 offen offset:4
	buffer_load_dword v3, v4, s[0:3], 0 offen offset:8
	buffer_load_dword v4, v4, s[0:3], 0 offen offset:12
	s_waitcnt vmcnt(0)
	ds_write_b128 v112, v[1:4]
	s_waitcnt lgkmcnt(0)
	s_waitcnt_vscnt null, 0x0
	s_barrier
	buffer_gl0_inv
	s_and_saveexec_b32 s8, s5
	s_cbranch_execz .LBB116_323
; %bb.316:
	ds_read_b128 v[1:4], v112
	s_andn2_b32 vcc_lo, exec_lo, s60
	s_cbranch_vccnz .LBB116_318
; %bb.317:
	s_clause 0x3
	buffer_load_dword v113, v111, s[0:3], 0 offen offset:8
	buffer_load_dword v114, v111, s[0:3], 0 offen offset:12
	buffer_load_dword v115, v111, s[0:3], 0 offen
	buffer_load_dword v116, v111, s[0:3], 0 offen offset:4
	s_waitcnt vmcnt(2) lgkmcnt(0)
	v_mul_f64 v[118:119], v[3:4], v[113:114]
	v_mul_f64 v[113:114], v[1:2], v[113:114]
	s_waitcnt vmcnt(0)
	v_fma_f64 v[1:2], v[1:2], v[115:116], -v[118:119]
	v_fma_f64 v[3:4], v[3:4], v[115:116], v[113:114]
.LBB116_318:
	s_and_saveexec_b32 s61, s4
	s_cbranch_execz .LBB116_322
; %bb.319:
	v_add_nc_u32_e32 v113, -13, v0
	s_movk_i32 s62, 0x420
	s_mov_b32 s4, 0
	s_mov_b32 s63, s47
	.p2align	6
.LBB116_320:                            ; =>This Inner Loop Header: Depth=1
	v_mov_b32_e32 v116, s63
	v_add_nc_u32_e32 v113, -1, v113
	s_add_i32 s63, s63, 16
	s_clause 0x3
	buffer_load_dword v114, v116, s[0:3], 0 offen offset:8
	buffer_load_dword v115, v116, s[0:3], 0 offen offset:12
	buffer_load_dword v122, v116, s[0:3], 0 offen
	buffer_load_dword v123, v116, s[0:3], 0 offen offset:4
	v_mov_b32_e32 v116, s62
	v_cmp_eq_u32_e32 vcc_lo, 0, v113
	s_add_i32 s62, s62, 16
	ds_read_b128 v[118:121], v116
	s_or_b32 s4, vcc_lo, s4
	s_waitcnt vmcnt(2) lgkmcnt(0)
	v_mul_f64 v[124:125], v[120:121], v[114:115]
	v_mul_f64 v[114:115], v[118:119], v[114:115]
	s_waitcnt vmcnt(0)
	v_fma_f64 v[118:119], v[118:119], v[122:123], -v[124:125]
	v_fma_f64 v[114:115], v[120:121], v[122:123], v[114:115]
	v_add_f64 v[1:2], v[1:2], v[118:119]
	v_add_f64 v[3:4], v[3:4], v[114:115]
	s_andn2_b32 exec_lo, exec_lo, s4
	s_cbranch_execnz .LBB116_320
; %bb.321:
	s_or_b32 exec_lo, exec_lo, s4
.LBB116_322:
	s_or_b32 exec_lo, exec_lo, s61
	v_mov_b32_e32 v113, 0
	ds_read_b128 v[113:116], v113 offset:192
	s_waitcnt lgkmcnt(0)
	v_mul_f64 v[118:119], v[3:4], v[115:116]
	v_mul_f64 v[115:116], v[1:2], v[115:116]
	v_fma_f64 v[1:2], v[1:2], v[113:114], -v[118:119]
	v_fma_f64 v[3:4], v[3:4], v[113:114], v[115:116]
	buffer_store_dword v2, off, s[0:3], 0 offset:196
	buffer_store_dword v1, off, s[0:3], 0 offset:192
	;; [unrolled: 1-line block ×4, first 2 shown]
.LBB116_323:
	s_or_b32 exec_lo, exec_lo, s8
	v_mov_b32_e32 v4, s49
	v_cmp_lt_u32_e64 s4, 11, v0
	s_clause 0x3
	buffer_load_dword v1, v4, s[0:3], 0 offen
	buffer_load_dword v2, v4, s[0:3], 0 offen offset:4
	buffer_load_dword v3, v4, s[0:3], 0 offen offset:8
	;; [unrolled: 1-line block ×3, first 2 shown]
	s_waitcnt vmcnt(0)
	ds_write_b128 v112, v[1:4]
	s_waitcnt lgkmcnt(0)
	s_waitcnt_vscnt null, 0x0
	s_barrier
	buffer_gl0_inv
	s_and_saveexec_b32 s8, s4
	s_cbranch_execz .LBB116_331
; %bb.324:
	ds_read_b128 v[1:4], v112
	s_andn2_b32 vcc_lo, exec_lo, s60
	s_cbranch_vccnz .LBB116_326
; %bb.325:
	s_clause 0x3
	buffer_load_dword v113, v111, s[0:3], 0 offen offset:8
	buffer_load_dword v114, v111, s[0:3], 0 offen offset:12
	buffer_load_dword v115, v111, s[0:3], 0 offen
	buffer_load_dword v116, v111, s[0:3], 0 offen offset:4
	s_waitcnt vmcnt(2) lgkmcnt(0)
	v_mul_f64 v[118:119], v[3:4], v[113:114]
	v_mul_f64 v[113:114], v[1:2], v[113:114]
	s_waitcnt vmcnt(0)
	v_fma_f64 v[1:2], v[1:2], v[115:116], -v[118:119]
	v_fma_f64 v[3:4], v[3:4], v[115:116], v[113:114]
.LBB116_326:
	s_and_saveexec_b32 s61, s5
	s_cbranch_execz .LBB116_330
; %bb.327:
	v_add_nc_u32_e32 v113, -12, v0
	s_movk_i32 s62, 0x410
	s_mov_b32 s5, 0
	s_mov_b32 s63, s48
	.p2align	6
.LBB116_328:                            ; =>This Inner Loop Header: Depth=1
	v_mov_b32_e32 v116, s63
	v_add_nc_u32_e32 v113, -1, v113
	s_add_i32 s63, s63, 16
	s_clause 0x3
	buffer_load_dword v114, v116, s[0:3], 0 offen offset:8
	buffer_load_dword v115, v116, s[0:3], 0 offen offset:12
	buffer_load_dword v122, v116, s[0:3], 0 offen
	buffer_load_dword v123, v116, s[0:3], 0 offen offset:4
	v_mov_b32_e32 v116, s62
	v_cmp_eq_u32_e32 vcc_lo, 0, v113
	s_add_i32 s62, s62, 16
	ds_read_b128 v[118:121], v116
	s_or_b32 s5, vcc_lo, s5
	s_waitcnt vmcnt(2) lgkmcnt(0)
	v_mul_f64 v[124:125], v[120:121], v[114:115]
	v_mul_f64 v[114:115], v[118:119], v[114:115]
	s_waitcnt vmcnt(0)
	v_fma_f64 v[118:119], v[118:119], v[122:123], -v[124:125]
	v_fma_f64 v[114:115], v[120:121], v[122:123], v[114:115]
	v_add_f64 v[1:2], v[1:2], v[118:119]
	v_add_f64 v[3:4], v[3:4], v[114:115]
	s_andn2_b32 exec_lo, exec_lo, s5
	s_cbranch_execnz .LBB116_328
; %bb.329:
	s_or_b32 exec_lo, exec_lo, s5
.LBB116_330:
	s_or_b32 exec_lo, exec_lo, s61
	v_mov_b32_e32 v113, 0
	ds_read_b128 v[113:116], v113 offset:176
	s_waitcnt lgkmcnt(0)
	v_mul_f64 v[118:119], v[3:4], v[115:116]
	v_mul_f64 v[115:116], v[1:2], v[115:116]
	v_fma_f64 v[1:2], v[1:2], v[113:114], -v[118:119]
	v_fma_f64 v[3:4], v[3:4], v[113:114], v[115:116]
	buffer_store_dword v2, off, s[0:3], 0 offset:180
	buffer_store_dword v1, off, s[0:3], 0 offset:176
	;; [unrolled: 1-line block ×4, first 2 shown]
.LBB116_331:
	s_or_b32 exec_lo, exec_lo, s8
	v_mov_b32_e32 v4, s50
	v_cmp_lt_u32_e64 s5, 10, v0
	s_clause 0x3
	buffer_load_dword v1, v4, s[0:3], 0 offen
	buffer_load_dword v2, v4, s[0:3], 0 offen offset:4
	buffer_load_dword v3, v4, s[0:3], 0 offen offset:8
	;; [unrolled: 1-line block ×3, first 2 shown]
	s_waitcnt vmcnt(0)
	ds_write_b128 v112, v[1:4]
	s_waitcnt lgkmcnt(0)
	s_waitcnt_vscnt null, 0x0
	s_barrier
	buffer_gl0_inv
	s_and_saveexec_b32 s8, s5
	s_cbranch_execz .LBB116_339
; %bb.332:
	ds_read_b128 v[1:4], v112
	s_andn2_b32 vcc_lo, exec_lo, s60
	s_cbranch_vccnz .LBB116_334
; %bb.333:
	s_clause 0x3
	buffer_load_dword v113, v111, s[0:3], 0 offen offset:8
	buffer_load_dword v114, v111, s[0:3], 0 offen offset:12
	buffer_load_dword v115, v111, s[0:3], 0 offen
	buffer_load_dword v116, v111, s[0:3], 0 offen offset:4
	s_waitcnt vmcnt(2) lgkmcnt(0)
	v_mul_f64 v[118:119], v[3:4], v[113:114]
	v_mul_f64 v[113:114], v[1:2], v[113:114]
	s_waitcnt vmcnt(0)
	v_fma_f64 v[1:2], v[1:2], v[115:116], -v[118:119]
	v_fma_f64 v[3:4], v[3:4], v[115:116], v[113:114]
.LBB116_334:
	s_and_saveexec_b32 s61, s4
	s_cbranch_execz .LBB116_338
; %bb.335:
	v_add_nc_u32_e32 v113, -11, v0
	s_movk_i32 s62, 0x400
	s_mov_b32 s4, 0
	s_mov_b32 s63, s49
	.p2align	6
.LBB116_336:                            ; =>This Inner Loop Header: Depth=1
	v_mov_b32_e32 v116, s63
	v_add_nc_u32_e32 v113, -1, v113
	s_add_i32 s63, s63, 16
	s_clause 0x3
	buffer_load_dword v114, v116, s[0:3], 0 offen offset:8
	buffer_load_dword v115, v116, s[0:3], 0 offen offset:12
	buffer_load_dword v122, v116, s[0:3], 0 offen
	buffer_load_dword v123, v116, s[0:3], 0 offen offset:4
	v_mov_b32_e32 v116, s62
	v_cmp_eq_u32_e32 vcc_lo, 0, v113
	s_add_i32 s62, s62, 16
	ds_read_b128 v[118:121], v116
	s_or_b32 s4, vcc_lo, s4
	s_waitcnt vmcnt(2) lgkmcnt(0)
	v_mul_f64 v[124:125], v[120:121], v[114:115]
	v_mul_f64 v[114:115], v[118:119], v[114:115]
	s_waitcnt vmcnt(0)
	v_fma_f64 v[118:119], v[118:119], v[122:123], -v[124:125]
	v_fma_f64 v[114:115], v[120:121], v[122:123], v[114:115]
	v_add_f64 v[1:2], v[1:2], v[118:119]
	v_add_f64 v[3:4], v[3:4], v[114:115]
	s_andn2_b32 exec_lo, exec_lo, s4
	s_cbranch_execnz .LBB116_336
; %bb.337:
	s_or_b32 exec_lo, exec_lo, s4
.LBB116_338:
	s_or_b32 exec_lo, exec_lo, s61
	v_mov_b32_e32 v113, 0
	ds_read_b128 v[113:116], v113 offset:160
	s_waitcnt lgkmcnt(0)
	v_mul_f64 v[118:119], v[3:4], v[115:116]
	v_mul_f64 v[115:116], v[1:2], v[115:116]
	v_fma_f64 v[1:2], v[1:2], v[113:114], -v[118:119]
	v_fma_f64 v[3:4], v[3:4], v[113:114], v[115:116]
	buffer_store_dword v2, off, s[0:3], 0 offset:164
	buffer_store_dword v1, off, s[0:3], 0 offset:160
	buffer_store_dword v4, off, s[0:3], 0 offset:172
	buffer_store_dword v3, off, s[0:3], 0 offset:168
.LBB116_339:
	s_or_b32 exec_lo, exec_lo, s8
	v_mov_b32_e32 v4, s51
	v_cmp_lt_u32_e64 s4, 9, v0
	s_clause 0x3
	buffer_load_dword v1, v4, s[0:3], 0 offen
	buffer_load_dword v2, v4, s[0:3], 0 offen offset:4
	buffer_load_dword v3, v4, s[0:3], 0 offen offset:8
	;; [unrolled: 1-line block ×3, first 2 shown]
	s_waitcnt vmcnt(0)
	ds_write_b128 v112, v[1:4]
	s_waitcnt lgkmcnt(0)
	s_waitcnt_vscnt null, 0x0
	s_barrier
	buffer_gl0_inv
	s_and_saveexec_b32 s8, s4
	s_cbranch_execz .LBB116_347
; %bb.340:
	ds_read_b128 v[1:4], v112
	s_andn2_b32 vcc_lo, exec_lo, s60
	s_cbranch_vccnz .LBB116_342
; %bb.341:
	s_clause 0x3
	buffer_load_dword v113, v111, s[0:3], 0 offen offset:8
	buffer_load_dword v114, v111, s[0:3], 0 offen offset:12
	buffer_load_dword v115, v111, s[0:3], 0 offen
	buffer_load_dword v116, v111, s[0:3], 0 offen offset:4
	s_waitcnt vmcnt(2) lgkmcnt(0)
	v_mul_f64 v[118:119], v[3:4], v[113:114]
	v_mul_f64 v[113:114], v[1:2], v[113:114]
	s_waitcnt vmcnt(0)
	v_fma_f64 v[1:2], v[1:2], v[115:116], -v[118:119]
	v_fma_f64 v[3:4], v[3:4], v[115:116], v[113:114]
.LBB116_342:
	s_and_saveexec_b32 s61, s5
	s_cbranch_execz .LBB116_346
; %bb.343:
	v_add_nc_u32_e32 v113, -10, v0
	s_movk_i32 s62, 0x3f0
	s_mov_b32 s5, 0
	s_mov_b32 s63, s50
	.p2align	6
.LBB116_344:                            ; =>This Inner Loop Header: Depth=1
	v_mov_b32_e32 v116, s63
	v_add_nc_u32_e32 v113, -1, v113
	s_add_i32 s63, s63, 16
	s_clause 0x3
	buffer_load_dword v114, v116, s[0:3], 0 offen offset:8
	buffer_load_dword v115, v116, s[0:3], 0 offen offset:12
	buffer_load_dword v122, v116, s[0:3], 0 offen
	buffer_load_dword v123, v116, s[0:3], 0 offen offset:4
	v_mov_b32_e32 v116, s62
	v_cmp_eq_u32_e32 vcc_lo, 0, v113
	s_add_i32 s62, s62, 16
	ds_read_b128 v[118:121], v116
	s_or_b32 s5, vcc_lo, s5
	s_waitcnt vmcnt(2) lgkmcnt(0)
	v_mul_f64 v[124:125], v[120:121], v[114:115]
	v_mul_f64 v[114:115], v[118:119], v[114:115]
	s_waitcnt vmcnt(0)
	v_fma_f64 v[118:119], v[118:119], v[122:123], -v[124:125]
	v_fma_f64 v[114:115], v[120:121], v[122:123], v[114:115]
	v_add_f64 v[1:2], v[1:2], v[118:119]
	v_add_f64 v[3:4], v[3:4], v[114:115]
	s_andn2_b32 exec_lo, exec_lo, s5
	s_cbranch_execnz .LBB116_344
; %bb.345:
	s_or_b32 exec_lo, exec_lo, s5
.LBB116_346:
	s_or_b32 exec_lo, exec_lo, s61
	v_mov_b32_e32 v113, 0
	ds_read_b128 v[113:116], v113 offset:144
	s_waitcnt lgkmcnt(0)
	v_mul_f64 v[118:119], v[3:4], v[115:116]
	v_mul_f64 v[115:116], v[1:2], v[115:116]
	v_fma_f64 v[1:2], v[1:2], v[113:114], -v[118:119]
	v_fma_f64 v[3:4], v[3:4], v[113:114], v[115:116]
	buffer_store_dword v2, off, s[0:3], 0 offset:148
	buffer_store_dword v1, off, s[0:3], 0 offset:144
	;; [unrolled: 1-line block ×4, first 2 shown]
.LBB116_347:
	s_or_b32 exec_lo, exec_lo, s8
	v_mov_b32_e32 v4, s52
	v_cmp_lt_u32_e64 s5, 8, v0
	s_clause 0x3
	buffer_load_dword v1, v4, s[0:3], 0 offen
	buffer_load_dword v2, v4, s[0:3], 0 offen offset:4
	buffer_load_dword v3, v4, s[0:3], 0 offen offset:8
	;; [unrolled: 1-line block ×3, first 2 shown]
	s_waitcnt vmcnt(0)
	ds_write_b128 v112, v[1:4]
	s_waitcnt lgkmcnt(0)
	s_waitcnt_vscnt null, 0x0
	s_barrier
	buffer_gl0_inv
	s_and_saveexec_b32 s8, s5
	s_cbranch_execz .LBB116_355
; %bb.348:
	ds_read_b128 v[1:4], v112
	s_andn2_b32 vcc_lo, exec_lo, s60
	s_cbranch_vccnz .LBB116_350
; %bb.349:
	s_clause 0x3
	buffer_load_dword v113, v111, s[0:3], 0 offen offset:8
	buffer_load_dword v114, v111, s[0:3], 0 offen offset:12
	buffer_load_dword v115, v111, s[0:3], 0 offen
	buffer_load_dword v116, v111, s[0:3], 0 offen offset:4
	s_waitcnt vmcnt(2) lgkmcnt(0)
	v_mul_f64 v[118:119], v[3:4], v[113:114]
	v_mul_f64 v[113:114], v[1:2], v[113:114]
	s_waitcnt vmcnt(0)
	v_fma_f64 v[1:2], v[1:2], v[115:116], -v[118:119]
	v_fma_f64 v[3:4], v[3:4], v[115:116], v[113:114]
.LBB116_350:
	s_and_saveexec_b32 s61, s4
	s_cbranch_execz .LBB116_354
; %bb.351:
	v_add_nc_u32_e32 v113, -9, v0
	s_movk_i32 s62, 0x3e0
	s_mov_b32 s4, 0
	s_mov_b32 s63, s51
	.p2align	6
.LBB116_352:                            ; =>This Inner Loop Header: Depth=1
	v_mov_b32_e32 v116, s63
	v_add_nc_u32_e32 v113, -1, v113
	s_add_i32 s63, s63, 16
	s_clause 0x3
	buffer_load_dword v114, v116, s[0:3], 0 offen offset:8
	buffer_load_dword v115, v116, s[0:3], 0 offen offset:12
	buffer_load_dword v122, v116, s[0:3], 0 offen
	buffer_load_dword v123, v116, s[0:3], 0 offen offset:4
	v_mov_b32_e32 v116, s62
	v_cmp_eq_u32_e32 vcc_lo, 0, v113
	s_add_i32 s62, s62, 16
	ds_read_b128 v[118:121], v116
	s_or_b32 s4, vcc_lo, s4
	s_waitcnt vmcnt(2) lgkmcnt(0)
	v_mul_f64 v[124:125], v[120:121], v[114:115]
	v_mul_f64 v[114:115], v[118:119], v[114:115]
	s_waitcnt vmcnt(0)
	v_fma_f64 v[118:119], v[118:119], v[122:123], -v[124:125]
	v_fma_f64 v[114:115], v[120:121], v[122:123], v[114:115]
	v_add_f64 v[1:2], v[1:2], v[118:119]
	v_add_f64 v[3:4], v[3:4], v[114:115]
	s_andn2_b32 exec_lo, exec_lo, s4
	s_cbranch_execnz .LBB116_352
; %bb.353:
	s_or_b32 exec_lo, exec_lo, s4
.LBB116_354:
	s_or_b32 exec_lo, exec_lo, s61
	v_mov_b32_e32 v113, 0
	ds_read_b128 v[113:116], v113 offset:128
	s_waitcnt lgkmcnt(0)
	v_mul_f64 v[118:119], v[3:4], v[115:116]
	v_mul_f64 v[115:116], v[1:2], v[115:116]
	v_fma_f64 v[1:2], v[1:2], v[113:114], -v[118:119]
	v_fma_f64 v[3:4], v[3:4], v[113:114], v[115:116]
	buffer_store_dword v2, off, s[0:3], 0 offset:132
	buffer_store_dword v1, off, s[0:3], 0 offset:128
	;; [unrolled: 1-line block ×4, first 2 shown]
.LBB116_355:
	s_or_b32 exec_lo, exec_lo, s8
	v_mov_b32_e32 v4, s53
	v_cmp_lt_u32_e64 s4, 7, v0
	s_clause 0x3
	buffer_load_dword v1, v4, s[0:3], 0 offen
	buffer_load_dword v2, v4, s[0:3], 0 offen offset:4
	buffer_load_dword v3, v4, s[0:3], 0 offen offset:8
	;; [unrolled: 1-line block ×3, first 2 shown]
	s_waitcnt vmcnt(0)
	ds_write_b128 v112, v[1:4]
	s_waitcnt lgkmcnt(0)
	s_waitcnt_vscnt null, 0x0
	s_barrier
	buffer_gl0_inv
	s_and_saveexec_b32 s8, s4
	s_cbranch_execz .LBB116_363
; %bb.356:
	ds_read_b128 v[1:4], v112
	s_andn2_b32 vcc_lo, exec_lo, s60
	s_cbranch_vccnz .LBB116_358
; %bb.357:
	s_clause 0x3
	buffer_load_dword v113, v111, s[0:3], 0 offen offset:8
	buffer_load_dword v114, v111, s[0:3], 0 offen offset:12
	buffer_load_dword v115, v111, s[0:3], 0 offen
	buffer_load_dword v116, v111, s[0:3], 0 offen offset:4
	s_waitcnt vmcnt(2) lgkmcnt(0)
	v_mul_f64 v[118:119], v[3:4], v[113:114]
	v_mul_f64 v[113:114], v[1:2], v[113:114]
	s_waitcnt vmcnt(0)
	v_fma_f64 v[1:2], v[1:2], v[115:116], -v[118:119]
	v_fma_f64 v[3:4], v[3:4], v[115:116], v[113:114]
.LBB116_358:
	s_and_saveexec_b32 s61, s5
	s_cbranch_execz .LBB116_362
; %bb.359:
	v_add_nc_u32_e32 v113, -8, v0
	s_movk_i32 s62, 0x3d0
	s_mov_b32 s5, 0
	s_mov_b32 s63, s52
	.p2align	6
.LBB116_360:                            ; =>This Inner Loop Header: Depth=1
	v_mov_b32_e32 v116, s63
	v_add_nc_u32_e32 v113, -1, v113
	s_add_i32 s63, s63, 16
	s_clause 0x3
	buffer_load_dword v114, v116, s[0:3], 0 offen offset:8
	buffer_load_dword v115, v116, s[0:3], 0 offen offset:12
	buffer_load_dword v122, v116, s[0:3], 0 offen
	buffer_load_dword v123, v116, s[0:3], 0 offen offset:4
	v_mov_b32_e32 v116, s62
	v_cmp_eq_u32_e32 vcc_lo, 0, v113
	s_add_i32 s62, s62, 16
	ds_read_b128 v[118:121], v116
	s_or_b32 s5, vcc_lo, s5
	s_waitcnt vmcnt(2) lgkmcnt(0)
	v_mul_f64 v[124:125], v[120:121], v[114:115]
	v_mul_f64 v[114:115], v[118:119], v[114:115]
	s_waitcnt vmcnt(0)
	v_fma_f64 v[118:119], v[118:119], v[122:123], -v[124:125]
	v_fma_f64 v[114:115], v[120:121], v[122:123], v[114:115]
	v_add_f64 v[1:2], v[1:2], v[118:119]
	v_add_f64 v[3:4], v[3:4], v[114:115]
	s_andn2_b32 exec_lo, exec_lo, s5
	s_cbranch_execnz .LBB116_360
; %bb.361:
	s_or_b32 exec_lo, exec_lo, s5
.LBB116_362:
	s_or_b32 exec_lo, exec_lo, s61
	v_mov_b32_e32 v113, 0
	ds_read_b128 v[113:116], v113 offset:112
	s_waitcnt lgkmcnt(0)
	v_mul_f64 v[118:119], v[3:4], v[115:116]
	v_mul_f64 v[115:116], v[1:2], v[115:116]
	v_fma_f64 v[1:2], v[1:2], v[113:114], -v[118:119]
	v_fma_f64 v[3:4], v[3:4], v[113:114], v[115:116]
	buffer_store_dword v2, off, s[0:3], 0 offset:116
	buffer_store_dword v1, off, s[0:3], 0 offset:112
	;; [unrolled: 1-line block ×4, first 2 shown]
.LBB116_363:
	s_or_b32 exec_lo, exec_lo, s8
	v_mov_b32_e32 v4, s54
	v_cmp_lt_u32_e64 s5, 6, v0
	s_clause 0x3
	buffer_load_dword v1, v4, s[0:3], 0 offen
	buffer_load_dword v2, v4, s[0:3], 0 offen offset:4
	buffer_load_dword v3, v4, s[0:3], 0 offen offset:8
	;; [unrolled: 1-line block ×3, first 2 shown]
	s_waitcnt vmcnt(0)
	ds_write_b128 v112, v[1:4]
	s_waitcnt lgkmcnt(0)
	s_waitcnt_vscnt null, 0x0
	s_barrier
	buffer_gl0_inv
	s_and_saveexec_b32 s8, s5
	s_cbranch_execz .LBB116_371
; %bb.364:
	ds_read_b128 v[1:4], v112
	s_andn2_b32 vcc_lo, exec_lo, s60
	s_cbranch_vccnz .LBB116_366
; %bb.365:
	s_clause 0x3
	buffer_load_dword v113, v111, s[0:3], 0 offen offset:8
	buffer_load_dword v114, v111, s[0:3], 0 offen offset:12
	buffer_load_dword v115, v111, s[0:3], 0 offen
	buffer_load_dword v116, v111, s[0:3], 0 offen offset:4
	s_waitcnt vmcnt(2) lgkmcnt(0)
	v_mul_f64 v[118:119], v[3:4], v[113:114]
	v_mul_f64 v[113:114], v[1:2], v[113:114]
	s_waitcnt vmcnt(0)
	v_fma_f64 v[1:2], v[1:2], v[115:116], -v[118:119]
	v_fma_f64 v[3:4], v[3:4], v[115:116], v[113:114]
.LBB116_366:
	s_and_saveexec_b32 s61, s4
	s_cbranch_execz .LBB116_370
; %bb.367:
	v_add_nc_u32_e32 v113, -7, v0
	s_movk_i32 s62, 0x3c0
	s_mov_b32 s4, 0
	s_mov_b32 s63, s53
	.p2align	6
.LBB116_368:                            ; =>This Inner Loop Header: Depth=1
	v_mov_b32_e32 v116, s63
	v_add_nc_u32_e32 v113, -1, v113
	s_add_i32 s63, s63, 16
	s_clause 0x3
	buffer_load_dword v114, v116, s[0:3], 0 offen offset:8
	buffer_load_dword v115, v116, s[0:3], 0 offen offset:12
	buffer_load_dword v122, v116, s[0:3], 0 offen
	buffer_load_dword v123, v116, s[0:3], 0 offen offset:4
	v_mov_b32_e32 v116, s62
	v_cmp_eq_u32_e32 vcc_lo, 0, v113
	s_add_i32 s62, s62, 16
	ds_read_b128 v[118:121], v116
	s_or_b32 s4, vcc_lo, s4
	s_waitcnt vmcnt(2) lgkmcnt(0)
	v_mul_f64 v[124:125], v[120:121], v[114:115]
	v_mul_f64 v[114:115], v[118:119], v[114:115]
	s_waitcnt vmcnt(0)
	v_fma_f64 v[118:119], v[118:119], v[122:123], -v[124:125]
	v_fma_f64 v[114:115], v[120:121], v[122:123], v[114:115]
	v_add_f64 v[1:2], v[1:2], v[118:119]
	v_add_f64 v[3:4], v[3:4], v[114:115]
	s_andn2_b32 exec_lo, exec_lo, s4
	s_cbranch_execnz .LBB116_368
; %bb.369:
	s_or_b32 exec_lo, exec_lo, s4
.LBB116_370:
	s_or_b32 exec_lo, exec_lo, s61
	v_mov_b32_e32 v113, 0
	ds_read_b128 v[113:116], v113 offset:96
	s_waitcnt lgkmcnt(0)
	v_mul_f64 v[118:119], v[3:4], v[115:116]
	v_mul_f64 v[115:116], v[1:2], v[115:116]
	v_fma_f64 v[1:2], v[1:2], v[113:114], -v[118:119]
	v_fma_f64 v[3:4], v[3:4], v[113:114], v[115:116]
	buffer_store_dword v2, off, s[0:3], 0 offset:100
	buffer_store_dword v1, off, s[0:3], 0 offset:96
	;; [unrolled: 1-line block ×4, first 2 shown]
.LBB116_371:
	s_or_b32 exec_lo, exec_lo, s8
	v_mov_b32_e32 v4, s55
	v_cmp_lt_u32_e64 s4, 5, v0
	s_clause 0x3
	buffer_load_dword v1, v4, s[0:3], 0 offen
	buffer_load_dword v2, v4, s[0:3], 0 offen offset:4
	buffer_load_dword v3, v4, s[0:3], 0 offen offset:8
	buffer_load_dword v4, v4, s[0:3], 0 offen offset:12
	s_waitcnt vmcnt(0)
	ds_write_b128 v112, v[1:4]
	s_waitcnt lgkmcnt(0)
	s_waitcnt_vscnt null, 0x0
	s_barrier
	buffer_gl0_inv
	s_and_saveexec_b32 s8, s4
	s_cbranch_execz .LBB116_379
; %bb.372:
	ds_read_b128 v[1:4], v112
	s_andn2_b32 vcc_lo, exec_lo, s60
	s_cbranch_vccnz .LBB116_374
; %bb.373:
	s_clause 0x3
	buffer_load_dword v113, v111, s[0:3], 0 offen offset:8
	buffer_load_dword v114, v111, s[0:3], 0 offen offset:12
	buffer_load_dword v115, v111, s[0:3], 0 offen
	buffer_load_dword v116, v111, s[0:3], 0 offen offset:4
	s_waitcnt vmcnt(2) lgkmcnt(0)
	v_mul_f64 v[118:119], v[3:4], v[113:114]
	v_mul_f64 v[113:114], v[1:2], v[113:114]
	s_waitcnt vmcnt(0)
	v_fma_f64 v[1:2], v[1:2], v[115:116], -v[118:119]
	v_fma_f64 v[3:4], v[3:4], v[115:116], v[113:114]
.LBB116_374:
	s_and_saveexec_b32 s61, s5
	s_cbranch_execz .LBB116_378
; %bb.375:
	v_add_nc_u32_e32 v113, -6, v0
	s_movk_i32 s62, 0x3b0
	s_mov_b32 s5, 0
	s_mov_b32 s63, s54
	.p2align	6
.LBB116_376:                            ; =>This Inner Loop Header: Depth=1
	v_mov_b32_e32 v116, s63
	v_add_nc_u32_e32 v113, -1, v113
	s_add_i32 s63, s63, 16
	s_clause 0x3
	buffer_load_dword v114, v116, s[0:3], 0 offen offset:8
	buffer_load_dword v115, v116, s[0:3], 0 offen offset:12
	buffer_load_dword v122, v116, s[0:3], 0 offen
	buffer_load_dword v123, v116, s[0:3], 0 offen offset:4
	v_mov_b32_e32 v116, s62
	v_cmp_eq_u32_e32 vcc_lo, 0, v113
	s_add_i32 s62, s62, 16
	ds_read_b128 v[118:121], v116
	s_or_b32 s5, vcc_lo, s5
	s_waitcnt vmcnt(2) lgkmcnt(0)
	v_mul_f64 v[124:125], v[120:121], v[114:115]
	v_mul_f64 v[114:115], v[118:119], v[114:115]
	s_waitcnt vmcnt(0)
	v_fma_f64 v[118:119], v[118:119], v[122:123], -v[124:125]
	v_fma_f64 v[114:115], v[120:121], v[122:123], v[114:115]
	v_add_f64 v[1:2], v[1:2], v[118:119]
	v_add_f64 v[3:4], v[3:4], v[114:115]
	s_andn2_b32 exec_lo, exec_lo, s5
	s_cbranch_execnz .LBB116_376
; %bb.377:
	s_or_b32 exec_lo, exec_lo, s5
.LBB116_378:
	s_or_b32 exec_lo, exec_lo, s61
	v_mov_b32_e32 v113, 0
	ds_read_b128 v[113:116], v113 offset:80
	s_waitcnt lgkmcnt(0)
	v_mul_f64 v[118:119], v[3:4], v[115:116]
	v_mul_f64 v[115:116], v[1:2], v[115:116]
	v_fma_f64 v[1:2], v[1:2], v[113:114], -v[118:119]
	v_fma_f64 v[3:4], v[3:4], v[113:114], v[115:116]
	buffer_store_dword v2, off, s[0:3], 0 offset:84
	buffer_store_dword v1, off, s[0:3], 0 offset:80
	;; [unrolled: 1-line block ×4, first 2 shown]
.LBB116_379:
	s_or_b32 exec_lo, exec_lo, s8
	v_mov_b32_e32 v4, s56
	v_cmp_lt_u32_e64 s5, 4, v0
	s_clause 0x3
	buffer_load_dword v1, v4, s[0:3], 0 offen
	buffer_load_dword v2, v4, s[0:3], 0 offen offset:4
	buffer_load_dword v3, v4, s[0:3], 0 offen offset:8
	;; [unrolled: 1-line block ×3, first 2 shown]
	s_waitcnt vmcnt(0)
	ds_write_b128 v112, v[1:4]
	s_waitcnt lgkmcnt(0)
	s_waitcnt_vscnt null, 0x0
	s_barrier
	buffer_gl0_inv
	s_and_saveexec_b32 s8, s5
	s_cbranch_execz .LBB116_387
; %bb.380:
	ds_read_b128 v[1:4], v112
	s_andn2_b32 vcc_lo, exec_lo, s60
	s_cbranch_vccnz .LBB116_382
; %bb.381:
	s_clause 0x3
	buffer_load_dword v113, v111, s[0:3], 0 offen offset:8
	buffer_load_dword v114, v111, s[0:3], 0 offen offset:12
	buffer_load_dword v115, v111, s[0:3], 0 offen
	buffer_load_dword v116, v111, s[0:3], 0 offen offset:4
	s_waitcnt vmcnt(2) lgkmcnt(0)
	v_mul_f64 v[118:119], v[3:4], v[113:114]
	v_mul_f64 v[113:114], v[1:2], v[113:114]
	s_waitcnt vmcnt(0)
	v_fma_f64 v[1:2], v[1:2], v[115:116], -v[118:119]
	v_fma_f64 v[3:4], v[3:4], v[115:116], v[113:114]
.LBB116_382:
	s_and_saveexec_b32 s61, s4
	s_cbranch_execz .LBB116_386
; %bb.383:
	v_add_nc_u32_e32 v113, -5, v0
	s_movk_i32 s62, 0x3a0
	s_mov_b32 s4, 0
	s_mov_b32 s63, s55
	.p2align	6
.LBB116_384:                            ; =>This Inner Loop Header: Depth=1
	v_mov_b32_e32 v116, s63
	v_add_nc_u32_e32 v113, -1, v113
	s_add_i32 s63, s63, 16
	s_clause 0x3
	buffer_load_dword v114, v116, s[0:3], 0 offen offset:8
	buffer_load_dword v115, v116, s[0:3], 0 offen offset:12
	buffer_load_dword v122, v116, s[0:3], 0 offen
	buffer_load_dword v123, v116, s[0:3], 0 offen offset:4
	v_mov_b32_e32 v116, s62
	v_cmp_eq_u32_e32 vcc_lo, 0, v113
	s_add_i32 s62, s62, 16
	ds_read_b128 v[118:121], v116
	s_or_b32 s4, vcc_lo, s4
	s_waitcnt vmcnt(2) lgkmcnt(0)
	v_mul_f64 v[124:125], v[120:121], v[114:115]
	v_mul_f64 v[114:115], v[118:119], v[114:115]
	s_waitcnt vmcnt(0)
	v_fma_f64 v[118:119], v[118:119], v[122:123], -v[124:125]
	v_fma_f64 v[114:115], v[120:121], v[122:123], v[114:115]
	v_add_f64 v[1:2], v[1:2], v[118:119]
	v_add_f64 v[3:4], v[3:4], v[114:115]
	s_andn2_b32 exec_lo, exec_lo, s4
	s_cbranch_execnz .LBB116_384
; %bb.385:
	s_or_b32 exec_lo, exec_lo, s4
.LBB116_386:
	s_or_b32 exec_lo, exec_lo, s61
	v_mov_b32_e32 v113, 0
	ds_read_b128 v[113:116], v113 offset:64
	s_waitcnt lgkmcnt(0)
	v_mul_f64 v[118:119], v[3:4], v[115:116]
	v_mul_f64 v[115:116], v[1:2], v[115:116]
	v_fma_f64 v[1:2], v[1:2], v[113:114], -v[118:119]
	v_fma_f64 v[3:4], v[3:4], v[113:114], v[115:116]
	buffer_store_dword v2, off, s[0:3], 0 offset:68
	buffer_store_dword v1, off, s[0:3], 0 offset:64
	;; [unrolled: 1-line block ×4, first 2 shown]
.LBB116_387:
	s_or_b32 exec_lo, exec_lo, s8
	v_mov_b32_e32 v4, s57
	v_cmp_lt_u32_e64 s4, 3, v0
	s_clause 0x3
	buffer_load_dword v1, v4, s[0:3], 0 offen
	buffer_load_dword v2, v4, s[0:3], 0 offen offset:4
	buffer_load_dword v3, v4, s[0:3], 0 offen offset:8
	;; [unrolled: 1-line block ×3, first 2 shown]
	s_waitcnt vmcnt(0)
	ds_write_b128 v112, v[1:4]
	s_waitcnt lgkmcnt(0)
	s_waitcnt_vscnt null, 0x0
	s_barrier
	buffer_gl0_inv
	s_and_saveexec_b32 s8, s4
	s_cbranch_execz .LBB116_395
; %bb.388:
	ds_read_b128 v[1:4], v112
	s_andn2_b32 vcc_lo, exec_lo, s60
	s_cbranch_vccnz .LBB116_390
; %bb.389:
	s_clause 0x3
	buffer_load_dword v113, v111, s[0:3], 0 offen offset:8
	buffer_load_dword v114, v111, s[0:3], 0 offen offset:12
	buffer_load_dword v115, v111, s[0:3], 0 offen
	buffer_load_dword v116, v111, s[0:3], 0 offen offset:4
	s_waitcnt vmcnt(2) lgkmcnt(0)
	v_mul_f64 v[118:119], v[3:4], v[113:114]
	v_mul_f64 v[113:114], v[1:2], v[113:114]
	s_waitcnt vmcnt(0)
	v_fma_f64 v[1:2], v[1:2], v[115:116], -v[118:119]
	v_fma_f64 v[3:4], v[3:4], v[115:116], v[113:114]
.LBB116_390:
	s_and_saveexec_b32 s61, s5
	s_cbranch_execz .LBB116_394
; %bb.391:
	v_add_nc_u32_e32 v113, -4, v0
	s_movk_i32 s62, 0x390
	s_mov_b32 s5, 0
	s_mov_b32 s63, s56
	.p2align	6
.LBB116_392:                            ; =>This Inner Loop Header: Depth=1
	v_mov_b32_e32 v116, s63
	v_add_nc_u32_e32 v113, -1, v113
	s_add_i32 s63, s63, 16
	s_clause 0x3
	buffer_load_dword v114, v116, s[0:3], 0 offen offset:8
	buffer_load_dword v115, v116, s[0:3], 0 offen offset:12
	buffer_load_dword v122, v116, s[0:3], 0 offen
	buffer_load_dword v123, v116, s[0:3], 0 offen offset:4
	v_mov_b32_e32 v116, s62
	v_cmp_eq_u32_e32 vcc_lo, 0, v113
	s_add_i32 s62, s62, 16
	ds_read_b128 v[118:121], v116
	s_or_b32 s5, vcc_lo, s5
	s_waitcnt vmcnt(2) lgkmcnt(0)
	v_mul_f64 v[124:125], v[120:121], v[114:115]
	v_mul_f64 v[114:115], v[118:119], v[114:115]
	s_waitcnt vmcnt(0)
	v_fma_f64 v[118:119], v[118:119], v[122:123], -v[124:125]
	v_fma_f64 v[114:115], v[120:121], v[122:123], v[114:115]
	v_add_f64 v[1:2], v[1:2], v[118:119]
	v_add_f64 v[3:4], v[3:4], v[114:115]
	s_andn2_b32 exec_lo, exec_lo, s5
	s_cbranch_execnz .LBB116_392
; %bb.393:
	s_or_b32 exec_lo, exec_lo, s5
.LBB116_394:
	s_or_b32 exec_lo, exec_lo, s61
	v_mov_b32_e32 v113, 0
	ds_read_b128 v[113:116], v113 offset:48
	s_waitcnt lgkmcnt(0)
	v_mul_f64 v[118:119], v[3:4], v[115:116]
	v_mul_f64 v[115:116], v[1:2], v[115:116]
	v_fma_f64 v[1:2], v[1:2], v[113:114], -v[118:119]
	v_fma_f64 v[3:4], v[3:4], v[113:114], v[115:116]
	buffer_store_dword v2, off, s[0:3], 0 offset:52
	buffer_store_dword v1, off, s[0:3], 0 offset:48
	;; [unrolled: 1-line block ×4, first 2 shown]
.LBB116_395:
	s_or_b32 exec_lo, exec_lo, s8
	v_mov_b32_e32 v4, s58
	v_cmp_lt_u32_e64 s5, 2, v0
	s_clause 0x3
	buffer_load_dword v1, v4, s[0:3], 0 offen
	buffer_load_dword v2, v4, s[0:3], 0 offen offset:4
	buffer_load_dword v3, v4, s[0:3], 0 offen offset:8
	;; [unrolled: 1-line block ×3, first 2 shown]
	s_waitcnt vmcnt(0)
	ds_write_b128 v112, v[1:4]
	s_waitcnt lgkmcnt(0)
	s_waitcnt_vscnt null, 0x0
	s_barrier
	buffer_gl0_inv
	s_and_saveexec_b32 s8, s5
	s_cbranch_execz .LBB116_403
; %bb.396:
	ds_read_b128 v[1:4], v112
	s_andn2_b32 vcc_lo, exec_lo, s60
	s_cbranch_vccnz .LBB116_398
; %bb.397:
	s_clause 0x3
	buffer_load_dword v113, v111, s[0:3], 0 offen offset:8
	buffer_load_dword v114, v111, s[0:3], 0 offen offset:12
	buffer_load_dword v115, v111, s[0:3], 0 offen
	buffer_load_dword v116, v111, s[0:3], 0 offen offset:4
	s_waitcnt vmcnt(2) lgkmcnt(0)
	v_mul_f64 v[118:119], v[3:4], v[113:114]
	v_mul_f64 v[113:114], v[1:2], v[113:114]
	s_waitcnt vmcnt(0)
	v_fma_f64 v[1:2], v[1:2], v[115:116], -v[118:119]
	v_fma_f64 v[3:4], v[3:4], v[115:116], v[113:114]
.LBB116_398:
	s_and_saveexec_b32 s61, s4
	s_cbranch_execz .LBB116_402
; %bb.399:
	v_add_nc_u32_e32 v113, -3, v0
	s_movk_i32 s62, 0x380
	s_mov_b32 s4, 0
	s_mov_b32 s63, s57
	.p2align	6
.LBB116_400:                            ; =>This Inner Loop Header: Depth=1
	v_mov_b32_e32 v116, s63
	v_add_nc_u32_e32 v113, -1, v113
	s_add_i32 s63, s63, 16
	s_clause 0x3
	buffer_load_dword v114, v116, s[0:3], 0 offen offset:8
	buffer_load_dword v115, v116, s[0:3], 0 offen offset:12
	buffer_load_dword v122, v116, s[0:3], 0 offen
	buffer_load_dword v123, v116, s[0:3], 0 offen offset:4
	v_mov_b32_e32 v116, s62
	v_cmp_eq_u32_e32 vcc_lo, 0, v113
	s_add_i32 s62, s62, 16
	ds_read_b128 v[118:121], v116
	s_or_b32 s4, vcc_lo, s4
	s_waitcnt vmcnt(2) lgkmcnt(0)
	v_mul_f64 v[124:125], v[120:121], v[114:115]
	v_mul_f64 v[114:115], v[118:119], v[114:115]
	s_waitcnt vmcnt(0)
	v_fma_f64 v[118:119], v[118:119], v[122:123], -v[124:125]
	v_fma_f64 v[114:115], v[120:121], v[122:123], v[114:115]
	v_add_f64 v[1:2], v[1:2], v[118:119]
	v_add_f64 v[3:4], v[3:4], v[114:115]
	s_andn2_b32 exec_lo, exec_lo, s4
	s_cbranch_execnz .LBB116_400
; %bb.401:
	s_or_b32 exec_lo, exec_lo, s4
.LBB116_402:
	s_or_b32 exec_lo, exec_lo, s61
	v_mov_b32_e32 v113, 0
	ds_read_b128 v[113:116], v113 offset:32
	s_waitcnt lgkmcnt(0)
	v_mul_f64 v[118:119], v[3:4], v[115:116]
	v_mul_f64 v[115:116], v[1:2], v[115:116]
	v_fma_f64 v[1:2], v[1:2], v[113:114], -v[118:119]
	v_fma_f64 v[3:4], v[3:4], v[113:114], v[115:116]
	buffer_store_dword v2, off, s[0:3], 0 offset:36
	buffer_store_dword v1, off, s[0:3], 0 offset:32
	;; [unrolled: 1-line block ×4, first 2 shown]
.LBB116_403:
	s_or_b32 exec_lo, exec_lo, s8
	v_mov_b32_e32 v4, s59
	v_cmp_lt_u32_e64 s4, 1, v0
	s_clause 0x3
	buffer_load_dword v1, v4, s[0:3], 0 offen
	buffer_load_dword v2, v4, s[0:3], 0 offen offset:4
	buffer_load_dword v3, v4, s[0:3], 0 offen offset:8
	;; [unrolled: 1-line block ×3, first 2 shown]
	s_waitcnt vmcnt(0)
	ds_write_b128 v112, v[1:4]
	s_waitcnt lgkmcnt(0)
	s_waitcnt_vscnt null, 0x0
	s_barrier
	buffer_gl0_inv
	s_and_saveexec_b32 s8, s4
	s_cbranch_execz .LBB116_411
; %bb.404:
	ds_read_b128 v[1:4], v112
	s_andn2_b32 vcc_lo, exec_lo, s60
	s_cbranch_vccnz .LBB116_406
; %bb.405:
	s_clause 0x3
	buffer_load_dword v113, v111, s[0:3], 0 offen offset:8
	buffer_load_dword v114, v111, s[0:3], 0 offen offset:12
	buffer_load_dword v115, v111, s[0:3], 0 offen
	buffer_load_dword v116, v111, s[0:3], 0 offen offset:4
	s_waitcnt vmcnt(2) lgkmcnt(0)
	v_mul_f64 v[118:119], v[3:4], v[113:114]
	v_mul_f64 v[113:114], v[1:2], v[113:114]
	s_waitcnt vmcnt(0)
	v_fma_f64 v[1:2], v[1:2], v[115:116], -v[118:119]
	v_fma_f64 v[3:4], v[3:4], v[115:116], v[113:114]
.LBB116_406:
	s_and_saveexec_b32 s61, s5
	s_cbranch_execz .LBB116_410
; %bb.407:
	v_add_nc_u32_e32 v113, -2, v0
	s_movk_i32 s62, 0x370
	s_mov_b32 s5, 0
	s_mov_b32 s63, s58
	.p2align	6
.LBB116_408:                            ; =>This Inner Loop Header: Depth=1
	v_mov_b32_e32 v116, s63
	v_add_nc_u32_e32 v113, -1, v113
	s_add_i32 s63, s63, 16
	s_clause 0x3
	buffer_load_dword v114, v116, s[0:3], 0 offen offset:8
	buffer_load_dword v115, v116, s[0:3], 0 offen offset:12
	buffer_load_dword v122, v116, s[0:3], 0 offen
	buffer_load_dword v123, v116, s[0:3], 0 offen offset:4
	v_mov_b32_e32 v116, s62
	v_cmp_eq_u32_e32 vcc_lo, 0, v113
	s_add_i32 s62, s62, 16
	ds_read_b128 v[118:121], v116
	s_or_b32 s5, vcc_lo, s5
	s_waitcnt vmcnt(2) lgkmcnt(0)
	v_mul_f64 v[124:125], v[120:121], v[114:115]
	v_mul_f64 v[114:115], v[118:119], v[114:115]
	s_waitcnt vmcnt(0)
	v_fma_f64 v[118:119], v[118:119], v[122:123], -v[124:125]
	v_fma_f64 v[114:115], v[120:121], v[122:123], v[114:115]
	v_add_f64 v[1:2], v[1:2], v[118:119]
	v_add_f64 v[3:4], v[3:4], v[114:115]
	s_andn2_b32 exec_lo, exec_lo, s5
	s_cbranch_execnz .LBB116_408
; %bb.409:
	s_or_b32 exec_lo, exec_lo, s5
.LBB116_410:
	s_or_b32 exec_lo, exec_lo, s61
	v_mov_b32_e32 v113, 0
	ds_read_b128 v[113:116], v113 offset:16
	s_waitcnt lgkmcnt(0)
	v_mul_f64 v[118:119], v[3:4], v[115:116]
	v_mul_f64 v[115:116], v[1:2], v[115:116]
	v_fma_f64 v[1:2], v[1:2], v[113:114], -v[118:119]
	v_fma_f64 v[3:4], v[3:4], v[113:114], v[115:116]
	buffer_store_dword v2, off, s[0:3], 0 offset:20
	buffer_store_dword v1, off, s[0:3], 0 offset:16
	;; [unrolled: 1-line block ×4, first 2 shown]
.LBB116_411:
	s_or_b32 exec_lo, exec_lo, s8
	s_clause 0x3
	buffer_load_dword v1, off, s[0:3], 0
	buffer_load_dword v2, off, s[0:3], 0 offset:4
	buffer_load_dword v3, off, s[0:3], 0 offset:8
	;; [unrolled: 1-line block ×3, first 2 shown]
	s_mov_b32 s8, 0
	s_mov_b32 s5, 0
	s_mov_b32 s61, exec_lo
                                        ; implicit-def: $sgpr62
	s_waitcnt vmcnt(0)
	ds_write_b128 v112, v[1:4]
	s_waitcnt lgkmcnt(0)
	s_waitcnt_vscnt null, 0x0
	s_barrier
	buffer_gl0_inv
                                        ; implicit-def: $vgpr1_vgpr2
	v_cmpx_ne_u32_e32 0, v0
	s_cbranch_execz .LBB116_419
; %bb.412:
	ds_read_b128 v[1:4], v112
	s_andn2_b32 vcc_lo, exec_lo, s60
	s_cbranch_vccnz .LBB116_414
; %bb.413:
	s_clause 0x3
	buffer_load_dword v113, v111, s[0:3], 0 offen offset:8
	buffer_load_dword v114, v111, s[0:3], 0 offen offset:12
	buffer_load_dword v115, v111, s[0:3], 0 offen
	buffer_load_dword v116, v111, s[0:3], 0 offen offset:4
	s_waitcnt vmcnt(2) lgkmcnt(0)
	v_mul_f64 v[118:119], v[3:4], v[113:114]
	v_mul_f64 v[113:114], v[1:2], v[113:114]
	s_waitcnt vmcnt(0)
	v_fma_f64 v[1:2], v[1:2], v[115:116], -v[118:119]
	v_fma_f64 v[3:4], v[3:4], v[115:116], v[113:114]
.LBB116_414:
	s_and_saveexec_b32 s5, s4
	s_cbranch_execz .LBB116_418
; %bb.415:
	v_add_nc_u32_e32 v113, -1, v0
	s_movk_i32 s62, 0x360
	s_mov_b32 s4, 0
	s_mov_b32 s63, s59
	.p2align	6
.LBB116_416:                            ; =>This Inner Loop Header: Depth=1
	v_mov_b32_e32 v116, s63
	v_add_nc_u32_e32 v113, -1, v113
	s_add_i32 s63, s63, 16
	s_clause 0x3
	buffer_load_dword v114, v116, s[0:3], 0 offen offset:8
	buffer_load_dword v115, v116, s[0:3], 0 offen offset:12
	buffer_load_dword v122, v116, s[0:3], 0 offen
	buffer_load_dword v123, v116, s[0:3], 0 offen offset:4
	v_mov_b32_e32 v116, s62
	v_cmp_eq_u32_e32 vcc_lo, 0, v113
	s_add_i32 s62, s62, 16
	ds_read_b128 v[118:121], v116
	s_or_b32 s4, vcc_lo, s4
	s_waitcnt vmcnt(2) lgkmcnt(0)
	v_mul_f64 v[124:125], v[120:121], v[114:115]
	v_mul_f64 v[114:115], v[118:119], v[114:115]
	s_waitcnt vmcnt(0)
	v_fma_f64 v[118:119], v[118:119], v[122:123], -v[124:125]
	v_fma_f64 v[114:115], v[120:121], v[122:123], v[114:115]
	v_add_f64 v[1:2], v[1:2], v[118:119]
	v_add_f64 v[3:4], v[3:4], v[114:115]
	s_andn2_b32 exec_lo, exec_lo, s4
	s_cbranch_execnz .LBB116_416
; %bb.417:
	s_or_b32 exec_lo, exec_lo, s4
.LBB116_418:
	s_or_b32 exec_lo, exec_lo, s5
	v_mov_b32_e32 v113, 0
	s_mov_b32 s5, exec_lo
	s_or_b32 s62, 0, 8
	ds_read_b128 v[113:116], v113
	s_waitcnt lgkmcnt(0)
	v_mul_f64 v[118:119], v[3:4], v[115:116]
	v_mul_f64 v[115:116], v[1:2], v[115:116]
	v_fma_f64 v[118:119], v[1:2], v[113:114], -v[118:119]
	v_fma_f64 v[1:2], v[3:4], v[113:114], v[115:116]
	buffer_store_dword v119, off, s[0:3], 0 offset:4
	buffer_store_dword v118, off, s[0:3], 0
.LBB116_419:
	s_or_b32 exec_lo, exec_lo, s61
	s_and_b32 vcc_lo, exec_lo, s8
	s_cbranch_vccnz .LBB116_421
	s_branch .LBB116_832
.LBB116_420:
	s_mov_b32 s5, 0
                                        ; implicit-def: $vgpr1_vgpr2
                                        ; implicit-def: $sgpr62
	s_cbranch_execz .LBB116_832
.LBB116_421:
	v_mov_b32_e32 v4, s59
	v_cmp_eq_u32_e64 s4, 0, v0
	v_cndmask_b32_e64 v113, 0, 1, s60
	s_clause 0x3
	buffer_load_dword v1, v4, s[0:3], 0 offen
	buffer_load_dword v2, v4, s[0:3], 0 offen offset:4
	buffer_load_dword v3, v4, s[0:3], 0 offen offset:8
	;; [unrolled: 1-line block ×3, first 2 shown]
	s_waitcnt vmcnt(0)
	ds_write_b128 v112, v[1:4]
	s_waitcnt lgkmcnt(0)
	s_waitcnt_vscnt null, 0x0
	s_barrier
	buffer_gl0_inv
	s_and_saveexec_b32 s8, s4
	s_cbranch_execz .LBB116_425
; %bb.422:
	ds_read_b128 v[1:4], v112
	s_andn2_b32 vcc_lo, exec_lo, s60
	s_cbranch_vccnz .LBB116_424
; %bb.423:
	s_clause 0x3
	buffer_load_dword v114, v111, s[0:3], 0 offen offset:8
	buffer_load_dword v115, v111, s[0:3], 0 offen offset:12
	buffer_load_dword v118, v111, s[0:3], 0 offen
	buffer_load_dword v119, v111, s[0:3], 0 offen offset:4
	s_waitcnt vmcnt(2) lgkmcnt(0)
	v_mul_f64 v[120:121], v[3:4], v[114:115]
	v_mul_f64 v[114:115], v[1:2], v[114:115]
	s_waitcnt vmcnt(0)
	v_fma_f64 v[1:2], v[1:2], v[118:119], -v[120:121]
	v_fma_f64 v[3:4], v[3:4], v[118:119], v[114:115]
.LBB116_424:
	v_mov_b32_e32 v114, 0
	ds_read_b128 v[118:121], v114 offset:16
	s_waitcnt lgkmcnt(0)
	v_mul_f64 v[114:115], v[3:4], v[120:121]
	v_mul_f64 v[120:121], v[1:2], v[120:121]
	v_fma_f64 v[1:2], v[1:2], v[118:119], -v[114:115]
	v_fma_f64 v[3:4], v[3:4], v[118:119], v[120:121]
	buffer_store_dword v2, off, s[0:3], 0 offset:20
	buffer_store_dword v1, off, s[0:3], 0 offset:16
	;; [unrolled: 1-line block ×4, first 2 shown]
.LBB116_425:
	s_or_b32 exec_lo, exec_lo, s8
	v_mov_b32_e32 v4, s58
	s_mov_b32 s8, exec_lo
	s_clause 0x3
	buffer_load_dword v1, v4, s[0:3], 0 offen
	buffer_load_dword v2, v4, s[0:3], 0 offen offset:4
	buffer_load_dword v3, v4, s[0:3], 0 offen offset:8
	;; [unrolled: 1-line block ×3, first 2 shown]
	s_waitcnt vmcnt(0)
	ds_write_b128 v112, v[1:4]
	s_waitcnt lgkmcnt(0)
	s_waitcnt_vscnt null, 0x0
	s_barrier
	buffer_gl0_inv
	v_cmpx_gt_u32_e32 2, v0
	s_cbranch_execz .LBB116_431
; %bb.426:
	ds_read_b128 v[1:4], v112
	v_cmp_ne_u32_e32 vcc_lo, 1, v113
	s_cbranch_vccnz .LBB116_428
; %bb.427:
	s_clause 0x3
	buffer_load_dword v114, v111, s[0:3], 0 offen offset:8
	buffer_load_dword v115, v111, s[0:3], 0 offen offset:12
	buffer_load_dword v118, v111, s[0:3], 0 offen
	buffer_load_dword v119, v111, s[0:3], 0 offen offset:4
	s_waitcnt vmcnt(2) lgkmcnt(0)
	v_mul_f64 v[120:121], v[3:4], v[114:115]
	v_mul_f64 v[114:115], v[1:2], v[114:115]
	s_waitcnt vmcnt(0)
	v_fma_f64 v[1:2], v[1:2], v[118:119], -v[120:121]
	v_fma_f64 v[3:4], v[3:4], v[118:119], v[114:115]
.LBB116_428:
	s_and_saveexec_b32 s60, s4
	s_cbranch_execz .LBB116_430
; %bb.429:
	s_clause 0x3
	buffer_load_dword v114, off, s[0:3], 0 offset:24
	buffer_load_dword v115, off, s[0:3], 0 offset:28
	;; [unrolled: 1-line block ×4, first 2 shown]
	v_mov_b32_e32 v116, 0
	ds_read_b128 v[118:121], v116 offset:864
	s_waitcnt vmcnt(2) lgkmcnt(0)
	v_mul_f64 v[124:125], v[120:121], v[114:115]
	v_mul_f64 v[114:115], v[118:119], v[114:115]
	s_waitcnt vmcnt(0)
	v_fma_f64 v[118:119], v[118:119], v[122:123], -v[124:125]
	v_fma_f64 v[114:115], v[120:121], v[122:123], v[114:115]
	v_add_f64 v[1:2], v[1:2], v[118:119]
	v_add_f64 v[3:4], v[3:4], v[114:115]
.LBB116_430:
	s_or_b32 exec_lo, exec_lo, s60
	v_mov_b32_e32 v114, 0
	ds_read_b128 v[118:121], v114 offset:32
	s_waitcnt lgkmcnt(0)
	v_mul_f64 v[114:115], v[3:4], v[120:121]
	v_mul_f64 v[120:121], v[1:2], v[120:121]
	v_fma_f64 v[1:2], v[1:2], v[118:119], -v[114:115]
	v_fma_f64 v[3:4], v[3:4], v[118:119], v[120:121]
	buffer_store_dword v2, off, s[0:3], 0 offset:36
	buffer_store_dword v1, off, s[0:3], 0 offset:32
	;; [unrolled: 1-line block ×4, first 2 shown]
.LBB116_431:
	s_or_b32 exec_lo, exec_lo, s8
	v_mov_b32_e32 v4, s57
	s_mov_b32 s8, exec_lo
	s_clause 0x3
	buffer_load_dword v1, v4, s[0:3], 0 offen
	buffer_load_dword v2, v4, s[0:3], 0 offen offset:4
	buffer_load_dword v3, v4, s[0:3], 0 offen offset:8
	;; [unrolled: 1-line block ×3, first 2 shown]
	s_waitcnt vmcnt(0)
	ds_write_b128 v112, v[1:4]
	s_waitcnt lgkmcnt(0)
	s_waitcnt_vscnt null, 0x0
	s_barrier
	buffer_gl0_inv
	v_cmpx_gt_u32_e32 3, v0
	s_cbranch_execz .LBB116_439
; %bb.432:
	ds_read_b128 v[1:4], v112
	v_cmp_ne_u32_e32 vcc_lo, 1, v113
	s_cbranch_vccnz .LBB116_434
; %bb.433:
	s_clause 0x3
	buffer_load_dword v114, v111, s[0:3], 0 offen offset:8
	buffer_load_dword v115, v111, s[0:3], 0 offen offset:12
	buffer_load_dword v118, v111, s[0:3], 0 offen
	buffer_load_dword v119, v111, s[0:3], 0 offen offset:4
	s_waitcnt vmcnt(2) lgkmcnt(0)
	v_mul_f64 v[120:121], v[3:4], v[114:115]
	v_mul_f64 v[114:115], v[1:2], v[114:115]
	s_waitcnt vmcnt(0)
	v_fma_f64 v[1:2], v[1:2], v[118:119], -v[120:121]
	v_fma_f64 v[3:4], v[3:4], v[118:119], v[114:115]
.LBB116_434:
	s_mov_b32 s60, exec_lo
	v_cmpx_ne_u32_e32 2, v0
	s_cbranch_execz .LBB116_438
; %bb.435:
	s_clause 0x3
	buffer_load_dword v114, v111, s[0:3], 0 offen offset:24
	buffer_load_dword v115, v111, s[0:3], 0 offen offset:28
	;; [unrolled: 1-line block ×4, first 2 shown]
	ds_read_b128 v[118:121], v112 offset:16
	s_waitcnt vmcnt(2) lgkmcnt(0)
	v_mul_f64 v[124:125], v[120:121], v[114:115]
	v_mul_f64 v[114:115], v[118:119], v[114:115]
	s_waitcnt vmcnt(0)
	v_fma_f64 v[118:119], v[118:119], v[122:123], -v[124:125]
	v_fma_f64 v[114:115], v[120:121], v[122:123], v[114:115]
	v_add_f64 v[1:2], v[1:2], v[118:119]
	v_add_f64 v[3:4], v[3:4], v[114:115]
	s_and_saveexec_b32 s61, s4
	s_cbranch_execz .LBB116_437
; %bb.436:
	s_clause 0x3
	buffer_load_dword v114, off, s[0:3], 0 offset:40
	buffer_load_dword v115, off, s[0:3], 0 offset:44
	;; [unrolled: 1-line block ×4, first 2 shown]
	v_mov_b32_e32 v116, 0
	ds_read_b128 v[118:121], v116 offset:880
	s_waitcnt vmcnt(2) lgkmcnt(0)
	v_mul_f64 v[124:125], v[118:119], v[114:115]
	v_mul_f64 v[114:115], v[120:121], v[114:115]
	s_waitcnt vmcnt(0)
	v_fma_f64 v[120:121], v[120:121], v[122:123], v[124:125]
	v_fma_f64 v[114:115], v[118:119], v[122:123], -v[114:115]
	v_add_f64 v[3:4], v[3:4], v[120:121]
	v_add_f64 v[1:2], v[1:2], v[114:115]
.LBB116_437:
	s_or_b32 exec_lo, exec_lo, s61
.LBB116_438:
	s_or_b32 exec_lo, exec_lo, s60
	v_mov_b32_e32 v114, 0
	ds_read_b128 v[118:121], v114 offset:48
	s_waitcnt lgkmcnt(0)
	v_mul_f64 v[114:115], v[3:4], v[120:121]
	v_mul_f64 v[120:121], v[1:2], v[120:121]
	v_fma_f64 v[1:2], v[1:2], v[118:119], -v[114:115]
	v_fma_f64 v[3:4], v[3:4], v[118:119], v[120:121]
	buffer_store_dword v2, off, s[0:3], 0 offset:52
	buffer_store_dword v1, off, s[0:3], 0 offset:48
	;; [unrolled: 1-line block ×4, first 2 shown]
.LBB116_439:
	s_or_b32 exec_lo, exec_lo, s8
	v_mov_b32_e32 v4, s56
	s_mov_b32 s4, exec_lo
	s_clause 0x3
	buffer_load_dword v1, v4, s[0:3], 0 offen
	buffer_load_dword v2, v4, s[0:3], 0 offen offset:4
	buffer_load_dword v3, v4, s[0:3], 0 offen offset:8
	;; [unrolled: 1-line block ×3, first 2 shown]
	s_waitcnt vmcnt(0)
	ds_write_b128 v112, v[1:4]
	s_waitcnt lgkmcnt(0)
	s_waitcnt_vscnt null, 0x0
	s_barrier
	buffer_gl0_inv
	v_cmpx_gt_u32_e32 4, v0
	s_cbranch_execz .LBB116_447
; %bb.440:
	ds_read_b128 v[1:4], v112
	v_cmp_ne_u32_e32 vcc_lo, 1, v113
	s_cbranch_vccnz .LBB116_442
; %bb.441:
	s_clause 0x3
	buffer_load_dword v114, v111, s[0:3], 0 offen offset:8
	buffer_load_dword v115, v111, s[0:3], 0 offen offset:12
	buffer_load_dword v118, v111, s[0:3], 0 offen
	buffer_load_dword v119, v111, s[0:3], 0 offen offset:4
	s_waitcnt vmcnt(2) lgkmcnt(0)
	v_mul_f64 v[120:121], v[3:4], v[114:115]
	v_mul_f64 v[114:115], v[1:2], v[114:115]
	s_waitcnt vmcnt(0)
	v_fma_f64 v[1:2], v[1:2], v[118:119], -v[120:121]
	v_fma_f64 v[3:4], v[3:4], v[118:119], v[114:115]
.LBB116_442:
	s_mov_b32 s8, exec_lo
	v_cmpx_ne_u32_e32 3, v0
	s_cbranch_execz .LBB116_446
; %bb.443:
	v_add_nc_u32_e32 v114, 0x360, v117
	v_add3_u32 v115, 0, v117, 16
	v_mov_b32_e32 v116, v0
	s_mov_b32 s60, 0
	.p2align	6
.LBB116_444:                            ; =>This Inner Loop Header: Depth=1
	s_clause 0x3
	buffer_load_dword v122, v115, s[0:3], 0 offen offset:8
	buffer_load_dword v123, v115, s[0:3], 0 offen offset:12
	buffer_load_dword v124, v115, s[0:3], 0 offen
	buffer_load_dword v125, v115, s[0:3], 0 offen offset:4
	ds_read_b128 v[118:121], v114
	v_add_nc_u32_e32 v116, 1, v116
	v_add_nc_u32_e32 v114, 16, v114
	;; [unrolled: 1-line block ×3, first 2 shown]
	v_cmp_lt_u32_e32 vcc_lo, 2, v116
	s_or_b32 s60, vcc_lo, s60
	s_waitcnt vmcnt(2) lgkmcnt(0)
	v_mul_f64 v[126:127], v[120:121], v[122:123]
	v_mul_f64 v[122:123], v[118:119], v[122:123]
	s_waitcnt vmcnt(0)
	v_fma_f64 v[118:119], v[118:119], v[124:125], -v[126:127]
	v_fma_f64 v[120:121], v[120:121], v[124:125], v[122:123]
	v_add_f64 v[1:2], v[1:2], v[118:119]
	v_add_f64 v[3:4], v[3:4], v[120:121]
	s_andn2_b32 exec_lo, exec_lo, s60
	s_cbranch_execnz .LBB116_444
; %bb.445:
	s_or_b32 exec_lo, exec_lo, s60
.LBB116_446:
	s_or_b32 exec_lo, exec_lo, s8
	v_mov_b32_e32 v114, 0
	ds_read_b128 v[118:121], v114 offset:64
	s_waitcnt lgkmcnt(0)
	v_mul_f64 v[114:115], v[3:4], v[120:121]
	v_mul_f64 v[120:121], v[1:2], v[120:121]
	v_fma_f64 v[1:2], v[1:2], v[118:119], -v[114:115]
	v_fma_f64 v[3:4], v[3:4], v[118:119], v[120:121]
	buffer_store_dword v2, off, s[0:3], 0 offset:68
	buffer_store_dword v1, off, s[0:3], 0 offset:64
	;; [unrolled: 1-line block ×4, first 2 shown]
.LBB116_447:
	s_or_b32 exec_lo, exec_lo, s4
	v_mov_b32_e32 v4, s55
	s_mov_b32 s4, exec_lo
	s_clause 0x3
	buffer_load_dword v1, v4, s[0:3], 0 offen
	buffer_load_dword v2, v4, s[0:3], 0 offen offset:4
	buffer_load_dword v3, v4, s[0:3], 0 offen offset:8
	;; [unrolled: 1-line block ×3, first 2 shown]
	s_waitcnt vmcnt(0)
	ds_write_b128 v112, v[1:4]
	s_waitcnt lgkmcnt(0)
	s_waitcnt_vscnt null, 0x0
	s_barrier
	buffer_gl0_inv
	v_cmpx_gt_u32_e32 5, v0
	s_cbranch_execz .LBB116_455
; %bb.448:
	ds_read_b128 v[1:4], v112
	v_cmp_ne_u32_e32 vcc_lo, 1, v113
	s_cbranch_vccnz .LBB116_450
; %bb.449:
	s_clause 0x3
	buffer_load_dword v114, v111, s[0:3], 0 offen offset:8
	buffer_load_dword v115, v111, s[0:3], 0 offen offset:12
	buffer_load_dword v118, v111, s[0:3], 0 offen
	buffer_load_dword v119, v111, s[0:3], 0 offen offset:4
	s_waitcnt vmcnt(2) lgkmcnt(0)
	v_mul_f64 v[120:121], v[3:4], v[114:115]
	v_mul_f64 v[114:115], v[1:2], v[114:115]
	s_waitcnt vmcnt(0)
	v_fma_f64 v[1:2], v[1:2], v[118:119], -v[120:121]
	v_fma_f64 v[3:4], v[3:4], v[118:119], v[114:115]
.LBB116_450:
	s_mov_b32 s8, exec_lo
	v_cmpx_ne_u32_e32 4, v0
	s_cbranch_execz .LBB116_454
; %bb.451:
	v_add_nc_u32_e32 v114, 0x360, v117
	v_add3_u32 v115, 0, v117, 16
	v_mov_b32_e32 v116, v0
	s_mov_b32 s60, 0
	.p2align	6
.LBB116_452:                            ; =>This Inner Loop Header: Depth=1
	s_clause 0x3
	buffer_load_dword v122, v115, s[0:3], 0 offen offset:8
	buffer_load_dword v123, v115, s[0:3], 0 offen offset:12
	buffer_load_dword v124, v115, s[0:3], 0 offen
	buffer_load_dword v125, v115, s[0:3], 0 offen offset:4
	ds_read_b128 v[118:121], v114
	v_add_nc_u32_e32 v116, 1, v116
	v_add_nc_u32_e32 v114, 16, v114
	;; [unrolled: 1-line block ×3, first 2 shown]
	v_cmp_lt_u32_e32 vcc_lo, 3, v116
	s_or_b32 s60, vcc_lo, s60
	s_waitcnt vmcnt(2) lgkmcnt(0)
	v_mul_f64 v[126:127], v[120:121], v[122:123]
	v_mul_f64 v[122:123], v[118:119], v[122:123]
	s_waitcnt vmcnt(0)
	v_fma_f64 v[118:119], v[118:119], v[124:125], -v[126:127]
	v_fma_f64 v[120:121], v[120:121], v[124:125], v[122:123]
	v_add_f64 v[1:2], v[1:2], v[118:119]
	v_add_f64 v[3:4], v[3:4], v[120:121]
	s_andn2_b32 exec_lo, exec_lo, s60
	s_cbranch_execnz .LBB116_452
; %bb.453:
	s_or_b32 exec_lo, exec_lo, s60
.LBB116_454:
	s_or_b32 exec_lo, exec_lo, s8
	v_mov_b32_e32 v114, 0
	ds_read_b128 v[118:121], v114 offset:80
	s_waitcnt lgkmcnt(0)
	v_mul_f64 v[114:115], v[3:4], v[120:121]
	v_mul_f64 v[120:121], v[1:2], v[120:121]
	v_fma_f64 v[1:2], v[1:2], v[118:119], -v[114:115]
	v_fma_f64 v[3:4], v[3:4], v[118:119], v[120:121]
	buffer_store_dword v2, off, s[0:3], 0 offset:84
	buffer_store_dword v1, off, s[0:3], 0 offset:80
	;; [unrolled: 1-line block ×4, first 2 shown]
.LBB116_455:
	s_or_b32 exec_lo, exec_lo, s4
	v_mov_b32_e32 v4, s54
	s_mov_b32 s4, exec_lo
	s_clause 0x3
	buffer_load_dword v1, v4, s[0:3], 0 offen
	buffer_load_dword v2, v4, s[0:3], 0 offen offset:4
	buffer_load_dword v3, v4, s[0:3], 0 offen offset:8
	;; [unrolled: 1-line block ×3, first 2 shown]
	s_waitcnt vmcnt(0)
	ds_write_b128 v112, v[1:4]
	s_waitcnt lgkmcnt(0)
	s_waitcnt_vscnt null, 0x0
	s_barrier
	buffer_gl0_inv
	v_cmpx_gt_u32_e32 6, v0
	s_cbranch_execz .LBB116_463
; %bb.456:
	ds_read_b128 v[1:4], v112
	v_cmp_ne_u32_e32 vcc_lo, 1, v113
	s_cbranch_vccnz .LBB116_458
; %bb.457:
	s_clause 0x3
	buffer_load_dword v114, v111, s[0:3], 0 offen offset:8
	buffer_load_dword v115, v111, s[0:3], 0 offen offset:12
	buffer_load_dword v118, v111, s[0:3], 0 offen
	buffer_load_dword v119, v111, s[0:3], 0 offen offset:4
	s_waitcnt vmcnt(2) lgkmcnt(0)
	v_mul_f64 v[120:121], v[3:4], v[114:115]
	v_mul_f64 v[114:115], v[1:2], v[114:115]
	s_waitcnt vmcnt(0)
	v_fma_f64 v[1:2], v[1:2], v[118:119], -v[120:121]
	v_fma_f64 v[3:4], v[3:4], v[118:119], v[114:115]
.LBB116_458:
	s_mov_b32 s8, exec_lo
	v_cmpx_ne_u32_e32 5, v0
	s_cbranch_execz .LBB116_462
; %bb.459:
	v_add_nc_u32_e32 v114, 0x360, v117
	v_add3_u32 v115, 0, v117, 16
	v_mov_b32_e32 v116, v0
	s_mov_b32 s60, 0
	.p2align	6
.LBB116_460:                            ; =>This Inner Loop Header: Depth=1
	s_clause 0x3
	buffer_load_dword v122, v115, s[0:3], 0 offen offset:8
	buffer_load_dword v123, v115, s[0:3], 0 offen offset:12
	buffer_load_dword v124, v115, s[0:3], 0 offen
	buffer_load_dword v125, v115, s[0:3], 0 offen offset:4
	ds_read_b128 v[118:121], v114
	v_add_nc_u32_e32 v116, 1, v116
	v_add_nc_u32_e32 v114, 16, v114
	;; [unrolled: 1-line block ×3, first 2 shown]
	v_cmp_lt_u32_e32 vcc_lo, 4, v116
	s_or_b32 s60, vcc_lo, s60
	s_waitcnt vmcnt(2) lgkmcnt(0)
	v_mul_f64 v[126:127], v[120:121], v[122:123]
	v_mul_f64 v[122:123], v[118:119], v[122:123]
	s_waitcnt vmcnt(0)
	v_fma_f64 v[118:119], v[118:119], v[124:125], -v[126:127]
	v_fma_f64 v[120:121], v[120:121], v[124:125], v[122:123]
	v_add_f64 v[1:2], v[1:2], v[118:119]
	v_add_f64 v[3:4], v[3:4], v[120:121]
	s_andn2_b32 exec_lo, exec_lo, s60
	s_cbranch_execnz .LBB116_460
; %bb.461:
	s_or_b32 exec_lo, exec_lo, s60
.LBB116_462:
	s_or_b32 exec_lo, exec_lo, s8
	v_mov_b32_e32 v114, 0
	ds_read_b128 v[118:121], v114 offset:96
	s_waitcnt lgkmcnt(0)
	v_mul_f64 v[114:115], v[3:4], v[120:121]
	v_mul_f64 v[120:121], v[1:2], v[120:121]
	v_fma_f64 v[1:2], v[1:2], v[118:119], -v[114:115]
	v_fma_f64 v[3:4], v[3:4], v[118:119], v[120:121]
	buffer_store_dword v2, off, s[0:3], 0 offset:100
	buffer_store_dword v1, off, s[0:3], 0 offset:96
	;; [unrolled: 1-line block ×4, first 2 shown]
.LBB116_463:
	s_or_b32 exec_lo, exec_lo, s4
	v_mov_b32_e32 v4, s53
	s_mov_b32 s4, exec_lo
	s_clause 0x3
	buffer_load_dword v1, v4, s[0:3], 0 offen
	buffer_load_dword v2, v4, s[0:3], 0 offen offset:4
	buffer_load_dword v3, v4, s[0:3], 0 offen offset:8
	;; [unrolled: 1-line block ×3, first 2 shown]
	s_waitcnt vmcnt(0)
	ds_write_b128 v112, v[1:4]
	s_waitcnt lgkmcnt(0)
	s_waitcnt_vscnt null, 0x0
	s_barrier
	buffer_gl0_inv
	v_cmpx_gt_u32_e32 7, v0
	s_cbranch_execz .LBB116_471
; %bb.464:
	ds_read_b128 v[1:4], v112
	v_cmp_ne_u32_e32 vcc_lo, 1, v113
	s_cbranch_vccnz .LBB116_466
; %bb.465:
	s_clause 0x3
	buffer_load_dword v114, v111, s[0:3], 0 offen offset:8
	buffer_load_dword v115, v111, s[0:3], 0 offen offset:12
	buffer_load_dword v118, v111, s[0:3], 0 offen
	buffer_load_dword v119, v111, s[0:3], 0 offen offset:4
	s_waitcnt vmcnt(2) lgkmcnt(0)
	v_mul_f64 v[120:121], v[3:4], v[114:115]
	v_mul_f64 v[114:115], v[1:2], v[114:115]
	s_waitcnt vmcnt(0)
	v_fma_f64 v[1:2], v[1:2], v[118:119], -v[120:121]
	v_fma_f64 v[3:4], v[3:4], v[118:119], v[114:115]
.LBB116_466:
	s_mov_b32 s8, exec_lo
	v_cmpx_ne_u32_e32 6, v0
	s_cbranch_execz .LBB116_470
; %bb.467:
	v_add_nc_u32_e32 v114, 0x360, v117
	v_add3_u32 v115, 0, v117, 16
	v_mov_b32_e32 v116, v0
	s_mov_b32 s60, 0
	.p2align	6
.LBB116_468:                            ; =>This Inner Loop Header: Depth=1
	s_clause 0x3
	buffer_load_dword v122, v115, s[0:3], 0 offen offset:8
	buffer_load_dword v123, v115, s[0:3], 0 offen offset:12
	buffer_load_dword v124, v115, s[0:3], 0 offen
	buffer_load_dword v125, v115, s[0:3], 0 offen offset:4
	ds_read_b128 v[118:121], v114
	v_add_nc_u32_e32 v116, 1, v116
	v_add_nc_u32_e32 v114, 16, v114
	;; [unrolled: 1-line block ×3, first 2 shown]
	v_cmp_lt_u32_e32 vcc_lo, 5, v116
	s_or_b32 s60, vcc_lo, s60
	s_waitcnt vmcnt(2) lgkmcnt(0)
	v_mul_f64 v[126:127], v[120:121], v[122:123]
	v_mul_f64 v[122:123], v[118:119], v[122:123]
	s_waitcnt vmcnt(0)
	v_fma_f64 v[118:119], v[118:119], v[124:125], -v[126:127]
	v_fma_f64 v[120:121], v[120:121], v[124:125], v[122:123]
	v_add_f64 v[1:2], v[1:2], v[118:119]
	v_add_f64 v[3:4], v[3:4], v[120:121]
	s_andn2_b32 exec_lo, exec_lo, s60
	s_cbranch_execnz .LBB116_468
; %bb.469:
	s_or_b32 exec_lo, exec_lo, s60
.LBB116_470:
	s_or_b32 exec_lo, exec_lo, s8
	v_mov_b32_e32 v114, 0
	ds_read_b128 v[118:121], v114 offset:112
	s_waitcnt lgkmcnt(0)
	v_mul_f64 v[114:115], v[3:4], v[120:121]
	v_mul_f64 v[120:121], v[1:2], v[120:121]
	v_fma_f64 v[1:2], v[1:2], v[118:119], -v[114:115]
	v_fma_f64 v[3:4], v[3:4], v[118:119], v[120:121]
	buffer_store_dword v2, off, s[0:3], 0 offset:116
	buffer_store_dword v1, off, s[0:3], 0 offset:112
	;; [unrolled: 1-line block ×4, first 2 shown]
.LBB116_471:
	s_or_b32 exec_lo, exec_lo, s4
	v_mov_b32_e32 v4, s52
	s_mov_b32 s4, exec_lo
	s_clause 0x3
	buffer_load_dword v1, v4, s[0:3], 0 offen
	buffer_load_dword v2, v4, s[0:3], 0 offen offset:4
	buffer_load_dword v3, v4, s[0:3], 0 offen offset:8
	;; [unrolled: 1-line block ×3, first 2 shown]
	s_waitcnt vmcnt(0)
	ds_write_b128 v112, v[1:4]
	s_waitcnt lgkmcnt(0)
	s_waitcnt_vscnt null, 0x0
	s_barrier
	buffer_gl0_inv
	v_cmpx_gt_u32_e32 8, v0
	s_cbranch_execz .LBB116_479
; %bb.472:
	ds_read_b128 v[1:4], v112
	v_cmp_ne_u32_e32 vcc_lo, 1, v113
	s_cbranch_vccnz .LBB116_474
; %bb.473:
	s_clause 0x3
	buffer_load_dword v114, v111, s[0:3], 0 offen offset:8
	buffer_load_dword v115, v111, s[0:3], 0 offen offset:12
	buffer_load_dword v118, v111, s[0:3], 0 offen
	buffer_load_dword v119, v111, s[0:3], 0 offen offset:4
	s_waitcnt vmcnt(2) lgkmcnt(0)
	v_mul_f64 v[120:121], v[3:4], v[114:115]
	v_mul_f64 v[114:115], v[1:2], v[114:115]
	s_waitcnt vmcnt(0)
	v_fma_f64 v[1:2], v[1:2], v[118:119], -v[120:121]
	v_fma_f64 v[3:4], v[3:4], v[118:119], v[114:115]
.LBB116_474:
	s_mov_b32 s8, exec_lo
	v_cmpx_ne_u32_e32 7, v0
	s_cbranch_execz .LBB116_478
; %bb.475:
	v_add_nc_u32_e32 v114, 0x360, v117
	v_add3_u32 v115, 0, v117, 16
	v_mov_b32_e32 v116, v0
	s_mov_b32 s60, 0
	.p2align	6
.LBB116_476:                            ; =>This Inner Loop Header: Depth=1
	s_clause 0x3
	buffer_load_dword v122, v115, s[0:3], 0 offen offset:8
	buffer_load_dword v123, v115, s[0:3], 0 offen offset:12
	buffer_load_dword v124, v115, s[0:3], 0 offen
	buffer_load_dword v125, v115, s[0:3], 0 offen offset:4
	ds_read_b128 v[118:121], v114
	v_add_nc_u32_e32 v116, 1, v116
	v_add_nc_u32_e32 v114, 16, v114
	;; [unrolled: 1-line block ×3, first 2 shown]
	v_cmp_lt_u32_e32 vcc_lo, 6, v116
	s_or_b32 s60, vcc_lo, s60
	s_waitcnt vmcnt(2) lgkmcnt(0)
	v_mul_f64 v[126:127], v[120:121], v[122:123]
	v_mul_f64 v[122:123], v[118:119], v[122:123]
	s_waitcnt vmcnt(0)
	v_fma_f64 v[118:119], v[118:119], v[124:125], -v[126:127]
	v_fma_f64 v[120:121], v[120:121], v[124:125], v[122:123]
	v_add_f64 v[1:2], v[1:2], v[118:119]
	v_add_f64 v[3:4], v[3:4], v[120:121]
	s_andn2_b32 exec_lo, exec_lo, s60
	s_cbranch_execnz .LBB116_476
; %bb.477:
	s_or_b32 exec_lo, exec_lo, s60
.LBB116_478:
	s_or_b32 exec_lo, exec_lo, s8
	v_mov_b32_e32 v114, 0
	ds_read_b128 v[118:121], v114 offset:128
	s_waitcnt lgkmcnt(0)
	v_mul_f64 v[114:115], v[3:4], v[120:121]
	v_mul_f64 v[120:121], v[1:2], v[120:121]
	v_fma_f64 v[1:2], v[1:2], v[118:119], -v[114:115]
	v_fma_f64 v[3:4], v[3:4], v[118:119], v[120:121]
	buffer_store_dword v2, off, s[0:3], 0 offset:132
	buffer_store_dword v1, off, s[0:3], 0 offset:128
	;; [unrolled: 1-line block ×4, first 2 shown]
.LBB116_479:
	s_or_b32 exec_lo, exec_lo, s4
	v_mov_b32_e32 v4, s51
	s_mov_b32 s4, exec_lo
	s_clause 0x3
	buffer_load_dword v1, v4, s[0:3], 0 offen
	buffer_load_dword v2, v4, s[0:3], 0 offen offset:4
	buffer_load_dword v3, v4, s[0:3], 0 offen offset:8
	;; [unrolled: 1-line block ×3, first 2 shown]
	s_waitcnt vmcnt(0)
	ds_write_b128 v112, v[1:4]
	s_waitcnt lgkmcnt(0)
	s_waitcnt_vscnt null, 0x0
	s_barrier
	buffer_gl0_inv
	v_cmpx_gt_u32_e32 9, v0
	s_cbranch_execz .LBB116_487
; %bb.480:
	ds_read_b128 v[1:4], v112
	v_cmp_ne_u32_e32 vcc_lo, 1, v113
	s_cbranch_vccnz .LBB116_482
; %bb.481:
	s_clause 0x3
	buffer_load_dword v114, v111, s[0:3], 0 offen offset:8
	buffer_load_dword v115, v111, s[0:3], 0 offen offset:12
	buffer_load_dword v118, v111, s[0:3], 0 offen
	buffer_load_dword v119, v111, s[0:3], 0 offen offset:4
	s_waitcnt vmcnt(2) lgkmcnt(0)
	v_mul_f64 v[120:121], v[3:4], v[114:115]
	v_mul_f64 v[114:115], v[1:2], v[114:115]
	s_waitcnt vmcnt(0)
	v_fma_f64 v[1:2], v[1:2], v[118:119], -v[120:121]
	v_fma_f64 v[3:4], v[3:4], v[118:119], v[114:115]
.LBB116_482:
	s_mov_b32 s8, exec_lo
	v_cmpx_ne_u32_e32 8, v0
	s_cbranch_execz .LBB116_486
; %bb.483:
	v_add_nc_u32_e32 v114, 0x360, v117
	v_add3_u32 v115, 0, v117, 16
	v_mov_b32_e32 v116, v0
	s_mov_b32 s60, 0
	.p2align	6
.LBB116_484:                            ; =>This Inner Loop Header: Depth=1
	s_clause 0x3
	buffer_load_dword v122, v115, s[0:3], 0 offen offset:8
	buffer_load_dword v123, v115, s[0:3], 0 offen offset:12
	buffer_load_dword v124, v115, s[0:3], 0 offen
	buffer_load_dword v125, v115, s[0:3], 0 offen offset:4
	ds_read_b128 v[118:121], v114
	v_add_nc_u32_e32 v116, 1, v116
	v_add_nc_u32_e32 v114, 16, v114
	v_add_nc_u32_e32 v115, 16, v115
	v_cmp_lt_u32_e32 vcc_lo, 7, v116
	s_or_b32 s60, vcc_lo, s60
	s_waitcnt vmcnt(2) lgkmcnt(0)
	v_mul_f64 v[126:127], v[120:121], v[122:123]
	v_mul_f64 v[122:123], v[118:119], v[122:123]
	s_waitcnt vmcnt(0)
	v_fma_f64 v[118:119], v[118:119], v[124:125], -v[126:127]
	v_fma_f64 v[120:121], v[120:121], v[124:125], v[122:123]
	v_add_f64 v[1:2], v[1:2], v[118:119]
	v_add_f64 v[3:4], v[3:4], v[120:121]
	s_andn2_b32 exec_lo, exec_lo, s60
	s_cbranch_execnz .LBB116_484
; %bb.485:
	s_or_b32 exec_lo, exec_lo, s60
.LBB116_486:
	s_or_b32 exec_lo, exec_lo, s8
	v_mov_b32_e32 v114, 0
	ds_read_b128 v[118:121], v114 offset:144
	s_waitcnt lgkmcnt(0)
	v_mul_f64 v[114:115], v[3:4], v[120:121]
	v_mul_f64 v[120:121], v[1:2], v[120:121]
	v_fma_f64 v[1:2], v[1:2], v[118:119], -v[114:115]
	v_fma_f64 v[3:4], v[3:4], v[118:119], v[120:121]
	buffer_store_dword v2, off, s[0:3], 0 offset:148
	buffer_store_dword v1, off, s[0:3], 0 offset:144
	;; [unrolled: 1-line block ×4, first 2 shown]
.LBB116_487:
	s_or_b32 exec_lo, exec_lo, s4
	v_mov_b32_e32 v4, s50
	s_mov_b32 s4, exec_lo
	s_clause 0x3
	buffer_load_dword v1, v4, s[0:3], 0 offen
	buffer_load_dword v2, v4, s[0:3], 0 offen offset:4
	buffer_load_dword v3, v4, s[0:3], 0 offen offset:8
	;; [unrolled: 1-line block ×3, first 2 shown]
	s_waitcnt vmcnt(0)
	ds_write_b128 v112, v[1:4]
	s_waitcnt lgkmcnt(0)
	s_waitcnt_vscnt null, 0x0
	s_barrier
	buffer_gl0_inv
	v_cmpx_gt_u32_e32 10, v0
	s_cbranch_execz .LBB116_495
; %bb.488:
	ds_read_b128 v[1:4], v112
	v_cmp_ne_u32_e32 vcc_lo, 1, v113
	s_cbranch_vccnz .LBB116_490
; %bb.489:
	s_clause 0x3
	buffer_load_dword v114, v111, s[0:3], 0 offen offset:8
	buffer_load_dword v115, v111, s[0:3], 0 offen offset:12
	buffer_load_dword v118, v111, s[0:3], 0 offen
	buffer_load_dword v119, v111, s[0:3], 0 offen offset:4
	s_waitcnt vmcnt(2) lgkmcnt(0)
	v_mul_f64 v[120:121], v[3:4], v[114:115]
	v_mul_f64 v[114:115], v[1:2], v[114:115]
	s_waitcnt vmcnt(0)
	v_fma_f64 v[1:2], v[1:2], v[118:119], -v[120:121]
	v_fma_f64 v[3:4], v[3:4], v[118:119], v[114:115]
.LBB116_490:
	s_mov_b32 s8, exec_lo
	v_cmpx_ne_u32_e32 9, v0
	s_cbranch_execz .LBB116_494
; %bb.491:
	v_add_nc_u32_e32 v114, 0x360, v117
	v_add3_u32 v115, 0, v117, 16
	v_mov_b32_e32 v116, v0
	s_mov_b32 s60, 0
	.p2align	6
.LBB116_492:                            ; =>This Inner Loop Header: Depth=1
	s_clause 0x3
	buffer_load_dword v122, v115, s[0:3], 0 offen offset:8
	buffer_load_dword v123, v115, s[0:3], 0 offen offset:12
	buffer_load_dword v124, v115, s[0:3], 0 offen
	buffer_load_dword v125, v115, s[0:3], 0 offen offset:4
	ds_read_b128 v[118:121], v114
	v_add_nc_u32_e32 v116, 1, v116
	v_add_nc_u32_e32 v114, 16, v114
	;; [unrolled: 1-line block ×3, first 2 shown]
	v_cmp_lt_u32_e32 vcc_lo, 8, v116
	s_or_b32 s60, vcc_lo, s60
	s_waitcnt vmcnt(2) lgkmcnt(0)
	v_mul_f64 v[126:127], v[120:121], v[122:123]
	v_mul_f64 v[122:123], v[118:119], v[122:123]
	s_waitcnt vmcnt(0)
	v_fma_f64 v[118:119], v[118:119], v[124:125], -v[126:127]
	v_fma_f64 v[120:121], v[120:121], v[124:125], v[122:123]
	v_add_f64 v[1:2], v[1:2], v[118:119]
	v_add_f64 v[3:4], v[3:4], v[120:121]
	s_andn2_b32 exec_lo, exec_lo, s60
	s_cbranch_execnz .LBB116_492
; %bb.493:
	s_or_b32 exec_lo, exec_lo, s60
.LBB116_494:
	s_or_b32 exec_lo, exec_lo, s8
	v_mov_b32_e32 v114, 0
	ds_read_b128 v[118:121], v114 offset:160
	s_waitcnt lgkmcnt(0)
	v_mul_f64 v[114:115], v[3:4], v[120:121]
	v_mul_f64 v[120:121], v[1:2], v[120:121]
	v_fma_f64 v[1:2], v[1:2], v[118:119], -v[114:115]
	v_fma_f64 v[3:4], v[3:4], v[118:119], v[120:121]
	buffer_store_dword v2, off, s[0:3], 0 offset:164
	buffer_store_dword v1, off, s[0:3], 0 offset:160
	;; [unrolled: 1-line block ×4, first 2 shown]
.LBB116_495:
	s_or_b32 exec_lo, exec_lo, s4
	v_mov_b32_e32 v4, s49
	s_mov_b32 s4, exec_lo
	s_clause 0x3
	buffer_load_dword v1, v4, s[0:3], 0 offen
	buffer_load_dword v2, v4, s[0:3], 0 offen offset:4
	buffer_load_dword v3, v4, s[0:3], 0 offen offset:8
	;; [unrolled: 1-line block ×3, first 2 shown]
	s_waitcnt vmcnt(0)
	ds_write_b128 v112, v[1:4]
	s_waitcnt lgkmcnt(0)
	s_waitcnt_vscnt null, 0x0
	s_barrier
	buffer_gl0_inv
	v_cmpx_gt_u32_e32 11, v0
	s_cbranch_execz .LBB116_503
; %bb.496:
	ds_read_b128 v[1:4], v112
	v_cmp_ne_u32_e32 vcc_lo, 1, v113
	s_cbranch_vccnz .LBB116_498
; %bb.497:
	s_clause 0x3
	buffer_load_dword v114, v111, s[0:3], 0 offen offset:8
	buffer_load_dword v115, v111, s[0:3], 0 offen offset:12
	buffer_load_dword v118, v111, s[0:3], 0 offen
	buffer_load_dword v119, v111, s[0:3], 0 offen offset:4
	s_waitcnt vmcnt(2) lgkmcnt(0)
	v_mul_f64 v[120:121], v[3:4], v[114:115]
	v_mul_f64 v[114:115], v[1:2], v[114:115]
	s_waitcnt vmcnt(0)
	v_fma_f64 v[1:2], v[1:2], v[118:119], -v[120:121]
	v_fma_f64 v[3:4], v[3:4], v[118:119], v[114:115]
.LBB116_498:
	s_mov_b32 s8, exec_lo
	v_cmpx_ne_u32_e32 10, v0
	s_cbranch_execz .LBB116_502
; %bb.499:
	v_add_nc_u32_e32 v114, 0x360, v117
	v_add3_u32 v115, 0, v117, 16
	v_mov_b32_e32 v116, v0
	s_mov_b32 s60, 0
	.p2align	6
.LBB116_500:                            ; =>This Inner Loop Header: Depth=1
	s_clause 0x3
	buffer_load_dword v122, v115, s[0:3], 0 offen offset:8
	buffer_load_dword v123, v115, s[0:3], 0 offen offset:12
	buffer_load_dword v124, v115, s[0:3], 0 offen
	buffer_load_dword v125, v115, s[0:3], 0 offen offset:4
	ds_read_b128 v[118:121], v114
	v_add_nc_u32_e32 v116, 1, v116
	v_add_nc_u32_e32 v114, 16, v114
	v_add_nc_u32_e32 v115, 16, v115
	v_cmp_lt_u32_e32 vcc_lo, 9, v116
	s_or_b32 s60, vcc_lo, s60
	s_waitcnt vmcnt(2) lgkmcnt(0)
	v_mul_f64 v[126:127], v[120:121], v[122:123]
	v_mul_f64 v[122:123], v[118:119], v[122:123]
	s_waitcnt vmcnt(0)
	v_fma_f64 v[118:119], v[118:119], v[124:125], -v[126:127]
	v_fma_f64 v[120:121], v[120:121], v[124:125], v[122:123]
	v_add_f64 v[1:2], v[1:2], v[118:119]
	v_add_f64 v[3:4], v[3:4], v[120:121]
	s_andn2_b32 exec_lo, exec_lo, s60
	s_cbranch_execnz .LBB116_500
; %bb.501:
	s_or_b32 exec_lo, exec_lo, s60
.LBB116_502:
	s_or_b32 exec_lo, exec_lo, s8
	v_mov_b32_e32 v114, 0
	ds_read_b128 v[118:121], v114 offset:176
	s_waitcnt lgkmcnt(0)
	v_mul_f64 v[114:115], v[3:4], v[120:121]
	v_mul_f64 v[120:121], v[1:2], v[120:121]
	v_fma_f64 v[1:2], v[1:2], v[118:119], -v[114:115]
	v_fma_f64 v[3:4], v[3:4], v[118:119], v[120:121]
	buffer_store_dword v2, off, s[0:3], 0 offset:180
	buffer_store_dword v1, off, s[0:3], 0 offset:176
	;; [unrolled: 1-line block ×4, first 2 shown]
.LBB116_503:
	s_or_b32 exec_lo, exec_lo, s4
	v_mov_b32_e32 v4, s48
	s_mov_b32 s4, exec_lo
	s_clause 0x3
	buffer_load_dword v1, v4, s[0:3], 0 offen
	buffer_load_dword v2, v4, s[0:3], 0 offen offset:4
	buffer_load_dword v3, v4, s[0:3], 0 offen offset:8
	;; [unrolled: 1-line block ×3, first 2 shown]
	s_waitcnt vmcnt(0)
	ds_write_b128 v112, v[1:4]
	s_waitcnt lgkmcnt(0)
	s_waitcnt_vscnt null, 0x0
	s_barrier
	buffer_gl0_inv
	v_cmpx_gt_u32_e32 12, v0
	s_cbranch_execz .LBB116_511
; %bb.504:
	ds_read_b128 v[1:4], v112
	v_cmp_ne_u32_e32 vcc_lo, 1, v113
	s_cbranch_vccnz .LBB116_506
; %bb.505:
	s_clause 0x3
	buffer_load_dword v114, v111, s[0:3], 0 offen offset:8
	buffer_load_dword v115, v111, s[0:3], 0 offen offset:12
	buffer_load_dword v118, v111, s[0:3], 0 offen
	buffer_load_dword v119, v111, s[0:3], 0 offen offset:4
	s_waitcnt vmcnt(2) lgkmcnt(0)
	v_mul_f64 v[120:121], v[3:4], v[114:115]
	v_mul_f64 v[114:115], v[1:2], v[114:115]
	s_waitcnt vmcnt(0)
	v_fma_f64 v[1:2], v[1:2], v[118:119], -v[120:121]
	v_fma_f64 v[3:4], v[3:4], v[118:119], v[114:115]
.LBB116_506:
	s_mov_b32 s8, exec_lo
	v_cmpx_ne_u32_e32 11, v0
	s_cbranch_execz .LBB116_510
; %bb.507:
	v_add_nc_u32_e32 v114, 0x360, v117
	v_add3_u32 v115, 0, v117, 16
	v_mov_b32_e32 v116, v0
	s_mov_b32 s60, 0
	.p2align	6
.LBB116_508:                            ; =>This Inner Loop Header: Depth=1
	s_clause 0x3
	buffer_load_dword v122, v115, s[0:3], 0 offen offset:8
	buffer_load_dword v123, v115, s[0:3], 0 offen offset:12
	buffer_load_dword v124, v115, s[0:3], 0 offen
	buffer_load_dword v125, v115, s[0:3], 0 offen offset:4
	ds_read_b128 v[118:121], v114
	v_add_nc_u32_e32 v116, 1, v116
	v_add_nc_u32_e32 v114, 16, v114
	;; [unrolled: 1-line block ×3, first 2 shown]
	v_cmp_lt_u32_e32 vcc_lo, 10, v116
	s_or_b32 s60, vcc_lo, s60
	s_waitcnt vmcnt(2) lgkmcnt(0)
	v_mul_f64 v[126:127], v[120:121], v[122:123]
	v_mul_f64 v[122:123], v[118:119], v[122:123]
	s_waitcnt vmcnt(0)
	v_fma_f64 v[118:119], v[118:119], v[124:125], -v[126:127]
	v_fma_f64 v[120:121], v[120:121], v[124:125], v[122:123]
	v_add_f64 v[1:2], v[1:2], v[118:119]
	v_add_f64 v[3:4], v[3:4], v[120:121]
	s_andn2_b32 exec_lo, exec_lo, s60
	s_cbranch_execnz .LBB116_508
; %bb.509:
	s_or_b32 exec_lo, exec_lo, s60
.LBB116_510:
	s_or_b32 exec_lo, exec_lo, s8
	v_mov_b32_e32 v114, 0
	ds_read_b128 v[118:121], v114 offset:192
	s_waitcnt lgkmcnt(0)
	v_mul_f64 v[114:115], v[3:4], v[120:121]
	v_mul_f64 v[120:121], v[1:2], v[120:121]
	v_fma_f64 v[1:2], v[1:2], v[118:119], -v[114:115]
	v_fma_f64 v[3:4], v[3:4], v[118:119], v[120:121]
	buffer_store_dword v2, off, s[0:3], 0 offset:196
	buffer_store_dword v1, off, s[0:3], 0 offset:192
	;; [unrolled: 1-line block ×4, first 2 shown]
.LBB116_511:
	s_or_b32 exec_lo, exec_lo, s4
	v_mov_b32_e32 v4, s47
	s_mov_b32 s4, exec_lo
	s_clause 0x3
	buffer_load_dword v1, v4, s[0:3], 0 offen
	buffer_load_dword v2, v4, s[0:3], 0 offen offset:4
	buffer_load_dword v3, v4, s[0:3], 0 offen offset:8
	;; [unrolled: 1-line block ×3, first 2 shown]
	s_waitcnt vmcnt(0)
	ds_write_b128 v112, v[1:4]
	s_waitcnt lgkmcnt(0)
	s_waitcnt_vscnt null, 0x0
	s_barrier
	buffer_gl0_inv
	v_cmpx_gt_u32_e32 13, v0
	s_cbranch_execz .LBB116_519
; %bb.512:
	ds_read_b128 v[1:4], v112
	v_cmp_ne_u32_e32 vcc_lo, 1, v113
	s_cbranch_vccnz .LBB116_514
; %bb.513:
	s_clause 0x3
	buffer_load_dword v114, v111, s[0:3], 0 offen offset:8
	buffer_load_dword v115, v111, s[0:3], 0 offen offset:12
	buffer_load_dword v118, v111, s[0:3], 0 offen
	buffer_load_dword v119, v111, s[0:3], 0 offen offset:4
	s_waitcnt vmcnt(2) lgkmcnt(0)
	v_mul_f64 v[120:121], v[3:4], v[114:115]
	v_mul_f64 v[114:115], v[1:2], v[114:115]
	s_waitcnt vmcnt(0)
	v_fma_f64 v[1:2], v[1:2], v[118:119], -v[120:121]
	v_fma_f64 v[3:4], v[3:4], v[118:119], v[114:115]
.LBB116_514:
	s_mov_b32 s8, exec_lo
	v_cmpx_ne_u32_e32 12, v0
	s_cbranch_execz .LBB116_518
; %bb.515:
	v_add_nc_u32_e32 v114, 0x360, v117
	v_add3_u32 v115, 0, v117, 16
	v_mov_b32_e32 v116, v0
	s_mov_b32 s60, 0
	.p2align	6
.LBB116_516:                            ; =>This Inner Loop Header: Depth=1
	s_clause 0x3
	buffer_load_dword v122, v115, s[0:3], 0 offen offset:8
	buffer_load_dword v123, v115, s[0:3], 0 offen offset:12
	buffer_load_dword v124, v115, s[0:3], 0 offen
	buffer_load_dword v125, v115, s[0:3], 0 offen offset:4
	ds_read_b128 v[118:121], v114
	v_add_nc_u32_e32 v116, 1, v116
	v_add_nc_u32_e32 v114, 16, v114
	;; [unrolled: 1-line block ×3, first 2 shown]
	v_cmp_lt_u32_e32 vcc_lo, 11, v116
	s_or_b32 s60, vcc_lo, s60
	s_waitcnt vmcnt(2) lgkmcnt(0)
	v_mul_f64 v[126:127], v[120:121], v[122:123]
	v_mul_f64 v[122:123], v[118:119], v[122:123]
	s_waitcnt vmcnt(0)
	v_fma_f64 v[118:119], v[118:119], v[124:125], -v[126:127]
	v_fma_f64 v[120:121], v[120:121], v[124:125], v[122:123]
	v_add_f64 v[1:2], v[1:2], v[118:119]
	v_add_f64 v[3:4], v[3:4], v[120:121]
	s_andn2_b32 exec_lo, exec_lo, s60
	s_cbranch_execnz .LBB116_516
; %bb.517:
	s_or_b32 exec_lo, exec_lo, s60
.LBB116_518:
	s_or_b32 exec_lo, exec_lo, s8
	v_mov_b32_e32 v114, 0
	ds_read_b128 v[118:121], v114 offset:208
	s_waitcnt lgkmcnt(0)
	v_mul_f64 v[114:115], v[3:4], v[120:121]
	v_mul_f64 v[120:121], v[1:2], v[120:121]
	v_fma_f64 v[1:2], v[1:2], v[118:119], -v[114:115]
	v_fma_f64 v[3:4], v[3:4], v[118:119], v[120:121]
	buffer_store_dword v2, off, s[0:3], 0 offset:212
	buffer_store_dword v1, off, s[0:3], 0 offset:208
	;; [unrolled: 1-line block ×4, first 2 shown]
.LBB116_519:
	s_or_b32 exec_lo, exec_lo, s4
	v_mov_b32_e32 v4, s46
	s_mov_b32 s4, exec_lo
	s_clause 0x3
	buffer_load_dword v1, v4, s[0:3], 0 offen
	buffer_load_dword v2, v4, s[0:3], 0 offen offset:4
	buffer_load_dword v3, v4, s[0:3], 0 offen offset:8
	;; [unrolled: 1-line block ×3, first 2 shown]
	s_waitcnt vmcnt(0)
	ds_write_b128 v112, v[1:4]
	s_waitcnt lgkmcnt(0)
	s_waitcnt_vscnt null, 0x0
	s_barrier
	buffer_gl0_inv
	v_cmpx_gt_u32_e32 14, v0
	s_cbranch_execz .LBB116_527
; %bb.520:
	ds_read_b128 v[1:4], v112
	v_cmp_ne_u32_e32 vcc_lo, 1, v113
	s_cbranch_vccnz .LBB116_522
; %bb.521:
	s_clause 0x3
	buffer_load_dword v114, v111, s[0:3], 0 offen offset:8
	buffer_load_dword v115, v111, s[0:3], 0 offen offset:12
	buffer_load_dword v118, v111, s[0:3], 0 offen
	buffer_load_dword v119, v111, s[0:3], 0 offen offset:4
	s_waitcnt vmcnt(2) lgkmcnt(0)
	v_mul_f64 v[120:121], v[3:4], v[114:115]
	v_mul_f64 v[114:115], v[1:2], v[114:115]
	s_waitcnt vmcnt(0)
	v_fma_f64 v[1:2], v[1:2], v[118:119], -v[120:121]
	v_fma_f64 v[3:4], v[3:4], v[118:119], v[114:115]
.LBB116_522:
	s_mov_b32 s8, exec_lo
	v_cmpx_ne_u32_e32 13, v0
	s_cbranch_execz .LBB116_526
; %bb.523:
	v_add_nc_u32_e32 v114, 0x360, v117
	v_add3_u32 v115, 0, v117, 16
	v_mov_b32_e32 v116, v0
	s_mov_b32 s60, 0
	.p2align	6
.LBB116_524:                            ; =>This Inner Loop Header: Depth=1
	s_clause 0x3
	buffer_load_dword v122, v115, s[0:3], 0 offen offset:8
	buffer_load_dword v123, v115, s[0:3], 0 offen offset:12
	buffer_load_dword v124, v115, s[0:3], 0 offen
	buffer_load_dword v125, v115, s[0:3], 0 offen offset:4
	ds_read_b128 v[118:121], v114
	v_add_nc_u32_e32 v116, 1, v116
	v_add_nc_u32_e32 v114, 16, v114
	;; [unrolled: 1-line block ×3, first 2 shown]
	v_cmp_lt_u32_e32 vcc_lo, 12, v116
	s_or_b32 s60, vcc_lo, s60
	s_waitcnt vmcnt(2) lgkmcnt(0)
	v_mul_f64 v[126:127], v[120:121], v[122:123]
	v_mul_f64 v[122:123], v[118:119], v[122:123]
	s_waitcnt vmcnt(0)
	v_fma_f64 v[118:119], v[118:119], v[124:125], -v[126:127]
	v_fma_f64 v[120:121], v[120:121], v[124:125], v[122:123]
	v_add_f64 v[1:2], v[1:2], v[118:119]
	v_add_f64 v[3:4], v[3:4], v[120:121]
	s_andn2_b32 exec_lo, exec_lo, s60
	s_cbranch_execnz .LBB116_524
; %bb.525:
	s_or_b32 exec_lo, exec_lo, s60
.LBB116_526:
	s_or_b32 exec_lo, exec_lo, s8
	v_mov_b32_e32 v114, 0
	ds_read_b128 v[118:121], v114 offset:224
	s_waitcnt lgkmcnt(0)
	v_mul_f64 v[114:115], v[3:4], v[120:121]
	v_mul_f64 v[120:121], v[1:2], v[120:121]
	v_fma_f64 v[1:2], v[1:2], v[118:119], -v[114:115]
	v_fma_f64 v[3:4], v[3:4], v[118:119], v[120:121]
	buffer_store_dword v2, off, s[0:3], 0 offset:228
	buffer_store_dword v1, off, s[0:3], 0 offset:224
	;; [unrolled: 1-line block ×4, first 2 shown]
.LBB116_527:
	s_or_b32 exec_lo, exec_lo, s4
	v_mov_b32_e32 v4, s45
	s_mov_b32 s4, exec_lo
	s_clause 0x3
	buffer_load_dword v1, v4, s[0:3], 0 offen
	buffer_load_dword v2, v4, s[0:3], 0 offen offset:4
	buffer_load_dword v3, v4, s[0:3], 0 offen offset:8
	;; [unrolled: 1-line block ×3, first 2 shown]
	s_waitcnt vmcnt(0)
	ds_write_b128 v112, v[1:4]
	s_waitcnt lgkmcnt(0)
	s_waitcnt_vscnt null, 0x0
	s_barrier
	buffer_gl0_inv
	v_cmpx_gt_u32_e32 15, v0
	s_cbranch_execz .LBB116_535
; %bb.528:
	ds_read_b128 v[1:4], v112
	v_cmp_ne_u32_e32 vcc_lo, 1, v113
	s_cbranch_vccnz .LBB116_530
; %bb.529:
	s_clause 0x3
	buffer_load_dword v114, v111, s[0:3], 0 offen offset:8
	buffer_load_dword v115, v111, s[0:3], 0 offen offset:12
	buffer_load_dword v118, v111, s[0:3], 0 offen
	buffer_load_dword v119, v111, s[0:3], 0 offen offset:4
	s_waitcnt vmcnt(2) lgkmcnt(0)
	v_mul_f64 v[120:121], v[3:4], v[114:115]
	v_mul_f64 v[114:115], v[1:2], v[114:115]
	s_waitcnt vmcnt(0)
	v_fma_f64 v[1:2], v[1:2], v[118:119], -v[120:121]
	v_fma_f64 v[3:4], v[3:4], v[118:119], v[114:115]
.LBB116_530:
	s_mov_b32 s8, exec_lo
	v_cmpx_ne_u32_e32 14, v0
	s_cbranch_execz .LBB116_534
; %bb.531:
	v_add_nc_u32_e32 v114, 0x360, v117
	v_add3_u32 v115, 0, v117, 16
	v_mov_b32_e32 v116, v0
	s_mov_b32 s60, 0
	.p2align	6
.LBB116_532:                            ; =>This Inner Loop Header: Depth=1
	s_clause 0x3
	buffer_load_dword v122, v115, s[0:3], 0 offen offset:8
	buffer_load_dword v123, v115, s[0:3], 0 offen offset:12
	buffer_load_dword v124, v115, s[0:3], 0 offen
	buffer_load_dword v125, v115, s[0:3], 0 offen offset:4
	ds_read_b128 v[118:121], v114
	v_add_nc_u32_e32 v116, 1, v116
	v_add_nc_u32_e32 v114, 16, v114
	;; [unrolled: 1-line block ×3, first 2 shown]
	v_cmp_lt_u32_e32 vcc_lo, 13, v116
	s_or_b32 s60, vcc_lo, s60
	s_waitcnt vmcnt(2) lgkmcnt(0)
	v_mul_f64 v[126:127], v[120:121], v[122:123]
	v_mul_f64 v[122:123], v[118:119], v[122:123]
	s_waitcnt vmcnt(0)
	v_fma_f64 v[118:119], v[118:119], v[124:125], -v[126:127]
	v_fma_f64 v[120:121], v[120:121], v[124:125], v[122:123]
	v_add_f64 v[1:2], v[1:2], v[118:119]
	v_add_f64 v[3:4], v[3:4], v[120:121]
	s_andn2_b32 exec_lo, exec_lo, s60
	s_cbranch_execnz .LBB116_532
; %bb.533:
	s_or_b32 exec_lo, exec_lo, s60
.LBB116_534:
	s_or_b32 exec_lo, exec_lo, s8
	v_mov_b32_e32 v114, 0
	ds_read_b128 v[118:121], v114 offset:240
	s_waitcnt lgkmcnt(0)
	v_mul_f64 v[114:115], v[3:4], v[120:121]
	v_mul_f64 v[120:121], v[1:2], v[120:121]
	v_fma_f64 v[1:2], v[1:2], v[118:119], -v[114:115]
	v_fma_f64 v[3:4], v[3:4], v[118:119], v[120:121]
	buffer_store_dword v2, off, s[0:3], 0 offset:244
	buffer_store_dword v1, off, s[0:3], 0 offset:240
	;; [unrolled: 1-line block ×4, first 2 shown]
.LBB116_535:
	s_or_b32 exec_lo, exec_lo, s4
	v_mov_b32_e32 v4, s44
	s_mov_b32 s4, exec_lo
	s_clause 0x3
	buffer_load_dword v1, v4, s[0:3], 0 offen
	buffer_load_dword v2, v4, s[0:3], 0 offen offset:4
	buffer_load_dword v3, v4, s[0:3], 0 offen offset:8
	;; [unrolled: 1-line block ×3, first 2 shown]
	s_waitcnt vmcnt(0)
	ds_write_b128 v112, v[1:4]
	s_waitcnt lgkmcnt(0)
	s_waitcnt_vscnt null, 0x0
	s_barrier
	buffer_gl0_inv
	v_cmpx_gt_u32_e32 16, v0
	s_cbranch_execz .LBB116_543
; %bb.536:
	ds_read_b128 v[1:4], v112
	v_cmp_ne_u32_e32 vcc_lo, 1, v113
	s_cbranch_vccnz .LBB116_538
; %bb.537:
	s_clause 0x3
	buffer_load_dword v114, v111, s[0:3], 0 offen offset:8
	buffer_load_dword v115, v111, s[0:3], 0 offen offset:12
	buffer_load_dword v118, v111, s[0:3], 0 offen
	buffer_load_dword v119, v111, s[0:3], 0 offen offset:4
	s_waitcnt vmcnt(2) lgkmcnt(0)
	v_mul_f64 v[120:121], v[3:4], v[114:115]
	v_mul_f64 v[114:115], v[1:2], v[114:115]
	s_waitcnt vmcnt(0)
	v_fma_f64 v[1:2], v[1:2], v[118:119], -v[120:121]
	v_fma_f64 v[3:4], v[3:4], v[118:119], v[114:115]
.LBB116_538:
	s_mov_b32 s8, exec_lo
	v_cmpx_ne_u32_e32 15, v0
	s_cbranch_execz .LBB116_542
; %bb.539:
	v_add_nc_u32_e32 v114, 0x360, v117
	v_add3_u32 v115, 0, v117, 16
	v_mov_b32_e32 v116, v0
	s_mov_b32 s60, 0
	.p2align	6
.LBB116_540:                            ; =>This Inner Loop Header: Depth=1
	s_clause 0x3
	buffer_load_dword v122, v115, s[0:3], 0 offen offset:8
	buffer_load_dword v123, v115, s[0:3], 0 offen offset:12
	buffer_load_dword v124, v115, s[0:3], 0 offen
	buffer_load_dword v125, v115, s[0:3], 0 offen offset:4
	ds_read_b128 v[118:121], v114
	v_add_nc_u32_e32 v116, 1, v116
	v_add_nc_u32_e32 v114, 16, v114
	;; [unrolled: 1-line block ×3, first 2 shown]
	v_cmp_lt_u32_e32 vcc_lo, 14, v116
	s_or_b32 s60, vcc_lo, s60
	s_waitcnt vmcnt(2) lgkmcnt(0)
	v_mul_f64 v[126:127], v[120:121], v[122:123]
	v_mul_f64 v[122:123], v[118:119], v[122:123]
	s_waitcnt vmcnt(0)
	v_fma_f64 v[118:119], v[118:119], v[124:125], -v[126:127]
	v_fma_f64 v[120:121], v[120:121], v[124:125], v[122:123]
	v_add_f64 v[1:2], v[1:2], v[118:119]
	v_add_f64 v[3:4], v[3:4], v[120:121]
	s_andn2_b32 exec_lo, exec_lo, s60
	s_cbranch_execnz .LBB116_540
; %bb.541:
	s_or_b32 exec_lo, exec_lo, s60
.LBB116_542:
	s_or_b32 exec_lo, exec_lo, s8
	v_mov_b32_e32 v114, 0
	ds_read_b128 v[118:121], v114 offset:256
	s_waitcnt lgkmcnt(0)
	v_mul_f64 v[114:115], v[3:4], v[120:121]
	v_mul_f64 v[120:121], v[1:2], v[120:121]
	v_fma_f64 v[1:2], v[1:2], v[118:119], -v[114:115]
	v_fma_f64 v[3:4], v[3:4], v[118:119], v[120:121]
	buffer_store_dword v2, off, s[0:3], 0 offset:260
	buffer_store_dword v1, off, s[0:3], 0 offset:256
	;; [unrolled: 1-line block ×4, first 2 shown]
.LBB116_543:
	s_or_b32 exec_lo, exec_lo, s4
	v_mov_b32_e32 v4, s43
	s_mov_b32 s4, exec_lo
	s_clause 0x3
	buffer_load_dword v1, v4, s[0:3], 0 offen
	buffer_load_dword v2, v4, s[0:3], 0 offen offset:4
	buffer_load_dword v3, v4, s[0:3], 0 offen offset:8
	;; [unrolled: 1-line block ×3, first 2 shown]
	s_waitcnt vmcnt(0)
	ds_write_b128 v112, v[1:4]
	s_waitcnt lgkmcnt(0)
	s_waitcnt_vscnt null, 0x0
	s_barrier
	buffer_gl0_inv
	v_cmpx_gt_u32_e32 17, v0
	s_cbranch_execz .LBB116_551
; %bb.544:
	ds_read_b128 v[1:4], v112
	v_cmp_ne_u32_e32 vcc_lo, 1, v113
	s_cbranch_vccnz .LBB116_546
; %bb.545:
	s_clause 0x3
	buffer_load_dword v114, v111, s[0:3], 0 offen offset:8
	buffer_load_dword v115, v111, s[0:3], 0 offen offset:12
	buffer_load_dword v118, v111, s[0:3], 0 offen
	buffer_load_dword v119, v111, s[0:3], 0 offen offset:4
	s_waitcnt vmcnt(2) lgkmcnt(0)
	v_mul_f64 v[120:121], v[3:4], v[114:115]
	v_mul_f64 v[114:115], v[1:2], v[114:115]
	s_waitcnt vmcnt(0)
	v_fma_f64 v[1:2], v[1:2], v[118:119], -v[120:121]
	v_fma_f64 v[3:4], v[3:4], v[118:119], v[114:115]
.LBB116_546:
	s_mov_b32 s8, exec_lo
	v_cmpx_ne_u32_e32 16, v0
	s_cbranch_execz .LBB116_550
; %bb.547:
	v_add_nc_u32_e32 v114, 0x360, v117
	v_add3_u32 v115, 0, v117, 16
	v_mov_b32_e32 v116, v0
	s_mov_b32 s60, 0
	.p2align	6
.LBB116_548:                            ; =>This Inner Loop Header: Depth=1
	s_clause 0x3
	buffer_load_dword v122, v115, s[0:3], 0 offen offset:8
	buffer_load_dword v123, v115, s[0:3], 0 offen offset:12
	buffer_load_dword v124, v115, s[0:3], 0 offen
	buffer_load_dword v125, v115, s[0:3], 0 offen offset:4
	ds_read_b128 v[118:121], v114
	v_add_nc_u32_e32 v116, 1, v116
	v_add_nc_u32_e32 v114, 16, v114
	;; [unrolled: 1-line block ×3, first 2 shown]
	v_cmp_lt_u32_e32 vcc_lo, 15, v116
	s_or_b32 s60, vcc_lo, s60
	s_waitcnt vmcnt(2) lgkmcnt(0)
	v_mul_f64 v[126:127], v[120:121], v[122:123]
	v_mul_f64 v[122:123], v[118:119], v[122:123]
	s_waitcnt vmcnt(0)
	v_fma_f64 v[118:119], v[118:119], v[124:125], -v[126:127]
	v_fma_f64 v[120:121], v[120:121], v[124:125], v[122:123]
	v_add_f64 v[1:2], v[1:2], v[118:119]
	v_add_f64 v[3:4], v[3:4], v[120:121]
	s_andn2_b32 exec_lo, exec_lo, s60
	s_cbranch_execnz .LBB116_548
; %bb.549:
	s_or_b32 exec_lo, exec_lo, s60
.LBB116_550:
	s_or_b32 exec_lo, exec_lo, s8
	v_mov_b32_e32 v114, 0
	ds_read_b128 v[118:121], v114 offset:272
	s_waitcnt lgkmcnt(0)
	v_mul_f64 v[114:115], v[3:4], v[120:121]
	v_mul_f64 v[120:121], v[1:2], v[120:121]
	v_fma_f64 v[1:2], v[1:2], v[118:119], -v[114:115]
	v_fma_f64 v[3:4], v[3:4], v[118:119], v[120:121]
	buffer_store_dword v2, off, s[0:3], 0 offset:276
	buffer_store_dword v1, off, s[0:3], 0 offset:272
	;; [unrolled: 1-line block ×4, first 2 shown]
.LBB116_551:
	s_or_b32 exec_lo, exec_lo, s4
	v_mov_b32_e32 v4, s42
	s_mov_b32 s4, exec_lo
	s_clause 0x3
	buffer_load_dword v1, v4, s[0:3], 0 offen
	buffer_load_dword v2, v4, s[0:3], 0 offen offset:4
	buffer_load_dword v3, v4, s[0:3], 0 offen offset:8
	;; [unrolled: 1-line block ×3, first 2 shown]
	s_waitcnt vmcnt(0)
	ds_write_b128 v112, v[1:4]
	s_waitcnt lgkmcnt(0)
	s_waitcnt_vscnt null, 0x0
	s_barrier
	buffer_gl0_inv
	v_cmpx_gt_u32_e32 18, v0
	s_cbranch_execz .LBB116_559
; %bb.552:
	ds_read_b128 v[1:4], v112
	v_cmp_ne_u32_e32 vcc_lo, 1, v113
	s_cbranch_vccnz .LBB116_554
; %bb.553:
	s_clause 0x3
	buffer_load_dword v114, v111, s[0:3], 0 offen offset:8
	buffer_load_dword v115, v111, s[0:3], 0 offen offset:12
	buffer_load_dword v118, v111, s[0:3], 0 offen
	buffer_load_dword v119, v111, s[0:3], 0 offen offset:4
	s_waitcnt vmcnt(2) lgkmcnt(0)
	v_mul_f64 v[120:121], v[3:4], v[114:115]
	v_mul_f64 v[114:115], v[1:2], v[114:115]
	s_waitcnt vmcnt(0)
	v_fma_f64 v[1:2], v[1:2], v[118:119], -v[120:121]
	v_fma_f64 v[3:4], v[3:4], v[118:119], v[114:115]
.LBB116_554:
	s_mov_b32 s8, exec_lo
	v_cmpx_ne_u32_e32 17, v0
	s_cbranch_execz .LBB116_558
; %bb.555:
	v_add_nc_u32_e32 v114, 0x360, v117
	v_add3_u32 v115, 0, v117, 16
	v_mov_b32_e32 v116, v0
	s_mov_b32 s60, 0
	.p2align	6
.LBB116_556:                            ; =>This Inner Loop Header: Depth=1
	s_clause 0x3
	buffer_load_dword v122, v115, s[0:3], 0 offen offset:8
	buffer_load_dword v123, v115, s[0:3], 0 offen offset:12
	buffer_load_dword v124, v115, s[0:3], 0 offen
	buffer_load_dword v125, v115, s[0:3], 0 offen offset:4
	ds_read_b128 v[118:121], v114
	v_add_nc_u32_e32 v116, 1, v116
	v_add_nc_u32_e32 v114, 16, v114
	;; [unrolled: 1-line block ×3, first 2 shown]
	v_cmp_lt_u32_e32 vcc_lo, 16, v116
	s_or_b32 s60, vcc_lo, s60
	s_waitcnt vmcnt(2) lgkmcnt(0)
	v_mul_f64 v[126:127], v[120:121], v[122:123]
	v_mul_f64 v[122:123], v[118:119], v[122:123]
	s_waitcnt vmcnt(0)
	v_fma_f64 v[118:119], v[118:119], v[124:125], -v[126:127]
	v_fma_f64 v[120:121], v[120:121], v[124:125], v[122:123]
	v_add_f64 v[1:2], v[1:2], v[118:119]
	v_add_f64 v[3:4], v[3:4], v[120:121]
	s_andn2_b32 exec_lo, exec_lo, s60
	s_cbranch_execnz .LBB116_556
; %bb.557:
	s_or_b32 exec_lo, exec_lo, s60
.LBB116_558:
	s_or_b32 exec_lo, exec_lo, s8
	v_mov_b32_e32 v114, 0
	ds_read_b128 v[118:121], v114 offset:288
	s_waitcnt lgkmcnt(0)
	v_mul_f64 v[114:115], v[3:4], v[120:121]
	v_mul_f64 v[120:121], v[1:2], v[120:121]
	v_fma_f64 v[1:2], v[1:2], v[118:119], -v[114:115]
	v_fma_f64 v[3:4], v[3:4], v[118:119], v[120:121]
	buffer_store_dword v2, off, s[0:3], 0 offset:292
	buffer_store_dword v1, off, s[0:3], 0 offset:288
	;; [unrolled: 1-line block ×4, first 2 shown]
.LBB116_559:
	s_or_b32 exec_lo, exec_lo, s4
	v_mov_b32_e32 v4, s41
	s_mov_b32 s4, exec_lo
	s_clause 0x3
	buffer_load_dword v1, v4, s[0:3], 0 offen
	buffer_load_dword v2, v4, s[0:3], 0 offen offset:4
	buffer_load_dword v3, v4, s[0:3], 0 offen offset:8
	;; [unrolled: 1-line block ×3, first 2 shown]
	s_waitcnt vmcnt(0)
	ds_write_b128 v112, v[1:4]
	s_waitcnt lgkmcnt(0)
	s_waitcnt_vscnt null, 0x0
	s_barrier
	buffer_gl0_inv
	v_cmpx_gt_u32_e32 19, v0
	s_cbranch_execz .LBB116_567
; %bb.560:
	ds_read_b128 v[1:4], v112
	v_cmp_ne_u32_e32 vcc_lo, 1, v113
	s_cbranch_vccnz .LBB116_562
; %bb.561:
	s_clause 0x3
	buffer_load_dword v114, v111, s[0:3], 0 offen offset:8
	buffer_load_dword v115, v111, s[0:3], 0 offen offset:12
	buffer_load_dword v118, v111, s[0:3], 0 offen
	buffer_load_dword v119, v111, s[0:3], 0 offen offset:4
	s_waitcnt vmcnt(2) lgkmcnt(0)
	v_mul_f64 v[120:121], v[3:4], v[114:115]
	v_mul_f64 v[114:115], v[1:2], v[114:115]
	s_waitcnt vmcnt(0)
	v_fma_f64 v[1:2], v[1:2], v[118:119], -v[120:121]
	v_fma_f64 v[3:4], v[3:4], v[118:119], v[114:115]
.LBB116_562:
	s_mov_b32 s8, exec_lo
	v_cmpx_ne_u32_e32 18, v0
	s_cbranch_execz .LBB116_566
; %bb.563:
	v_add_nc_u32_e32 v114, 0x360, v117
	v_add3_u32 v115, 0, v117, 16
	v_mov_b32_e32 v116, v0
	s_mov_b32 s60, 0
	.p2align	6
.LBB116_564:                            ; =>This Inner Loop Header: Depth=1
	s_clause 0x3
	buffer_load_dword v122, v115, s[0:3], 0 offen offset:8
	buffer_load_dword v123, v115, s[0:3], 0 offen offset:12
	buffer_load_dword v124, v115, s[0:3], 0 offen
	buffer_load_dword v125, v115, s[0:3], 0 offen offset:4
	ds_read_b128 v[118:121], v114
	v_add_nc_u32_e32 v116, 1, v116
	v_add_nc_u32_e32 v114, 16, v114
	;; [unrolled: 1-line block ×3, first 2 shown]
	v_cmp_lt_u32_e32 vcc_lo, 17, v116
	s_or_b32 s60, vcc_lo, s60
	s_waitcnt vmcnt(2) lgkmcnt(0)
	v_mul_f64 v[126:127], v[120:121], v[122:123]
	v_mul_f64 v[122:123], v[118:119], v[122:123]
	s_waitcnt vmcnt(0)
	v_fma_f64 v[118:119], v[118:119], v[124:125], -v[126:127]
	v_fma_f64 v[120:121], v[120:121], v[124:125], v[122:123]
	v_add_f64 v[1:2], v[1:2], v[118:119]
	v_add_f64 v[3:4], v[3:4], v[120:121]
	s_andn2_b32 exec_lo, exec_lo, s60
	s_cbranch_execnz .LBB116_564
; %bb.565:
	s_or_b32 exec_lo, exec_lo, s60
.LBB116_566:
	s_or_b32 exec_lo, exec_lo, s8
	v_mov_b32_e32 v114, 0
	ds_read_b128 v[118:121], v114 offset:304
	s_waitcnt lgkmcnt(0)
	v_mul_f64 v[114:115], v[3:4], v[120:121]
	v_mul_f64 v[120:121], v[1:2], v[120:121]
	v_fma_f64 v[1:2], v[1:2], v[118:119], -v[114:115]
	v_fma_f64 v[3:4], v[3:4], v[118:119], v[120:121]
	buffer_store_dword v2, off, s[0:3], 0 offset:308
	buffer_store_dword v1, off, s[0:3], 0 offset:304
	;; [unrolled: 1-line block ×4, first 2 shown]
.LBB116_567:
	s_or_b32 exec_lo, exec_lo, s4
	v_mov_b32_e32 v4, s40
	s_mov_b32 s4, exec_lo
	s_clause 0x3
	buffer_load_dword v1, v4, s[0:3], 0 offen
	buffer_load_dword v2, v4, s[0:3], 0 offen offset:4
	buffer_load_dword v3, v4, s[0:3], 0 offen offset:8
	;; [unrolled: 1-line block ×3, first 2 shown]
	s_waitcnt vmcnt(0)
	ds_write_b128 v112, v[1:4]
	s_waitcnt lgkmcnt(0)
	s_waitcnt_vscnt null, 0x0
	s_barrier
	buffer_gl0_inv
	v_cmpx_gt_u32_e32 20, v0
	s_cbranch_execz .LBB116_575
; %bb.568:
	ds_read_b128 v[1:4], v112
	v_cmp_ne_u32_e32 vcc_lo, 1, v113
	s_cbranch_vccnz .LBB116_570
; %bb.569:
	s_clause 0x3
	buffer_load_dword v114, v111, s[0:3], 0 offen offset:8
	buffer_load_dword v115, v111, s[0:3], 0 offen offset:12
	buffer_load_dword v118, v111, s[0:3], 0 offen
	buffer_load_dword v119, v111, s[0:3], 0 offen offset:4
	s_waitcnt vmcnt(2) lgkmcnt(0)
	v_mul_f64 v[120:121], v[3:4], v[114:115]
	v_mul_f64 v[114:115], v[1:2], v[114:115]
	s_waitcnt vmcnt(0)
	v_fma_f64 v[1:2], v[1:2], v[118:119], -v[120:121]
	v_fma_f64 v[3:4], v[3:4], v[118:119], v[114:115]
.LBB116_570:
	s_mov_b32 s8, exec_lo
	v_cmpx_ne_u32_e32 19, v0
	s_cbranch_execz .LBB116_574
; %bb.571:
	v_add_nc_u32_e32 v114, 0x360, v117
	v_add3_u32 v115, 0, v117, 16
	v_mov_b32_e32 v116, v0
	s_mov_b32 s60, 0
	.p2align	6
.LBB116_572:                            ; =>This Inner Loop Header: Depth=1
	s_clause 0x3
	buffer_load_dword v122, v115, s[0:3], 0 offen offset:8
	buffer_load_dword v123, v115, s[0:3], 0 offen offset:12
	buffer_load_dword v124, v115, s[0:3], 0 offen
	buffer_load_dword v125, v115, s[0:3], 0 offen offset:4
	ds_read_b128 v[118:121], v114
	v_add_nc_u32_e32 v116, 1, v116
	v_add_nc_u32_e32 v114, 16, v114
	;; [unrolled: 1-line block ×3, first 2 shown]
	v_cmp_lt_u32_e32 vcc_lo, 18, v116
	s_or_b32 s60, vcc_lo, s60
	s_waitcnt vmcnt(2) lgkmcnt(0)
	v_mul_f64 v[126:127], v[120:121], v[122:123]
	v_mul_f64 v[122:123], v[118:119], v[122:123]
	s_waitcnt vmcnt(0)
	v_fma_f64 v[118:119], v[118:119], v[124:125], -v[126:127]
	v_fma_f64 v[120:121], v[120:121], v[124:125], v[122:123]
	v_add_f64 v[1:2], v[1:2], v[118:119]
	v_add_f64 v[3:4], v[3:4], v[120:121]
	s_andn2_b32 exec_lo, exec_lo, s60
	s_cbranch_execnz .LBB116_572
; %bb.573:
	s_or_b32 exec_lo, exec_lo, s60
.LBB116_574:
	s_or_b32 exec_lo, exec_lo, s8
	v_mov_b32_e32 v114, 0
	ds_read_b128 v[118:121], v114 offset:320
	s_waitcnt lgkmcnt(0)
	v_mul_f64 v[114:115], v[3:4], v[120:121]
	v_mul_f64 v[120:121], v[1:2], v[120:121]
	v_fma_f64 v[1:2], v[1:2], v[118:119], -v[114:115]
	v_fma_f64 v[3:4], v[3:4], v[118:119], v[120:121]
	buffer_store_dword v2, off, s[0:3], 0 offset:324
	buffer_store_dword v1, off, s[0:3], 0 offset:320
	;; [unrolled: 1-line block ×4, first 2 shown]
.LBB116_575:
	s_or_b32 exec_lo, exec_lo, s4
	v_mov_b32_e32 v4, s39
	s_mov_b32 s4, exec_lo
	s_clause 0x3
	buffer_load_dword v1, v4, s[0:3], 0 offen
	buffer_load_dword v2, v4, s[0:3], 0 offen offset:4
	buffer_load_dword v3, v4, s[0:3], 0 offen offset:8
	;; [unrolled: 1-line block ×3, first 2 shown]
	s_waitcnt vmcnt(0)
	ds_write_b128 v112, v[1:4]
	s_waitcnt lgkmcnt(0)
	s_waitcnt_vscnt null, 0x0
	s_barrier
	buffer_gl0_inv
	v_cmpx_gt_u32_e32 21, v0
	s_cbranch_execz .LBB116_583
; %bb.576:
	ds_read_b128 v[1:4], v112
	v_cmp_ne_u32_e32 vcc_lo, 1, v113
	s_cbranch_vccnz .LBB116_578
; %bb.577:
	s_clause 0x3
	buffer_load_dword v114, v111, s[0:3], 0 offen offset:8
	buffer_load_dword v115, v111, s[0:3], 0 offen offset:12
	buffer_load_dword v118, v111, s[0:3], 0 offen
	buffer_load_dword v119, v111, s[0:3], 0 offen offset:4
	s_waitcnt vmcnt(2) lgkmcnt(0)
	v_mul_f64 v[120:121], v[3:4], v[114:115]
	v_mul_f64 v[114:115], v[1:2], v[114:115]
	s_waitcnt vmcnt(0)
	v_fma_f64 v[1:2], v[1:2], v[118:119], -v[120:121]
	v_fma_f64 v[3:4], v[3:4], v[118:119], v[114:115]
.LBB116_578:
	s_mov_b32 s8, exec_lo
	v_cmpx_ne_u32_e32 20, v0
	s_cbranch_execz .LBB116_582
; %bb.579:
	v_add_nc_u32_e32 v114, 0x360, v117
	v_add3_u32 v115, 0, v117, 16
	v_mov_b32_e32 v116, v0
	s_mov_b32 s60, 0
	.p2align	6
.LBB116_580:                            ; =>This Inner Loop Header: Depth=1
	s_clause 0x3
	buffer_load_dword v122, v115, s[0:3], 0 offen offset:8
	buffer_load_dword v123, v115, s[0:3], 0 offen offset:12
	buffer_load_dword v124, v115, s[0:3], 0 offen
	buffer_load_dword v125, v115, s[0:3], 0 offen offset:4
	ds_read_b128 v[118:121], v114
	v_add_nc_u32_e32 v116, 1, v116
	v_add_nc_u32_e32 v114, 16, v114
	;; [unrolled: 1-line block ×3, first 2 shown]
	v_cmp_lt_u32_e32 vcc_lo, 19, v116
	s_or_b32 s60, vcc_lo, s60
	s_waitcnt vmcnt(2) lgkmcnt(0)
	v_mul_f64 v[126:127], v[120:121], v[122:123]
	v_mul_f64 v[122:123], v[118:119], v[122:123]
	s_waitcnt vmcnt(0)
	v_fma_f64 v[118:119], v[118:119], v[124:125], -v[126:127]
	v_fma_f64 v[120:121], v[120:121], v[124:125], v[122:123]
	v_add_f64 v[1:2], v[1:2], v[118:119]
	v_add_f64 v[3:4], v[3:4], v[120:121]
	s_andn2_b32 exec_lo, exec_lo, s60
	s_cbranch_execnz .LBB116_580
; %bb.581:
	s_or_b32 exec_lo, exec_lo, s60
.LBB116_582:
	s_or_b32 exec_lo, exec_lo, s8
	v_mov_b32_e32 v114, 0
	ds_read_b128 v[118:121], v114 offset:336
	s_waitcnt lgkmcnt(0)
	v_mul_f64 v[114:115], v[3:4], v[120:121]
	v_mul_f64 v[120:121], v[1:2], v[120:121]
	v_fma_f64 v[1:2], v[1:2], v[118:119], -v[114:115]
	v_fma_f64 v[3:4], v[3:4], v[118:119], v[120:121]
	buffer_store_dword v2, off, s[0:3], 0 offset:340
	buffer_store_dword v1, off, s[0:3], 0 offset:336
	;; [unrolled: 1-line block ×4, first 2 shown]
.LBB116_583:
	s_or_b32 exec_lo, exec_lo, s4
	v_mov_b32_e32 v4, s38
	s_mov_b32 s4, exec_lo
	s_clause 0x3
	buffer_load_dword v1, v4, s[0:3], 0 offen
	buffer_load_dword v2, v4, s[0:3], 0 offen offset:4
	buffer_load_dword v3, v4, s[0:3], 0 offen offset:8
	;; [unrolled: 1-line block ×3, first 2 shown]
	s_waitcnt vmcnt(0)
	ds_write_b128 v112, v[1:4]
	s_waitcnt lgkmcnt(0)
	s_waitcnt_vscnt null, 0x0
	s_barrier
	buffer_gl0_inv
	v_cmpx_gt_u32_e32 22, v0
	s_cbranch_execz .LBB116_591
; %bb.584:
	ds_read_b128 v[1:4], v112
	v_cmp_ne_u32_e32 vcc_lo, 1, v113
	s_cbranch_vccnz .LBB116_586
; %bb.585:
	s_clause 0x3
	buffer_load_dword v114, v111, s[0:3], 0 offen offset:8
	buffer_load_dword v115, v111, s[0:3], 0 offen offset:12
	buffer_load_dword v118, v111, s[0:3], 0 offen
	buffer_load_dword v119, v111, s[0:3], 0 offen offset:4
	s_waitcnt vmcnt(2) lgkmcnt(0)
	v_mul_f64 v[120:121], v[3:4], v[114:115]
	v_mul_f64 v[114:115], v[1:2], v[114:115]
	s_waitcnt vmcnt(0)
	v_fma_f64 v[1:2], v[1:2], v[118:119], -v[120:121]
	v_fma_f64 v[3:4], v[3:4], v[118:119], v[114:115]
.LBB116_586:
	s_mov_b32 s8, exec_lo
	v_cmpx_ne_u32_e32 21, v0
	s_cbranch_execz .LBB116_590
; %bb.587:
	v_add_nc_u32_e32 v114, 0x360, v117
	v_add3_u32 v115, 0, v117, 16
	v_mov_b32_e32 v116, v0
	s_mov_b32 s60, 0
	.p2align	6
.LBB116_588:                            ; =>This Inner Loop Header: Depth=1
	s_clause 0x3
	buffer_load_dword v122, v115, s[0:3], 0 offen offset:8
	buffer_load_dword v123, v115, s[0:3], 0 offen offset:12
	buffer_load_dword v124, v115, s[0:3], 0 offen
	buffer_load_dword v125, v115, s[0:3], 0 offen offset:4
	ds_read_b128 v[118:121], v114
	v_add_nc_u32_e32 v116, 1, v116
	v_add_nc_u32_e32 v114, 16, v114
	;; [unrolled: 1-line block ×3, first 2 shown]
	v_cmp_lt_u32_e32 vcc_lo, 20, v116
	s_or_b32 s60, vcc_lo, s60
	s_waitcnt vmcnt(2) lgkmcnt(0)
	v_mul_f64 v[126:127], v[120:121], v[122:123]
	v_mul_f64 v[122:123], v[118:119], v[122:123]
	s_waitcnt vmcnt(0)
	v_fma_f64 v[118:119], v[118:119], v[124:125], -v[126:127]
	v_fma_f64 v[120:121], v[120:121], v[124:125], v[122:123]
	v_add_f64 v[1:2], v[1:2], v[118:119]
	v_add_f64 v[3:4], v[3:4], v[120:121]
	s_andn2_b32 exec_lo, exec_lo, s60
	s_cbranch_execnz .LBB116_588
; %bb.589:
	s_or_b32 exec_lo, exec_lo, s60
.LBB116_590:
	s_or_b32 exec_lo, exec_lo, s8
	v_mov_b32_e32 v114, 0
	ds_read_b128 v[118:121], v114 offset:352
	s_waitcnt lgkmcnt(0)
	v_mul_f64 v[114:115], v[3:4], v[120:121]
	v_mul_f64 v[120:121], v[1:2], v[120:121]
	v_fma_f64 v[1:2], v[1:2], v[118:119], -v[114:115]
	v_fma_f64 v[3:4], v[3:4], v[118:119], v[120:121]
	buffer_store_dword v2, off, s[0:3], 0 offset:356
	buffer_store_dword v1, off, s[0:3], 0 offset:352
	;; [unrolled: 1-line block ×4, first 2 shown]
.LBB116_591:
	s_or_b32 exec_lo, exec_lo, s4
	v_mov_b32_e32 v4, s37
	s_mov_b32 s4, exec_lo
	s_clause 0x3
	buffer_load_dword v1, v4, s[0:3], 0 offen
	buffer_load_dword v2, v4, s[0:3], 0 offen offset:4
	buffer_load_dword v3, v4, s[0:3], 0 offen offset:8
	;; [unrolled: 1-line block ×3, first 2 shown]
	s_waitcnt vmcnt(0)
	ds_write_b128 v112, v[1:4]
	s_waitcnt lgkmcnt(0)
	s_waitcnt_vscnt null, 0x0
	s_barrier
	buffer_gl0_inv
	v_cmpx_gt_u32_e32 23, v0
	s_cbranch_execz .LBB116_599
; %bb.592:
	ds_read_b128 v[1:4], v112
	v_cmp_ne_u32_e32 vcc_lo, 1, v113
	s_cbranch_vccnz .LBB116_594
; %bb.593:
	s_clause 0x3
	buffer_load_dword v114, v111, s[0:3], 0 offen offset:8
	buffer_load_dword v115, v111, s[0:3], 0 offen offset:12
	buffer_load_dword v118, v111, s[0:3], 0 offen
	buffer_load_dword v119, v111, s[0:3], 0 offen offset:4
	s_waitcnt vmcnt(2) lgkmcnt(0)
	v_mul_f64 v[120:121], v[3:4], v[114:115]
	v_mul_f64 v[114:115], v[1:2], v[114:115]
	s_waitcnt vmcnt(0)
	v_fma_f64 v[1:2], v[1:2], v[118:119], -v[120:121]
	v_fma_f64 v[3:4], v[3:4], v[118:119], v[114:115]
.LBB116_594:
	s_mov_b32 s8, exec_lo
	v_cmpx_ne_u32_e32 22, v0
	s_cbranch_execz .LBB116_598
; %bb.595:
	v_add_nc_u32_e32 v114, 0x360, v117
	v_add3_u32 v115, 0, v117, 16
	v_mov_b32_e32 v116, v0
	s_mov_b32 s60, 0
	.p2align	6
.LBB116_596:                            ; =>This Inner Loop Header: Depth=1
	s_clause 0x3
	buffer_load_dword v122, v115, s[0:3], 0 offen offset:8
	buffer_load_dword v123, v115, s[0:3], 0 offen offset:12
	buffer_load_dword v124, v115, s[0:3], 0 offen
	buffer_load_dword v125, v115, s[0:3], 0 offen offset:4
	ds_read_b128 v[118:121], v114
	v_add_nc_u32_e32 v116, 1, v116
	v_add_nc_u32_e32 v114, 16, v114
	;; [unrolled: 1-line block ×3, first 2 shown]
	v_cmp_lt_u32_e32 vcc_lo, 21, v116
	s_or_b32 s60, vcc_lo, s60
	s_waitcnt vmcnt(2) lgkmcnt(0)
	v_mul_f64 v[126:127], v[120:121], v[122:123]
	v_mul_f64 v[122:123], v[118:119], v[122:123]
	s_waitcnt vmcnt(0)
	v_fma_f64 v[118:119], v[118:119], v[124:125], -v[126:127]
	v_fma_f64 v[120:121], v[120:121], v[124:125], v[122:123]
	v_add_f64 v[1:2], v[1:2], v[118:119]
	v_add_f64 v[3:4], v[3:4], v[120:121]
	s_andn2_b32 exec_lo, exec_lo, s60
	s_cbranch_execnz .LBB116_596
; %bb.597:
	s_or_b32 exec_lo, exec_lo, s60
.LBB116_598:
	s_or_b32 exec_lo, exec_lo, s8
	v_mov_b32_e32 v114, 0
	ds_read_b128 v[118:121], v114 offset:368
	s_waitcnt lgkmcnt(0)
	v_mul_f64 v[114:115], v[3:4], v[120:121]
	v_mul_f64 v[120:121], v[1:2], v[120:121]
	v_fma_f64 v[1:2], v[1:2], v[118:119], -v[114:115]
	v_fma_f64 v[3:4], v[3:4], v[118:119], v[120:121]
	buffer_store_dword v2, off, s[0:3], 0 offset:372
	buffer_store_dword v1, off, s[0:3], 0 offset:368
	;; [unrolled: 1-line block ×4, first 2 shown]
.LBB116_599:
	s_or_b32 exec_lo, exec_lo, s4
	v_mov_b32_e32 v4, s36
	s_mov_b32 s4, exec_lo
	s_clause 0x3
	buffer_load_dword v1, v4, s[0:3], 0 offen
	buffer_load_dword v2, v4, s[0:3], 0 offen offset:4
	buffer_load_dword v3, v4, s[0:3], 0 offen offset:8
	;; [unrolled: 1-line block ×3, first 2 shown]
	s_waitcnt vmcnt(0)
	ds_write_b128 v112, v[1:4]
	s_waitcnt lgkmcnt(0)
	s_waitcnt_vscnt null, 0x0
	s_barrier
	buffer_gl0_inv
	v_cmpx_gt_u32_e32 24, v0
	s_cbranch_execz .LBB116_607
; %bb.600:
	ds_read_b128 v[1:4], v112
	v_cmp_ne_u32_e32 vcc_lo, 1, v113
	s_cbranch_vccnz .LBB116_602
; %bb.601:
	s_clause 0x3
	buffer_load_dword v114, v111, s[0:3], 0 offen offset:8
	buffer_load_dword v115, v111, s[0:3], 0 offen offset:12
	buffer_load_dword v118, v111, s[0:3], 0 offen
	buffer_load_dword v119, v111, s[0:3], 0 offen offset:4
	s_waitcnt vmcnt(2) lgkmcnt(0)
	v_mul_f64 v[120:121], v[3:4], v[114:115]
	v_mul_f64 v[114:115], v[1:2], v[114:115]
	s_waitcnt vmcnt(0)
	v_fma_f64 v[1:2], v[1:2], v[118:119], -v[120:121]
	v_fma_f64 v[3:4], v[3:4], v[118:119], v[114:115]
.LBB116_602:
	s_mov_b32 s8, exec_lo
	v_cmpx_ne_u32_e32 23, v0
	s_cbranch_execz .LBB116_606
; %bb.603:
	v_add_nc_u32_e32 v114, 0x360, v117
	v_add3_u32 v115, 0, v117, 16
	v_mov_b32_e32 v116, v0
	s_mov_b32 s60, 0
	.p2align	6
.LBB116_604:                            ; =>This Inner Loop Header: Depth=1
	s_clause 0x3
	buffer_load_dword v122, v115, s[0:3], 0 offen offset:8
	buffer_load_dword v123, v115, s[0:3], 0 offen offset:12
	buffer_load_dword v124, v115, s[0:3], 0 offen
	buffer_load_dword v125, v115, s[0:3], 0 offen offset:4
	ds_read_b128 v[118:121], v114
	v_add_nc_u32_e32 v116, 1, v116
	v_add_nc_u32_e32 v114, 16, v114
	v_add_nc_u32_e32 v115, 16, v115
	v_cmp_lt_u32_e32 vcc_lo, 22, v116
	s_or_b32 s60, vcc_lo, s60
	s_waitcnt vmcnt(2) lgkmcnt(0)
	v_mul_f64 v[126:127], v[120:121], v[122:123]
	v_mul_f64 v[122:123], v[118:119], v[122:123]
	s_waitcnt vmcnt(0)
	v_fma_f64 v[118:119], v[118:119], v[124:125], -v[126:127]
	v_fma_f64 v[120:121], v[120:121], v[124:125], v[122:123]
	v_add_f64 v[1:2], v[1:2], v[118:119]
	v_add_f64 v[3:4], v[3:4], v[120:121]
	s_andn2_b32 exec_lo, exec_lo, s60
	s_cbranch_execnz .LBB116_604
; %bb.605:
	s_or_b32 exec_lo, exec_lo, s60
.LBB116_606:
	s_or_b32 exec_lo, exec_lo, s8
	v_mov_b32_e32 v114, 0
	ds_read_b128 v[118:121], v114 offset:384
	s_waitcnt lgkmcnt(0)
	v_mul_f64 v[114:115], v[3:4], v[120:121]
	v_mul_f64 v[120:121], v[1:2], v[120:121]
	v_fma_f64 v[1:2], v[1:2], v[118:119], -v[114:115]
	v_fma_f64 v[3:4], v[3:4], v[118:119], v[120:121]
	buffer_store_dword v2, off, s[0:3], 0 offset:388
	buffer_store_dword v1, off, s[0:3], 0 offset:384
	;; [unrolled: 1-line block ×4, first 2 shown]
.LBB116_607:
	s_or_b32 exec_lo, exec_lo, s4
	v_mov_b32_e32 v4, s35
	s_mov_b32 s4, exec_lo
	s_clause 0x3
	buffer_load_dword v1, v4, s[0:3], 0 offen
	buffer_load_dword v2, v4, s[0:3], 0 offen offset:4
	buffer_load_dword v3, v4, s[0:3], 0 offen offset:8
	;; [unrolled: 1-line block ×3, first 2 shown]
	s_waitcnt vmcnt(0)
	ds_write_b128 v112, v[1:4]
	s_waitcnt lgkmcnt(0)
	s_waitcnt_vscnt null, 0x0
	s_barrier
	buffer_gl0_inv
	v_cmpx_gt_u32_e32 25, v0
	s_cbranch_execz .LBB116_615
; %bb.608:
	ds_read_b128 v[1:4], v112
	v_cmp_ne_u32_e32 vcc_lo, 1, v113
	s_cbranch_vccnz .LBB116_610
; %bb.609:
	s_clause 0x3
	buffer_load_dword v114, v111, s[0:3], 0 offen offset:8
	buffer_load_dword v115, v111, s[0:3], 0 offen offset:12
	buffer_load_dword v118, v111, s[0:3], 0 offen
	buffer_load_dword v119, v111, s[0:3], 0 offen offset:4
	s_waitcnt vmcnt(2) lgkmcnt(0)
	v_mul_f64 v[120:121], v[3:4], v[114:115]
	v_mul_f64 v[114:115], v[1:2], v[114:115]
	s_waitcnt vmcnt(0)
	v_fma_f64 v[1:2], v[1:2], v[118:119], -v[120:121]
	v_fma_f64 v[3:4], v[3:4], v[118:119], v[114:115]
.LBB116_610:
	s_mov_b32 s8, exec_lo
	v_cmpx_ne_u32_e32 24, v0
	s_cbranch_execz .LBB116_614
; %bb.611:
	v_add_nc_u32_e32 v114, 0x360, v117
	v_add3_u32 v115, 0, v117, 16
	v_mov_b32_e32 v116, v0
	s_mov_b32 s60, 0
	.p2align	6
.LBB116_612:                            ; =>This Inner Loop Header: Depth=1
	s_clause 0x3
	buffer_load_dword v122, v115, s[0:3], 0 offen offset:8
	buffer_load_dword v123, v115, s[0:3], 0 offen offset:12
	buffer_load_dword v124, v115, s[0:3], 0 offen
	buffer_load_dword v125, v115, s[0:3], 0 offen offset:4
	ds_read_b128 v[118:121], v114
	v_add_nc_u32_e32 v116, 1, v116
	v_add_nc_u32_e32 v114, 16, v114
	;; [unrolled: 1-line block ×3, first 2 shown]
	v_cmp_lt_u32_e32 vcc_lo, 23, v116
	s_or_b32 s60, vcc_lo, s60
	s_waitcnt vmcnt(2) lgkmcnt(0)
	v_mul_f64 v[126:127], v[120:121], v[122:123]
	v_mul_f64 v[122:123], v[118:119], v[122:123]
	s_waitcnt vmcnt(0)
	v_fma_f64 v[118:119], v[118:119], v[124:125], -v[126:127]
	v_fma_f64 v[120:121], v[120:121], v[124:125], v[122:123]
	v_add_f64 v[1:2], v[1:2], v[118:119]
	v_add_f64 v[3:4], v[3:4], v[120:121]
	s_andn2_b32 exec_lo, exec_lo, s60
	s_cbranch_execnz .LBB116_612
; %bb.613:
	s_or_b32 exec_lo, exec_lo, s60
.LBB116_614:
	s_or_b32 exec_lo, exec_lo, s8
	v_mov_b32_e32 v114, 0
	ds_read_b128 v[118:121], v114 offset:400
	s_waitcnt lgkmcnt(0)
	v_mul_f64 v[114:115], v[3:4], v[120:121]
	v_mul_f64 v[120:121], v[1:2], v[120:121]
	v_fma_f64 v[1:2], v[1:2], v[118:119], -v[114:115]
	v_fma_f64 v[3:4], v[3:4], v[118:119], v[120:121]
	buffer_store_dword v2, off, s[0:3], 0 offset:404
	buffer_store_dword v1, off, s[0:3], 0 offset:400
	;; [unrolled: 1-line block ×4, first 2 shown]
.LBB116_615:
	s_or_b32 exec_lo, exec_lo, s4
	v_mov_b32_e32 v4, s34
	s_mov_b32 s4, exec_lo
	s_clause 0x3
	buffer_load_dword v1, v4, s[0:3], 0 offen
	buffer_load_dword v2, v4, s[0:3], 0 offen offset:4
	buffer_load_dword v3, v4, s[0:3], 0 offen offset:8
	;; [unrolled: 1-line block ×3, first 2 shown]
	s_waitcnt vmcnt(0)
	ds_write_b128 v112, v[1:4]
	s_waitcnt lgkmcnt(0)
	s_waitcnt_vscnt null, 0x0
	s_barrier
	buffer_gl0_inv
	v_cmpx_gt_u32_e32 26, v0
	s_cbranch_execz .LBB116_623
; %bb.616:
	ds_read_b128 v[1:4], v112
	v_cmp_ne_u32_e32 vcc_lo, 1, v113
	s_cbranch_vccnz .LBB116_618
; %bb.617:
	s_clause 0x3
	buffer_load_dword v114, v111, s[0:3], 0 offen offset:8
	buffer_load_dword v115, v111, s[0:3], 0 offen offset:12
	buffer_load_dword v118, v111, s[0:3], 0 offen
	buffer_load_dword v119, v111, s[0:3], 0 offen offset:4
	s_waitcnt vmcnt(2) lgkmcnt(0)
	v_mul_f64 v[120:121], v[3:4], v[114:115]
	v_mul_f64 v[114:115], v[1:2], v[114:115]
	s_waitcnt vmcnt(0)
	v_fma_f64 v[1:2], v[1:2], v[118:119], -v[120:121]
	v_fma_f64 v[3:4], v[3:4], v[118:119], v[114:115]
.LBB116_618:
	s_mov_b32 s8, exec_lo
	v_cmpx_ne_u32_e32 25, v0
	s_cbranch_execz .LBB116_622
; %bb.619:
	v_add_nc_u32_e32 v114, 0x360, v117
	v_add3_u32 v115, 0, v117, 16
	v_mov_b32_e32 v116, v0
	s_mov_b32 s60, 0
	.p2align	6
.LBB116_620:                            ; =>This Inner Loop Header: Depth=1
	s_clause 0x3
	buffer_load_dword v122, v115, s[0:3], 0 offen offset:8
	buffer_load_dword v123, v115, s[0:3], 0 offen offset:12
	buffer_load_dword v124, v115, s[0:3], 0 offen
	buffer_load_dword v125, v115, s[0:3], 0 offen offset:4
	ds_read_b128 v[118:121], v114
	v_add_nc_u32_e32 v116, 1, v116
	v_add_nc_u32_e32 v114, 16, v114
	;; [unrolled: 1-line block ×3, first 2 shown]
	v_cmp_lt_u32_e32 vcc_lo, 24, v116
	s_or_b32 s60, vcc_lo, s60
	s_waitcnt vmcnt(2) lgkmcnt(0)
	v_mul_f64 v[126:127], v[120:121], v[122:123]
	v_mul_f64 v[122:123], v[118:119], v[122:123]
	s_waitcnt vmcnt(0)
	v_fma_f64 v[118:119], v[118:119], v[124:125], -v[126:127]
	v_fma_f64 v[120:121], v[120:121], v[124:125], v[122:123]
	v_add_f64 v[1:2], v[1:2], v[118:119]
	v_add_f64 v[3:4], v[3:4], v[120:121]
	s_andn2_b32 exec_lo, exec_lo, s60
	s_cbranch_execnz .LBB116_620
; %bb.621:
	s_or_b32 exec_lo, exec_lo, s60
.LBB116_622:
	s_or_b32 exec_lo, exec_lo, s8
	v_mov_b32_e32 v114, 0
	ds_read_b128 v[118:121], v114 offset:416
	s_waitcnt lgkmcnt(0)
	v_mul_f64 v[114:115], v[3:4], v[120:121]
	v_mul_f64 v[120:121], v[1:2], v[120:121]
	v_fma_f64 v[1:2], v[1:2], v[118:119], -v[114:115]
	v_fma_f64 v[3:4], v[3:4], v[118:119], v[120:121]
	buffer_store_dword v2, off, s[0:3], 0 offset:420
	buffer_store_dword v1, off, s[0:3], 0 offset:416
	;; [unrolled: 1-line block ×4, first 2 shown]
.LBB116_623:
	s_or_b32 exec_lo, exec_lo, s4
	v_mov_b32_e32 v4, s33
	s_mov_b32 s4, exec_lo
	s_clause 0x3
	buffer_load_dword v1, v4, s[0:3], 0 offen
	buffer_load_dword v2, v4, s[0:3], 0 offen offset:4
	buffer_load_dword v3, v4, s[0:3], 0 offen offset:8
	;; [unrolled: 1-line block ×3, first 2 shown]
	s_waitcnt vmcnt(0)
	ds_write_b128 v112, v[1:4]
	s_waitcnt lgkmcnt(0)
	s_waitcnt_vscnt null, 0x0
	s_barrier
	buffer_gl0_inv
	v_cmpx_gt_u32_e32 27, v0
	s_cbranch_execz .LBB116_631
; %bb.624:
	ds_read_b128 v[1:4], v112
	v_cmp_ne_u32_e32 vcc_lo, 1, v113
	s_cbranch_vccnz .LBB116_626
; %bb.625:
	s_clause 0x3
	buffer_load_dword v114, v111, s[0:3], 0 offen offset:8
	buffer_load_dword v115, v111, s[0:3], 0 offen offset:12
	buffer_load_dword v118, v111, s[0:3], 0 offen
	buffer_load_dword v119, v111, s[0:3], 0 offen offset:4
	s_waitcnt vmcnt(2) lgkmcnt(0)
	v_mul_f64 v[120:121], v[3:4], v[114:115]
	v_mul_f64 v[114:115], v[1:2], v[114:115]
	s_waitcnt vmcnt(0)
	v_fma_f64 v[1:2], v[1:2], v[118:119], -v[120:121]
	v_fma_f64 v[3:4], v[3:4], v[118:119], v[114:115]
.LBB116_626:
	s_mov_b32 s8, exec_lo
	v_cmpx_ne_u32_e32 26, v0
	s_cbranch_execz .LBB116_630
; %bb.627:
	v_add_nc_u32_e32 v114, 0x360, v117
	v_add3_u32 v115, 0, v117, 16
	v_mov_b32_e32 v116, v0
	s_mov_b32 s60, 0
	.p2align	6
.LBB116_628:                            ; =>This Inner Loop Header: Depth=1
	s_clause 0x3
	buffer_load_dword v122, v115, s[0:3], 0 offen offset:8
	buffer_load_dword v123, v115, s[0:3], 0 offen offset:12
	buffer_load_dword v124, v115, s[0:3], 0 offen
	buffer_load_dword v125, v115, s[0:3], 0 offen offset:4
	ds_read_b128 v[118:121], v114
	v_add_nc_u32_e32 v116, 1, v116
	v_add_nc_u32_e32 v114, 16, v114
	;; [unrolled: 1-line block ×3, first 2 shown]
	v_cmp_lt_u32_e32 vcc_lo, 25, v116
	s_or_b32 s60, vcc_lo, s60
	s_waitcnt vmcnt(2) lgkmcnt(0)
	v_mul_f64 v[126:127], v[120:121], v[122:123]
	v_mul_f64 v[122:123], v[118:119], v[122:123]
	s_waitcnt vmcnt(0)
	v_fma_f64 v[118:119], v[118:119], v[124:125], -v[126:127]
	v_fma_f64 v[120:121], v[120:121], v[124:125], v[122:123]
	v_add_f64 v[1:2], v[1:2], v[118:119]
	v_add_f64 v[3:4], v[3:4], v[120:121]
	s_andn2_b32 exec_lo, exec_lo, s60
	s_cbranch_execnz .LBB116_628
; %bb.629:
	s_or_b32 exec_lo, exec_lo, s60
.LBB116_630:
	s_or_b32 exec_lo, exec_lo, s8
	v_mov_b32_e32 v114, 0
	ds_read_b128 v[118:121], v114 offset:432
	s_waitcnt lgkmcnt(0)
	v_mul_f64 v[114:115], v[3:4], v[120:121]
	v_mul_f64 v[120:121], v[1:2], v[120:121]
	v_fma_f64 v[1:2], v[1:2], v[118:119], -v[114:115]
	v_fma_f64 v[3:4], v[3:4], v[118:119], v[120:121]
	buffer_store_dword v2, off, s[0:3], 0 offset:436
	buffer_store_dword v1, off, s[0:3], 0 offset:432
	;; [unrolled: 1-line block ×4, first 2 shown]
.LBB116_631:
	s_or_b32 exec_lo, exec_lo, s4
	v_mov_b32_e32 v4, s31
	s_mov_b32 s4, exec_lo
	s_clause 0x3
	buffer_load_dword v1, v4, s[0:3], 0 offen
	buffer_load_dword v2, v4, s[0:3], 0 offen offset:4
	buffer_load_dword v3, v4, s[0:3], 0 offen offset:8
	;; [unrolled: 1-line block ×3, first 2 shown]
	s_waitcnt vmcnt(0)
	ds_write_b128 v112, v[1:4]
	s_waitcnt lgkmcnt(0)
	s_waitcnt_vscnt null, 0x0
	s_barrier
	buffer_gl0_inv
	v_cmpx_gt_u32_e32 28, v0
	s_cbranch_execz .LBB116_639
; %bb.632:
	ds_read_b128 v[1:4], v112
	v_cmp_ne_u32_e32 vcc_lo, 1, v113
	s_cbranch_vccnz .LBB116_634
; %bb.633:
	s_clause 0x3
	buffer_load_dword v114, v111, s[0:3], 0 offen offset:8
	buffer_load_dword v115, v111, s[0:3], 0 offen offset:12
	buffer_load_dword v118, v111, s[0:3], 0 offen
	buffer_load_dword v119, v111, s[0:3], 0 offen offset:4
	s_waitcnt vmcnt(2) lgkmcnt(0)
	v_mul_f64 v[120:121], v[3:4], v[114:115]
	v_mul_f64 v[114:115], v[1:2], v[114:115]
	s_waitcnt vmcnt(0)
	v_fma_f64 v[1:2], v[1:2], v[118:119], -v[120:121]
	v_fma_f64 v[3:4], v[3:4], v[118:119], v[114:115]
.LBB116_634:
	s_mov_b32 s8, exec_lo
	v_cmpx_ne_u32_e32 27, v0
	s_cbranch_execz .LBB116_638
; %bb.635:
	v_add_nc_u32_e32 v114, 0x360, v117
	v_add3_u32 v115, 0, v117, 16
	v_mov_b32_e32 v116, v0
	s_mov_b32 s60, 0
	.p2align	6
.LBB116_636:                            ; =>This Inner Loop Header: Depth=1
	s_clause 0x3
	buffer_load_dword v122, v115, s[0:3], 0 offen offset:8
	buffer_load_dword v123, v115, s[0:3], 0 offen offset:12
	buffer_load_dword v124, v115, s[0:3], 0 offen
	buffer_load_dword v125, v115, s[0:3], 0 offen offset:4
	ds_read_b128 v[118:121], v114
	v_add_nc_u32_e32 v116, 1, v116
	v_add_nc_u32_e32 v114, 16, v114
	;; [unrolled: 1-line block ×3, first 2 shown]
	v_cmp_lt_u32_e32 vcc_lo, 26, v116
	s_or_b32 s60, vcc_lo, s60
	s_waitcnt vmcnt(2) lgkmcnt(0)
	v_mul_f64 v[126:127], v[120:121], v[122:123]
	v_mul_f64 v[122:123], v[118:119], v[122:123]
	s_waitcnt vmcnt(0)
	v_fma_f64 v[118:119], v[118:119], v[124:125], -v[126:127]
	v_fma_f64 v[120:121], v[120:121], v[124:125], v[122:123]
	v_add_f64 v[1:2], v[1:2], v[118:119]
	v_add_f64 v[3:4], v[3:4], v[120:121]
	s_andn2_b32 exec_lo, exec_lo, s60
	s_cbranch_execnz .LBB116_636
; %bb.637:
	s_or_b32 exec_lo, exec_lo, s60
.LBB116_638:
	s_or_b32 exec_lo, exec_lo, s8
	v_mov_b32_e32 v114, 0
	ds_read_b128 v[118:121], v114 offset:448
	s_waitcnt lgkmcnt(0)
	v_mul_f64 v[114:115], v[3:4], v[120:121]
	v_mul_f64 v[120:121], v[1:2], v[120:121]
	v_fma_f64 v[1:2], v[1:2], v[118:119], -v[114:115]
	v_fma_f64 v[3:4], v[3:4], v[118:119], v[120:121]
	buffer_store_dword v2, off, s[0:3], 0 offset:452
	buffer_store_dword v1, off, s[0:3], 0 offset:448
	;; [unrolled: 1-line block ×4, first 2 shown]
.LBB116_639:
	s_or_b32 exec_lo, exec_lo, s4
	v_mov_b32_e32 v4, s30
	s_mov_b32 s4, exec_lo
	s_clause 0x3
	buffer_load_dword v1, v4, s[0:3], 0 offen
	buffer_load_dword v2, v4, s[0:3], 0 offen offset:4
	buffer_load_dword v3, v4, s[0:3], 0 offen offset:8
	;; [unrolled: 1-line block ×3, first 2 shown]
	s_waitcnt vmcnt(0)
	ds_write_b128 v112, v[1:4]
	s_waitcnt lgkmcnt(0)
	s_waitcnt_vscnt null, 0x0
	s_barrier
	buffer_gl0_inv
	v_cmpx_gt_u32_e32 29, v0
	s_cbranch_execz .LBB116_647
; %bb.640:
	ds_read_b128 v[1:4], v112
	v_cmp_ne_u32_e32 vcc_lo, 1, v113
	s_cbranch_vccnz .LBB116_642
; %bb.641:
	s_clause 0x3
	buffer_load_dword v114, v111, s[0:3], 0 offen offset:8
	buffer_load_dword v115, v111, s[0:3], 0 offen offset:12
	buffer_load_dword v118, v111, s[0:3], 0 offen
	buffer_load_dword v119, v111, s[0:3], 0 offen offset:4
	s_waitcnt vmcnt(2) lgkmcnt(0)
	v_mul_f64 v[120:121], v[3:4], v[114:115]
	v_mul_f64 v[114:115], v[1:2], v[114:115]
	s_waitcnt vmcnt(0)
	v_fma_f64 v[1:2], v[1:2], v[118:119], -v[120:121]
	v_fma_f64 v[3:4], v[3:4], v[118:119], v[114:115]
.LBB116_642:
	s_mov_b32 s8, exec_lo
	v_cmpx_ne_u32_e32 28, v0
	s_cbranch_execz .LBB116_646
; %bb.643:
	v_add_nc_u32_e32 v114, 0x360, v117
	v_add3_u32 v115, 0, v117, 16
	v_mov_b32_e32 v116, v0
	s_mov_b32 s60, 0
	.p2align	6
.LBB116_644:                            ; =>This Inner Loop Header: Depth=1
	s_clause 0x3
	buffer_load_dword v122, v115, s[0:3], 0 offen offset:8
	buffer_load_dword v123, v115, s[0:3], 0 offen offset:12
	buffer_load_dword v124, v115, s[0:3], 0 offen
	buffer_load_dword v125, v115, s[0:3], 0 offen offset:4
	ds_read_b128 v[118:121], v114
	v_add_nc_u32_e32 v116, 1, v116
	v_add_nc_u32_e32 v114, 16, v114
	;; [unrolled: 1-line block ×3, first 2 shown]
	v_cmp_lt_u32_e32 vcc_lo, 27, v116
	s_or_b32 s60, vcc_lo, s60
	s_waitcnt vmcnt(2) lgkmcnt(0)
	v_mul_f64 v[126:127], v[120:121], v[122:123]
	v_mul_f64 v[122:123], v[118:119], v[122:123]
	s_waitcnt vmcnt(0)
	v_fma_f64 v[118:119], v[118:119], v[124:125], -v[126:127]
	v_fma_f64 v[120:121], v[120:121], v[124:125], v[122:123]
	v_add_f64 v[1:2], v[1:2], v[118:119]
	v_add_f64 v[3:4], v[3:4], v[120:121]
	s_andn2_b32 exec_lo, exec_lo, s60
	s_cbranch_execnz .LBB116_644
; %bb.645:
	s_or_b32 exec_lo, exec_lo, s60
.LBB116_646:
	s_or_b32 exec_lo, exec_lo, s8
	v_mov_b32_e32 v114, 0
	ds_read_b128 v[118:121], v114 offset:464
	s_waitcnt lgkmcnt(0)
	v_mul_f64 v[114:115], v[3:4], v[120:121]
	v_mul_f64 v[120:121], v[1:2], v[120:121]
	v_fma_f64 v[1:2], v[1:2], v[118:119], -v[114:115]
	v_fma_f64 v[3:4], v[3:4], v[118:119], v[120:121]
	buffer_store_dword v2, off, s[0:3], 0 offset:468
	buffer_store_dword v1, off, s[0:3], 0 offset:464
	;; [unrolled: 1-line block ×4, first 2 shown]
.LBB116_647:
	s_or_b32 exec_lo, exec_lo, s4
	v_mov_b32_e32 v4, s29
	s_mov_b32 s4, exec_lo
	s_clause 0x3
	buffer_load_dword v1, v4, s[0:3], 0 offen
	buffer_load_dword v2, v4, s[0:3], 0 offen offset:4
	buffer_load_dword v3, v4, s[0:3], 0 offen offset:8
	;; [unrolled: 1-line block ×3, first 2 shown]
	s_waitcnt vmcnt(0)
	ds_write_b128 v112, v[1:4]
	s_waitcnt lgkmcnt(0)
	s_waitcnt_vscnt null, 0x0
	s_barrier
	buffer_gl0_inv
	v_cmpx_gt_u32_e32 30, v0
	s_cbranch_execz .LBB116_655
; %bb.648:
	ds_read_b128 v[1:4], v112
	v_cmp_ne_u32_e32 vcc_lo, 1, v113
	s_cbranch_vccnz .LBB116_650
; %bb.649:
	s_clause 0x3
	buffer_load_dword v114, v111, s[0:3], 0 offen offset:8
	buffer_load_dword v115, v111, s[0:3], 0 offen offset:12
	buffer_load_dword v118, v111, s[0:3], 0 offen
	buffer_load_dword v119, v111, s[0:3], 0 offen offset:4
	s_waitcnt vmcnt(2) lgkmcnt(0)
	v_mul_f64 v[120:121], v[3:4], v[114:115]
	v_mul_f64 v[114:115], v[1:2], v[114:115]
	s_waitcnt vmcnt(0)
	v_fma_f64 v[1:2], v[1:2], v[118:119], -v[120:121]
	v_fma_f64 v[3:4], v[3:4], v[118:119], v[114:115]
.LBB116_650:
	s_mov_b32 s8, exec_lo
	v_cmpx_ne_u32_e32 29, v0
	s_cbranch_execz .LBB116_654
; %bb.651:
	v_add_nc_u32_e32 v114, 0x360, v117
	v_add3_u32 v115, 0, v117, 16
	v_mov_b32_e32 v116, v0
	s_mov_b32 s60, 0
	.p2align	6
.LBB116_652:                            ; =>This Inner Loop Header: Depth=1
	s_clause 0x3
	buffer_load_dword v122, v115, s[0:3], 0 offen offset:8
	buffer_load_dword v123, v115, s[0:3], 0 offen offset:12
	buffer_load_dword v124, v115, s[0:3], 0 offen
	buffer_load_dword v125, v115, s[0:3], 0 offen offset:4
	ds_read_b128 v[118:121], v114
	v_add_nc_u32_e32 v116, 1, v116
	v_add_nc_u32_e32 v114, 16, v114
	;; [unrolled: 1-line block ×3, first 2 shown]
	v_cmp_lt_u32_e32 vcc_lo, 28, v116
	s_or_b32 s60, vcc_lo, s60
	s_waitcnt vmcnt(2) lgkmcnt(0)
	v_mul_f64 v[126:127], v[120:121], v[122:123]
	v_mul_f64 v[122:123], v[118:119], v[122:123]
	s_waitcnt vmcnt(0)
	v_fma_f64 v[118:119], v[118:119], v[124:125], -v[126:127]
	v_fma_f64 v[120:121], v[120:121], v[124:125], v[122:123]
	v_add_f64 v[1:2], v[1:2], v[118:119]
	v_add_f64 v[3:4], v[3:4], v[120:121]
	s_andn2_b32 exec_lo, exec_lo, s60
	s_cbranch_execnz .LBB116_652
; %bb.653:
	s_or_b32 exec_lo, exec_lo, s60
.LBB116_654:
	s_or_b32 exec_lo, exec_lo, s8
	v_mov_b32_e32 v114, 0
	ds_read_b128 v[118:121], v114 offset:480
	s_waitcnt lgkmcnt(0)
	v_mul_f64 v[114:115], v[3:4], v[120:121]
	v_mul_f64 v[120:121], v[1:2], v[120:121]
	v_fma_f64 v[1:2], v[1:2], v[118:119], -v[114:115]
	v_fma_f64 v[3:4], v[3:4], v[118:119], v[120:121]
	buffer_store_dword v2, off, s[0:3], 0 offset:484
	buffer_store_dword v1, off, s[0:3], 0 offset:480
	;; [unrolled: 1-line block ×4, first 2 shown]
.LBB116_655:
	s_or_b32 exec_lo, exec_lo, s4
	v_mov_b32_e32 v4, s28
	s_mov_b32 s4, exec_lo
	s_clause 0x3
	buffer_load_dword v1, v4, s[0:3], 0 offen
	buffer_load_dword v2, v4, s[0:3], 0 offen offset:4
	buffer_load_dword v3, v4, s[0:3], 0 offen offset:8
	;; [unrolled: 1-line block ×3, first 2 shown]
	s_waitcnt vmcnt(0)
	ds_write_b128 v112, v[1:4]
	s_waitcnt lgkmcnt(0)
	s_waitcnt_vscnt null, 0x0
	s_barrier
	buffer_gl0_inv
	v_cmpx_gt_u32_e32 31, v0
	s_cbranch_execz .LBB116_663
; %bb.656:
	ds_read_b128 v[1:4], v112
	v_cmp_ne_u32_e32 vcc_lo, 1, v113
	s_cbranch_vccnz .LBB116_658
; %bb.657:
	s_clause 0x3
	buffer_load_dword v114, v111, s[0:3], 0 offen offset:8
	buffer_load_dword v115, v111, s[0:3], 0 offen offset:12
	buffer_load_dword v118, v111, s[0:3], 0 offen
	buffer_load_dword v119, v111, s[0:3], 0 offen offset:4
	s_waitcnt vmcnt(2) lgkmcnt(0)
	v_mul_f64 v[120:121], v[3:4], v[114:115]
	v_mul_f64 v[114:115], v[1:2], v[114:115]
	s_waitcnt vmcnt(0)
	v_fma_f64 v[1:2], v[1:2], v[118:119], -v[120:121]
	v_fma_f64 v[3:4], v[3:4], v[118:119], v[114:115]
.LBB116_658:
	s_mov_b32 s8, exec_lo
	v_cmpx_ne_u32_e32 30, v0
	s_cbranch_execz .LBB116_662
; %bb.659:
	v_add_nc_u32_e32 v114, 0x360, v117
	v_add3_u32 v115, 0, v117, 16
	v_mov_b32_e32 v116, v0
	s_mov_b32 s60, 0
	.p2align	6
.LBB116_660:                            ; =>This Inner Loop Header: Depth=1
	s_clause 0x3
	buffer_load_dword v122, v115, s[0:3], 0 offen offset:8
	buffer_load_dword v123, v115, s[0:3], 0 offen offset:12
	buffer_load_dword v124, v115, s[0:3], 0 offen
	buffer_load_dword v125, v115, s[0:3], 0 offen offset:4
	ds_read_b128 v[118:121], v114
	v_add_nc_u32_e32 v116, 1, v116
	v_add_nc_u32_e32 v114, 16, v114
	;; [unrolled: 1-line block ×3, first 2 shown]
	v_cmp_lt_u32_e32 vcc_lo, 29, v116
	s_or_b32 s60, vcc_lo, s60
	s_waitcnt vmcnt(2) lgkmcnt(0)
	v_mul_f64 v[126:127], v[120:121], v[122:123]
	v_mul_f64 v[122:123], v[118:119], v[122:123]
	s_waitcnt vmcnt(0)
	v_fma_f64 v[118:119], v[118:119], v[124:125], -v[126:127]
	v_fma_f64 v[120:121], v[120:121], v[124:125], v[122:123]
	v_add_f64 v[1:2], v[1:2], v[118:119]
	v_add_f64 v[3:4], v[3:4], v[120:121]
	s_andn2_b32 exec_lo, exec_lo, s60
	s_cbranch_execnz .LBB116_660
; %bb.661:
	s_or_b32 exec_lo, exec_lo, s60
.LBB116_662:
	s_or_b32 exec_lo, exec_lo, s8
	v_mov_b32_e32 v114, 0
	ds_read_b128 v[118:121], v114 offset:496
	s_waitcnt lgkmcnt(0)
	v_mul_f64 v[114:115], v[3:4], v[120:121]
	v_mul_f64 v[120:121], v[1:2], v[120:121]
	v_fma_f64 v[1:2], v[1:2], v[118:119], -v[114:115]
	v_fma_f64 v[3:4], v[3:4], v[118:119], v[120:121]
	buffer_store_dword v2, off, s[0:3], 0 offset:500
	buffer_store_dword v1, off, s[0:3], 0 offset:496
	;; [unrolled: 1-line block ×4, first 2 shown]
.LBB116_663:
	s_or_b32 exec_lo, exec_lo, s4
	v_mov_b32_e32 v4, s27
	s_mov_b32 s4, exec_lo
	s_clause 0x3
	buffer_load_dword v1, v4, s[0:3], 0 offen
	buffer_load_dword v2, v4, s[0:3], 0 offen offset:4
	buffer_load_dword v3, v4, s[0:3], 0 offen offset:8
	;; [unrolled: 1-line block ×3, first 2 shown]
	s_waitcnt vmcnt(0)
	ds_write_b128 v112, v[1:4]
	s_waitcnt lgkmcnt(0)
	s_waitcnt_vscnt null, 0x0
	s_barrier
	buffer_gl0_inv
	v_cmpx_gt_u32_e32 32, v0
	s_cbranch_execz .LBB116_671
; %bb.664:
	ds_read_b128 v[1:4], v112
	v_cmp_ne_u32_e32 vcc_lo, 1, v113
	s_cbranch_vccnz .LBB116_666
; %bb.665:
	s_clause 0x3
	buffer_load_dword v114, v111, s[0:3], 0 offen offset:8
	buffer_load_dword v115, v111, s[0:3], 0 offen offset:12
	buffer_load_dword v118, v111, s[0:3], 0 offen
	buffer_load_dword v119, v111, s[0:3], 0 offen offset:4
	s_waitcnt vmcnt(2) lgkmcnt(0)
	v_mul_f64 v[120:121], v[3:4], v[114:115]
	v_mul_f64 v[114:115], v[1:2], v[114:115]
	s_waitcnt vmcnt(0)
	v_fma_f64 v[1:2], v[1:2], v[118:119], -v[120:121]
	v_fma_f64 v[3:4], v[3:4], v[118:119], v[114:115]
.LBB116_666:
	s_mov_b32 s8, exec_lo
	v_cmpx_ne_u32_e32 31, v0
	s_cbranch_execz .LBB116_670
; %bb.667:
	v_add_nc_u32_e32 v114, 0x360, v117
	v_add3_u32 v115, 0, v117, 16
	v_mov_b32_e32 v116, v0
	s_mov_b32 s60, 0
	.p2align	6
.LBB116_668:                            ; =>This Inner Loop Header: Depth=1
	s_clause 0x3
	buffer_load_dword v122, v115, s[0:3], 0 offen offset:8
	buffer_load_dword v123, v115, s[0:3], 0 offen offset:12
	buffer_load_dword v124, v115, s[0:3], 0 offen
	buffer_load_dword v125, v115, s[0:3], 0 offen offset:4
	ds_read_b128 v[118:121], v114
	v_add_nc_u32_e32 v116, 1, v116
	v_add_nc_u32_e32 v114, 16, v114
	;; [unrolled: 1-line block ×3, first 2 shown]
	v_cmp_lt_u32_e32 vcc_lo, 30, v116
	s_or_b32 s60, vcc_lo, s60
	s_waitcnt vmcnt(2) lgkmcnt(0)
	v_mul_f64 v[126:127], v[120:121], v[122:123]
	v_mul_f64 v[122:123], v[118:119], v[122:123]
	s_waitcnt vmcnt(0)
	v_fma_f64 v[118:119], v[118:119], v[124:125], -v[126:127]
	v_fma_f64 v[120:121], v[120:121], v[124:125], v[122:123]
	v_add_f64 v[1:2], v[1:2], v[118:119]
	v_add_f64 v[3:4], v[3:4], v[120:121]
	s_andn2_b32 exec_lo, exec_lo, s60
	s_cbranch_execnz .LBB116_668
; %bb.669:
	s_or_b32 exec_lo, exec_lo, s60
.LBB116_670:
	s_or_b32 exec_lo, exec_lo, s8
	v_mov_b32_e32 v114, 0
	ds_read_b128 v[118:121], v114 offset:512
	s_waitcnt lgkmcnt(0)
	v_mul_f64 v[114:115], v[3:4], v[120:121]
	v_mul_f64 v[120:121], v[1:2], v[120:121]
	v_fma_f64 v[1:2], v[1:2], v[118:119], -v[114:115]
	v_fma_f64 v[3:4], v[3:4], v[118:119], v[120:121]
	buffer_store_dword v2, off, s[0:3], 0 offset:516
	buffer_store_dword v1, off, s[0:3], 0 offset:512
	;; [unrolled: 1-line block ×4, first 2 shown]
.LBB116_671:
	s_or_b32 exec_lo, exec_lo, s4
	v_mov_b32_e32 v4, s26
	s_mov_b32 s4, exec_lo
	s_clause 0x3
	buffer_load_dword v1, v4, s[0:3], 0 offen
	buffer_load_dword v2, v4, s[0:3], 0 offen offset:4
	buffer_load_dword v3, v4, s[0:3], 0 offen offset:8
	;; [unrolled: 1-line block ×3, first 2 shown]
	s_waitcnt vmcnt(0)
	ds_write_b128 v112, v[1:4]
	s_waitcnt lgkmcnt(0)
	s_waitcnt_vscnt null, 0x0
	s_barrier
	buffer_gl0_inv
	v_cmpx_gt_u32_e32 33, v0
	s_cbranch_execz .LBB116_679
; %bb.672:
	ds_read_b128 v[1:4], v112
	v_cmp_ne_u32_e32 vcc_lo, 1, v113
	s_cbranch_vccnz .LBB116_674
; %bb.673:
	s_clause 0x3
	buffer_load_dword v114, v111, s[0:3], 0 offen offset:8
	buffer_load_dword v115, v111, s[0:3], 0 offen offset:12
	buffer_load_dword v118, v111, s[0:3], 0 offen
	buffer_load_dword v119, v111, s[0:3], 0 offen offset:4
	s_waitcnt vmcnt(2) lgkmcnt(0)
	v_mul_f64 v[120:121], v[3:4], v[114:115]
	v_mul_f64 v[114:115], v[1:2], v[114:115]
	s_waitcnt vmcnt(0)
	v_fma_f64 v[1:2], v[1:2], v[118:119], -v[120:121]
	v_fma_f64 v[3:4], v[3:4], v[118:119], v[114:115]
.LBB116_674:
	s_mov_b32 s8, exec_lo
	v_cmpx_ne_u32_e32 32, v0
	s_cbranch_execz .LBB116_678
; %bb.675:
	v_add_nc_u32_e32 v114, 0x360, v117
	v_add3_u32 v115, 0, v117, 16
	v_mov_b32_e32 v116, v0
	s_mov_b32 s60, 0
	.p2align	6
.LBB116_676:                            ; =>This Inner Loop Header: Depth=1
	s_clause 0x3
	buffer_load_dword v122, v115, s[0:3], 0 offen offset:8
	buffer_load_dword v123, v115, s[0:3], 0 offen offset:12
	buffer_load_dword v124, v115, s[0:3], 0 offen
	buffer_load_dword v125, v115, s[0:3], 0 offen offset:4
	ds_read_b128 v[118:121], v114
	v_add_nc_u32_e32 v116, 1, v116
	v_add_nc_u32_e32 v114, 16, v114
	;; [unrolled: 1-line block ×3, first 2 shown]
	v_cmp_lt_u32_e32 vcc_lo, 31, v116
	s_or_b32 s60, vcc_lo, s60
	s_waitcnt vmcnt(2) lgkmcnt(0)
	v_mul_f64 v[126:127], v[120:121], v[122:123]
	v_mul_f64 v[122:123], v[118:119], v[122:123]
	s_waitcnt vmcnt(0)
	v_fma_f64 v[118:119], v[118:119], v[124:125], -v[126:127]
	v_fma_f64 v[120:121], v[120:121], v[124:125], v[122:123]
	v_add_f64 v[1:2], v[1:2], v[118:119]
	v_add_f64 v[3:4], v[3:4], v[120:121]
	s_andn2_b32 exec_lo, exec_lo, s60
	s_cbranch_execnz .LBB116_676
; %bb.677:
	s_or_b32 exec_lo, exec_lo, s60
.LBB116_678:
	s_or_b32 exec_lo, exec_lo, s8
	v_mov_b32_e32 v114, 0
	ds_read_b128 v[118:121], v114 offset:528
	s_waitcnt lgkmcnt(0)
	v_mul_f64 v[114:115], v[3:4], v[120:121]
	v_mul_f64 v[120:121], v[1:2], v[120:121]
	v_fma_f64 v[1:2], v[1:2], v[118:119], -v[114:115]
	v_fma_f64 v[3:4], v[3:4], v[118:119], v[120:121]
	buffer_store_dword v2, off, s[0:3], 0 offset:532
	buffer_store_dword v1, off, s[0:3], 0 offset:528
	;; [unrolled: 1-line block ×4, first 2 shown]
.LBB116_679:
	s_or_b32 exec_lo, exec_lo, s4
	v_mov_b32_e32 v4, s25
	s_mov_b32 s4, exec_lo
	s_clause 0x3
	buffer_load_dword v1, v4, s[0:3], 0 offen
	buffer_load_dword v2, v4, s[0:3], 0 offen offset:4
	buffer_load_dword v3, v4, s[0:3], 0 offen offset:8
	;; [unrolled: 1-line block ×3, first 2 shown]
	s_waitcnt vmcnt(0)
	ds_write_b128 v112, v[1:4]
	s_waitcnt lgkmcnt(0)
	s_waitcnt_vscnt null, 0x0
	s_barrier
	buffer_gl0_inv
	v_cmpx_gt_u32_e32 34, v0
	s_cbranch_execz .LBB116_687
; %bb.680:
	ds_read_b128 v[1:4], v112
	v_cmp_ne_u32_e32 vcc_lo, 1, v113
	s_cbranch_vccnz .LBB116_682
; %bb.681:
	s_clause 0x3
	buffer_load_dword v114, v111, s[0:3], 0 offen offset:8
	buffer_load_dword v115, v111, s[0:3], 0 offen offset:12
	buffer_load_dword v118, v111, s[0:3], 0 offen
	buffer_load_dword v119, v111, s[0:3], 0 offen offset:4
	s_waitcnt vmcnt(2) lgkmcnt(0)
	v_mul_f64 v[120:121], v[3:4], v[114:115]
	v_mul_f64 v[114:115], v[1:2], v[114:115]
	s_waitcnt vmcnt(0)
	v_fma_f64 v[1:2], v[1:2], v[118:119], -v[120:121]
	v_fma_f64 v[3:4], v[3:4], v[118:119], v[114:115]
.LBB116_682:
	s_mov_b32 s8, exec_lo
	v_cmpx_ne_u32_e32 33, v0
	s_cbranch_execz .LBB116_686
; %bb.683:
	v_add_nc_u32_e32 v114, 0x360, v117
	v_add3_u32 v115, 0, v117, 16
	v_mov_b32_e32 v116, v0
	s_mov_b32 s60, 0
	.p2align	6
.LBB116_684:                            ; =>This Inner Loop Header: Depth=1
	s_clause 0x3
	buffer_load_dword v122, v115, s[0:3], 0 offen offset:8
	buffer_load_dword v123, v115, s[0:3], 0 offen offset:12
	buffer_load_dword v124, v115, s[0:3], 0 offen
	buffer_load_dword v125, v115, s[0:3], 0 offen offset:4
	ds_read_b128 v[118:121], v114
	v_add_nc_u32_e32 v116, 1, v116
	v_add_nc_u32_e32 v114, 16, v114
	;; [unrolled: 1-line block ×3, first 2 shown]
	v_cmp_lt_u32_e32 vcc_lo, 32, v116
	s_or_b32 s60, vcc_lo, s60
	s_waitcnt vmcnt(2) lgkmcnt(0)
	v_mul_f64 v[126:127], v[120:121], v[122:123]
	v_mul_f64 v[122:123], v[118:119], v[122:123]
	s_waitcnt vmcnt(0)
	v_fma_f64 v[118:119], v[118:119], v[124:125], -v[126:127]
	v_fma_f64 v[120:121], v[120:121], v[124:125], v[122:123]
	v_add_f64 v[1:2], v[1:2], v[118:119]
	v_add_f64 v[3:4], v[3:4], v[120:121]
	s_andn2_b32 exec_lo, exec_lo, s60
	s_cbranch_execnz .LBB116_684
; %bb.685:
	s_or_b32 exec_lo, exec_lo, s60
.LBB116_686:
	s_or_b32 exec_lo, exec_lo, s8
	v_mov_b32_e32 v114, 0
	ds_read_b128 v[118:121], v114 offset:544
	s_waitcnt lgkmcnt(0)
	v_mul_f64 v[114:115], v[3:4], v[120:121]
	v_mul_f64 v[120:121], v[1:2], v[120:121]
	v_fma_f64 v[1:2], v[1:2], v[118:119], -v[114:115]
	v_fma_f64 v[3:4], v[3:4], v[118:119], v[120:121]
	buffer_store_dword v2, off, s[0:3], 0 offset:548
	buffer_store_dword v1, off, s[0:3], 0 offset:544
	;; [unrolled: 1-line block ×4, first 2 shown]
.LBB116_687:
	s_or_b32 exec_lo, exec_lo, s4
	v_mov_b32_e32 v4, s24
	s_mov_b32 s4, exec_lo
	s_clause 0x3
	buffer_load_dword v1, v4, s[0:3], 0 offen
	buffer_load_dword v2, v4, s[0:3], 0 offen offset:4
	buffer_load_dword v3, v4, s[0:3], 0 offen offset:8
	;; [unrolled: 1-line block ×3, first 2 shown]
	s_waitcnt vmcnt(0)
	ds_write_b128 v112, v[1:4]
	s_waitcnt lgkmcnt(0)
	s_waitcnt_vscnt null, 0x0
	s_barrier
	buffer_gl0_inv
	v_cmpx_gt_u32_e32 35, v0
	s_cbranch_execz .LBB116_695
; %bb.688:
	ds_read_b128 v[1:4], v112
	v_cmp_ne_u32_e32 vcc_lo, 1, v113
	s_cbranch_vccnz .LBB116_690
; %bb.689:
	s_clause 0x3
	buffer_load_dword v114, v111, s[0:3], 0 offen offset:8
	buffer_load_dword v115, v111, s[0:3], 0 offen offset:12
	buffer_load_dword v118, v111, s[0:3], 0 offen
	buffer_load_dword v119, v111, s[0:3], 0 offen offset:4
	s_waitcnt vmcnt(2) lgkmcnt(0)
	v_mul_f64 v[120:121], v[3:4], v[114:115]
	v_mul_f64 v[114:115], v[1:2], v[114:115]
	s_waitcnt vmcnt(0)
	v_fma_f64 v[1:2], v[1:2], v[118:119], -v[120:121]
	v_fma_f64 v[3:4], v[3:4], v[118:119], v[114:115]
.LBB116_690:
	s_mov_b32 s8, exec_lo
	v_cmpx_ne_u32_e32 34, v0
	s_cbranch_execz .LBB116_694
; %bb.691:
	v_add_nc_u32_e32 v114, 0x360, v117
	v_add3_u32 v115, 0, v117, 16
	v_mov_b32_e32 v116, v0
	s_mov_b32 s60, 0
	.p2align	6
.LBB116_692:                            ; =>This Inner Loop Header: Depth=1
	s_clause 0x3
	buffer_load_dword v122, v115, s[0:3], 0 offen offset:8
	buffer_load_dword v123, v115, s[0:3], 0 offen offset:12
	buffer_load_dword v124, v115, s[0:3], 0 offen
	buffer_load_dword v125, v115, s[0:3], 0 offen offset:4
	ds_read_b128 v[118:121], v114
	v_add_nc_u32_e32 v116, 1, v116
	v_add_nc_u32_e32 v114, 16, v114
	;; [unrolled: 1-line block ×3, first 2 shown]
	v_cmp_lt_u32_e32 vcc_lo, 33, v116
	s_or_b32 s60, vcc_lo, s60
	s_waitcnt vmcnt(2) lgkmcnt(0)
	v_mul_f64 v[126:127], v[120:121], v[122:123]
	v_mul_f64 v[122:123], v[118:119], v[122:123]
	s_waitcnt vmcnt(0)
	v_fma_f64 v[118:119], v[118:119], v[124:125], -v[126:127]
	v_fma_f64 v[120:121], v[120:121], v[124:125], v[122:123]
	v_add_f64 v[1:2], v[1:2], v[118:119]
	v_add_f64 v[3:4], v[3:4], v[120:121]
	s_andn2_b32 exec_lo, exec_lo, s60
	s_cbranch_execnz .LBB116_692
; %bb.693:
	s_or_b32 exec_lo, exec_lo, s60
.LBB116_694:
	s_or_b32 exec_lo, exec_lo, s8
	v_mov_b32_e32 v114, 0
	ds_read_b128 v[118:121], v114 offset:560
	s_waitcnt lgkmcnt(0)
	v_mul_f64 v[114:115], v[3:4], v[120:121]
	v_mul_f64 v[120:121], v[1:2], v[120:121]
	v_fma_f64 v[1:2], v[1:2], v[118:119], -v[114:115]
	v_fma_f64 v[3:4], v[3:4], v[118:119], v[120:121]
	buffer_store_dword v2, off, s[0:3], 0 offset:564
	buffer_store_dword v1, off, s[0:3], 0 offset:560
	;; [unrolled: 1-line block ×4, first 2 shown]
.LBB116_695:
	s_or_b32 exec_lo, exec_lo, s4
	v_mov_b32_e32 v4, s23
	s_mov_b32 s4, exec_lo
	s_clause 0x3
	buffer_load_dword v1, v4, s[0:3], 0 offen
	buffer_load_dword v2, v4, s[0:3], 0 offen offset:4
	buffer_load_dword v3, v4, s[0:3], 0 offen offset:8
	buffer_load_dword v4, v4, s[0:3], 0 offen offset:12
	s_waitcnt vmcnt(0)
	ds_write_b128 v112, v[1:4]
	s_waitcnt lgkmcnt(0)
	s_waitcnt_vscnt null, 0x0
	s_barrier
	buffer_gl0_inv
	v_cmpx_gt_u32_e32 36, v0
	s_cbranch_execz .LBB116_703
; %bb.696:
	ds_read_b128 v[1:4], v112
	v_cmp_ne_u32_e32 vcc_lo, 1, v113
	s_cbranch_vccnz .LBB116_698
; %bb.697:
	s_clause 0x3
	buffer_load_dword v114, v111, s[0:3], 0 offen offset:8
	buffer_load_dword v115, v111, s[0:3], 0 offen offset:12
	buffer_load_dword v118, v111, s[0:3], 0 offen
	buffer_load_dword v119, v111, s[0:3], 0 offen offset:4
	s_waitcnt vmcnt(2) lgkmcnt(0)
	v_mul_f64 v[120:121], v[3:4], v[114:115]
	v_mul_f64 v[114:115], v[1:2], v[114:115]
	s_waitcnt vmcnt(0)
	v_fma_f64 v[1:2], v[1:2], v[118:119], -v[120:121]
	v_fma_f64 v[3:4], v[3:4], v[118:119], v[114:115]
.LBB116_698:
	s_mov_b32 s8, exec_lo
	v_cmpx_ne_u32_e32 35, v0
	s_cbranch_execz .LBB116_702
; %bb.699:
	v_add_nc_u32_e32 v114, 0x360, v117
	v_add3_u32 v115, 0, v117, 16
	v_mov_b32_e32 v116, v0
	s_mov_b32 s60, 0
	.p2align	6
.LBB116_700:                            ; =>This Inner Loop Header: Depth=1
	s_clause 0x3
	buffer_load_dword v122, v115, s[0:3], 0 offen offset:8
	buffer_load_dword v123, v115, s[0:3], 0 offen offset:12
	buffer_load_dword v124, v115, s[0:3], 0 offen
	buffer_load_dword v125, v115, s[0:3], 0 offen offset:4
	ds_read_b128 v[118:121], v114
	v_add_nc_u32_e32 v116, 1, v116
	v_add_nc_u32_e32 v114, 16, v114
	;; [unrolled: 1-line block ×3, first 2 shown]
	v_cmp_lt_u32_e32 vcc_lo, 34, v116
	s_or_b32 s60, vcc_lo, s60
	s_waitcnt vmcnt(2) lgkmcnt(0)
	v_mul_f64 v[126:127], v[120:121], v[122:123]
	v_mul_f64 v[122:123], v[118:119], v[122:123]
	s_waitcnt vmcnt(0)
	v_fma_f64 v[118:119], v[118:119], v[124:125], -v[126:127]
	v_fma_f64 v[120:121], v[120:121], v[124:125], v[122:123]
	v_add_f64 v[1:2], v[1:2], v[118:119]
	v_add_f64 v[3:4], v[3:4], v[120:121]
	s_andn2_b32 exec_lo, exec_lo, s60
	s_cbranch_execnz .LBB116_700
; %bb.701:
	s_or_b32 exec_lo, exec_lo, s60
.LBB116_702:
	s_or_b32 exec_lo, exec_lo, s8
	v_mov_b32_e32 v114, 0
	ds_read_b128 v[118:121], v114 offset:576
	s_waitcnt lgkmcnt(0)
	v_mul_f64 v[114:115], v[3:4], v[120:121]
	v_mul_f64 v[120:121], v[1:2], v[120:121]
	v_fma_f64 v[1:2], v[1:2], v[118:119], -v[114:115]
	v_fma_f64 v[3:4], v[3:4], v[118:119], v[120:121]
	buffer_store_dword v2, off, s[0:3], 0 offset:580
	buffer_store_dword v1, off, s[0:3], 0 offset:576
	;; [unrolled: 1-line block ×4, first 2 shown]
.LBB116_703:
	s_or_b32 exec_lo, exec_lo, s4
	v_mov_b32_e32 v4, s22
	s_mov_b32 s4, exec_lo
	s_clause 0x3
	buffer_load_dword v1, v4, s[0:3], 0 offen
	buffer_load_dword v2, v4, s[0:3], 0 offen offset:4
	buffer_load_dword v3, v4, s[0:3], 0 offen offset:8
	;; [unrolled: 1-line block ×3, first 2 shown]
	s_waitcnt vmcnt(0)
	ds_write_b128 v112, v[1:4]
	s_waitcnt lgkmcnt(0)
	s_waitcnt_vscnt null, 0x0
	s_barrier
	buffer_gl0_inv
	v_cmpx_gt_u32_e32 37, v0
	s_cbranch_execz .LBB116_711
; %bb.704:
	ds_read_b128 v[1:4], v112
	v_cmp_ne_u32_e32 vcc_lo, 1, v113
	s_cbranch_vccnz .LBB116_706
; %bb.705:
	s_clause 0x3
	buffer_load_dword v114, v111, s[0:3], 0 offen offset:8
	buffer_load_dword v115, v111, s[0:3], 0 offen offset:12
	buffer_load_dword v118, v111, s[0:3], 0 offen
	buffer_load_dword v119, v111, s[0:3], 0 offen offset:4
	s_waitcnt vmcnt(2) lgkmcnt(0)
	v_mul_f64 v[120:121], v[3:4], v[114:115]
	v_mul_f64 v[114:115], v[1:2], v[114:115]
	s_waitcnt vmcnt(0)
	v_fma_f64 v[1:2], v[1:2], v[118:119], -v[120:121]
	v_fma_f64 v[3:4], v[3:4], v[118:119], v[114:115]
.LBB116_706:
	s_mov_b32 s8, exec_lo
	v_cmpx_ne_u32_e32 36, v0
	s_cbranch_execz .LBB116_710
; %bb.707:
	v_add_nc_u32_e32 v114, 0x360, v117
	v_add3_u32 v115, 0, v117, 16
	v_mov_b32_e32 v116, v0
	s_mov_b32 s60, 0
	.p2align	6
.LBB116_708:                            ; =>This Inner Loop Header: Depth=1
	s_clause 0x3
	buffer_load_dword v122, v115, s[0:3], 0 offen offset:8
	buffer_load_dword v123, v115, s[0:3], 0 offen offset:12
	buffer_load_dword v124, v115, s[0:3], 0 offen
	buffer_load_dword v125, v115, s[0:3], 0 offen offset:4
	ds_read_b128 v[118:121], v114
	v_add_nc_u32_e32 v116, 1, v116
	v_add_nc_u32_e32 v114, 16, v114
	v_add_nc_u32_e32 v115, 16, v115
	v_cmp_lt_u32_e32 vcc_lo, 35, v116
	s_or_b32 s60, vcc_lo, s60
	s_waitcnt vmcnt(2) lgkmcnt(0)
	v_mul_f64 v[126:127], v[120:121], v[122:123]
	v_mul_f64 v[122:123], v[118:119], v[122:123]
	s_waitcnt vmcnt(0)
	v_fma_f64 v[118:119], v[118:119], v[124:125], -v[126:127]
	v_fma_f64 v[120:121], v[120:121], v[124:125], v[122:123]
	v_add_f64 v[1:2], v[1:2], v[118:119]
	v_add_f64 v[3:4], v[3:4], v[120:121]
	s_andn2_b32 exec_lo, exec_lo, s60
	s_cbranch_execnz .LBB116_708
; %bb.709:
	s_or_b32 exec_lo, exec_lo, s60
.LBB116_710:
	s_or_b32 exec_lo, exec_lo, s8
	v_mov_b32_e32 v114, 0
	ds_read_b128 v[118:121], v114 offset:592
	s_waitcnt lgkmcnt(0)
	v_mul_f64 v[114:115], v[3:4], v[120:121]
	v_mul_f64 v[120:121], v[1:2], v[120:121]
	v_fma_f64 v[1:2], v[1:2], v[118:119], -v[114:115]
	v_fma_f64 v[3:4], v[3:4], v[118:119], v[120:121]
	buffer_store_dword v2, off, s[0:3], 0 offset:596
	buffer_store_dword v1, off, s[0:3], 0 offset:592
	;; [unrolled: 1-line block ×4, first 2 shown]
.LBB116_711:
	s_or_b32 exec_lo, exec_lo, s4
	v_mov_b32_e32 v4, s21
	s_mov_b32 s4, exec_lo
	s_clause 0x3
	buffer_load_dword v1, v4, s[0:3], 0 offen
	buffer_load_dword v2, v4, s[0:3], 0 offen offset:4
	buffer_load_dword v3, v4, s[0:3], 0 offen offset:8
	;; [unrolled: 1-line block ×3, first 2 shown]
	s_waitcnt vmcnt(0)
	ds_write_b128 v112, v[1:4]
	s_waitcnt lgkmcnt(0)
	s_waitcnt_vscnt null, 0x0
	s_barrier
	buffer_gl0_inv
	v_cmpx_gt_u32_e32 38, v0
	s_cbranch_execz .LBB116_719
; %bb.712:
	ds_read_b128 v[1:4], v112
	v_cmp_ne_u32_e32 vcc_lo, 1, v113
	s_cbranch_vccnz .LBB116_714
; %bb.713:
	s_clause 0x3
	buffer_load_dword v114, v111, s[0:3], 0 offen offset:8
	buffer_load_dword v115, v111, s[0:3], 0 offen offset:12
	buffer_load_dword v118, v111, s[0:3], 0 offen
	buffer_load_dword v119, v111, s[0:3], 0 offen offset:4
	s_waitcnt vmcnt(2) lgkmcnt(0)
	v_mul_f64 v[120:121], v[3:4], v[114:115]
	v_mul_f64 v[114:115], v[1:2], v[114:115]
	s_waitcnt vmcnt(0)
	v_fma_f64 v[1:2], v[1:2], v[118:119], -v[120:121]
	v_fma_f64 v[3:4], v[3:4], v[118:119], v[114:115]
.LBB116_714:
	s_mov_b32 s8, exec_lo
	v_cmpx_ne_u32_e32 37, v0
	s_cbranch_execz .LBB116_718
; %bb.715:
	v_add_nc_u32_e32 v114, 0x360, v117
	v_add3_u32 v115, 0, v117, 16
	v_mov_b32_e32 v116, v0
	s_mov_b32 s60, 0
	.p2align	6
.LBB116_716:                            ; =>This Inner Loop Header: Depth=1
	s_clause 0x3
	buffer_load_dword v122, v115, s[0:3], 0 offen offset:8
	buffer_load_dword v123, v115, s[0:3], 0 offen offset:12
	buffer_load_dword v124, v115, s[0:3], 0 offen
	buffer_load_dword v125, v115, s[0:3], 0 offen offset:4
	ds_read_b128 v[118:121], v114
	v_add_nc_u32_e32 v116, 1, v116
	v_add_nc_u32_e32 v114, 16, v114
	v_add_nc_u32_e32 v115, 16, v115
	v_cmp_lt_u32_e32 vcc_lo, 36, v116
	s_or_b32 s60, vcc_lo, s60
	s_waitcnt vmcnt(2) lgkmcnt(0)
	v_mul_f64 v[126:127], v[120:121], v[122:123]
	v_mul_f64 v[122:123], v[118:119], v[122:123]
	s_waitcnt vmcnt(0)
	v_fma_f64 v[118:119], v[118:119], v[124:125], -v[126:127]
	v_fma_f64 v[120:121], v[120:121], v[124:125], v[122:123]
	v_add_f64 v[1:2], v[1:2], v[118:119]
	v_add_f64 v[3:4], v[3:4], v[120:121]
	s_andn2_b32 exec_lo, exec_lo, s60
	s_cbranch_execnz .LBB116_716
; %bb.717:
	s_or_b32 exec_lo, exec_lo, s60
.LBB116_718:
	s_or_b32 exec_lo, exec_lo, s8
	v_mov_b32_e32 v114, 0
	ds_read_b128 v[118:121], v114 offset:608
	s_waitcnt lgkmcnt(0)
	v_mul_f64 v[114:115], v[3:4], v[120:121]
	v_mul_f64 v[120:121], v[1:2], v[120:121]
	v_fma_f64 v[1:2], v[1:2], v[118:119], -v[114:115]
	v_fma_f64 v[3:4], v[3:4], v[118:119], v[120:121]
	buffer_store_dword v2, off, s[0:3], 0 offset:612
	buffer_store_dword v1, off, s[0:3], 0 offset:608
	;; [unrolled: 1-line block ×4, first 2 shown]
.LBB116_719:
	s_or_b32 exec_lo, exec_lo, s4
	v_mov_b32_e32 v4, s20
	s_mov_b32 s4, exec_lo
	s_clause 0x3
	buffer_load_dword v1, v4, s[0:3], 0 offen
	buffer_load_dword v2, v4, s[0:3], 0 offen offset:4
	buffer_load_dword v3, v4, s[0:3], 0 offen offset:8
	;; [unrolled: 1-line block ×3, first 2 shown]
	s_waitcnt vmcnt(0)
	ds_write_b128 v112, v[1:4]
	s_waitcnt lgkmcnt(0)
	s_waitcnt_vscnt null, 0x0
	s_barrier
	buffer_gl0_inv
	v_cmpx_gt_u32_e32 39, v0
	s_cbranch_execz .LBB116_727
; %bb.720:
	ds_read_b128 v[1:4], v112
	v_cmp_ne_u32_e32 vcc_lo, 1, v113
	s_cbranch_vccnz .LBB116_722
; %bb.721:
	s_clause 0x3
	buffer_load_dword v114, v111, s[0:3], 0 offen offset:8
	buffer_load_dword v115, v111, s[0:3], 0 offen offset:12
	buffer_load_dword v118, v111, s[0:3], 0 offen
	buffer_load_dword v119, v111, s[0:3], 0 offen offset:4
	s_waitcnt vmcnt(2) lgkmcnt(0)
	v_mul_f64 v[120:121], v[3:4], v[114:115]
	v_mul_f64 v[114:115], v[1:2], v[114:115]
	s_waitcnt vmcnt(0)
	v_fma_f64 v[1:2], v[1:2], v[118:119], -v[120:121]
	v_fma_f64 v[3:4], v[3:4], v[118:119], v[114:115]
.LBB116_722:
	s_mov_b32 s8, exec_lo
	v_cmpx_ne_u32_e32 38, v0
	s_cbranch_execz .LBB116_726
; %bb.723:
	v_add_nc_u32_e32 v114, 0x360, v117
	v_add3_u32 v115, 0, v117, 16
	v_mov_b32_e32 v116, v0
	s_mov_b32 s60, 0
	.p2align	6
.LBB116_724:                            ; =>This Inner Loop Header: Depth=1
	s_clause 0x3
	buffer_load_dword v122, v115, s[0:3], 0 offen offset:8
	buffer_load_dword v123, v115, s[0:3], 0 offen offset:12
	buffer_load_dword v124, v115, s[0:3], 0 offen
	buffer_load_dword v125, v115, s[0:3], 0 offen offset:4
	ds_read_b128 v[118:121], v114
	v_add_nc_u32_e32 v116, 1, v116
	v_add_nc_u32_e32 v114, 16, v114
	;; [unrolled: 1-line block ×3, first 2 shown]
	v_cmp_lt_u32_e32 vcc_lo, 37, v116
	s_or_b32 s60, vcc_lo, s60
	s_waitcnt vmcnt(2) lgkmcnt(0)
	v_mul_f64 v[126:127], v[120:121], v[122:123]
	v_mul_f64 v[122:123], v[118:119], v[122:123]
	s_waitcnt vmcnt(0)
	v_fma_f64 v[118:119], v[118:119], v[124:125], -v[126:127]
	v_fma_f64 v[120:121], v[120:121], v[124:125], v[122:123]
	v_add_f64 v[1:2], v[1:2], v[118:119]
	v_add_f64 v[3:4], v[3:4], v[120:121]
	s_andn2_b32 exec_lo, exec_lo, s60
	s_cbranch_execnz .LBB116_724
; %bb.725:
	s_or_b32 exec_lo, exec_lo, s60
.LBB116_726:
	s_or_b32 exec_lo, exec_lo, s8
	v_mov_b32_e32 v114, 0
	ds_read_b128 v[118:121], v114 offset:624
	s_waitcnt lgkmcnt(0)
	v_mul_f64 v[114:115], v[3:4], v[120:121]
	v_mul_f64 v[120:121], v[1:2], v[120:121]
	v_fma_f64 v[1:2], v[1:2], v[118:119], -v[114:115]
	v_fma_f64 v[3:4], v[3:4], v[118:119], v[120:121]
	buffer_store_dword v2, off, s[0:3], 0 offset:628
	buffer_store_dword v1, off, s[0:3], 0 offset:624
	;; [unrolled: 1-line block ×4, first 2 shown]
.LBB116_727:
	s_or_b32 exec_lo, exec_lo, s4
	v_mov_b32_e32 v4, s19
	s_mov_b32 s4, exec_lo
	s_clause 0x3
	buffer_load_dword v1, v4, s[0:3], 0 offen
	buffer_load_dword v2, v4, s[0:3], 0 offen offset:4
	buffer_load_dword v3, v4, s[0:3], 0 offen offset:8
	;; [unrolled: 1-line block ×3, first 2 shown]
	s_waitcnt vmcnt(0)
	ds_write_b128 v112, v[1:4]
	s_waitcnt lgkmcnt(0)
	s_waitcnt_vscnt null, 0x0
	s_barrier
	buffer_gl0_inv
	v_cmpx_gt_u32_e32 40, v0
	s_cbranch_execz .LBB116_735
; %bb.728:
	ds_read_b128 v[1:4], v112
	v_cmp_ne_u32_e32 vcc_lo, 1, v113
	s_cbranch_vccnz .LBB116_730
; %bb.729:
	s_clause 0x3
	buffer_load_dword v114, v111, s[0:3], 0 offen offset:8
	buffer_load_dword v115, v111, s[0:3], 0 offen offset:12
	buffer_load_dword v118, v111, s[0:3], 0 offen
	buffer_load_dword v119, v111, s[0:3], 0 offen offset:4
	s_waitcnt vmcnt(2) lgkmcnt(0)
	v_mul_f64 v[120:121], v[3:4], v[114:115]
	v_mul_f64 v[114:115], v[1:2], v[114:115]
	s_waitcnt vmcnt(0)
	v_fma_f64 v[1:2], v[1:2], v[118:119], -v[120:121]
	v_fma_f64 v[3:4], v[3:4], v[118:119], v[114:115]
.LBB116_730:
	s_mov_b32 s8, exec_lo
	v_cmpx_ne_u32_e32 39, v0
	s_cbranch_execz .LBB116_734
; %bb.731:
	v_add_nc_u32_e32 v114, 0x360, v117
	v_add3_u32 v115, 0, v117, 16
	v_mov_b32_e32 v116, v0
	s_mov_b32 s60, 0
	.p2align	6
.LBB116_732:                            ; =>This Inner Loop Header: Depth=1
	s_clause 0x3
	buffer_load_dword v122, v115, s[0:3], 0 offen offset:8
	buffer_load_dword v123, v115, s[0:3], 0 offen offset:12
	buffer_load_dword v124, v115, s[0:3], 0 offen
	buffer_load_dword v125, v115, s[0:3], 0 offen offset:4
	ds_read_b128 v[118:121], v114
	v_add_nc_u32_e32 v116, 1, v116
	v_add_nc_u32_e32 v114, 16, v114
	;; [unrolled: 1-line block ×3, first 2 shown]
	v_cmp_lt_u32_e32 vcc_lo, 38, v116
	s_or_b32 s60, vcc_lo, s60
	s_waitcnt vmcnt(2) lgkmcnt(0)
	v_mul_f64 v[126:127], v[120:121], v[122:123]
	v_mul_f64 v[122:123], v[118:119], v[122:123]
	s_waitcnt vmcnt(0)
	v_fma_f64 v[118:119], v[118:119], v[124:125], -v[126:127]
	v_fma_f64 v[120:121], v[120:121], v[124:125], v[122:123]
	v_add_f64 v[1:2], v[1:2], v[118:119]
	v_add_f64 v[3:4], v[3:4], v[120:121]
	s_andn2_b32 exec_lo, exec_lo, s60
	s_cbranch_execnz .LBB116_732
; %bb.733:
	s_or_b32 exec_lo, exec_lo, s60
.LBB116_734:
	s_or_b32 exec_lo, exec_lo, s8
	v_mov_b32_e32 v114, 0
	ds_read_b128 v[118:121], v114 offset:640
	s_waitcnt lgkmcnt(0)
	v_mul_f64 v[114:115], v[3:4], v[120:121]
	v_mul_f64 v[120:121], v[1:2], v[120:121]
	v_fma_f64 v[1:2], v[1:2], v[118:119], -v[114:115]
	v_fma_f64 v[3:4], v[3:4], v[118:119], v[120:121]
	buffer_store_dword v2, off, s[0:3], 0 offset:644
	buffer_store_dword v1, off, s[0:3], 0 offset:640
	buffer_store_dword v4, off, s[0:3], 0 offset:652
	buffer_store_dword v3, off, s[0:3], 0 offset:648
.LBB116_735:
	s_or_b32 exec_lo, exec_lo, s4
	v_mov_b32_e32 v4, s18
	s_mov_b32 s4, exec_lo
	s_clause 0x3
	buffer_load_dword v1, v4, s[0:3], 0 offen
	buffer_load_dword v2, v4, s[0:3], 0 offen offset:4
	buffer_load_dword v3, v4, s[0:3], 0 offen offset:8
	;; [unrolled: 1-line block ×3, first 2 shown]
	s_waitcnt vmcnt(0)
	ds_write_b128 v112, v[1:4]
	s_waitcnt lgkmcnt(0)
	s_waitcnt_vscnt null, 0x0
	s_barrier
	buffer_gl0_inv
	v_cmpx_gt_u32_e32 41, v0
	s_cbranch_execz .LBB116_743
; %bb.736:
	ds_read_b128 v[1:4], v112
	v_cmp_ne_u32_e32 vcc_lo, 1, v113
	s_cbranch_vccnz .LBB116_738
; %bb.737:
	s_clause 0x3
	buffer_load_dword v114, v111, s[0:3], 0 offen offset:8
	buffer_load_dword v115, v111, s[0:3], 0 offen offset:12
	buffer_load_dword v118, v111, s[0:3], 0 offen
	buffer_load_dword v119, v111, s[0:3], 0 offen offset:4
	s_waitcnt vmcnt(2) lgkmcnt(0)
	v_mul_f64 v[120:121], v[3:4], v[114:115]
	v_mul_f64 v[114:115], v[1:2], v[114:115]
	s_waitcnt vmcnt(0)
	v_fma_f64 v[1:2], v[1:2], v[118:119], -v[120:121]
	v_fma_f64 v[3:4], v[3:4], v[118:119], v[114:115]
.LBB116_738:
	s_mov_b32 s8, exec_lo
	v_cmpx_ne_u32_e32 40, v0
	s_cbranch_execz .LBB116_742
; %bb.739:
	v_add_nc_u32_e32 v114, 0x360, v117
	v_add3_u32 v115, 0, v117, 16
	v_mov_b32_e32 v116, v0
	s_mov_b32 s60, 0
	.p2align	6
.LBB116_740:                            ; =>This Inner Loop Header: Depth=1
	s_clause 0x3
	buffer_load_dword v122, v115, s[0:3], 0 offen offset:8
	buffer_load_dword v123, v115, s[0:3], 0 offen offset:12
	buffer_load_dword v124, v115, s[0:3], 0 offen
	buffer_load_dword v125, v115, s[0:3], 0 offen offset:4
	ds_read_b128 v[118:121], v114
	v_add_nc_u32_e32 v116, 1, v116
	v_add_nc_u32_e32 v114, 16, v114
	;; [unrolled: 1-line block ×3, first 2 shown]
	v_cmp_lt_u32_e32 vcc_lo, 39, v116
	s_or_b32 s60, vcc_lo, s60
	s_waitcnt vmcnt(2) lgkmcnt(0)
	v_mul_f64 v[126:127], v[120:121], v[122:123]
	v_mul_f64 v[122:123], v[118:119], v[122:123]
	s_waitcnt vmcnt(0)
	v_fma_f64 v[118:119], v[118:119], v[124:125], -v[126:127]
	v_fma_f64 v[120:121], v[120:121], v[124:125], v[122:123]
	v_add_f64 v[1:2], v[1:2], v[118:119]
	v_add_f64 v[3:4], v[3:4], v[120:121]
	s_andn2_b32 exec_lo, exec_lo, s60
	s_cbranch_execnz .LBB116_740
; %bb.741:
	s_or_b32 exec_lo, exec_lo, s60
.LBB116_742:
	s_or_b32 exec_lo, exec_lo, s8
	v_mov_b32_e32 v114, 0
	ds_read_b128 v[118:121], v114 offset:656
	s_waitcnt lgkmcnt(0)
	v_mul_f64 v[114:115], v[3:4], v[120:121]
	v_mul_f64 v[120:121], v[1:2], v[120:121]
	v_fma_f64 v[1:2], v[1:2], v[118:119], -v[114:115]
	v_fma_f64 v[3:4], v[3:4], v[118:119], v[120:121]
	buffer_store_dword v2, off, s[0:3], 0 offset:660
	buffer_store_dword v1, off, s[0:3], 0 offset:656
	;; [unrolled: 1-line block ×4, first 2 shown]
.LBB116_743:
	s_or_b32 exec_lo, exec_lo, s4
	v_mov_b32_e32 v4, s17
	s_mov_b32 s4, exec_lo
	s_clause 0x3
	buffer_load_dword v1, v4, s[0:3], 0 offen
	buffer_load_dword v2, v4, s[0:3], 0 offen offset:4
	buffer_load_dword v3, v4, s[0:3], 0 offen offset:8
	;; [unrolled: 1-line block ×3, first 2 shown]
	s_waitcnt vmcnt(0)
	ds_write_b128 v112, v[1:4]
	s_waitcnt lgkmcnt(0)
	s_waitcnt_vscnt null, 0x0
	s_barrier
	buffer_gl0_inv
	v_cmpx_gt_u32_e32 42, v0
	s_cbranch_execz .LBB116_751
; %bb.744:
	ds_read_b128 v[1:4], v112
	v_cmp_ne_u32_e32 vcc_lo, 1, v113
	s_cbranch_vccnz .LBB116_746
; %bb.745:
	s_clause 0x3
	buffer_load_dword v114, v111, s[0:3], 0 offen offset:8
	buffer_load_dword v115, v111, s[0:3], 0 offen offset:12
	buffer_load_dword v118, v111, s[0:3], 0 offen
	buffer_load_dword v119, v111, s[0:3], 0 offen offset:4
	s_waitcnt vmcnt(2) lgkmcnt(0)
	v_mul_f64 v[120:121], v[3:4], v[114:115]
	v_mul_f64 v[114:115], v[1:2], v[114:115]
	s_waitcnt vmcnt(0)
	v_fma_f64 v[1:2], v[1:2], v[118:119], -v[120:121]
	v_fma_f64 v[3:4], v[3:4], v[118:119], v[114:115]
.LBB116_746:
	s_mov_b32 s8, exec_lo
	v_cmpx_ne_u32_e32 41, v0
	s_cbranch_execz .LBB116_750
; %bb.747:
	v_add_nc_u32_e32 v114, 0x360, v117
	v_add3_u32 v115, 0, v117, 16
	v_mov_b32_e32 v116, v0
	s_mov_b32 s60, 0
	.p2align	6
.LBB116_748:                            ; =>This Inner Loop Header: Depth=1
	s_clause 0x3
	buffer_load_dword v122, v115, s[0:3], 0 offen offset:8
	buffer_load_dword v123, v115, s[0:3], 0 offen offset:12
	buffer_load_dword v124, v115, s[0:3], 0 offen
	buffer_load_dword v125, v115, s[0:3], 0 offen offset:4
	ds_read_b128 v[118:121], v114
	v_add_nc_u32_e32 v116, 1, v116
	v_add_nc_u32_e32 v114, 16, v114
	;; [unrolled: 1-line block ×3, first 2 shown]
	v_cmp_lt_u32_e32 vcc_lo, 40, v116
	s_or_b32 s60, vcc_lo, s60
	s_waitcnt vmcnt(2) lgkmcnt(0)
	v_mul_f64 v[126:127], v[120:121], v[122:123]
	v_mul_f64 v[122:123], v[118:119], v[122:123]
	s_waitcnt vmcnt(0)
	v_fma_f64 v[118:119], v[118:119], v[124:125], -v[126:127]
	v_fma_f64 v[120:121], v[120:121], v[124:125], v[122:123]
	v_add_f64 v[1:2], v[1:2], v[118:119]
	v_add_f64 v[3:4], v[3:4], v[120:121]
	s_andn2_b32 exec_lo, exec_lo, s60
	s_cbranch_execnz .LBB116_748
; %bb.749:
	s_or_b32 exec_lo, exec_lo, s60
.LBB116_750:
	s_or_b32 exec_lo, exec_lo, s8
	v_mov_b32_e32 v114, 0
	ds_read_b128 v[118:121], v114 offset:672
	s_waitcnt lgkmcnt(0)
	v_mul_f64 v[114:115], v[3:4], v[120:121]
	v_mul_f64 v[120:121], v[1:2], v[120:121]
	v_fma_f64 v[1:2], v[1:2], v[118:119], -v[114:115]
	v_fma_f64 v[3:4], v[3:4], v[118:119], v[120:121]
	buffer_store_dword v2, off, s[0:3], 0 offset:676
	buffer_store_dword v1, off, s[0:3], 0 offset:672
	buffer_store_dword v4, off, s[0:3], 0 offset:684
	buffer_store_dword v3, off, s[0:3], 0 offset:680
.LBB116_751:
	s_or_b32 exec_lo, exec_lo, s4
	v_mov_b32_e32 v4, s16
	s_mov_b32 s4, exec_lo
	s_clause 0x3
	buffer_load_dword v1, v4, s[0:3], 0 offen
	buffer_load_dword v2, v4, s[0:3], 0 offen offset:4
	buffer_load_dword v3, v4, s[0:3], 0 offen offset:8
	;; [unrolled: 1-line block ×3, first 2 shown]
	s_waitcnt vmcnt(0)
	ds_write_b128 v112, v[1:4]
	s_waitcnt lgkmcnt(0)
	s_waitcnt_vscnt null, 0x0
	s_barrier
	buffer_gl0_inv
	v_cmpx_gt_u32_e32 43, v0
	s_cbranch_execz .LBB116_759
; %bb.752:
	ds_read_b128 v[1:4], v112
	v_cmp_ne_u32_e32 vcc_lo, 1, v113
	s_cbranch_vccnz .LBB116_754
; %bb.753:
	s_clause 0x3
	buffer_load_dword v114, v111, s[0:3], 0 offen offset:8
	buffer_load_dword v115, v111, s[0:3], 0 offen offset:12
	buffer_load_dword v118, v111, s[0:3], 0 offen
	buffer_load_dword v119, v111, s[0:3], 0 offen offset:4
	s_waitcnt vmcnt(2) lgkmcnt(0)
	v_mul_f64 v[120:121], v[3:4], v[114:115]
	v_mul_f64 v[114:115], v[1:2], v[114:115]
	s_waitcnt vmcnt(0)
	v_fma_f64 v[1:2], v[1:2], v[118:119], -v[120:121]
	v_fma_f64 v[3:4], v[3:4], v[118:119], v[114:115]
.LBB116_754:
	s_mov_b32 s8, exec_lo
	v_cmpx_ne_u32_e32 42, v0
	s_cbranch_execz .LBB116_758
; %bb.755:
	v_add_nc_u32_e32 v114, 0x360, v117
	v_add3_u32 v115, 0, v117, 16
	v_mov_b32_e32 v116, v0
	s_mov_b32 s60, 0
	.p2align	6
.LBB116_756:                            ; =>This Inner Loop Header: Depth=1
	s_clause 0x3
	buffer_load_dword v122, v115, s[0:3], 0 offen offset:8
	buffer_load_dword v123, v115, s[0:3], 0 offen offset:12
	buffer_load_dword v124, v115, s[0:3], 0 offen
	buffer_load_dword v125, v115, s[0:3], 0 offen offset:4
	ds_read_b128 v[118:121], v114
	v_add_nc_u32_e32 v116, 1, v116
	v_add_nc_u32_e32 v114, 16, v114
	;; [unrolled: 1-line block ×3, first 2 shown]
	v_cmp_lt_u32_e32 vcc_lo, 41, v116
	s_or_b32 s60, vcc_lo, s60
	s_waitcnt vmcnt(2) lgkmcnt(0)
	v_mul_f64 v[126:127], v[120:121], v[122:123]
	v_mul_f64 v[122:123], v[118:119], v[122:123]
	s_waitcnt vmcnt(0)
	v_fma_f64 v[118:119], v[118:119], v[124:125], -v[126:127]
	v_fma_f64 v[120:121], v[120:121], v[124:125], v[122:123]
	v_add_f64 v[1:2], v[1:2], v[118:119]
	v_add_f64 v[3:4], v[3:4], v[120:121]
	s_andn2_b32 exec_lo, exec_lo, s60
	s_cbranch_execnz .LBB116_756
; %bb.757:
	s_or_b32 exec_lo, exec_lo, s60
.LBB116_758:
	s_or_b32 exec_lo, exec_lo, s8
	v_mov_b32_e32 v114, 0
	ds_read_b128 v[118:121], v114 offset:688
	s_waitcnt lgkmcnt(0)
	v_mul_f64 v[114:115], v[3:4], v[120:121]
	v_mul_f64 v[120:121], v[1:2], v[120:121]
	v_fma_f64 v[1:2], v[1:2], v[118:119], -v[114:115]
	v_fma_f64 v[3:4], v[3:4], v[118:119], v[120:121]
	buffer_store_dword v2, off, s[0:3], 0 offset:692
	buffer_store_dword v1, off, s[0:3], 0 offset:688
	;; [unrolled: 1-line block ×4, first 2 shown]
.LBB116_759:
	s_or_b32 exec_lo, exec_lo, s4
	v_mov_b32_e32 v4, s15
	s_mov_b32 s4, exec_lo
	s_clause 0x3
	buffer_load_dword v1, v4, s[0:3], 0 offen
	buffer_load_dword v2, v4, s[0:3], 0 offen offset:4
	buffer_load_dword v3, v4, s[0:3], 0 offen offset:8
	;; [unrolled: 1-line block ×3, first 2 shown]
	s_waitcnt vmcnt(0)
	ds_write_b128 v112, v[1:4]
	s_waitcnt lgkmcnt(0)
	s_waitcnt_vscnt null, 0x0
	s_barrier
	buffer_gl0_inv
	v_cmpx_gt_u32_e32 44, v0
	s_cbranch_execz .LBB116_767
; %bb.760:
	ds_read_b128 v[1:4], v112
	v_cmp_ne_u32_e32 vcc_lo, 1, v113
	s_cbranch_vccnz .LBB116_762
; %bb.761:
	s_clause 0x3
	buffer_load_dword v114, v111, s[0:3], 0 offen offset:8
	buffer_load_dword v115, v111, s[0:3], 0 offen offset:12
	buffer_load_dword v118, v111, s[0:3], 0 offen
	buffer_load_dword v119, v111, s[0:3], 0 offen offset:4
	s_waitcnt vmcnt(2) lgkmcnt(0)
	v_mul_f64 v[120:121], v[3:4], v[114:115]
	v_mul_f64 v[114:115], v[1:2], v[114:115]
	s_waitcnt vmcnt(0)
	v_fma_f64 v[1:2], v[1:2], v[118:119], -v[120:121]
	v_fma_f64 v[3:4], v[3:4], v[118:119], v[114:115]
.LBB116_762:
	s_mov_b32 s8, exec_lo
	v_cmpx_ne_u32_e32 43, v0
	s_cbranch_execz .LBB116_766
; %bb.763:
	v_add_nc_u32_e32 v114, 0x360, v117
	v_add3_u32 v115, 0, v117, 16
	v_mov_b32_e32 v116, v0
	s_mov_b32 s60, 0
	.p2align	6
.LBB116_764:                            ; =>This Inner Loop Header: Depth=1
	s_clause 0x3
	buffer_load_dword v122, v115, s[0:3], 0 offen offset:8
	buffer_load_dword v123, v115, s[0:3], 0 offen offset:12
	buffer_load_dword v124, v115, s[0:3], 0 offen
	buffer_load_dword v125, v115, s[0:3], 0 offen offset:4
	ds_read_b128 v[118:121], v114
	v_add_nc_u32_e32 v116, 1, v116
	v_add_nc_u32_e32 v114, 16, v114
	;; [unrolled: 1-line block ×3, first 2 shown]
	v_cmp_lt_u32_e32 vcc_lo, 42, v116
	s_or_b32 s60, vcc_lo, s60
	s_waitcnt vmcnt(2) lgkmcnt(0)
	v_mul_f64 v[126:127], v[120:121], v[122:123]
	v_mul_f64 v[122:123], v[118:119], v[122:123]
	s_waitcnt vmcnt(0)
	v_fma_f64 v[118:119], v[118:119], v[124:125], -v[126:127]
	v_fma_f64 v[120:121], v[120:121], v[124:125], v[122:123]
	v_add_f64 v[1:2], v[1:2], v[118:119]
	v_add_f64 v[3:4], v[3:4], v[120:121]
	s_andn2_b32 exec_lo, exec_lo, s60
	s_cbranch_execnz .LBB116_764
; %bb.765:
	s_or_b32 exec_lo, exec_lo, s60
.LBB116_766:
	s_or_b32 exec_lo, exec_lo, s8
	v_mov_b32_e32 v114, 0
	ds_read_b128 v[118:121], v114 offset:704
	s_waitcnt lgkmcnt(0)
	v_mul_f64 v[114:115], v[3:4], v[120:121]
	v_mul_f64 v[120:121], v[1:2], v[120:121]
	v_fma_f64 v[1:2], v[1:2], v[118:119], -v[114:115]
	v_fma_f64 v[3:4], v[3:4], v[118:119], v[120:121]
	buffer_store_dword v2, off, s[0:3], 0 offset:708
	buffer_store_dword v1, off, s[0:3], 0 offset:704
	;; [unrolled: 1-line block ×4, first 2 shown]
.LBB116_767:
	s_or_b32 exec_lo, exec_lo, s4
	v_mov_b32_e32 v4, s14
	s_mov_b32 s4, exec_lo
	s_clause 0x3
	buffer_load_dword v1, v4, s[0:3], 0 offen
	buffer_load_dword v2, v4, s[0:3], 0 offen offset:4
	buffer_load_dword v3, v4, s[0:3], 0 offen offset:8
	;; [unrolled: 1-line block ×3, first 2 shown]
	s_waitcnt vmcnt(0)
	ds_write_b128 v112, v[1:4]
	s_waitcnt lgkmcnt(0)
	s_waitcnt_vscnt null, 0x0
	s_barrier
	buffer_gl0_inv
	v_cmpx_gt_u32_e32 45, v0
	s_cbranch_execz .LBB116_775
; %bb.768:
	ds_read_b128 v[1:4], v112
	v_cmp_ne_u32_e32 vcc_lo, 1, v113
	s_cbranch_vccnz .LBB116_770
; %bb.769:
	s_clause 0x3
	buffer_load_dword v114, v111, s[0:3], 0 offen offset:8
	buffer_load_dword v115, v111, s[0:3], 0 offen offset:12
	buffer_load_dword v118, v111, s[0:3], 0 offen
	buffer_load_dword v119, v111, s[0:3], 0 offen offset:4
	s_waitcnt vmcnt(2) lgkmcnt(0)
	v_mul_f64 v[120:121], v[3:4], v[114:115]
	v_mul_f64 v[114:115], v[1:2], v[114:115]
	s_waitcnt vmcnt(0)
	v_fma_f64 v[1:2], v[1:2], v[118:119], -v[120:121]
	v_fma_f64 v[3:4], v[3:4], v[118:119], v[114:115]
.LBB116_770:
	s_mov_b32 s8, exec_lo
	v_cmpx_ne_u32_e32 44, v0
	s_cbranch_execz .LBB116_774
; %bb.771:
	v_add_nc_u32_e32 v114, 0x360, v117
	v_add3_u32 v115, 0, v117, 16
	v_mov_b32_e32 v116, v0
	s_mov_b32 s60, 0
	.p2align	6
.LBB116_772:                            ; =>This Inner Loop Header: Depth=1
	s_clause 0x3
	buffer_load_dword v122, v115, s[0:3], 0 offen offset:8
	buffer_load_dword v123, v115, s[0:3], 0 offen offset:12
	buffer_load_dword v124, v115, s[0:3], 0 offen
	buffer_load_dword v125, v115, s[0:3], 0 offen offset:4
	ds_read_b128 v[118:121], v114
	v_add_nc_u32_e32 v116, 1, v116
	v_add_nc_u32_e32 v114, 16, v114
	;; [unrolled: 1-line block ×3, first 2 shown]
	v_cmp_lt_u32_e32 vcc_lo, 43, v116
	s_or_b32 s60, vcc_lo, s60
	s_waitcnt vmcnt(2) lgkmcnt(0)
	v_mul_f64 v[126:127], v[120:121], v[122:123]
	v_mul_f64 v[122:123], v[118:119], v[122:123]
	s_waitcnt vmcnt(0)
	v_fma_f64 v[118:119], v[118:119], v[124:125], -v[126:127]
	v_fma_f64 v[120:121], v[120:121], v[124:125], v[122:123]
	v_add_f64 v[1:2], v[1:2], v[118:119]
	v_add_f64 v[3:4], v[3:4], v[120:121]
	s_andn2_b32 exec_lo, exec_lo, s60
	s_cbranch_execnz .LBB116_772
; %bb.773:
	s_or_b32 exec_lo, exec_lo, s60
.LBB116_774:
	s_or_b32 exec_lo, exec_lo, s8
	v_mov_b32_e32 v114, 0
	ds_read_b128 v[118:121], v114 offset:720
	s_waitcnt lgkmcnt(0)
	v_mul_f64 v[114:115], v[3:4], v[120:121]
	v_mul_f64 v[120:121], v[1:2], v[120:121]
	v_fma_f64 v[1:2], v[1:2], v[118:119], -v[114:115]
	v_fma_f64 v[3:4], v[3:4], v[118:119], v[120:121]
	buffer_store_dword v2, off, s[0:3], 0 offset:724
	buffer_store_dword v1, off, s[0:3], 0 offset:720
	;; [unrolled: 1-line block ×4, first 2 shown]
.LBB116_775:
	s_or_b32 exec_lo, exec_lo, s4
	v_mov_b32_e32 v4, s13
	s_mov_b32 s4, exec_lo
	s_clause 0x3
	buffer_load_dword v1, v4, s[0:3], 0 offen
	buffer_load_dword v2, v4, s[0:3], 0 offen offset:4
	buffer_load_dword v3, v4, s[0:3], 0 offen offset:8
	;; [unrolled: 1-line block ×3, first 2 shown]
	s_waitcnt vmcnt(0)
	ds_write_b128 v112, v[1:4]
	s_waitcnt lgkmcnt(0)
	s_waitcnt_vscnt null, 0x0
	s_barrier
	buffer_gl0_inv
	v_cmpx_gt_u32_e32 46, v0
	s_cbranch_execz .LBB116_783
; %bb.776:
	ds_read_b128 v[1:4], v112
	v_cmp_ne_u32_e32 vcc_lo, 1, v113
	s_cbranch_vccnz .LBB116_778
; %bb.777:
	s_clause 0x3
	buffer_load_dword v114, v111, s[0:3], 0 offen offset:8
	buffer_load_dword v115, v111, s[0:3], 0 offen offset:12
	buffer_load_dword v118, v111, s[0:3], 0 offen
	buffer_load_dword v119, v111, s[0:3], 0 offen offset:4
	s_waitcnt vmcnt(2) lgkmcnt(0)
	v_mul_f64 v[120:121], v[3:4], v[114:115]
	v_mul_f64 v[114:115], v[1:2], v[114:115]
	s_waitcnt vmcnt(0)
	v_fma_f64 v[1:2], v[1:2], v[118:119], -v[120:121]
	v_fma_f64 v[3:4], v[3:4], v[118:119], v[114:115]
.LBB116_778:
	s_mov_b32 s8, exec_lo
	v_cmpx_ne_u32_e32 45, v0
	s_cbranch_execz .LBB116_782
; %bb.779:
	v_add_nc_u32_e32 v114, 0x360, v117
	v_add3_u32 v115, 0, v117, 16
	v_mov_b32_e32 v116, v0
	s_mov_b32 s60, 0
	.p2align	6
.LBB116_780:                            ; =>This Inner Loop Header: Depth=1
	s_clause 0x3
	buffer_load_dword v122, v115, s[0:3], 0 offen offset:8
	buffer_load_dword v123, v115, s[0:3], 0 offen offset:12
	buffer_load_dword v124, v115, s[0:3], 0 offen
	buffer_load_dword v125, v115, s[0:3], 0 offen offset:4
	ds_read_b128 v[118:121], v114
	v_add_nc_u32_e32 v116, 1, v116
	v_add_nc_u32_e32 v114, 16, v114
	;; [unrolled: 1-line block ×3, first 2 shown]
	v_cmp_lt_u32_e32 vcc_lo, 44, v116
	s_or_b32 s60, vcc_lo, s60
	s_waitcnt vmcnt(2) lgkmcnt(0)
	v_mul_f64 v[126:127], v[120:121], v[122:123]
	v_mul_f64 v[122:123], v[118:119], v[122:123]
	s_waitcnt vmcnt(0)
	v_fma_f64 v[118:119], v[118:119], v[124:125], -v[126:127]
	v_fma_f64 v[120:121], v[120:121], v[124:125], v[122:123]
	v_add_f64 v[1:2], v[1:2], v[118:119]
	v_add_f64 v[3:4], v[3:4], v[120:121]
	s_andn2_b32 exec_lo, exec_lo, s60
	s_cbranch_execnz .LBB116_780
; %bb.781:
	s_or_b32 exec_lo, exec_lo, s60
.LBB116_782:
	s_or_b32 exec_lo, exec_lo, s8
	v_mov_b32_e32 v114, 0
	ds_read_b128 v[118:121], v114 offset:736
	s_waitcnt lgkmcnt(0)
	v_mul_f64 v[114:115], v[3:4], v[120:121]
	v_mul_f64 v[120:121], v[1:2], v[120:121]
	v_fma_f64 v[1:2], v[1:2], v[118:119], -v[114:115]
	v_fma_f64 v[3:4], v[3:4], v[118:119], v[120:121]
	buffer_store_dword v2, off, s[0:3], 0 offset:740
	buffer_store_dword v1, off, s[0:3], 0 offset:736
	;; [unrolled: 1-line block ×4, first 2 shown]
.LBB116_783:
	s_or_b32 exec_lo, exec_lo, s4
	v_mov_b32_e32 v4, s12
	s_mov_b32 s4, exec_lo
	s_clause 0x3
	buffer_load_dword v1, v4, s[0:3], 0 offen
	buffer_load_dword v2, v4, s[0:3], 0 offen offset:4
	buffer_load_dword v3, v4, s[0:3], 0 offen offset:8
	;; [unrolled: 1-line block ×3, first 2 shown]
	s_waitcnt vmcnt(0)
	ds_write_b128 v112, v[1:4]
	s_waitcnt lgkmcnt(0)
	s_waitcnt_vscnt null, 0x0
	s_barrier
	buffer_gl0_inv
	v_cmpx_gt_u32_e32 47, v0
	s_cbranch_execz .LBB116_791
; %bb.784:
	ds_read_b128 v[1:4], v112
	v_cmp_ne_u32_e32 vcc_lo, 1, v113
	s_cbranch_vccnz .LBB116_786
; %bb.785:
	s_clause 0x3
	buffer_load_dword v114, v111, s[0:3], 0 offen offset:8
	buffer_load_dword v115, v111, s[0:3], 0 offen offset:12
	buffer_load_dword v118, v111, s[0:3], 0 offen
	buffer_load_dword v119, v111, s[0:3], 0 offen offset:4
	s_waitcnt vmcnt(2) lgkmcnt(0)
	v_mul_f64 v[120:121], v[3:4], v[114:115]
	v_mul_f64 v[114:115], v[1:2], v[114:115]
	s_waitcnt vmcnt(0)
	v_fma_f64 v[1:2], v[1:2], v[118:119], -v[120:121]
	v_fma_f64 v[3:4], v[3:4], v[118:119], v[114:115]
.LBB116_786:
	s_mov_b32 s8, exec_lo
	v_cmpx_ne_u32_e32 46, v0
	s_cbranch_execz .LBB116_790
; %bb.787:
	v_add_nc_u32_e32 v114, 0x360, v117
	v_add3_u32 v115, 0, v117, 16
	v_mov_b32_e32 v116, v0
	s_mov_b32 s60, 0
	.p2align	6
.LBB116_788:                            ; =>This Inner Loop Header: Depth=1
	s_clause 0x3
	buffer_load_dword v122, v115, s[0:3], 0 offen offset:8
	buffer_load_dword v123, v115, s[0:3], 0 offen offset:12
	buffer_load_dword v124, v115, s[0:3], 0 offen
	buffer_load_dword v125, v115, s[0:3], 0 offen offset:4
	ds_read_b128 v[118:121], v114
	v_add_nc_u32_e32 v116, 1, v116
	v_add_nc_u32_e32 v114, 16, v114
	;; [unrolled: 1-line block ×3, first 2 shown]
	v_cmp_lt_u32_e32 vcc_lo, 45, v116
	s_or_b32 s60, vcc_lo, s60
	s_waitcnt vmcnt(2) lgkmcnt(0)
	v_mul_f64 v[126:127], v[120:121], v[122:123]
	v_mul_f64 v[122:123], v[118:119], v[122:123]
	s_waitcnt vmcnt(0)
	v_fma_f64 v[118:119], v[118:119], v[124:125], -v[126:127]
	v_fma_f64 v[120:121], v[120:121], v[124:125], v[122:123]
	v_add_f64 v[1:2], v[1:2], v[118:119]
	v_add_f64 v[3:4], v[3:4], v[120:121]
	s_andn2_b32 exec_lo, exec_lo, s60
	s_cbranch_execnz .LBB116_788
; %bb.789:
	s_or_b32 exec_lo, exec_lo, s60
.LBB116_790:
	s_or_b32 exec_lo, exec_lo, s8
	v_mov_b32_e32 v114, 0
	ds_read_b128 v[118:121], v114 offset:752
	s_waitcnt lgkmcnt(0)
	v_mul_f64 v[114:115], v[3:4], v[120:121]
	v_mul_f64 v[120:121], v[1:2], v[120:121]
	v_fma_f64 v[1:2], v[1:2], v[118:119], -v[114:115]
	v_fma_f64 v[3:4], v[3:4], v[118:119], v[120:121]
	buffer_store_dword v2, off, s[0:3], 0 offset:756
	buffer_store_dword v1, off, s[0:3], 0 offset:752
	;; [unrolled: 1-line block ×4, first 2 shown]
.LBB116_791:
	s_or_b32 exec_lo, exec_lo, s4
	v_mov_b32_e32 v4, s11
	s_mov_b32 s4, exec_lo
	s_clause 0x3
	buffer_load_dword v1, v4, s[0:3], 0 offen
	buffer_load_dword v2, v4, s[0:3], 0 offen offset:4
	buffer_load_dword v3, v4, s[0:3], 0 offen offset:8
	;; [unrolled: 1-line block ×3, first 2 shown]
	s_waitcnt vmcnt(0)
	ds_write_b128 v112, v[1:4]
	s_waitcnt lgkmcnt(0)
	s_waitcnt_vscnt null, 0x0
	s_barrier
	buffer_gl0_inv
	v_cmpx_gt_u32_e32 48, v0
	s_cbranch_execz .LBB116_799
; %bb.792:
	ds_read_b128 v[1:4], v112
	v_cmp_ne_u32_e32 vcc_lo, 1, v113
	s_cbranch_vccnz .LBB116_794
; %bb.793:
	s_clause 0x3
	buffer_load_dword v114, v111, s[0:3], 0 offen offset:8
	buffer_load_dword v115, v111, s[0:3], 0 offen offset:12
	buffer_load_dword v118, v111, s[0:3], 0 offen
	buffer_load_dword v119, v111, s[0:3], 0 offen offset:4
	s_waitcnt vmcnt(2) lgkmcnt(0)
	v_mul_f64 v[120:121], v[3:4], v[114:115]
	v_mul_f64 v[114:115], v[1:2], v[114:115]
	s_waitcnt vmcnt(0)
	v_fma_f64 v[1:2], v[1:2], v[118:119], -v[120:121]
	v_fma_f64 v[3:4], v[3:4], v[118:119], v[114:115]
.LBB116_794:
	s_mov_b32 s8, exec_lo
	v_cmpx_ne_u32_e32 47, v0
	s_cbranch_execz .LBB116_798
; %bb.795:
	v_add_nc_u32_e32 v114, 0x360, v117
	v_add3_u32 v115, 0, v117, 16
	v_mov_b32_e32 v116, v0
	s_mov_b32 s60, 0
	.p2align	6
.LBB116_796:                            ; =>This Inner Loop Header: Depth=1
	s_clause 0x3
	buffer_load_dword v122, v115, s[0:3], 0 offen offset:8
	buffer_load_dword v123, v115, s[0:3], 0 offen offset:12
	buffer_load_dword v124, v115, s[0:3], 0 offen
	buffer_load_dword v125, v115, s[0:3], 0 offen offset:4
	ds_read_b128 v[118:121], v114
	v_add_nc_u32_e32 v116, 1, v116
	v_add_nc_u32_e32 v114, 16, v114
	;; [unrolled: 1-line block ×3, first 2 shown]
	v_cmp_lt_u32_e32 vcc_lo, 46, v116
	s_or_b32 s60, vcc_lo, s60
	s_waitcnt vmcnt(2) lgkmcnt(0)
	v_mul_f64 v[126:127], v[120:121], v[122:123]
	v_mul_f64 v[122:123], v[118:119], v[122:123]
	s_waitcnt vmcnt(0)
	v_fma_f64 v[118:119], v[118:119], v[124:125], -v[126:127]
	v_fma_f64 v[120:121], v[120:121], v[124:125], v[122:123]
	v_add_f64 v[1:2], v[1:2], v[118:119]
	v_add_f64 v[3:4], v[3:4], v[120:121]
	s_andn2_b32 exec_lo, exec_lo, s60
	s_cbranch_execnz .LBB116_796
; %bb.797:
	s_or_b32 exec_lo, exec_lo, s60
.LBB116_798:
	s_or_b32 exec_lo, exec_lo, s8
	v_mov_b32_e32 v114, 0
	ds_read_b128 v[118:121], v114 offset:768
	s_waitcnt lgkmcnt(0)
	v_mul_f64 v[114:115], v[3:4], v[120:121]
	v_mul_f64 v[120:121], v[1:2], v[120:121]
	v_fma_f64 v[1:2], v[1:2], v[118:119], -v[114:115]
	v_fma_f64 v[3:4], v[3:4], v[118:119], v[120:121]
	buffer_store_dword v2, off, s[0:3], 0 offset:772
	buffer_store_dword v1, off, s[0:3], 0 offset:768
	;; [unrolled: 1-line block ×4, first 2 shown]
.LBB116_799:
	s_or_b32 exec_lo, exec_lo, s4
	v_mov_b32_e32 v4, s10
	s_mov_b32 s4, exec_lo
	s_clause 0x3
	buffer_load_dword v1, v4, s[0:3], 0 offen
	buffer_load_dword v2, v4, s[0:3], 0 offen offset:4
	buffer_load_dword v3, v4, s[0:3], 0 offen offset:8
	;; [unrolled: 1-line block ×3, first 2 shown]
	s_waitcnt vmcnt(0)
	ds_write_b128 v112, v[1:4]
	s_waitcnt lgkmcnt(0)
	s_waitcnt_vscnt null, 0x0
	s_barrier
	buffer_gl0_inv
	v_cmpx_gt_u32_e32 49, v0
	s_cbranch_execz .LBB116_807
; %bb.800:
	ds_read_b128 v[1:4], v112
	v_cmp_ne_u32_e32 vcc_lo, 1, v113
	s_cbranch_vccnz .LBB116_802
; %bb.801:
	s_clause 0x3
	buffer_load_dword v114, v111, s[0:3], 0 offen offset:8
	buffer_load_dword v115, v111, s[0:3], 0 offen offset:12
	buffer_load_dword v118, v111, s[0:3], 0 offen
	buffer_load_dword v119, v111, s[0:3], 0 offen offset:4
	s_waitcnt vmcnt(2) lgkmcnt(0)
	v_mul_f64 v[120:121], v[3:4], v[114:115]
	v_mul_f64 v[114:115], v[1:2], v[114:115]
	s_waitcnt vmcnt(0)
	v_fma_f64 v[1:2], v[1:2], v[118:119], -v[120:121]
	v_fma_f64 v[3:4], v[3:4], v[118:119], v[114:115]
.LBB116_802:
	s_mov_b32 s8, exec_lo
	v_cmpx_ne_u32_e32 48, v0
	s_cbranch_execz .LBB116_806
; %bb.803:
	v_add_nc_u32_e32 v114, 0x360, v117
	v_add3_u32 v115, 0, v117, 16
	v_mov_b32_e32 v116, v0
	s_mov_b32 s60, 0
	.p2align	6
.LBB116_804:                            ; =>This Inner Loop Header: Depth=1
	s_clause 0x3
	buffer_load_dword v122, v115, s[0:3], 0 offen offset:8
	buffer_load_dword v123, v115, s[0:3], 0 offen offset:12
	buffer_load_dword v124, v115, s[0:3], 0 offen
	buffer_load_dword v125, v115, s[0:3], 0 offen offset:4
	ds_read_b128 v[118:121], v114
	v_add_nc_u32_e32 v116, 1, v116
	v_add_nc_u32_e32 v114, 16, v114
	;; [unrolled: 1-line block ×3, first 2 shown]
	v_cmp_lt_u32_e32 vcc_lo, 47, v116
	s_or_b32 s60, vcc_lo, s60
	s_waitcnt vmcnt(2) lgkmcnt(0)
	v_mul_f64 v[126:127], v[120:121], v[122:123]
	v_mul_f64 v[122:123], v[118:119], v[122:123]
	s_waitcnt vmcnt(0)
	v_fma_f64 v[118:119], v[118:119], v[124:125], -v[126:127]
	v_fma_f64 v[120:121], v[120:121], v[124:125], v[122:123]
	v_add_f64 v[1:2], v[1:2], v[118:119]
	v_add_f64 v[3:4], v[3:4], v[120:121]
	s_andn2_b32 exec_lo, exec_lo, s60
	s_cbranch_execnz .LBB116_804
; %bb.805:
	s_or_b32 exec_lo, exec_lo, s60
.LBB116_806:
	s_or_b32 exec_lo, exec_lo, s8
	v_mov_b32_e32 v114, 0
	ds_read_b128 v[118:121], v114 offset:784
	s_waitcnt lgkmcnt(0)
	v_mul_f64 v[114:115], v[3:4], v[120:121]
	v_mul_f64 v[120:121], v[1:2], v[120:121]
	v_fma_f64 v[1:2], v[1:2], v[118:119], -v[114:115]
	v_fma_f64 v[3:4], v[3:4], v[118:119], v[120:121]
	buffer_store_dword v2, off, s[0:3], 0 offset:788
	buffer_store_dword v1, off, s[0:3], 0 offset:784
	;; [unrolled: 1-line block ×4, first 2 shown]
.LBB116_807:
	s_or_b32 exec_lo, exec_lo, s4
	v_mov_b32_e32 v4, s9
	s_mov_b32 s4, exec_lo
	s_clause 0x3
	buffer_load_dword v1, v4, s[0:3], 0 offen
	buffer_load_dword v2, v4, s[0:3], 0 offen offset:4
	buffer_load_dword v3, v4, s[0:3], 0 offen offset:8
	;; [unrolled: 1-line block ×3, first 2 shown]
	s_waitcnt vmcnt(0)
	ds_write_b128 v112, v[1:4]
	s_waitcnt lgkmcnt(0)
	s_waitcnt_vscnt null, 0x0
	s_barrier
	buffer_gl0_inv
	v_cmpx_gt_u32_e32 50, v0
	s_cbranch_execz .LBB116_815
; %bb.808:
	ds_read_b128 v[1:4], v112
	v_cmp_ne_u32_e32 vcc_lo, 1, v113
	s_cbranch_vccnz .LBB116_810
; %bb.809:
	s_clause 0x3
	buffer_load_dword v114, v111, s[0:3], 0 offen offset:8
	buffer_load_dword v115, v111, s[0:3], 0 offen offset:12
	buffer_load_dword v118, v111, s[0:3], 0 offen
	buffer_load_dword v119, v111, s[0:3], 0 offen offset:4
	s_waitcnt vmcnt(2) lgkmcnt(0)
	v_mul_f64 v[120:121], v[3:4], v[114:115]
	v_mul_f64 v[114:115], v[1:2], v[114:115]
	s_waitcnt vmcnt(0)
	v_fma_f64 v[1:2], v[1:2], v[118:119], -v[120:121]
	v_fma_f64 v[3:4], v[3:4], v[118:119], v[114:115]
.LBB116_810:
	s_mov_b32 s8, exec_lo
	v_cmpx_ne_u32_e32 49, v0
	s_cbranch_execz .LBB116_814
; %bb.811:
	v_add_nc_u32_e32 v114, 0x360, v117
	v_add3_u32 v115, 0, v117, 16
	v_mov_b32_e32 v116, v0
	s_mov_b32 s60, 0
	.p2align	6
.LBB116_812:                            ; =>This Inner Loop Header: Depth=1
	s_clause 0x3
	buffer_load_dword v122, v115, s[0:3], 0 offen offset:8
	buffer_load_dword v123, v115, s[0:3], 0 offen offset:12
	buffer_load_dword v124, v115, s[0:3], 0 offen
	buffer_load_dword v125, v115, s[0:3], 0 offen offset:4
	ds_read_b128 v[118:121], v114
	v_add_nc_u32_e32 v116, 1, v116
	v_add_nc_u32_e32 v114, 16, v114
	;; [unrolled: 1-line block ×3, first 2 shown]
	v_cmp_lt_u32_e32 vcc_lo, 48, v116
	s_or_b32 s60, vcc_lo, s60
	s_waitcnt vmcnt(2) lgkmcnt(0)
	v_mul_f64 v[126:127], v[120:121], v[122:123]
	v_mul_f64 v[122:123], v[118:119], v[122:123]
	s_waitcnt vmcnt(0)
	v_fma_f64 v[118:119], v[118:119], v[124:125], -v[126:127]
	v_fma_f64 v[120:121], v[120:121], v[124:125], v[122:123]
	v_add_f64 v[1:2], v[1:2], v[118:119]
	v_add_f64 v[3:4], v[3:4], v[120:121]
	s_andn2_b32 exec_lo, exec_lo, s60
	s_cbranch_execnz .LBB116_812
; %bb.813:
	s_or_b32 exec_lo, exec_lo, s60
.LBB116_814:
	s_or_b32 exec_lo, exec_lo, s8
	v_mov_b32_e32 v114, 0
	ds_read_b128 v[118:121], v114 offset:800
	s_waitcnt lgkmcnt(0)
	v_mul_f64 v[114:115], v[3:4], v[120:121]
	v_mul_f64 v[120:121], v[1:2], v[120:121]
	v_fma_f64 v[1:2], v[1:2], v[118:119], -v[114:115]
	v_fma_f64 v[3:4], v[3:4], v[118:119], v[120:121]
	buffer_store_dword v2, off, s[0:3], 0 offset:804
	buffer_store_dword v1, off, s[0:3], 0 offset:800
	;; [unrolled: 1-line block ×4, first 2 shown]
.LBB116_815:
	s_or_b32 exec_lo, exec_lo, s4
	v_mov_b32_e32 v4, s7
	v_cmp_gt_u32_e64 s4, 51, v0
	s_clause 0x3
	buffer_load_dword v1, v4, s[0:3], 0 offen
	buffer_load_dword v2, v4, s[0:3], 0 offen offset:4
	buffer_load_dword v3, v4, s[0:3], 0 offen offset:8
	;; [unrolled: 1-line block ×3, first 2 shown]
	s_waitcnt vmcnt(0)
	ds_write_b128 v112, v[1:4]
	s_waitcnt lgkmcnt(0)
	s_waitcnt_vscnt null, 0x0
	s_barrier
	buffer_gl0_inv
	s_and_saveexec_b32 s8, s4
	s_cbranch_execz .LBB116_823
; %bb.816:
	ds_read_b128 v[1:4], v112
	v_cmp_ne_u32_e32 vcc_lo, 1, v113
	s_cbranch_vccnz .LBB116_818
; %bb.817:
	s_clause 0x3
	buffer_load_dword v114, v111, s[0:3], 0 offen offset:8
	buffer_load_dword v115, v111, s[0:3], 0 offen offset:12
	buffer_load_dword v118, v111, s[0:3], 0 offen
	buffer_load_dword v119, v111, s[0:3], 0 offen offset:4
	s_waitcnt vmcnt(2) lgkmcnt(0)
	v_mul_f64 v[120:121], v[3:4], v[114:115]
	v_mul_f64 v[114:115], v[1:2], v[114:115]
	s_waitcnt vmcnt(0)
	v_fma_f64 v[1:2], v[1:2], v[118:119], -v[120:121]
	v_fma_f64 v[3:4], v[3:4], v[118:119], v[114:115]
.LBB116_818:
	s_mov_b32 s60, exec_lo
	v_cmpx_ne_u32_e32 50, v0
	s_cbranch_execz .LBB116_822
; %bb.819:
	v_add_nc_u32_e32 v114, 0x360, v117
	v_add3_u32 v115, 0, v117, 16
	v_mov_b32_e32 v116, v0
	s_mov_b32 s61, 0
	.p2align	6
.LBB116_820:                            ; =>This Inner Loop Header: Depth=1
	s_clause 0x3
	buffer_load_dword v122, v115, s[0:3], 0 offen offset:8
	buffer_load_dword v123, v115, s[0:3], 0 offen offset:12
	buffer_load_dword v124, v115, s[0:3], 0 offen
	buffer_load_dword v125, v115, s[0:3], 0 offen offset:4
	ds_read_b128 v[118:121], v114
	v_add_nc_u32_e32 v116, 1, v116
	v_add_nc_u32_e32 v114, 16, v114
	v_add_nc_u32_e32 v115, 16, v115
	v_cmp_lt_u32_e32 vcc_lo, 49, v116
	s_or_b32 s61, vcc_lo, s61
	s_waitcnt vmcnt(2) lgkmcnt(0)
	v_mul_f64 v[126:127], v[120:121], v[122:123]
	v_mul_f64 v[122:123], v[118:119], v[122:123]
	s_waitcnt vmcnt(0)
	v_fma_f64 v[118:119], v[118:119], v[124:125], -v[126:127]
	v_fma_f64 v[120:121], v[120:121], v[124:125], v[122:123]
	v_add_f64 v[1:2], v[1:2], v[118:119]
	v_add_f64 v[3:4], v[3:4], v[120:121]
	s_andn2_b32 exec_lo, exec_lo, s61
	s_cbranch_execnz .LBB116_820
; %bb.821:
	s_or_b32 exec_lo, exec_lo, s61
.LBB116_822:
	s_or_b32 exec_lo, exec_lo, s60
	v_mov_b32_e32 v114, 0
	ds_read_b128 v[118:121], v114 offset:816
	s_waitcnt lgkmcnt(0)
	v_mul_f64 v[114:115], v[3:4], v[120:121]
	v_mul_f64 v[120:121], v[1:2], v[120:121]
	v_fma_f64 v[1:2], v[1:2], v[118:119], -v[114:115]
	v_fma_f64 v[3:4], v[3:4], v[118:119], v[120:121]
	buffer_store_dword v2, off, s[0:3], 0 offset:820
	buffer_store_dword v1, off, s[0:3], 0 offset:816
	;; [unrolled: 1-line block ×4, first 2 shown]
.LBB116_823:
	s_or_b32 exec_lo, exec_lo, s8
	v_mov_b32_e32 v4, s6
	s_mov_b32 s8, exec_lo
                                        ; implicit-def: $sgpr62
	s_clause 0x3
	buffer_load_dword v1, v4, s[0:3], 0 offen
	buffer_load_dword v2, v4, s[0:3], 0 offen offset:4
	buffer_load_dword v3, v4, s[0:3], 0 offen offset:8
	;; [unrolled: 1-line block ×3, first 2 shown]
	s_waitcnt vmcnt(0)
	ds_write_b128 v112, v[1:4]
	s_waitcnt lgkmcnt(0)
	s_waitcnt_vscnt null, 0x0
	s_barrier
	buffer_gl0_inv
                                        ; implicit-def: $vgpr1_vgpr2
	v_cmpx_ne_u32_e32 52, v0
	s_cbranch_execz .LBB116_831
; %bb.824:
	ds_read_b128 v[1:4], v112
	v_cmp_ne_u32_e32 vcc_lo, 1, v113
	s_cbranch_vccnz .LBB116_826
; %bb.825:
	s_clause 0x3
	buffer_load_dword v112, v111, s[0:3], 0 offen offset:8
	buffer_load_dword v113, v111, s[0:3], 0 offen offset:12
	buffer_load_dword v114, v111, s[0:3], 0 offen
	buffer_load_dword v115, v111, s[0:3], 0 offen offset:4
	s_waitcnt vmcnt(2) lgkmcnt(0)
	v_mul_f64 v[118:119], v[3:4], v[112:113]
	v_mul_f64 v[111:112], v[1:2], v[112:113]
	s_waitcnt vmcnt(0)
	v_fma_f64 v[1:2], v[1:2], v[114:115], -v[118:119]
	v_fma_f64 v[3:4], v[3:4], v[114:115], v[111:112]
.LBB116_826:
	s_and_saveexec_b32 s60, s4
	s_cbranch_execz .LBB116_830
; %bb.827:
	v_add_nc_u32_e32 v111, 0x360, v117
	v_add3_u32 v112, 0, v117, 16
	s_mov_b32 s4, 0
	.p2align	6
.LBB116_828:                            ; =>This Inner Loop Header: Depth=1
	s_clause 0x3
	buffer_load_dword v117, v112, s[0:3], 0 offen offset:8
	buffer_load_dword v118, v112, s[0:3], 0 offen offset:12
	buffer_load_dword v119, v112, s[0:3], 0 offen
	buffer_load_dword v120, v112, s[0:3], 0 offen offset:4
	ds_read_b128 v[113:116], v111
	v_add_nc_u32_e32 v0, 1, v0
	v_add_nc_u32_e32 v111, 16, v111
	;; [unrolled: 1-line block ×3, first 2 shown]
	v_cmp_lt_u32_e32 vcc_lo, 50, v0
	s_or_b32 s4, vcc_lo, s4
	s_waitcnt vmcnt(2) lgkmcnt(0)
	v_mul_f64 v[121:122], v[115:116], v[117:118]
	v_mul_f64 v[117:118], v[113:114], v[117:118]
	s_waitcnt vmcnt(0)
	v_fma_f64 v[113:114], v[113:114], v[119:120], -v[121:122]
	v_fma_f64 v[115:116], v[115:116], v[119:120], v[117:118]
	v_add_f64 v[1:2], v[1:2], v[113:114]
	v_add_f64 v[3:4], v[3:4], v[115:116]
	s_andn2_b32 exec_lo, exec_lo, s4
	s_cbranch_execnz .LBB116_828
; %bb.829:
	s_or_b32 exec_lo, exec_lo, s4
.LBB116_830:
	s_or_b32 exec_lo, exec_lo, s60
	v_mov_b32_e32 v0, 0
	s_movk_i32 s62, 0x348
	s_or_b32 s5, s5, exec_lo
	ds_read_b128 v[111:114], v0 offset:832
	s_waitcnt lgkmcnt(0)
	v_mul_f64 v[115:116], v[3:4], v[113:114]
	v_mul_f64 v[113:114], v[1:2], v[113:114]
	v_fma_f64 v[115:116], v[1:2], v[111:112], -v[115:116]
	v_fma_f64 v[1:2], v[3:4], v[111:112], v[113:114]
	buffer_store_dword v116, off, s[0:3], 0 offset:836
	buffer_store_dword v115, off, s[0:3], 0 offset:832
.LBB116_831:
	s_or_b32 exec_lo, exec_lo, s8
.LBB116_832:
	s_and_saveexec_b32 s4, s5
	s_cbranch_execz .LBB116_834
; %bb.833:
	v_mov_b32_e32 v0, s62
	buffer_store_dword v2, v0, s[0:3], 0 offen offset:4
	buffer_store_dword v1, v0, s[0:3], 0 offen
.LBB116_834:
	s_or_b32 exec_lo, exec_lo, s4
	s_clause 0x3
	buffer_load_dword v0, off, s[0:3], 0
	buffer_load_dword v1, off, s[0:3], 0 offset:4
	buffer_load_dword v2, off, s[0:3], 0 offset:8
	;; [unrolled: 1-line block ×3, first 2 shown]
	v_mov_b32_e32 v4, s59
	s_waitcnt vmcnt(0)
	flat_store_dwordx4 v[5:6], v[0:3]
	s_clause 0x3
	buffer_load_dword v0, v4, s[0:3], 0 offen
	buffer_load_dword v1, v4, s[0:3], 0 offen offset:4
	buffer_load_dword v2, v4, s[0:3], 0 offen offset:8
	buffer_load_dword v3, v4, s[0:3], 0 offen offset:12
	v_mov_b32_e32 v4, s58
	s_waitcnt vmcnt(0)
	flat_store_dwordx4 v[59:60], v[0:3]
	s_clause 0x3
	buffer_load_dword v0, v4, s[0:3], 0 offen
	buffer_load_dword v1, v4, s[0:3], 0 offen offset:4
	buffer_load_dword v2, v4, s[0:3], 0 offen offset:8
	buffer_load_dword v3, v4, s[0:3], 0 offen offset:12
	;; [unrolled: 8-line block ×52, first 2 shown]
	s_waitcnt vmcnt(0)
	flat_store_dwordx4 v[109:110], v[0:3]
.LBB116_835:
	s_endpgm
	.section	.rodata,"a",@progbits
	.p2align	6, 0x0
	.amdhsa_kernel _ZN9rocsolver6v33100L18trti2_kernel_smallILi53E19rocblas_complex_numIdEPKPS3_EEv13rocblas_fill_17rocblas_diagonal_T1_iil
		.amdhsa_group_segment_fixed_size 1696
		.amdhsa_private_segment_fixed_size 864
		.amdhsa_kernarg_size 32
		.amdhsa_user_sgpr_count 6
		.amdhsa_user_sgpr_private_segment_buffer 1
		.amdhsa_user_sgpr_dispatch_ptr 0
		.amdhsa_user_sgpr_queue_ptr 0
		.amdhsa_user_sgpr_kernarg_segment_ptr 1
		.amdhsa_user_sgpr_dispatch_id 0
		.amdhsa_user_sgpr_flat_scratch_init 0
		.amdhsa_user_sgpr_private_segment_size 0
		.amdhsa_wavefront_size32 1
		.amdhsa_uses_dynamic_stack 0
		.amdhsa_system_sgpr_private_segment_wavefront_offset 1
		.amdhsa_system_sgpr_workgroup_id_x 1
		.amdhsa_system_sgpr_workgroup_id_y 0
		.amdhsa_system_sgpr_workgroup_id_z 0
		.amdhsa_system_sgpr_workgroup_info 0
		.amdhsa_system_vgpr_workitem_id 0
		.amdhsa_next_free_vgpr 128
		.amdhsa_next_free_sgpr 84
		.amdhsa_reserve_vcc 1
		.amdhsa_reserve_flat_scratch 0
		.amdhsa_float_round_mode_32 0
		.amdhsa_float_round_mode_16_64 0
		.amdhsa_float_denorm_mode_32 3
		.amdhsa_float_denorm_mode_16_64 3
		.amdhsa_dx10_clamp 1
		.amdhsa_ieee_mode 1
		.amdhsa_fp16_overflow 0
		.amdhsa_workgroup_processor_mode 1
		.amdhsa_memory_ordered 1
		.amdhsa_forward_progress 1
		.amdhsa_shared_vgpr_count 0
		.amdhsa_exception_fp_ieee_invalid_op 0
		.amdhsa_exception_fp_denorm_src 0
		.amdhsa_exception_fp_ieee_div_zero 0
		.amdhsa_exception_fp_ieee_overflow 0
		.amdhsa_exception_fp_ieee_underflow 0
		.amdhsa_exception_fp_ieee_inexact 0
		.amdhsa_exception_int_div_zero 0
	.end_amdhsa_kernel
	.section	.text._ZN9rocsolver6v33100L18trti2_kernel_smallILi53E19rocblas_complex_numIdEPKPS3_EEv13rocblas_fill_17rocblas_diagonal_T1_iil,"axG",@progbits,_ZN9rocsolver6v33100L18trti2_kernel_smallILi53E19rocblas_complex_numIdEPKPS3_EEv13rocblas_fill_17rocblas_diagonal_T1_iil,comdat
.Lfunc_end116:
	.size	_ZN9rocsolver6v33100L18trti2_kernel_smallILi53E19rocblas_complex_numIdEPKPS3_EEv13rocblas_fill_17rocblas_diagonal_T1_iil, .Lfunc_end116-_ZN9rocsolver6v33100L18trti2_kernel_smallILi53E19rocblas_complex_numIdEPKPS3_EEv13rocblas_fill_17rocblas_diagonal_T1_iil
                                        ; -- End function
	.set _ZN9rocsolver6v33100L18trti2_kernel_smallILi53E19rocblas_complex_numIdEPKPS3_EEv13rocblas_fill_17rocblas_diagonal_T1_iil.num_vgpr, 128
	.set _ZN9rocsolver6v33100L18trti2_kernel_smallILi53E19rocblas_complex_numIdEPKPS3_EEv13rocblas_fill_17rocblas_diagonal_T1_iil.num_agpr, 0
	.set _ZN9rocsolver6v33100L18trti2_kernel_smallILi53E19rocblas_complex_numIdEPKPS3_EEv13rocblas_fill_17rocblas_diagonal_T1_iil.numbered_sgpr, 84
	.set _ZN9rocsolver6v33100L18trti2_kernel_smallILi53E19rocblas_complex_numIdEPKPS3_EEv13rocblas_fill_17rocblas_diagonal_T1_iil.num_named_barrier, 0
	.set _ZN9rocsolver6v33100L18trti2_kernel_smallILi53E19rocblas_complex_numIdEPKPS3_EEv13rocblas_fill_17rocblas_diagonal_T1_iil.private_seg_size, 864
	.set _ZN9rocsolver6v33100L18trti2_kernel_smallILi53E19rocblas_complex_numIdEPKPS3_EEv13rocblas_fill_17rocblas_diagonal_T1_iil.uses_vcc, 1
	.set _ZN9rocsolver6v33100L18trti2_kernel_smallILi53E19rocblas_complex_numIdEPKPS3_EEv13rocblas_fill_17rocblas_diagonal_T1_iil.uses_flat_scratch, 0
	.set _ZN9rocsolver6v33100L18trti2_kernel_smallILi53E19rocblas_complex_numIdEPKPS3_EEv13rocblas_fill_17rocblas_diagonal_T1_iil.has_dyn_sized_stack, 0
	.set _ZN9rocsolver6v33100L18trti2_kernel_smallILi53E19rocblas_complex_numIdEPKPS3_EEv13rocblas_fill_17rocblas_diagonal_T1_iil.has_recursion, 0
	.set _ZN9rocsolver6v33100L18trti2_kernel_smallILi53E19rocblas_complex_numIdEPKPS3_EEv13rocblas_fill_17rocblas_diagonal_T1_iil.has_indirect_call, 0
	.section	.AMDGPU.csdata,"",@progbits
; Kernel info:
; codeLenInByte = 54008
; TotalNumSgprs: 86
; NumVgprs: 128
; ScratchSize: 864
; MemoryBound: 0
; FloatMode: 240
; IeeeMode: 1
; LDSByteSize: 1696 bytes/workgroup (compile time only)
; SGPRBlocks: 0
; VGPRBlocks: 15
; NumSGPRsForWavesPerEU: 86
; NumVGPRsForWavesPerEU: 128
; Occupancy: 8
; WaveLimiterHint : 1
; COMPUTE_PGM_RSRC2:SCRATCH_EN: 1
; COMPUTE_PGM_RSRC2:USER_SGPR: 6
; COMPUTE_PGM_RSRC2:TRAP_HANDLER: 0
; COMPUTE_PGM_RSRC2:TGID_X_EN: 1
; COMPUTE_PGM_RSRC2:TGID_Y_EN: 0
; COMPUTE_PGM_RSRC2:TGID_Z_EN: 0
; COMPUTE_PGM_RSRC2:TIDIG_COMP_CNT: 0
	.section	.text._ZN9rocsolver6v33100L18trti2_kernel_smallILi54E19rocblas_complex_numIdEPKPS3_EEv13rocblas_fill_17rocblas_diagonal_T1_iil,"axG",@progbits,_ZN9rocsolver6v33100L18trti2_kernel_smallILi54E19rocblas_complex_numIdEPKPS3_EEv13rocblas_fill_17rocblas_diagonal_T1_iil,comdat
	.globl	_ZN9rocsolver6v33100L18trti2_kernel_smallILi54E19rocblas_complex_numIdEPKPS3_EEv13rocblas_fill_17rocblas_diagonal_T1_iil ; -- Begin function _ZN9rocsolver6v33100L18trti2_kernel_smallILi54E19rocblas_complex_numIdEPKPS3_EEv13rocblas_fill_17rocblas_diagonal_T1_iil
	.p2align	8
	.type	_ZN9rocsolver6v33100L18trti2_kernel_smallILi54E19rocblas_complex_numIdEPKPS3_EEv13rocblas_fill_17rocblas_diagonal_T1_iil,@function
_ZN9rocsolver6v33100L18trti2_kernel_smallILi54E19rocblas_complex_numIdEPKPS3_EEv13rocblas_fill_17rocblas_diagonal_T1_iil: ; @_ZN9rocsolver6v33100L18trti2_kernel_smallILi54E19rocblas_complex_numIdEPKPS3_EEv13rocblas_fill_17rocblas_diagonal_T1_iil
; %bb.0:
	s_add_u32 s0, s0, s7
	s_addc_u32 s1, s1, 0
	s_mov_b32 s7, exec_lo
	v_cmpx_gt_u32_e32 54, v0
	s_cbranch_execz .LBB117_851
; %bb.1:
	s_clause 0x1
	s_load_dwordx2 s[12:13], s[4:5], 0x10
	s_load_dwordx4 s[8:11], s[4:5], 0x0
	s_ashr_i32 s7, s6, 31
	v_lshlrev_b32_e32 v119, 4, v0
	s_lshl_b64 s[4:5], s[6:7], 3
	s_movk_i32 s14, 0xd0
	s_movk_i32 s15, 0xe0
	;; [unrolled: 1-line block ×15, first 2 shown]
	s_waitcnt lgkmcnt(0)
	s_ashr_i32 s7, s12, 31
	s_add_u32 s4, s10, s4
	s_addc_u32 s5, s11, s5
	s_mov_b32 s6, s12
	s_load_dwordx2 s[4:5], s[4:5], 0x0
	s_lshl_b64 s[6:7], s[6:7], 4
	v_add3_u32 v7, s13, s13, v0
	s_movk_i32 s10, 0x90
	s_movk_i32 s11, 0xa0
	;; [unrolled: 1-line block ×4, first 2 shown]
	v_ashrrev_i32_e32 v8, 31, v7
	s_movk_i32 s30, 0x1d0
	s_movk_i32 s31, 0x1e0
	;; [unrolled: 1-line block ×4, first 2 shown]
	v_lshlrev_b64 v[8:9], 4, v[7:8]
	v_add_nc_u32_e32 v7, s13, v7
	s_movk_i32 s65, 0x210
	s_movk_i32 s66, 0x220
	;; [unrolled: 1-line block ×6, first 2 shown]
	s_waitcnt lgkmcnt(0)
	s_add_u32 s6, s4, s6
	s_addc_u32 s7, s5, s7
	v_add_co_u32 v5, s4, s6, v119
	v_add_co_ci_u32_e64 v6, null, s7, 0, s4
	s_mov_b32 s4, s13
	s_ashr_i32 s5, s13, 31
	s_movk_i32 s71, 0x270
	flat_load_dwordx4 v[1:4], v[5:6]
	s_lshl_b64 s[4:5], s[4:5], 4
	s_cmpk_lg_i32 s9, 0x84
	v_add_co_u32 v59, vcc_lo, v5, s4
	v_add_co_ci_u32_e64 v60, null, s5, v6, vcc_lo
	v_add_co_u32 v57, vcc_lo, s6, v8
	v_add_co_ci_u32_e64 v58, null, s7, v9, vcc_lo
	v_ashrrev_i32_e32 v8, 31, v7
	s_movk_i32 s4, 0x50
	s_movk_i32 s5, 0x60
	;; [unrolled: 1-line block ×4, first 2 shown]
	v_lshlrev_b64 v[8:9], 4, v[7:8]
	v_add_nc_u32_e32 v7, s13, v7
	s_movk_i32 s74, 0x2a0
	s_movk_i32 s75, 0x2b0
	;; [unrolled: 1-line block ×4, first 2 shown]
	v_add_co_u32 v55, vcc_lo, s6, v8
	v_add_co_ci_u32_e64 v56, null, s7, v9, vcc_lo
	v_ashrrev_i32_e32 v8, 31, v7
	s_movk_i32 s78, 0x2e0
	s_movk_i32 s79, 0x2f0
	;; [unrolled: 1-line block ×4, first 2 shown]
	v_lshlrev_b64 v[8:9], 4, v[7:8]
	v_add_nc_u32_e32 v7, s13, v7
	s_movk_i32 s82, 0x320
	s_movk_i32 s83, 0x330
	;; [unrolled: 1-line block ×4, first 2 shown]
	v_add_co_u32 v53, vcc_lo, s6, v8
	v_add_co_ci_u32_e64 v54, null, s7, v9, vcc_lo
	v_ashrrev_i32_e32 v8, 31, v7
	s_cselect_b32 s62, -1, 0
	s_cmpk_eq_i32 s9, 0x84
	s_waitcnt vmcnt(0) lgkmcnt(0)
	buffer_store_dword v4, off, s[0:3], 0 offset:12
	buffer_store_dword v3, off, s[0:3], 0 offset:8
	;; [unrolled: 1-line block ×3, first 2 shown]
	buffer_store_dword v1, off, s[0:3], 0
	flat_load_dwordx4 v[1:4], v[59:60]
	v_lshlrev_b64 v[8:9], 4, v[7:8]
	v_add_nc_u32_e32 v7, s13, v7
	s_waitcnt vmcnt(0) lgkmcnt(0)
	buffer_store_dword v4, off, s[0:3], 0 offset:28
	buffer_store_dword v3, off, s[0:3], 0 offset:24
	buffer_store_dword v2, off, s[0:3], 0 offset:20
	buffer_store_dword v1, off, s[0:3], 0 offset:16
	flat_load_dwordx4 v[1:4], v[57:58]
	v_add_co_u32 v49, vcc_lo, s6, v8
	v_add_co_ci_u32_e64 v50, null, s7, v9, vcc_lo
	v_ashrrev_i32_e32 v8, 31, v7
	s_waitcnt vmcnt(0) lgkmcnt(0)
	buffer_store_dword v4, off, s[0:3], 0 offset:44
	buffer_store_dword v3, off, s[0:3], 0 offset:40
	buffer_store_dword v2, off, s[0:3], 0 offset:36
	buffer_store_dword v1, off, s[0:3], 0 offset:32
	flat_load_dwordx4 v[1:4], v[55:56]
	v_lshlrev_b64 v[8:9], 4, v[7:8]
	v_add_nc_u32_e32 v7, s13, v7
	s_waitcnt vmcnt(0) lgkmcnt(0)
	buffer_store_dword v4, off, s[0:3], 0 offset:60
	buffer_store_dword v3, off, s[0:3], 0 offset:56
	buffer_store_dword v2, off, s[0:3], 0 offset:52
	buffer_store_dword v1, off, s[0:3], 0 offset:48
	flat_load_dwordx4 v[1:4], v[53:54]
	v_add_co_u32 v47, vcc_lo, s6, v8
	v_add_co_ci_u32_e64 v48, null, s7, v9, vcc_lo
	v_ashrrev_i32_e32 v8, 31, v7
	s_waitcnt vmcnt(0) lgkmcnt(0)
	buffer_store_dword v4, off, s[0:3], 0 offset:76
	buffer_store_dword v3, off, s[0:3], 0 offset:72
	buffer_store_dword v2, off, s[0:3], 0 offset:68
	buffer_store_dword v1, off, s[0:3], 0 offset:64
	flat_load_dwordx4 v[1:4], v[49:50]
	v_lshlrev_b64 v[8:9], 4, v[7:8]
	v_add_nc_u32_e32 v7, s13, v7
	s_waitcnt vmcnt(0) lgkmcnt(0)
	buffer_store_dword v4, off, s[0:3], 0 offset:92
	buffer_store_dword v3, off, s[0:3], 0 offset:88
	buffer_store_dword v2, off, s[0:3], 0 offset:84
	buffer_store_dword v1, off, s[0:3], 0 offset:80
	flat_load_dwordx4 v[1:4], v[47:48]
	v_add_co_u32 v45, vcc_lo, s6, v8
	v_add_co_ci_u32_e64 v46, null, s7, v9, vcc_lo
	v_ashrrev_i32_e32 v8, 31, v7
	s_waitcnt vmcnt(0) lgkmcnt(0)
	buffer_store_dword v4, off, s[0:3], 0 offset:108
	buffer_store_dword v3, off, s[0:3], 0 offset:104
	buffer_store_dword v2, off, s[0:3], 0 offset:100
	buffer_store_dword v1, off, s[0:3], 0 offset:96
	flat_load_dwordx4 v[1:4], v[45:46]
	v_lshlrev_b64 v[8:9], 4, v[7:8]
	v_add_nc_u32_e32 v7, s13, v7
	s_waitcnt vmcnt(0) lgkmcnt(0)
	buffer_store_dword v4, off, s[0:3], 0 offset:124
	buffer_store_dword v3, off, s[0:3], 0 offset:120
	;; [unrolled: 1-line block ×4, first 2 shown]
	v_add_co_u32 v43, vcc_lo, s6, v8
	v_add_co_ci_u32_e64 v44, null, s7, v9, vcc_lo
	v_ashrrev_i32_e32 v8, 31, v7
	flat_load_dwordx4 v[1:4], v[43:44]
	s_waitcnt vmcnt(0) lgkmcnt(0)
	buffer_store_dword v4, off, s[0:3], 0 offset:140
	buffer_store_dword v3, off, s[0:3], 0 offset:136
	buffer_store_dword v2, off, s[0:3], 0 offset:132
	buffer_store_dword v1, off, s[0:3], 0 offset:128
	v_lshlrev_b64 v[8:9], 4, v[7:8]
	v_add_nc_u32_e32 v7, s13, v7
	v_add_co_u32 v41, vcc_lo, s6, v8
	v_add_co_ci_u32_e64 v42, null, s7, v9, vcc_lo
	v_ashrrev_i32_e32 v8, 31, v7
	flat_load_dwordx4 v[1:4], v[41:42]
	s_waitcnt vmcnt(0) lgkmcnt(0)
	buffer_store_dword v4, off, s[0:3], 0 offset:156
	buffer_store_dword v3, off, s[0:3], 0 offset:152
	buffer_store_dword v2, off, s[0:3], 0 offset:148
	buffer_store_dword v1, off, s[0:3], 0 offset:144
	v_lshlrev_b64 v[8:9], 4, v[7:8]
	v_add_nc_u32_e32 v7, s13, v7
	;; [unrolled: 11-line block ×15, first 2 shown]
	v_add_co_u32 v11, vcc_lo, s6, v8
	v_add_co_ci_u32_e64 v12, null, s7, v9, vcc_lo
	v_ashrrev_i32_e32 v8, 31, v7
	v_add_nc_u32_e32 v33, s13, v7
	flat_load_dwordx4 v[1:4], v[11:12]
	s_waitcnt vmcnt(0) lgkmcnt(0)
	buffer_store_dword v4, off, s[0:3], 0 offset:380
	buffer_store_dword v3, off, s[0:3], 0 offset:376
	buffer_store_dword v2, off, s[0:3], 0 offset:372
	buffer_store_dword v1, off, s[0:3], 0 offset:368
	v_lshlrev_b64 v[9:10], 4, v[7:8]
	v_ashrrev_i32_e32 v34, 31, v33
	v_add_nc_u32_e32 v51, s13, v33
	v_add_co_u32 v9, vcc_lo, s6, v9
	v_add_co_ci_u32_e64 v10, null, s7, v10, vcc_lo
	v_lshlrev_b64 v[7:8], 4, v[33:34]
	v_ashrrev_i32_e32 v52, 31, v51
	v_add_nc_u32_e32 v61, s13, v51
	flat_load_dwordx4 v[1:4], v[9:10]
	s_waitcnt vmcnt(0) lgkmcnt(0)
	buffer_store_dword v4, off, s[0:3], 0 offset:396
	buffer_store_dword v3, off, s[0:3], 0 offset:392
	buffer_store_dword v2, off, s[0:3], 0 offset:388
	buffer_store_dword v1, off, s[0:3], 0 offset:384
	v_add_co_u32 v7, vcc_lo, s6, v7
	v_add_co_ci_u32_e64 v8, null, s7, v8, vcc_lo
	v_lshlrev_b64 v[33:34], 4, v[51:52]
	v_ashrrev_i32_e32 v62, 31, v61
	v_add_nc_u32_e32 v63, s13, v61
	flat_load_dwordx4 v[1:4], v[7:8]
	s_waitcnt vmcnt(0) lgkmcnt(0)
	buffer_store_dword v4, off, s[0:3], 0 offset:412
	buffer_store_dword v3, off, s[0:3], 0 offset:408
	buffer_store_dword v2, off, s[0:3], 0 offset:404
	buffer_store_dword v1, off, s[0:3], 0 offset:400
	;; [unrolled: 11-line block ×26, first 2 shown]
	v_add_co_u32 v105, vcc_lo, s6, v105
	v_add_co_ci_u32_e64 v106, null, s7, v106, vcc_lo
	v_lshlrev_b64 v[107:108], 4, v[109:110]
	v_ashrrev_i32_e32 v112, 31, v111
	flat_load_dwordx4 v[1:4], v[105:106]
	s_waitcnt vmcnt(0) lgkmcnt(0)
	buffer_store_dword v4, off, s[0:3], 0 offset:812
	buffer_store_dword v3, off, s[0:3], 0 offset:808
	;; [unrolled: 1-line block ×4, first 2 shown]
	v_add_co_u32 v107, vcc_lo, s6, v107
	v_add_co_ci_u32_e64 v108, null, s7, v108, vcc_lo
	v_lshlrev_b64 v[109:110], 4, v[111:112]
	v_add_nc_u32_e32 v111, s13, v111
	s_movk_i32 s13, 0xc0
	flat_load_dwordx4 v[1:4], v[107:108]
	s_waitcnt vmcnt(0) lgkmcnt(0)
	buffer_store_dword v4, off, s[0:3], 0 offset:828
	buffer_store_dword v3, off, s[0:3], 0 offset:824
	;; [unrolled: 1-line block ×4, first 2 shown]
	v_add_co_u32 v109, vcc_lo, s6, v109
	v_add_co_ci_u32_e64 v110, null, s7, v110, vcc_lo
	v_ashrrev_i32_e32 v112, 31, v111
	flat_load_dwordx4 v[1:4], v[109:110]
	s_waitcnt vmcnt(0) lgkmcnt(0)
	buffer_store_dword v4, off, s[0:3], 0 offset:844
	buffer_store_dword v3, off, s[0:3], 0 offset:840
	buffer_store_dword v2, off, s[0:3], 0 offset:836
	buffer_store_dword v1, off, s[0:3], 0 offset:832
	v_lshlrev_b64 v[111:112], 4, v[111:112]
	v_add_co_u32 v111, vcc_lo, s6, v111
	v_add_co_ci_u32_e64 v112, null, s7, v112, vcc_lo
	s_movk_i32 s6, 0x70
	s_movk_i32 s7, 0x80
	flat_load_dwordx4 v[1:4], v[111:112]
	s_waitcnt vmcnt(0) lgkmcnt(0)
	buffer_store_dword v4, off, s[0:3], 0 offset:860
	buffer_store_dword v3, off, s[0:3], 0 offset:856
	;; [unrolled: 1-line block ×4, first 2 shown]
	s_cbranch_scc1 .LBB117_7
; %bb.2:
	v_lshl_add_u32 v120, v0, 4, 0
                                        ; implicit-def: $vgpr115_vgpr116
                                        ; implicit-def: $vgpr3_vgpr4
	s_clause 0x3
	buffer_load_dword v113, v120, s[0:3], 0 offen
	buffer_load_dword v114, v120, s[0:3], 0 offen offset:4
	buffer_load_dword v117, v120, s[0:3], 0 offen offset:8
	;; [unrolled: 1-line block ×3, first 2 shown]
	s_waitcnt vmcnt(0)
	v_cmp_ngt_f64_e64 s9, |v[113:114]|, |v[117:118]|
	s_and_saveexec_b32 s33, s9
	s_xor_b32 s9, exec_lo, s33
	s_cbranch_execz .LBB117_4
; %bb.3:
	v_div_scale_f64 v[1:2], null, v[117:118], v[117:118], v[113:114]
	v_div_scale_f64 v[121:122], vcc_lo, v[113:114], v[117:118], v[113:114]
	v_rcp_f64_e32 v[3:4], v[1:2]
	v_fma_f64 v[115:116], -v[1:2], v[3:4], 1.0
	v_fma_f64 v[3:4], v[3:4], v[115:116], v[3:4]
	v_fma_f64 v[115:116], -v[1:2], v[3:4], 1.0
	v_fma_f64 v[3:4], v[3:4], v[115:116], v[3:4]
	v_mul_f64 v[115:116], v[121:122], v[3:4]
	v_fma_f64 v[1:2], -v[1:2], v[115:116], v[121:122]
	v_div_fmas_f64 v[1:2], v[1:2], v[3:4], v[115:116]
	v_div_fixup_f64 v[1:2], v[1:2], v[117:118], v[113:114]
	v_fma_f64 v[3:4], v[113:114], v[1:2], v[117:118]
	v_div_scale_f64 v[113:114], null, v[3:4], v[3:4], 1.0
	v_div_scale_f64 v[121:122], vcc_lo, 1.0, v[3:4], 1.0
	v_rcp_f64_e32 v[115:116], v[113:114]
	v_fma_f64 v[117:118], -v[113:114], v[115:116], 1.0
	v_fma_f64 v[115:116], v[115:116], v[117:118], v[115:116]
	v_fma_f64 v[117:118], -v[113:114], v[115:116], 1.0
	v_fma_f64 v[115:116], v[115:116], v[117:118], v[115:116]
	v_mul_f64 v[117:118], v[121:122], v[115:116]
	v_fma_f64 v[113:114], -v[113:114], v[117:118], v[121:122]
	v_div_fmas_f64 v[113:114], v[113:114], v[115:116], v[117:118]
                                        ; implicit-def: $vgpr117_vgpr118
	v_div_fixup_f64 v[3:4], v[113:114], v[3:4], 1.0
                                        ; implicit-def: $vgpr113_vgpr114
	v_mul_f64 v[115:116], v[1:2], v[3:4]
	v_xor_b32_e32 v4, 0x80000000, v4
	v_xor_b32_e32 v2, 0x80000000, v116
	v_mov_b32_e32 v1, v115
.LBB117_4:
	s_andn2_saveexec_b32 s9, s9
	s_cbranch_execz .LBB117_6
; %bb.5:
	v_div_scale_f64 v[1:2], null, v[113:114], v[113:114], v[117:118]
	v_div_scale_f64 v[121:122], vcc_lo, v[117:118], v[113:114], v[117:118]
	v_rcp_f64_e32 v[3:4], v[1:2]
	v_fma_f64 v[115:116], -v[1:2], v[3:4], 1.0
	v_fma_f64 v[3:4], v[3:4], v[115:116], v[3:4]
	v_fma_f64 v[115:116], -v[1:2], v[3:4], 1.0
	v_fma_f64 v[3:4], v[3:4], v[115:116], v[3:4]
	v_mul_f64 v[115:116], v[121:122], v[3:4]
	v_fma_f64 v[1:2], -v[1:2], v[115:116], v[121:122]
	v_div_fmas_f64 v[1:2], v[1:2], v[3:4], v[115:116]
	v_div_fixup_f64 v[1:2], v[1:2], v[113:114], v[117:118]
	v_fma_f64 v[3:4], v[117:118], v[1:2], v[113:114]
	v_div_scale_f64 v[113:114], null, v[3:4], v[3:4], 1.0
	v_rcp_f64_e32 v[115:116], v[113:114]
	v_fma_f64 v[117:118], -v[113:114], v[115:116], 1.0
	v_fma_f64 v[115:116], v[115:116], v[117:118], v[115:116]
	v_fma_f64 v[117:118], -v[113:114], v[115:116], 1.0
	v_fma_f64 v[115:116], v[115:116], v[117:118], v[115:116]
	v_div_scale_f64 v[117:118], vcc_lo, 1.0, v[3:4], 1.0
	v_mul_f64 v[121:122], v[117:118], v[115:116]
	v_fma_f64 v[113:114], -v[113:114], v[121:122], v[117:118]
	v_div_fmas_f64 v[113:114], v[113:114], v[115:116], v[121:122]
	v_div_fixup_f64 v[115:116], v[113:114], v[3:4], 1.0
	v_mul_f64 v[3:4], v[1:2], -v[115:116]
	v_xor_b32_e32 v2, 0x80000000, v116
	v_mov_b32_e32 v1, v115
.LBB117_6:
	s_or_b32 exec_lo, exec_lo, s9
	buffer_store_dword v4, v120, s[0:3], 0 offen offset:12
	v_xor_b32_e32 v4, 0x80000000, v4
	buffer_store_dword v116, v120, s[0:3], 0 offen offset:4
	buffer_store_dword v115, v120, s[0:3], 0 offen
	buffer_store_dword v3, v120, s[0:3], 0 offen offset:8
	s_branch .LBB117_8
.LBB117_7:
	v_mov_b32_e32 v1, 0
	v_mov_b32_e32 v3, 0
	;; [unrolled: 1-line block ×4, first 2 shown]
.LBB117_8:
	v_add_nc_u32_e32 v114, 0x360, v119
	v_mov_b32_e32 v113, v119
	s_mov_b32 s61, 16
	s_mov_b32 s60, 32
	;; [unrolled: 1-line block ×52, first 2 shown]
	s_cmpk_eq_i32 s8, 0x79
	ds_write_b128 v119, v[1:4]
	s_cbranch_scc1 .LBB117_428
; %bb.9:
	v_mov_b32_e32 v4, s9
	v_cmp_eq_u32_e64 s4, 53, v0
	s_clause 0x3
	buffer_load_dword v1, v4, s[0:3], 0 offen
	buffer_load_dword v2, v4, s[0:3], 0 offen offset:4
	buffer_load_dword v3, v4, s[0:3], 0 offen offset:8
	;; [unrolled: 1-line block ×3, first 2 shown]
	s_waitcnt vmcnt(0)
	ds_write_b128 v114, v[1:4]
	s_waitcnt lgkmcnt(0)
	s_waitcnt_vscnt null, 0x0
	s_barrier
	buffer_gl0_inv
	s_and_saveexec_b32 s5, s4
	s_cbranch_execz .LBB117_13
; %bb.10:
	ds_read_b128 v[1:4], v114
	s_andn2_b32 vcc_lo, exec_lo, s62
	s_cbranch_vccnz .LBB117_12
; %bb.11:
	s_clause 0x3
	buffer_load_dword v115, v113, s[0:3], 0 offen offset:8
	buffer_load_dword v116, v113, s[0:3], 0 offen offset:12
	buffer_load_dword v117, v113, s[0:3], 0 offen
	buffer_load_dword v118, v113, s[0:3], 0 offen offset:4
	s_waitcnt vmcnt(2) lgkmcnt(0)
	v_mul_f64 v[120:121], v[3:4], v[115:116]
	v_mul_f64 v[115:116], v[1:2], v[115:116]
	s_waitcnt vmcnt(0)
	v_fma_f64 v[1:2], v[1:2], v[117:118], -v[120:121]
	v_fma_f64 v[3:4], v[3:4], v[117:118], v[115:116]
.LBB117_12:
	v_mov_b32_e32 v115, 0
	ds_read_b128 v[115:118], v115 offset:832
	s_waitcnt lgkmcnt(0)
	v_mul_f64 v[120:121], v[3:4], v[117:118]
	v_mul_f64 v[117:118], v[1:2], v[117:118]
	v_fma_f64 v[1:2], v[1:2], v[115:116], -v[120:121]
	v_fma_f64 v[3:4], v[3:4], v[115:116], v[117:118]
	buffer_store_dword v2, off, s[0:3], 0 offset:836
	buffer_store_dword v1, off, s[0:3], 0 offset:832
	;; [unrolled: 1-line block ×4, first 2 shown]
.LBB117_13:
	s_or_b32 exec_lo, exec_lo, s5
	v_mov_b32_e32 v4, s10
	v_cmp_lt_u32_e64 s5, 51, v0
	s_clause 0x3
	buffer_load_dword v1, v4, s[0:3], 0 offen
	buffer_load_dword v2, v4, s[0:3], 0 offen offset:4
	buffer_load_dword v3, v4, s[0:3], 0 offen offset:8
	;; [unrolled: 1-line block ×3, first 2 shown]
	s_waitcnt vmcnt(0)
	ds_write_b128 v114, v[1:4]
	s_waitcnt lgkmcnt(0)
	s_waitcnt_vscnt null, 0x0
	s_barrier
	buffer_gl0_inv
	s_and_saveexec_b32 s6, s5
	s_cbranch_execz .LBB117_19
; %bb.14:
	ds_read_b128 v[1:4], v114
	s_andn2_b32 vcc_lo, exec_lo, s62
	s_cbranch_vccnz .LBB117_16
; %bb.15:
	s_clause 0x3
	buffer_load_dword v115, v113, s[0:3], 0 offen offset:8
	buffer_load_dword v116, v113, s[0:3], 0 offen offset:12
	buffer_load_dword v117, v113, s[0:3], 0 offen
	buffer_load_dword v118, v113, s[0:3], 0 offen offset:4
	s_waitcnt vmcnt(2) lgkmcnt(0)
	v_mul_f64 v[120:121], v[3:4], v[115:116]
	v_mul_f64 v[115:116], v[1:2], v[115:116]
	s_waitcnt vmcnt(0)
	v_fma_f64 v[1:2], v[1:2], v[117:118], -v[120:121]
	v_fma_f64 v[3:4], v[3:4], v[117:118], v[115:116]
.LBB117_16:
	s_and_saveexec_b32 s8, s4
	s_cbranch_execz .LBB117_18
; %bb.17:
	s_clause 0x3
	buffer_load_dword v120, off, s[0:3], 0 offset:840
	buffer_load_dword v121, off, s[0:3], 0 offset:844
	;; [unrolled: 1-line block ×4, first 2 shown]
	v_mov_b32_e32 v115, 0
	ds_read_b128 v[115:118], v115 offset:1696
	s_waitcnt vmcnt(2) lgkmcnt(0)
	v_mul_f64 v[124:125], v[115:116], v[120:121]
	v_mul_f64 v[120:121], v[117:118], v[120:121]
	s_waitcnt vmcnt(0)
	v_fma_f64 v[117:118], v[117:118], v[122:123], v[124:125]
	v_fma_f64 v[115:116], v[115:116], v[122:123], -v[120:121]
	v_add_f64 v[3:4], v[3:4], v[117:118]
	v_add_f64 v[1:2], v[1:2], v[115:116]
.LBB117_18:
	s_or_b32 exec_lo, exec_lo, s8
	v_mov_b32_e32 v115, 0
	ds_read_b128 v[115:118], v115 offset:816
	s_waitcnt lgkmcnt(0)
	v_mul_f64 v[120:121], v[3:4], v[117:118]
	v_mul_f64 v[117:118], v[1:2], v[117:118]
	v_fma_f64 v[1:2], v[1:2], v[115:116], -v[120:121]
	v_fma_f64 v[3:4], v[3:4], v[115:116], v[117:118]
	buffer_store_dword v2, off, s[0:3], 0 offset:820
	buffer_store_dword v1, off, s[0:3], 0 offset:816
	;; [unrolled: 1-line block ×4, first 2 shown]
.LBB117_19:
	s_or_b32 exec_lo, exec_lo, s6
	v_mov_b32_e32 v4, s11
	v_cmp_lt_u32_e64 s4, 50, v0
	s_clause 0x3
	buffer_load_dword v1, v4, s[0:3], 0 offen
	buffer_load_dword v2, v4, s[0:3], 0 offen offset:4
	buffer_load_dword v3, v4, s[0:3], 0 offen offset:8
	;; [unrolled: 1-line block ×3, first 2 shown]
	s_waitcnt vmcnt(0)
	ds_write_b128 v114, v[1:4]
	s_waitcnt lgkmcnt(0)
	s_waitcnt_vscnt null, 0x0
	s_barrier
	buffer_gl0_inv
	s_and_saveexec_b32 s6, s4
	s_cbranch_execz .LBB117_27
; %bb.20:
	ds_read_b128 v[1:4], v114
	s_andn2_b32 vcc_lo, exec_lo, s62
	s_cbranch_vccnz .LBB117_22
; %bb.21:
	s_clause 0x3
	buffer_load_dword v115, v113, s[0:3], 0 offen offset:8
	buffer_load_dword v116, v113, s[0:3], 0 offen offset:12
	buffer_load_dword v117, v113, s[0:3], 0 offen
	buffer_load_dword v118, v113, s[0:3], 0 offen offset:4
	s_waitcnt vmcnt(2) lgkmcnt(0)
	v_mul_f64 v[120:121], v[3:4], v[115:116]
	v_mul_f64 v[115:116], v[1:2], v[115:116]
	s_waitcnt vmcnt(0)
	v_fma_f64 v[1:2], v[1:2], v[117:118], -v[120:121]
	v_fma_f64 v[3:4], v[3:4], v[117:118], v[115:116]
.LBB117_22:
	s_and_saveexec_b32 s8, s5
	s_cbranch_execz .LBB117_26
; %bb.23:
	v_subrev_nc_u32_e32 v115, 51, v0
	s_movk_i32 s63, 0x690
	s_mov_b32 s5, 0
	s_mov_b32 s64, s10
	.p2align	6
.LBB117_24:                             ; =>This Inner Loop Header: Depth=1
	v_mov_b32_e32 v118, s64
	v_add_nc_u32_e32 v115, -1, v115
	s_add_i32 s64, s64, 16
	s_clause 0x3
	buffer_load_dword v116, v118, s[0:3], 0 offen offset:8
	buffer_load_dword v117, v118, s[0:3], 0 offen offset:12
	buffer_load_dword v124, v118, s[0:3], 0 offen
	buffer_load_dword v125, v118, s[0:3], 0 offen offset:4
	v_mov_b32_e32 v118, s63
	v_cmp_eq_u32_e32 vcc_lo, 0, v115
	s_add_i32 s63, s63, 16
	ds_read_b128 v[120:123], v118
	s_or_b32 s5, vcc_lo, s5
	s_waitcnt vmcnt(2) lgkmcnt(0)
	v_mul_f64 v[126:127], v[122:123], v[116:117]
	v_mul_f64 v[116:117], v[120:121], v[116:117]
	s_waitcnt vmcnt(0)
	v_fma_f64 v[120:121], v[120:121], v[124:125], -v[126:127]
	v_fma_f64 v[116:117], v[122:123], v[124:125], v[116:117]
	v_add_f64 v[1:2], v[1:2], v[120:121]
	v_add_f64 v[3:4], v[3:4], v[116:117]
	s_andn2_b32 exec_lo, exec_lo, s5
	s_cbranch_execnz .LBB117_24
; %bb.25:
	s_or_b32 exec_lo, exec_lo, s5
.LBB117_26:
	s_or_b32 exec_lo, exec_lo, s8
	v_mov_b32_e32 v115, 0
	ds_read_b128 v[115:118], v115 offset:800
	s_waitcnt lgkmcnt(0)
	v_mul_f64 v[120:121], v[3:4], v[117:118]
	v_mul_f64 v[117:118], v[1:2], v[117:118]
	v_fma_f64 v[1:2], v[1:2], v[115:116], -v[120:121]
	v_fma_f64 v[3:4], v[3:4], v[115:116], v[117:118]
	buffer_store_dword v2, off, s[0:3], 0 offset:804
	buffer_store_dword v1, off, s[0:3], 0 offset:800
	;; [unrolled: 1-line block ×4, first 2 shown]
.LBB117_27:
	s_or_b32 exec_lo, exec_lo, s6
	v_mov_b32_e32 v4, s12
	v_cmp_lt_u32_e64 s5, 49, v0
	s_clause 0x3
	buffer_load_dword v1, v4, s[0:3], 0 offen
	buffer_load_dword v2, v4, s[0:3], 0 offen offset:4
	buffer_load_dword v3, v4, s[0:3], 0 offen offset:8
	;; [unrolled: 1-line block ×3, first 2 shown]
	s_waitcnt vmcnt(0)
	ds_write_b128 v114, v[1:4]
	s_waitcnt lgkmcnt(0)
	s_waitcnt_vscnt null, 0x0
	s_barrier
	buffer_gl0_inv
	s_and_saveexec_b32 s6, s5
	s_cbranch_execz .LBB117_35
; %bb.28:
	ds_read_b128 v[1:4], v114
	s_andn2_b32 vcc_lo, exec_lo, s62
	s_cbranch_vccnz .LBB117_30
; %bb.29:
	s_clause 0x3
	buffer_load_dword v115, v113, s[0:3], 0 offen offset:8
	buffer_load_dword v116, v113, s[0:3], 0 offen offset:12
	buffer_load_dword v117, v113, s[0:3], 0 offen
	buffer_load_dword v118, v113, s[0:3], 0 offen offset:4
	s_waitcnt vmcnt(2) lgkmcnt(0)
	v_mul_f64 v[120:121], v[3:4], v[115:116]
	v_mul_f64 v[115:116], v[1:2], v[115:116]
	s_waitcnt vmcnt(0)
	v_fma_f64 v[1:2], v[1:2], v[117:118], -v[120:121]
	v_fma_f64 v[3:4], v[3:4], v[117:118], v[115:116]
.LBB117_30:
	s_and_saveexec_b32 s8, s4
	s_cbranch_execz .LBB117_34
; %bb.31:
	v_subrev_nc_u32_e32 v115, 50, v0
	s_movk_i32 s63, 0x680
	s_mov_b32 s4, 0
	s_mov_b32 s64, s11
	.p2align	6
.LBB117_32:                             ; =>This Inner Loop Header: Depth=1
	v_mov_b32_e32 v118, s64
	v_add_nc_u32_e32 v115, -1, v115
	s_add_i32 s64, s64, 16
	s_clause 0x3
	buffer_load_dword v116, v118, s[0:3], 0 offen offset:8
	buffer_load_dword v117, v118, s[0:3], 0 offen offset:12
	buffer_load_dword v124, v118, s[0:3], 0 offen
	buffer_load_dword v125, v118, s[0:3], 0 offen offset:4
	v_mov_b32_e32 v118, s63
	v_cmp_eq_u32_e32 vcc_lo, 0, v115
	s_add_i32 s63, s63, 16
	ds_read_b128 v[120:123], v118
	s_or_b32 s4, vcc_lo, s4
	s_waitcnt vmcnt(2) lgkmcnt(0)
	v_mul_f64 v[126:127], v[122:123], v[116:117]
	v_mul_f64 v[116:117], v[120:121], v[116:117]
	s_waitcnt vmcnt(0)
	v_fma_f64 v[120:121], v[120:121], v[124:125], -v[126:127]
	v_fma_f64 v[116:117], v[122:123], v[124:125], v[116:117]
	v_add_f64 v[1:2], v[1:2], v[120:121]
	v_add_f64 v[3:4], v[3:4], v[116:117]
	s_andn2_b32 exec_lo, exec_lo, s4
	s_cbranch_execnz .LBB117_32
; %bb.33:
	s_or_b32 exec_lo, exec_lo, s4
.LBB117_34:
	s_or_b32 exec_lo, exec_lo, s8
	v_mov_b32_e32 v115, 0
	ds_read_b128 v[115:118], v115 offset:784
	s_waitcnt lgkmcnt(0)
	v_mul_f64 v[120:121], v[3:4], v[117:118]
	v_mul_f64 v[117:118], v[1:2], v[117:118]
	v_fma_f64 v[1:2], v[1:2], v[115:116], -v[120:121]
	v_fma_f64 v[3:4], v[3:4], v[115:116], v[117:118]
	buffer_store_dword v2, off, s[0:3], 0 offset:788
	buffer_store_dword v1, off, s[0:3], 0 offset:784
	;; [unrolled: 1-line block ×4, first 2 shown]
.LBB117_35:
	s_or_b32 exec_lo, exec_lo, s6
	v_mov_b32_e32 v4, s13
	v_cmp_lt_u32_e64 s4, 48, v0
	s_clause 0x3
	buffer_load_dword v1, v4, s[0:3], 0 offen
	buffer_load_dword v2, v4, s[0:3], 0 offen offset:4
	buffer_load_dword v3, v4, s[0:3], 0 offen offset:8
	;; [unrolled: 1-line block ×3, first 2 shown]
	s_waitcnt vmcnt(0)
	ds_write_b128 v114, v[1:4]
	s_waitcnt lgkmcnt(0)
	s_waitcnt_vscnt null, 0x0
	s_barrier
	buffer_gl0_inv
	s_and_saveexec_b32 s6, s4
	s_cbranch_execz .LBB117_43
; %bb.36:
	ds_read_b128 v[1:4], v114
	s_andn2_b32 vcc_lo, exec_lo, s62
	s_cbranch_vccnz .LBB117_38
; %bb.37:
	s_clause 0x3
	buffer_load_dword v115, v113, s[0:3], 0 offen offset:8
	buffer_load_dword v116, v113, s[0:3], 0 offen offset:12
	buffer_load_dword v117, v113, s[0:3], 0 offen
	buffer_load_dword v118, v113, s[0:3], 0 offen offset:4
	s_waitcnt vmcnt(2) lgkmcnt(0)
	v_mul_f64 v[120:121], v[3:4], v[115:116]
	v_mul_f64 v[115:116], v[1:2], v[115:116]
	s_waitcnt vmcnt(0)
	v_fma_f64 v[1:2], v[1:2], v[117:118], -v[120:121]
	v_fma_f64 v[3:4], v[3:4], v[117:118], v[115:116]
.LBB117_38:
	s_and_saveexec_b32 s8, s5
	s_cbranch_execz .LBB117_42
; %bb.39:
	v_subrev_nc_u32_e32 v115, 49, v0
	s_movk_i32 s63, 0x670
	s_mov_b32 s5, 0
	s_mov_b32 s64, s12
	.p2align	6
.LBB117_40:                             ; =>This Inner Loop Header: Depth=1
	v_mov_b32_e32 v118, s64
	v_add_nc_u32_e32 v115, -1, v115
	s_add_i32 s64, s64, 16
	s_clause 0x3
	buffer_load_dword v116, v118, s[0:3], 0 offen offset:8
	buffer_load_dword v117, v118, s[0:3], 0 offen offset:12
	buffer_load_dword v124, v118, s[0:3], 0 offen
	buffer_load_dword v125, v118, s[0:3], 0 offen offset:4
	v_mov_b32_e32 v118, s63
	v_cmp_eq_u32_e32 vcc_lo, 0, v115
	s_add_i32 s63, s63, 16
	ds_read_b128 v[120:123], v118
	s_or_b32 s5, vcc_lo, s5
	s_waitcnt vmcnt(2) lgkmcnt(0)
	v_mul_f64 v[126:127], v[122:123], v[116:117]
	v_mul_f64 v[116:117], v[120:121], v[116:117]
	s_waitcnt vmcnt(0)
	v_fma_f64 v[120:121], v[120:121], v[124:125], -v[126:127]
	v_fma_f64 v[116:117], v[122:123], v[124:125], v[116:117]
	v_add_f64 v[1:2], v[1:2], v[120:121]
	v_add_f64 v[3:4], v[3:4], v[116:117]
	s_andn2_b32 exec_lo, exec_lo, s5
	s_cbranch_execnz .LBB117_40
; %bb.41:
	s_or_b32 exec_lo, exec_lo, s5
.LBB117_42:
	s_or_b32 exec_lo, exec_lo, s8
	v_mov_b32_e32 v115, 0
	ds_read_b128 v[115:118], v115 offset:768
	s_waitcnt lgkmcnt(0)
	v_mul_f64 v[120:121], v[3:4], v[117:118]
	v_mul_f64 v[117:118], v[1:2], v[117:118]
	v_fma_f64 v[1:2], v[1:2], v[115:116], -v[120:121]
	v_fma_f64 v[3:4], v[3:4], v[115:116], v[117:118]
	buffer_store_dword v2, off, s[0:3], 0 offset:772
	buffer_store_dword v1, off, s[0:3], 0 offset:768
	;; [unrolled: 1-line block ×4, first 2 shown]
.LBB117_43:
	s_or_b32 exec_lo, exec_lo, s6
	v_mov_b32_e32 v4, s14
	v_cmp_lt_u32_e64 s5, 47, v0
	s_clause 0x3
	buffer_load_dword v1, v4, s[0:3], 0 offen
	buffer_load_dword v2, v4, s[0:3], 0 offen offset:4
	buffer_load_dword v3, v4, s[0:3], 0 offen offset:8
	;; [unrolled: 1-line block ×3, first 2 shown]
	s_waitcnt vmcnt(0)
	ds_write_b128 v114, v[1:4]
	s_waitcnt lgkmcnt(0)
	s_waitcnt_vscnt null, 0x0
	s_barrier
	buffer_gl0_inv
	s_and_saveexec_b32 s6, s5
	s_cbranch_execz .LBB117_51
; %bb.44:
	ds_read_b128 v[1:4], v114
	s_andn2_b32 vcc_lo, exec_lo, s62
	s_cbranch_vccnz .LBB117_46
; %bb.45:
	s_clause 0x3
	buffer_load_dword v115, v113, s[0:3], 0 offen offset:8
	buffer_load_dword v116, v113, s[0:3], 0 offen offset:12
	buffer_load_dword v117, v113, s[0:3], 0 offen
	buffer_load_dword v118, v113, s[0:3], 0 offen offset:4
	s_waitcnt vmcnt(2) lgkmcnt(0)
	v_mul_f64 v[120:121], v[3:4], v[115:116]
	v_mul_f64 v[115:116], v[1:2], v[115:116]
	s_waitcnt vmcnt(0)
	v_fma_f64 v[1:2], v[1:2], v[117:118], -v[120:121]
	v_fma_f64 v[3:4], v[3:4], v[117:118], v[115:116]
.LBB117_46:
	s_and_saveexec_b32 s8, s4
	s_cbranch_execz .LBB117_50
; %bb.47:
	v_subrev_nc_u32_e32 v115, 48, v0
	s_movk_i32 s63, 0x660
	s_mov_b32 s4, 0
	s_mov_b32 s64, s13
	.p2align	6
.LBB117_48:                             ; =>This Inner Loop Header: Depth=1
	v_mov_b32_e32 v118, s64
	v_add_nc_u32_e32 v115, -1, v115
	s_add_i32 s64, s64, 16
	s_clause 0x3
	buffer_load_dword v116, v118, s[0:3], 0 offen offset:8
	buffer_load_dword v117, v118, s[0:3], 0 offen offset:12
	buffer_load_dword v124, v118, s[0:3], 0 offen
	buffer_load_dword v125, v118, s[0:3], 0 offen offset:4
	v_mov_b32_e32 v118, s63
	v_cmp_eq_u32_e32 vcc_lo, 0, v115
	s_add_i32 s63, s63, 16
	ds_read_b128 v[120:123], v118
	s_or_b32 s4, vcc_lo, s4
	s_waitcnt vmcnt(2) lgkmcnt(0)
	v_mul_f64 v[126:127], v[122:123], v[116:117]
	v_mul_f64 v[116:117], v[120:121], v[116:117]
	s_waitcnt vmcnt(0)
	v_fma_f64 v[120:121], v[120:121], v[124:125], -v[126:127]
	v_fma_f64 v[116:117], v[122:123], v[124:125], v[116:117]
	v_add_f64 v[1:2], v[1:2], v[120:121]
	v_add_f64 v[3:4], v[3:4], v[116:117]
	s_andn2_b32 exec_lo, exec_lo, s4
	s_cbranch_execnz .LBB117_48
; %bb.49:
	s_or_b32 exec_lo, exec_lo, s4
.LBB117_50:
	s_or_b32 exec_lo, exec_lo, s8
	v_mov_b32_e32 v115, 0
	ds_read_b128 v[115:118], v115 offset:752
	s_waitcnt lgkmcnt(0)
	v_mul_f64 v[120:121], v[3:4], v[117:118]
	v_mul_f64 v[117:118], v[1:2], v[117:118]
	v_fma_f64 v[1:2], v[1:2], v[115:116], -v[120:121]
	v_fma_f64 v[3:4], v[3:4], v[115:116], v[117:118]
	buffer_store_dword v2, off, s[0:3], 0 offset:756
	buffer_store_dword v1, off, s[0:3], 0 offset:752
	;; [unrolled: 1-line block ×4, first 2 shown]
.LBB117_51:
	s_or_b32 exec_lo, exec_lo, s6
	v_mov_b32_e32 v4, s15
	v_cmp_lt_u32_e64 s4, 46, v0
	s_clause 0x3
	buffer_load_dword v1, v4, s[0:3], 0 offen
	buffer_load_dword v2, v4, s[0:3], 0 offen offset:4
	buffer_load_dword v3, v4, s[0:3], 0 offen offset:8
	;; [unrolled: 1-line block ×3, first 2 shown]
	s_waitcnt vmcnt(0)
	ds_write_b128 v114, v[1:4]
	s_waitcnt lgkmcnt(0)
	s_waitcnt_vscnt null, 0x0
	s_barrier
	buffer_gl0_inv
	s_and_saveexec_b32 s6, s4
	s_cbranch_execz .LBB117_59
; %bb.52:
	ds_read_b128 v[1:4], v114
	s_andn2_b32 vcc_lo, exec_lo, s62
	s_cbranch_vccnz .LBB117_54
; %bb.53:
	s_clause 0x3
	buffer_load_dword v115, v113, s[0:3], 0 offen offset:8
	buffer_load_dword v116, v113, s[0:3], 0 offen offset:12
	buffer_load_dword v117, v113, s[0:3], 0 offen
	buffer_load_dword v118, v113, s[0:3], 0 offen offset:4
	s_waitcnt vmcnt(2) lgkmcnt(0)
	v_mul_f64 v[120:121], v[3:4], v[115:116]
	v_mul_f64 v[115:116], v[1:2], v[115:116]
	s_waitcnt vmcnt(0)
	v_fma_f64 v[1:2], v[1:2], v[117:118], -v[120:121]
	v_fma_f64 v[3:4], v[3:4], v[117:118], v[115:116]
.LBB117_54:
	s_and_saveexec_b32 s8, s5
	s_cbranch_execz .LBB117_58
; %bb.55:
	v_subrev_nc_u32_e32 v115, 47, v0
	s_movk_i32 s63, 0x650
	s_mov_b32 s5, 0
	s_mov_b32 s64, s14
	.p2align	6
.LBB117_56:                             ; =>This Inner Loop Header: Depth=1
	v_mov_b32_e32 v118, s64
	v_add_nc_u32_e32 v115, -1, v115
	s_add_i32 s64, s64, 16
	s_clause 0x3
	buffer_load_dword v116, v118, s[0:3], 0 offen offset:8
	buffer_load_dword v117, v118, s[0:3], 0 offen offset:12
	buffer_load_dword v124, v118, s[0:3], 0 offen
	buffer_load_dword v125, v118, s[0:3], 0 offen offset:4
	v_mov_b32_e32 v118, s63
	v_cmp_eq_u32_e32 vcc_lo, 0, v115
	s_add_i32 s63, s63, 16
	ds_read_b128 v[120:123], v118
	s_or_b32 s5, vcc_lo, s5
	s_waitcnt vmcnt(2) lgkmcnt(0)
	v_mul_f64 v[126:127], v[122:123], v[116:117]
	v_mul_f64 v[116:117], v[120:121], v[116:117]
	s_waitcnt vmcnt(0)
	v_fma_f64 v[120:121], v[120:121], v[124:125], -v[126:127]
	v_fma_f64 v[116:117], v[122:123], v[124:125], v[116:117]
	v_add_f64 v[1:2], v[1:2], v[120:121]
	v_add_f64 v[3:4], v[3:4], v[116:117]
	s_andn2_b32 exec_lo, exec_lo, s5
	s_cbranch_execnz .LBB117_56
; %bb.57:
	s_or_b32 exec_lo, exec_lo, s5
.LBB117_58:
	s_or_b32 exec_lo, exec_lo, s8
	v_mov_b32_e32 v115, 0
	ds_read_b128 v[115:118], v115 offset:736
	s_waitcnt lgkmcnt(0)
	v_mul_f64 v[120:121], v[3:4], v[117:118]
	v_mul_f64 v[117:118], v[1:2], v[117:118]
	v_fma_f64 v[1:2], v[1:2], v[115:116], -v[120:121]
	v_fma_f64 v[3:4], v[3:4], v[115:116], v[117:118]
	buffer_store_dword v2, off, s[0:3], 0 offset:740
	buffer_store_dword v1, off, s[0:3], 0 offset:736
	;; [unrolled: 1-line block ×4, first 2 shown]
.LBB117_59:
	s_or_b32 exec_lo, exec_lo, s6
	v_mov_b32_e32 v4, s16
	v_cmp_lt_u32_e64 s5, 45, v0
	s_clause 0x3
	buffer_load_dword v1, v4, s[0:3], 0 offen
	buffer_load_dword v2, v4, s[0:3], 0 offen offset:4
	buffer_load_dword v3, v4, s[0:3], 0 offen offset:8
	;; [unrolled: 1-line block ×3, first 2 shown]
	s_waitcnt vmcnt(0)
	ds_write_b128 v114, v[1:4]
	s_waitcnt lgkmcnt(0)
	s_waitcnt_vscnt null, 0x0
	s_barrier
	buffer_gl0_inv
	s_and_saveexec_b32 s6, s5
	s_cbranch_execz .LBB117_67
; %bb.60:
	ds_read_b128 v[1:4], v114
	s_andn2_b32 vcc_lo, exec_lo, s62
	s_cbranch_vccnz .LBB117_62
; %bb.61:
	s_clause 0x3
	buffer_load_dword v115, v113, s[0:3], 0 offen offset:8
	buffer_load_dword v116, v113, s[0:3], 0 offen offset:12
	buffer_load_dword v117, v113, s[0:3], 0 offen
	buffer_load_dword v118, v113, s[0:3], 0 offen offset:4
	s_waitcnt vmcnt(2) lgkmcnt(0)
	v_mul_f64 v[120:121], v[3:4], v[115:116]
	v_mul_f64 v[115:116], v[1:2], v[115:116]
	s_waitcnt vmcnt(0)
	v_fma_f64 v[1:2], v[1:2], v[117:118], -v[120:121]
	v_fma_f64 v[3:4], v[3:4], v[117:118], v[115:116]
.LBB117_62:
	s_and_saveexec_b32 s8, s4
	s_cbranch_execz .LBB117_66
; %bb.63:
	v_subrev_nc_u32_e32 v115, 46, v0
	s_movk_i32 s63, 0x640
	s_mov_b32 s4, 0
	s_mov_b32 s64, s15
	.p2align	6
.LBB117_64:                             ; =>This Inner Loop Header: Depth=1
	v_mov_b32_e32 v118, s64
	v_add_nc_u32_e32 v115, -1, v115
	s_add_i32 s64, s64, 16
	s_clause 0x3
	buffer_load_dword v116, v118, s[0:3], 0 offen offset:8
	buffer_load_dword v117, v118, s[0:3], 0 offen offset:12
	buffer_load_dword v124, v118, s[0:3], 0 offen
	buffer_load_dword v125, v118, s[0:3], 0 offen offset:4
	v_mov_b32_e32 v118, s63
	v_cmp_eq_u32_e32 vcc_lo, 0, v115
	s_add_i32 s63, s63, 16
	ds_read_b128 v[120:123], v118
	s_or_b32 s4, vcc_lo, s4
	s_waitcnt vmcnt(2) lgkmcnt(0)
	v_mul_f64 v[126:127], v[122:123], v[116:117]
	v_mul_f64 v[116:117], v[120:121], v[116:117]
	s_waitcnt vmcnt(0)
	v_fma_f64 v[120:121], v[120:121], v[124:125], -v[126:127]
	v_fma_f64 v[116:117], v[122:123], v[124:125], v[116:117]
	v_add_f64 v[1:2], v[1:2], v[120:121]
	v_add_f64 v[3:4], v[3:4], v[116:117]
	s_andn2_b32 exec_lo, exec_lo, s4
	s_cbranch_execnz .LBB117_64
; %bb.65:
	s_or_b32 exec_lo, exec_lo, s4
.LBB117_66:
	s_or_b32 exec_lo, exec_lo, s8
	v_mov_b32_e32 v115, 0
	ds_read_b128 v[115:118], v115 offset:720
	s_waitcnt lgkmcnt(0)
	v_mul_f64 v[120:121], v[3:4], v[117:118]
	v_mul_f64 v[117:118], v[1:2], v[117:118]
	v_fma_f64 v[1:2], v[1:2], v[115:116], -v[120:121]
	v_fma_f64 v[3:4], v[3:4], v[115:116], v[117:118]
	buffer_store_dword v2, off, s[0:3], 0 offset:724
	buffer_store_dword v1, off, s[0:3], 0 offset:720
	;; [unrolled: 1-line block ×4, first 2 shown]
.LBB117_67:
	s_or_b32 exec_lo, exec_lo, s6
	v_mov_b32_e32 v4, s17
	v_cmp_lt_u32_e64 s4, 44, v0
	s_clause 0x3
	buffer_load_dword v1, v4, s[0:3], 0 offen
	buffer_load_dword v2, v4, s[0:3], 0 offen offset:4
	buffer_load_dword v3, v4, s[0:3], 0 offen offset:8
	;; [unrolled: 1-line block ×3, first 2 shown]
	s_waitcnt vmcnt(0)
	ds_write_b128 v114, v[1:4]
	s_waitcnt lgkmcnt(0)
	s_waitcnt_vscnt null, 0x0
	s_barrier
	buffer_gl0_inv
	s_and_saveexec_b32 s6, s4
	s_cbranch_execz .LBB117_75
; %bb.68:
	ds_read_b128 v[1:4], v114
	s_andn2_b32 vcc_lo, exec_lo, s62
	s_cbranch_vccnz .LBB117_70
; %bb.69:
	s_clause 0x3
	buffer_load_dword v115, v113, s[0:3], 0 offen offset:8
	buffer_load_dword v116, v113, s[0:3], 0 offen offset:12
	buffer_load_dword v117, v113, s[0:3], 0 offen
	buffer_load_dword v118, v113, s[0:3], 0 offen offset:4
	s_waitcnt vmcnt(2) lgkmcnt(0)
	v_mul_f64 v[120:121], v[3:4], v[115:116]
	v_mul_f64 v[115:116], v[1:2], v[115:116]
	s_waitcnt vmcnt(0)
	v_fma_f64 v[1:2], v[1:2], v[117:118], -v[120:121]
	v_fma_f64 v[3:4], v[3:4], v[117:118], v[115:116]
.LBB117_70:
	s_and_saveexec_b32 s8, s5
	s_cbranch_execz .LBB117_74
; %bb.71:
	v_subrev_nc_u32_e32 v115, 45, v0
	s_movk_i32 s63, 0x630
	s_mov_b32 s5, 0
	s_mov_b32 s64, s16
	.p2align	6
.LBB117_72:                             ; =>This Inner Loop Header: Depth=1
	v_mov_b32_e32 v118, s64
	v_add_nc_u32_e32 v115, -1, v115
	s_add_i32 s64, s64, 16
	s_clause 0x3
	buffer_load_dword v116, v118, s[0:3], 0 offen offset:8
	buffer_load_dword v117, v118, s[0:3], 0 offen offset:12
	buffer_load_dword v124, v118, s[0:3], 0 offen
	buffer_load_dword v125, v118, s[0:3], 0 offen offset:4
	v_mov_b32_e32 v118, s63
	v_cmp_eq_u32_e32 vcc_lo, 0, v115
	s_add_i32 s63, s63, 16
	ds_read_b128 v[120:123], v118
	s_or_b32 s5, vcc_lo, s5
	s_waitcnt vmcnt(2) lgkmcnt(0)
	v_mul_f64 v[126:127], v[122:123], v[116:117]
	v_mul_f64 v[116:117], v[120:121], v[116:117]
	s_waitcnt vmcnt(0)
	v_fma_f64 v[120:121], v[120:121], v[124:125], -v[126:127]
	v_fma_f64 v[116:117], v[122:123], v[124:125], v[116:117]
	v_add_f64 v[1:2], v[1:2], v[120:121]
	v_add_f64 v[3:4], v[3:4], v[116:117]
	s_andn2_b32 exec_lo, exec_lo, s5
	s_cbranch_execnz .LBB117_72
; %bb.73:
	s_or_b32 exec_lo, exec_lo, s5
.LBB117_74:
	s_or_b32 exec_lo, exec_lo, s8
	v_mov_b32_e32 v115, 0
	ds_read_b128 v[115:118], v115 offset:704
	s_waitcnt lgkmcnt(0)
	v_mul_f64 v[120:121], v[3:4], v[117:118]
	v_mul_f64 v[117:118], v[1:2], v[117:118]
	v_fma_f64 v[1:2], v[1:2], v[115:116], -v[120:121]
	v_fma_f64 v[3:4], v[3:4], v[115:116], v[117:118]
	buffer_store_dword v2, off, s[0:3], 0 offset:708
	buffer_store_dword v1, off, s[0:3], 0 offset:704
	;; [unrolled: 1-line block ×4, first 2 shown]
.LBB117_75:
	s_or_b32 exec_lo, exec_lo, s6
	v_mov_b32_e32 v4, s18
	v_cmp_lt_u32_e64 s5, 43, v0
	s_clause 0x3
	buffer_load_dword v1, v4, s[0:3], 0 offen
	buffer_load_dword v2, v4, s[0:3], 0 offen offset:4
	buffer_load_dword v3, v4, s[0:3], 0 offen offset:8
	;; [unrolled: 1-line block ×3, first 2 shown]
	s_waitcnt vmcnt(0)
	ds_write_b128 v114, v[1:4]
	s_waitcnt lgkmcnt(0)
	s_waitcnt_vscnt null, 0x0
	s_barrier
	buffer_gl0_inv
	s_and_saveexec_b32 s6, s5
	s_cbranch_execz .LBB117_83
; %bb.76:
	ds_read_b128 v[1:4], v114
	s_andn2_b32 vcc_lo, exec_lo, s62
	s_cbranch_vccnz .LBB117_78
; %bb.77:
	s_clause 0x3
	buffer_load_dword v115, v113, s[0:3], 0 offen offset:8
	buffer_load_dword v116, v113, s[0:3], 0 offen offset:12
	buffer_load_dword v117, v113, s[0:3], 0 offen
	buffer_load_dword v118, v113, s[0:3], 0 offen offset:4
	s_waitcnt vmcnt(2) lgkmcnt(0)
	v_mul_f64 v[120:121], v[3:4], v[115:116]
	v_mul_f64 v[115:116], v[1:2], v[115:116]
	s_waitcnt vmcnt(0)
	v_fma_f64 v[1:2], v[1:2], v[117:118], -v[120:121]
	v_fma_f64 v[3:4], v[3:4], v[117:118], v[115:116]
.LBB117_78:
	s_and_saveexec_b32 s8, s4
	s_cbranch_execz .LBB117_82
; %bb.79:
	v_subrev_nc_u32_e32 v115, 44, v0
	s_movk_i32 s63, 0x620
	s_mov_b32 s4, 0
	s_mov_b32 s64, s17
	.p2align	6
.LBB117_80:                             ; =>This Inner Loop Header: Depth=1
	v_mov_b32_e32 v118, s64
	v_add_nc_u32_e32 v115, -1, v115
	s_add_i32 s64, s64, 16
	s_clause 0x3
	buffer_load_dword v116, v118, s[0:3], 0 offen offset:8
	buffer_load_dword v117, v118, s[0:3], 0 offen offset:12
	buffer_load_dword v124, v118, s[0:3], 0 offen
	buffer_load_dword v125, v118, s[0:3], 0 offen offset:4
	v_mov_b32_e32 v118, s63
	v_cmp_eq_u32_e32 vcc_lo, 0, v115
	s_add_i32 s63, s63, 16
	ds_read_b128 v[120:123], v118
	s_or_b32 s4, vcc_lo, s4
	s_waitcnt vmcnt(2) lgkmcnt(0)
	v_mul_f64 v[126:127], v[122:123], v[116:117]
	v_mul_f64 v[116:117], v[120:121], v[116:117]
	s_waitcnt vmcnt(0)
	v_fma_f64 v[120:121], v[120:121], v[124:125], -v[126:127]
	v_fma_f64 v[116:117], v[122:123], v[124:125], v[116:117]
	v_add_f64 v[1:2], v[1:2], v[120:121]
	v_add_f64 v[3:4], v[3:4], v[116:117]
	s_andn2_b32 exec_lo, exec_lo, s4
	s_cbranch_execnz .LBB117_80
; %bb.81:
	s_or_b32 exec_lo, exec_lo, s4
.LBB117_82:
	s_or_b32 exec_lo, exec_lo, s8
	v_mov_b32_e32 v115, 0
	ds_read_b128 v[115:118], v115 offset:688
	s_waitcnt lgkmcnt(0)
	v_mul_f64 v[120:121], v[3:4], v[117:118]
	v_mul_f64 v[117:118], v[1:2], v[117:118]
	v_fma_f64 v[1:2], v[1:2], v[115:116], -v[120:121]
	v_fma_f64 v[3:4], v[3:4], v[115:116], v[117:118]
	buffer_store_dword v2, off, s[0:3], 0 offset:692
	buffer_store_dword v1, off, s[0:3], 0 offset:688
	;; [unrolled: 1-line block ×4, first 2 shown]
.LBB117_83:
	s_or_b32 exec_lo, exec_lo, s6
	v_mov_b32_e32 v4, s19
	v_cmp_lt_u32_e64 s4, 42, v0
	s_clause 0x3
	buffer_load_dword v1, v4, s[0:3], 0 offen
	buffer_load_dword v2, v4, s[0:3], 0 offen offset:4
	buffer_load_dword v3, v4, s[0:3], 0 offen offset:8
	;; [unrolled: 1-line block ×3, first 2 shown]
	s_waitcnt vmcnt(0)
	ds_write_b128 v114, v[1:4]
	s_waitcnt lgkmcnt(0)
	s_waitcnt_vscnt null, 0x0
	s_barrier
	buffer_gl0_inv
	s_and_saveexec_b32 s6, s4
	s_cbranch_execz .LBB117_91
; %bb.84:
	ds_read_b128 v[1:4], v114
	s_andn2_b32 vcc_lo, exec_lo, s62
	s_cbranch_vccnz .LBB117_86
; %bb.85:
	s_clause 0x3
	buffer_load_dword v115, v113, s[0:3], 0 offen offset:8
	buffer_load_dword v116, v113, s[0:3], 0 offen offset:12
	buffer_load_dword v117, v113, s[0:3], 0 offen
	buffer_load_dword v118, v113, s[0:3], 0 offen offset:4
	s_waitcnt vmcnt(2) lgkmcnt(0)
	v_mul_f64 v[120:121], v[3:4], v[115:116]
	v_mul_f64 v[115:116], v[1:2], v[115:116]
	s_waitcnt vmcnt(0)
	v_fma_f64 v[1:2], v[1:2], v[117:118], -v[120:121]
	v_fma_f64 v[3:4], v[3:4], v[117:118], v[115:116]
.LBB117_86:
	s_and_saveexec_b32 s8, s5
	s_cbranch_execz .LBB117_90
; %bb.87:
	v_subrev_nc_u32_e32 v115, 43, v0
	s_movk_i32 s63, 0x610
	s_mov_b32 s5, 0
	s_mov_b32 s64, s18
	.p2align	6
.LBB117_88:                             ; =>This Inner Loop Header: Depth=1
	v_mov_b32_e32 v118, s64
	v_add_nc_u32_e32 v115, -1, v115
	s_add_i32 s64, s64, 16
	s_clause 0x3
	buffer_load_dword v116, v118, s[0:3], 0 offen offset:8
	buffer_load_dword v117, v118, s[0:3], 0 offen offset:12
	buffer_load_dword v124, v118, s[0:3], 0 offen
	buffer_load_dword v125, v118, s[0:3], 0 offen offset:4
	v_mov_b32_e32 v118, s63
	v_cmp_eq_u32_e32 vcc_lo, 0, v115
	s_add_i32 s63, s63, 16
	ds_read_b128 v[120:123], v118
	s_or_b32 s5, vcc_lo, s5
	s_waitcnt vmcnt(2) lgkmcnt(0)
	v_mul_f64 v[126:127], v[122:123], v[116:117]
	v_mul_f64 v[116:117], v[120:121], v[116:117]
	s_waitcnt vmcnt(0)
	v_fma_f64 v[120:121], v[120:121], v[124:125], -v[126:127]
	v_fma_f64 v[116:117], v[122:123], v[124:125], v[116:117]
	v_add_f64 v[1:2], v[1:2], v[120:121]
	v_add_f64 v[3:4], v[3:4], v[116:117]
	s_andn2_b32 exec_lo, exec_lo, s5
	s_cbranch_execnz .LBB117_88
; %bb.89:
	s_or_b32 exec_lo, exec_lo, s5
.LBB117_90:
	s_or_b32 exec_lo, exec_lo, s8
	v_mov_b32_e32 v115, 0
	ds_read_b128 v[115:118], v115 offset:672
	s_waitcnt lgkmcnt(0)
	v_mul_f64 v[120:121], v[3:4], v[117:118]
	v_mul_f64 v[117:118], v[1:2], v[117:118]
	v_fma_f64 v[1:2], v[1:2], v[115:116], -v[120:121]
	v_fma_f64 v[3:4], v[3:4], v[115:116], v[117:118]
	buffer_store_dword v2, off, s[0:3], 0 offset:676
	buffer_store_dword v1, off, s[0:3], 0 offset:672
	;; [unrolled: 1-line block ×4, first 2 shown]
.LBB117_91:
	s_or_b32 exec_lo, exec_lo, s6
	v_mov_b32_e32 v4, s20
	v_cmp_lt_u32_e64 s5, 41, v0
	s_clause 0x3
	buffer_load_dword v1, v4, s[0:3], 0 offen
	buffer_load_dword v2, v4, s[0:3], 0 offen offset:4
	buffer_load_dword v3, v4, s[0:3], 0 offen offset:8
	;; [unrolled: 1-line block ×3, first 2 shown]
	s_waitcnt vmcnt(0)
	ds_write_b128 v114, v[1:4]
	s_waitcnt lgkmcnt(0)
	s_waitcnt_vscnt null, 0x0
	s_barrier
	buffer_gl0_inv
	s_and_saveexec_b32 s6, s5
	s_cbranch_execz .LBB117_99
; %bb.92:
	ds_read_b128 v[1:4], v114
	s_andn2_b32 vcc_lo, exec_lo, s62
	s_cbranch_vccnz .LBB117_94
; %bb.93:
	s_clause 0x3
	buffer_load_dword v115, v113, s[0:3], 0 offen offset:8
	buffer_load_dword v116, v113, s[0:3], 0 offen offset:12
	buffer_load_dword v117, v113, s[0:3], 0 offen
	buffer_load_dword v118, v113, s[0:3], 0 offen offset:4
	s_waitcnt vmcnt(2) lgkmcnt(0)
	v_mul_f64 v[120:121], v[3:4], v[115:116]
	v_mul_f64 v[115:116], v[1:2], v[115:116]
	s_waitcnt vmcnt(0)
	v_fma_f64 v[1:2], v[1:2], v[117:118], -v[120:121]
	v_fma_f64 v[3:4], v[3:4], v[117:118], v[115:116]
.LBB117_94:
	s_and_saveexec_b32 s8, s4
	s_cbranch_execz .LBB117_98
; %bb.95:
	v_subrev_nc_u32_e32 v115, 42, v0
	s_movk_i32 s63, 0x600
	s_mov_b32 s4, 0
	s_mov_b32 s64, s19
	.p2align	6
.LBB117_96:                             ; =>This Inner Loop Header: Depth=1
	v_mov_b32_e32 v118, s64
	v_add_nc_u32_e32 v115, -1, v115
	s_add_i32 s64, s64, 16
	s_clause 0x3
	buffer_load_dword v116, v118, s[0:3], 0 offen offset:8
	buffer_load_dword v117, v118, s[0:3], 0 offen offset:12
	buffer_load_dword v124, v118, s[0:3], 0 offen
	buffer_load_dword v125, v118, s[0:3], 0 offen offset:4
	v_mov_b32_e32 v118, s63
	v_cmp_eq_u32_e32 vcc_lo, 0, v115
	s_add_i32 s63, s63, 16
	ds_read_b128 v[120:123], v118
	s_or_b32 s4, vcc_lo, s4
	s_waitcnt vmcnt(2) lgkmcnt(0)
	v_mul_f64 v[126:127], v[122:123], v[116:117]
	v_mul_f64 v[116:117], v[120:121], v[116:117]
	s_waitcnt vmcnt(0)
	v_fma_f64 v[120:121], v[120:121], v[124:125], -v[126:127]
	v_fma_f64 v[116:117], v[122:123], v[124:125], v[116:117]
	v_add_f64 v[1:2], v[1:2], v[120:121]
	v_add_f64 v[3:4], v[3:4], v[116:117]
	s_andn2_b32 exec_lo, exec_lo, s4
	s_cbranch_execnz .LBB117_96
; %bb.97:
	s_or_b32 exec_lo, exec_lo, s4
.LBB117_98:
	s_or_b32 exec_lo, exec_lo, s8
	v_mov_b32_e32 v115, 0
	ds_read_b128 v[115:118], v115 offset:656
	s_waitcnt lgkmcnt(0)
	v_mul_f64 v[120:121], v[3:4], v[117:118]
	v_mul_f64 v[117:118], v[1:2], v[117:118]
	v_fma_f64 v[1:2], v[1:2], v[115:116], -v[120:121]
	v_fma_f64 v[3:4], v[3:4], v[115:116], v[117:118]
	buffer_store_dword v2, off, s[0:3], 0 offset:660
	buffer_store_dword v1, off, s[0:3], 0 offset:656
	;; [unrolled: 1-line block ×4, first 2 shown]
.LBB117_99:
	s_or_b32 exec_lo, exec_lo, s6
	v_mov_b32_e32 v4, s21
	v_cmp_lt_u32_e64 s4, 40, v0
	s_clause 0x3
	buffer_load_dword v1, v4, s[0:3], 0 offen
	buffer_load_dword v2, v4, s[0:3], 0 offen offset:4
	buffer_load_dword v3, v4, s[0:3], 0 offen offset:8
	;; [unrolled: 1-line block ×3, first 2 shown]
	s_waitcnt vmcnt(0)
	ds_write_b128 v114, v[1:4]
	s_waitcnt lgkmcnt(0)
	s_waitcnt_vscnt null, 0x0
	s_barrier
	buffer_gl0_inv
	s_and_saveexec_b32 s6, s4
	s_cbranch_execz .LBB117_107
; %bb.100:
	ds_read_b128 v[1:4], v114
	s_andn2_b32 vcc_lo, exec_lo, s62
	s_cbranch_vccnz .LBB117_102
; %bb.101:
	s_clause 0x3
	buffer_load_dword v115, v113, s[0:3], 0 offen offset:8
	buffer_load_dword v116, v113, s[0:3], 0 offen offset:12
	buffer_load_dword v117, v113, s[0:3], 0 offen
	buffer_load_dword v118, v113, s[0:3], 0 offen offset:4
	s_waitcnt vmcnt(2) lgkmcnt(0)
	v_mul_f64 v[120:121], v[3:4], v[115:116]
	v_mul_f64 v[115:116], v[1:2], v[115:116]
	s_waitcnt vmcnt(0)
	v_fma_f64 v[1:2], v[1:2], v[117:118], -v[120:121]
	v_fma_f64 v[3:4], v[3:4], v[117:118], v[115:116]
.LBB117_102:
	s_and_saveexec_b32 s8, s5
	s_cbranch_execz .LBB117_106
; %bb.103:
	v_subrev_nc_u32_e32 v115, 41, v0
	s_movk_i32 s63, 0x5f0
	s_mov_b32 s5, 0
	s_mov_b32 s64, s20
	.p2align	6
.LBB117_104:                            ; =>This Inner Loop Header: Depth=1
	v_mov_b32_e32 v118, s64
	v_add_nc_u32_e32 v115, -1, v115
	s_add_i32 s64, s64, 16
	s_clause 0x3
	buffer_load_dword v116, v118, s[0:3], 0 offen offset:8
	buffer_load_dword v117, v118, s[0:3], 0 offen offset:12
	buffer_load_dword v124, v118, s[0:3], 0 offen
	buffer_load_dword v125, v118, s[0:3], 0 offen offset:4
	v_mov_b32_e32 v118, s63
	v_cmp_eq_u32_e32 vcc_lo, 0, v115
	s_add_i32 s63, s63, 16
	ds_read_b128 v[120:123], v118
	s_or_b32 s5, vcc_lo, s5
	s_waitcnt vmcnt(2) lgkmcnt(0)
	v_mul_f64 v[126:127], v[122:123], v[116:117]
	v_mul_f64 v[116:117], v[120:121], v[116:117]
	s_waitcnt vmcnt(0)
	v_fma_f64 v[120:121], v[120:121], v[124:125], -v[126:127]
	v_fma_f64 v[116:117], v[122:123], v[124:125], v[116:117]
	v_add_f64 v[1:2], v[1:2], v[120:121]
	v_add_f64 v[3:4], v[3:4], v[116:117]
	s_andn2_b32 exec_lo, exec_lo, s5
	s_cbranch_execnz .LBB117_104
; %bb.105:
	s_or_b32 exec_lo, exec_lo, s5
.LBB117_106:
	s_or_b32 exec_lo, exec_lo, s8
	v_mov_b32_e32 v115, 0
	ds_read_b128 v[115:118], v115 offset:640
	s_waitcnt lgkmcnt(0)
	v_mul_f64 v[120:121], v[3:4], v[117:118]
	v_mul_f64 v[117:118], v[1:2], v[117:118]
	v_fma_f64 v[1:2], v[1:2], v[115:116], -v[120:121]
	v_fma_f64 v[3:4], v[3:4], v[115:116], v[117:118]
	buffer_store_dword v2, off, s[0:3], 0 offset:644
	buffer_store_dword v1, off, s[0:3], 0 offset:640
	;; [unrolled: 1-line block ×4, first 2 shown]
.LBB117_107:
	s_or_b32 exec_lo, exec_lo, s6
	v_mov_b32_e32 v4, s22
	v_cmp_lt_u32_e64 s5, 39, v0
	s_clause 0x3
	buffer_load_dword v1, v4, s[0:3], 0 offen
	buffer_load_dword v2, v4, s[0:3], 0 offen offset:4
	buffer_load_dword v3, v4, s[0:3], 0 offen offset:8
	;; [unrolled: 1-line block ×3, first 2 shown]
	s_waitcnt vmcnt(0)
	ds_write_b128 v114, v[1:4]
	s_waitcnt lgkmcnt(0)
	s_waitcnt_vscnt null, 0x0
	s_barrier
	buffer_gl0_inv
	s_and_saveexec_b32 s6, s5
	s_cbranch_execz .LBB117_115
; %bb.108:
	ds_read_b128 v[1:4], v114
	s_andn2_b32 vcc_lo, exec_lo, s62
	s_cbranch_vccnz .LBB117_110
; %bb.109:
	s_clause 0x3
	buffer_load_dword v115, v113, s[0:3], 0 offen offset:8
	buffer_load_dword v116, v113, s[0:3], 0 offen offset:12
	buffer_load_dword v117, v113, s[0:3], 0 offen
	buffer_load_dword v118, v113, s[0:3], 0 offen offset:4
	s_waitcnt vmcnt(2) lgkmcnt(0)
	v_mul_f64 v[120:121], v[3:4], v[115:116]
	v_mul_f64 v[115:116], v[1:2], v[115:116]
	s_waitcnt vmcnt(0)
	v_fma_f64 v[1:2], v[1:2], v[117:118], -v[120:121]
	v_fma_f64 v[3:4], v[3:4], v[117:118], v[115:116]
.LBB117_110:
	s_and_saveexec_b32 s8, s4
	s_cbranch_execz .LBB117_114
; %bb.111:
	v_subrev_nc_u32_e32 v115, 40, v0
	s_movk_i32 s63, 0x5e0
	s_mov_b32 s4, 0
	s_mov_b32 s64, s21
	.p2align	6
.LBB117_112:                            ; =>This Inner Loop Header: Depth=1
	v_mov_b32_e32 v118, s64
	v_add_nc_u32_e32 v115, -1, v115
	s_add_i32 s64, s64, 16
	s_clause 0x3
	buffer_load_dword v116, v118, s[0:3], 0 offen offset:8
	buffer_load_dword v117, v118, s[0:3], 0 offen offset:12
	buffer_load_dword v124, v118, s[0:3], 0 offen
	buffer_load_dword v125, v118, s[0:3], 0 offen offset:4
	v_mov_b32_e32 v118, s63
	v_cmp_eq_u32_e32 vcc_lo, 0, v115
	s_add_i32 s63, s63, 16
	ds_read_b128 v[120:123], v118
	s_or_b32 s4, vcc_lo, s4
	s_waitcnt vmcnt(2) lgkmcnt(0)
	v_mul_f64 v[126:127], v[122:123], v[116:117]
	v_mul_f64 v[116:117], v[120:121], v[116:117]
	s_waitcnt vmcnt(0)
	v_fma_f64 v[120:121], v[120:121], v[124:125], -v[126:127]
	v_fma_f64 v[116:117], v[122:123], v[124:125], v[116:117]
	v_add_f64 v[1:2], v[1:2], v[120:121]
	v_add_f64 v[3:4], v[3:4], v[116:117]
	s_andn2_b32 exec_lo, exec_lo, s4
	s_cbranch_execnz .LBB117_112
; %bb.113:
	s_or_b32 exec_lo, exec_lo, s4
.LBB117_114:
	s_or_b32 exec_lo, exec_lo, s8
	v_mov_b32_e32 v115, 0
	ds_read_b128 v[115:118], v115 offset:624
	s_waitcnt lgkmcnt(0)
	v_mul_f64 v[120:121], v[3:4], v[117:118]
	v_mul_f64 v[117:118], v[1:2], v[117:118]
	v_fma_f64 v[1:2], v[1:2], v[115:116], -v[120:121]
	v_fma_f64 v[3:4], v[3:4], v[115:116], v[117:118]
	buffer_store_dword v2, off, s[0:3], 0 offset:628
	buffer_store_dword v1, off, s[0:3], 0 offset:624
	;; [unrolled: 1-line block ×4, first 2 shown]
.LBB117_115:
	s_or_b32 exec_lo, exec_lo, s6
	v_mov_b32_e32 v4, s23
	v_cmp_lt_u32_e64 s4, 38, v0
	s_clause 0x3
	buffer_load_dword v1, v4, s[0:3], 0 offen
	buffer_load_dword v2, v4, s[0:3], 0 offen offset:4
	buffer_load_dword v3, v4, s[0:3], 0 offen offset:8
	;; [unrolled: 1-line block ×3, first 2 shown]
	s_waitcnt vmcnt(0)
	ds_write_b128 v114, v[1:4]
	s_waitcnt lgkmcnt(0)
	s_waitcnt_vscnt null, 0x0
	s_barrier
	buffer_gl0_inv
	s_and_saveexec_b32 s6, s4
	s_cbranch_execz .LBB117_123
; %bb.116:
	ds_read_b128 v[1:4], v114
	s_andn2_b32 vcc_lo, exec_lo, s62
	s_cbranch_vccnz .LBB117_118
; %bb.117:
	s_clause 0x3
	buffer_load_dword v115, v113, s[0:3], 0 offen offset:8
	buffer_load_dword v116, v113, s[0:3], 0 offen offset:12
	buffer_load_dword v117, v113, s[0:3], 0 offen
	buffer_load_dword v118, v113, s[0:3], 0 offen offset:4
	s_waitcnt vmcnt(2) lgkmcnt(0)
	v_mul_f64 v[120:121], v[3:4], v[115:116]
	v_mul_f64 v[115:116], v[1:2], v[115:116]
	s_waitcnt vmcnt(0)
	v_fma_f64 v[1:2], v[1:2], v[117:118], -v[120:121]
	v_fma_f64 v[3:4], v[3:4], v[117:118], v[115:116]
.LBB117_118:
	s_and_saveexec_b32 s8, s5
	s_cbranch_execz .LBB117_122
; %bb.119:
	v_subrev_nc_u32_e32 v115, 39, v0
	s_movk_i32 s63, 0x5d0
	s_mov_b32 s5, 0
	s_mov_b32 s64, s22
	.p2align	6
.LBB117_120:                            ; =>This Inner Loop Header: Depth=1
	v_mov_b32_e32 v118, s64
	v_add_nc_u32_e32 v115, -1, v115
	s_add_i32 s64, s64, 16
	s_clause 0x3
	buffer_load_dword v116, v118, s[0:3], 0 offen offset:8
	buffer_load_dword v117, v118, s[0:3], 0 offen offset:12
	buffer_load_dword v124, v118, s[0:3], 0 offen
	buffer_load_dword v125, v118, s[0:3], 0 offen offset:4
	v_mov_b32_e32 v118, s63
	v_cmp_eq_u32_e32 vcc_lo, 0, v115
	s_add_i32 s63, s63, 16
	ds_read_b128 v[120:123], v118
	s_or_b32 s5, vcc_lo, s5
	s_waitcnt vmcnt(2) lgkmcnt(0)
	v_mul_f64 v[126:127], v[122:123], v[116:117]
	v_mul_f64 v[116:117], v[120:121], v[116:117]
	s_waitcnt vmcnt(0)
	v_fma_f64 v[120:121], v[120:121], v[124:125], -v[126:127]
	v_fma_f64 v[116:117], v[122:123], v[124:125], v[116:117]
	v_add_f64 v[1:2], v[1:2], v[120:121]
	v_add_f64 v[3:4], v[3:4], v[116:117]
	s_andn2_b32 exec_lo, exec_lo, s5
	s_cbranch_execnz .LBB117_120
; %bb.121:
	s_or_b32 exec_lo, exec_lo, s5
.LBB117_122:
	s_or_b32 exec_lo, exec_lo, s8
	v_mov_b32_e32 v115, 0
	ds_read_b128 v[115:118], v115 offset:608
	s_waitcnt lgkmcnt(0)
	v_mul_f64 v[120:121], v[3:4], v[117:118]
	v_mul_f64 v[117:118], v[1:2], v[117:118]
	v_fma_f64 v[1:2], v[1:2], v[115:116], -v[120:121]
	v_fma_f64 v[3:4], v[3:4], v[115:116], v[117:118]
	buffer_store_dword v2, off, s[0:3], 0 offset:612
	buffer_store_dword v1, off, s[0:3], 0 offset:608
	;; [unrolled: 1-line block ×4, first 2 shown]
.LBB117_123:
	s_or_b32 exec_lo, exec_lo, s6
	v_mov_b32_e32 v4, s24
	v_cmp_lt_u32_e64 s5, 37, v0
	s_clause 0x3
	buffer_load_dword v1, v4, s[0:3], 0 offen
	buffer_load_dword v2, v4, s[0:3], 0 offen offset:4
	buffer_load_dword v3, v4, s[0:3], 0 offen offset:8
	;; [unrolled: 1-line block ×3, first 2 shown]
	s_waitcnt vmcnt(0)
	ds_write_b128 v114, v[1:4]
	s_waitcnt lgkmcnt(0)
	s_waitcnt_vscnt null, 0x0
	s_barrier
	buffer_gl0_inv
	s_and_saveexec_b32 s6, s5
	s_cbranch_execz .LBB117_131
; %bb.124:
	ds_read_b128 v[1:4], v114
	s_andn2_b32 vcc_lo, exec_lo, s62
	s_cbranch_vccnz .LBB117_126
; %bb.125:
	s_clause 0x3
	buffer_load_dword v115, v113, s[0:3], 0 offen offset:8
	buffer_load_dword v116, v113, s[0:3], 0 offen offset:12
	buffer_load_dword v117, v113, s[0:3], 0 offen
	buffer_load_dword v118, v113, s[0:3], 0 offen offset:4
	s_waitcnt vmcnt(2) lgkmcnt(0)
	v_mul_f64 v[120:121], v[3:4], v[115:116]
	v_mul_f64 v[115:116], v[1:2], v[115:116]
	s_waitcnt vmcnt(0)
	v_fma_f64 v[1:2], v[1:2], v[117:118], -v[120:121]
	v_fma_f64 v[3:4], v[3:4], v[117:118], v[115:116]
.LBB117_126:
	s_and_saveexec_b32 s8, s4
	s_cbranch_execz .LBB117_130
; %bb.127:
	v_subrev_nc_u32_e32 v115, 38, v0
	s_movk_i32 s63, 0x5c0
	s_mov_b32 s4, 0
	s_mov_b32 s64, s23
	.p2align	6
.LBB117_128:                            ; =>This Inner Loop Header: Depth=1
	v_mov_b32_e32 v118, s64
	v_add_nc_u32_e32 v115, -1, v115
	s_add_i32 s64, s64, 16
	s_clause 0x3
	buffer_load_dword v116, v118, s[0:3], 0 offen offset:8
	buffer_load_dword v117, v118, s[0:3], 0 offen offset:12
	buffer_load_dword v124, v118, s[0:3], 0 offen
	buffer_load_dword v125, v118, s[0:3], 0 offen offset:4
	v_mov_b32_e32 v118, s63
	v_cmp_eq_u32_e32 vcc_lo, 0, v115
	s_add_i32 s63, s63, 16
	ds_read_b128 v[120:123], v118
	s_or_b32 s4, vcc_lo, s4
	s_waitcnt vmcnt(2) lgkmcnt(0)
	v_mul_f64 v[126:127], v[122:123], v[116:117]
	v_mul_f64 v[116:117], v[120:121], v[116:117]
	s_waitcnt vmcnt(0)
	v_fma_f64 v[120:121], v[120:121], v[124:125], -v[126:127]
	v_fma_f64 v[116:117], v[122:123], v[124:125], v[116:117]
	v_add_f64 v[1:2], v[1:2], v[120:121]
	v_add_f64 v[3:4], v[3:4], v[116:117]
	s_andn2_b32 exec_lo, exec_lo, s4
	s_cbranch_execnz .LBB117_128
; %bb.129:
	s_or_b32 exec_lo, exec_lo, s4
.LBB117_130:
	s_or_b32 exec_lo, exec_lo, s8
	v_mov_b32_e32 v115, 0
	ds_read_b128 v[115:118], v115 offset:592
	s_waitcnt lgkmcnt(0)
	v_mul_f64 v[120:121], v[3:4], v[117:118]
	v_mul_f64 v[117:118], v[1:2], v[117:118]
	v_fma_f64 v[1:2], v[1:2], v[115:116], -v[120:121]
	v_fma_f64 v[3:4], v[3:4], v[115:116], v[117:118]
	buffer_store_dword v2, off, s[0:3], 0 offset:596
	buffer_store_dword v1, off, s[0:3], 0 offset:592
	;; [unrolled: 1-line block ×4, first 2 shown]
.LBB117_131:
	s_or_b32 exec_lo, exec_lo, s6
	v_mov_b32_e32 v4, s25
	v_cmp_lt_u32_e64 s4, 36, v0
	s_clause 0x3
	buffer_load_dword v1, v4, s[0:3], 0 offen
	buffer_load_dword v2, v4, s[0:3], 0 offen offset:4
	buffer_load_dword v3, v4, s[0:3], 0 offen offset:8
	;; [unrolled: 1-line block ×3, first 2 shown]
	s_waitcnt vmcnt(0)
	ds_write_b128 v114, v[1:4]
	s_waitcnt lgkmcnt(0)
	s_waitcnt_vscnt null, 0x0
	s_barrier
	buffer_gl0_inv
	s_and_saveexec_b32 s6, s4
	s_cbranch_execz .LBB117_139
; %bb.132:
	ds_read_b128 v[1:4], v114
	s_andn2_b32 vcc_lo, exec_lo, s62
	s_cbranch_vccnz .LBB117_134
; %bb.133:
	s_clause 0x3
	buffer_load_dword v115, v113, s[0:3], 0 offen offset:8
	buffer_load_dword v116, v113, s[0:3], 0 offen offset:12
	buffer_load_dword v117, v113, s[0:3], 0 offen
	buffer_load_dword v118, v113, s[0:3], 0 offen offset:4
	s_waitcnt vmcnt(2) lgkmcnt(0)
	v_mul_f64 v[120:121], v[3:4], v[115:116]
	v_mul_f64 v[115:116], v[1:2], v[115:116]
	s_waitcnt vmcnt(0)
	v_fma_f64 v[1:2], v[1:2], v[117:118], -v[120:121]
	v_fma_f64 v[3:4], v[3:4], v[117:118], v[115:116]
.LBB117_134:
	s_and_saveexec_b32 s8, s5
	s_cbranch_execz .LBB117_138
; %bb.135:
	v_subrev_nc_u32_e32 v115, 37, v0
	s_movk_i32 s63, 0x5b0
	s_mov_b32 s5, 0
	s_mov_b32 s64, s24
	.p2align	6
.LBB117_136:                            ; =>This Inner Loop Header: Depth=1
	v_mov_b32_e32 v118, s64
	v_add_nc_u32_e32 v115, -1, v115
	s_add_i32 s64, s64, 16
	s_clause 0x3
	buffer_load_dword v116, v118, s[0:3], 0 offen offset:8
	buffer_load_dword v117, v118, s[0:3], 0 offen offset:12
	buffer_load_dword v124, v118, s[0:3], 0 offen
	buffer_load_dword v125, v118, s[0:3], 0 offen offset:4
	v_mov_b32_e32 v118, s63
	v_cmp_eq_u32_e32 vcc_lo, 0, v115
	s_add_i32 s63, s63, 16
	ds_read_b128 v[120:123], v118
	s_or_b32 s5, vcc_lo, s5
	s_waitcnt vmcnt(2) lgkmcnt(0)
	v_mul_f64 v[126:127], v[122:123], v[116:117]
	v_mul_f64 v[116:117], v[120:121], v[116:117]
	s_waitcnt vmcnt(0)
	v_fma_f64 v[120:121], v[120:121], v[124:125], -v[126:127]
	v_fma_f64 v[116:117], v[122:123], v[124:125], v[116:117]
	v_add_f64 v[1:2], v[1:2], v[120:121]
	v_add_f64 v[3:4], v[3:4], v[116:117]
	s_andn2_b32 exec_lo, exec_lo, s5
	s_cbranch_execnz .LBB117_136
; %bb.137:
	s_or_b32 exec_lo, exec_lo, s5
.LBB117_138:
	s_or_b32 exec_lo, exec_lo, s8
	v_mov_b32_e32 v115, 0
	ds_read_b128 v[115:118], v115 offset:576
	s_waitcnt lgkmcnt(0)
	v_mul_f64 v[120:121], v[3:4], v[117:118]
	v_mul_f64 v[117:118], v[1:2], v[117:118]
	v_fma_f64 v[1:2], v[1:2], v[115:116], -v[120:121]
	v_fma_f64 v[3:4], v[3:4], v[115:116], v[117:118]
	buffer_store_dword v2, off, s[0:3], 0 offset:580
	buffer_store_dword v1, off, s[0:3], 0 offset:576
	;; [unrolled: 1-line block ×4, first 2 shown]
.LBB117_139:
	s_or_b32 exec_lo, exec_lo, s6
	v_mov_b32_e32 v4, s26
	v_cmp_lt_u32_e64 s5, 35, v0
	s_clause 0x3
	buffer_load_dword v1, v4, s[0:3], 0 offen
	buffer_load_dword v2, v4, s[0:3], 0 offen offset:4
	buffer_load_dword v3, v4, s[0:3], 0 offen offset:8
	;; [unrolled: 1-line block ×3, first 2 shown]
	s_waitcnt vmcnt(0)
	ds_write_b128 v114, v[1:4]
	s_waitcnt lgkmcnt(0)
	s_waitcnt_vscnt null, 0x0
	s_barrier
	buffer_gl0_inv
	s_and_saveexec_b32 s6, s5
	s_cbranch_execz .LBB117_147
; %bb.140:
	ds_read_b128 v[1:4], v114
	s_andn2_b32 vcc_lo, exec_lo, s62
	s_cbranch_vccnz .LBB117_142
; %bb.141:
	s_clause 0x3
	buffer_load_dword v115, v113, s[0:3], 0 offen offset:8
	buffer_load_dword v116, v113, s[0:3], 0 offen offset:12
	buffer_load_dword v117, v113, s[0:3], 0 offen
	buffer_load_dword v118, v113, s[0:3], 0 offen offset:4
	s_waitcnt vmcnt(2) lgkmcnt(0)
	v_mul_f64 v[120:121], v[3:4], v[115:116]
	v_mul_f64 v[115:116], v[1:2], v[115:116]
	s_waitcnt vmcnt(0)
	v_fma_f64 v[1:2], v[1:2], v[117:118], -v[120:121]
	v_fma_f64 v[3:4], v[3:4], v[117:118], v[115:116]
.LBB117_142:
	s_and_saveexec_b32 s8, s4
	s_cbranch_execz .LBB117_146
; %bb.143:
	v_subrev_nc_u32_e32 v115, 36, v0
	s_movk_i32 s63, 0x5a0
	s_mov_b32 s4, 0
	s_mov_b32 s64, s25
	.p2align	6
.LBB117_144:                            ; =>This Inner Loop Header: Depth=1
	v_mov_b32_e32 v118, s64
	v_add_nc_u32_e32 v115, -1, v115
	s_add_i32 s64, s64, 16
	s_clause 0x3
	buffer_load_dword v116, v118, s[0:3], 0 offen offset:8
	buffer_load_dword v117, v118, s[0:3], 0 offen offset:12
	buffer_load_dword v124, v118, s[0:3], 0 offen
	buffer_load_dword v125, v118, s[0:3], 0 offen offset:4
	v_mov_b32_e32 v118, s63
	v_cmp_eq_u32_e32 vcc_lo, 0, v115
	s_add_i32 s63, s63, 16
	ds_read_b128 v[120:123], v118
	s_or_b32 s4, vcc_lo, s4
	s_waitcnt vmcnt(2) lgkmcnt(0)
	v_mul_f64 v[126:127], v[122:123], v[116:117]
	v_mul_f64 v[116:117], v[120:121], v[116:117]
	s_waitcnt vmcnt(0)
	v_fma_f64 v[120:121], v[120:121], v[124:125], -v[126:127]
	v_fma_f64 v[116:117], v[122:123], v[124:125], v[116:117]
	v_add_f64 v[1:2], v[1:2], v[120:121]
	v_add_f64 v[3:4], v[3:4], v[116:117]
	s_andn2_b32 exec_lo, exec_lo, s4
	s_cbranch_execnz .LBB117_144
; %bb.145:
	s_or_b32 exec_lo, exec_lo, s4
.LBB117_146:
	s_or_b32 exec_lo, exec_lo, s8
	v_mov_b32_e32 v115, 0
	ds_read_b128 v[115:118], v115 offset:560
	s_waitcnt lgkmcnt(0)
	v_mul_f64 v[120:121], v[3:4], v[117:118]
	v_mul_f64 v[117:118], v[1:2], v[117:118]
	v_fma_f64 v[1:2], v[1:2], v[115:116], -v[120:121]
	v_fma_f64 v[3:4], v[3:4], v[115:116], v[117:118]
	buffer_store_dword v2, off, s[0:3], 0 offset:564
	buffer_store_dword v1, off, s[0:3], 0 offset:560
	;; [unrolled: 1-line block ×4, first 2 shown]
.LBB117_147:
	s_or_b32 exec_lo, exec_lo, s6
	v_mov_b32_e32 v4, s27
	v_cmp_lt_u32_e64 s4, 34, v0
	s_clause 0x3
	buffer_load_dword v1, v4, s[0:3], 0 offen
	buffer_load_dword v2, v4, s[0:3], 0 offen offset:4
	buffer_load_dword v3, v4, s[0:3], 0 offen offset:8
	;; [unrolled: 1-line block ×3, first 2 shown]
	s_waitcnt vmcnt(0)
	ds_write_b128 v114, v[1:4]
	s_waitcnt lgkmcnt(0)
	s_waitcnt_vscnt null, 0x0
	s_barrier
	buffer_gl0_inv
	s_and_saveexec_b32 s6, s4
	s_cbranch_execz .LBB117_155
; %bb.148:
	ds_read_b128 v[1:4], v114
	s_andn2_b32 vcc_lo, exec_lo, s62
	s_cbranch_vccnz .LBB117_150
; %bb.149:
	s_clause 0x3
	buffer_load_dword v115, v113, s[0:3], 0 offen offset:8
	buffer_load_dword v116, v113, s[0:3], 0 offen offset:12
	buffer_load_dword v117, v113, s[0:3], 0 offen
	buffer_load_dword v118, v113, s[0:3], 0 offen offset:4
	s_waitcnt vmcnt(2) lgkmcnt(0)
	v_mul_f64 v[120:121], v[3:4], v[115:116]
	v_mul_f64 v[115:116], v[1:2], v[115:116]
	s_waitcnt vmcnt(0)
	v_fma_f64 v[1:2], v[1:2], v[117:118], -v[120:121]
	v_fma_f64 v[3:4], v[3:4], v[117:118], v[115:116]
.LBB117_150:
	s_and_saveexec_b32 s8, s5
	s_cbranch_execz .LBB117_154
; %bb.151:
	v_subrev_nc_u32_e32 v115, 35, v0
	s_movk_i32 s63, 0x590
	s_mov_b32 s5, 0
	s_mov_b32 s64, s26
	.p2align	6
.LBB117_152:                            ; =>This Inner Loop Header: Depth=1
	v_mov_b32_e32 v118, s64
	v_add_nc_u32_e32 v115, -1, v115
	s_add_i32 s64, s64, 16
	s_clause 0x3
	buffer_load_dword v116, v118, s[0:3], 0 offen offset:8
	buffer_load_dword v117, v118, s[0:3], 0 offen offset:12
	buffer_load_dword v124, v118, s[0:3], 0 offen
	buffer_load_dword v125, v118, s[0:3], 0 offen offset:4
	v_mov_b32_e32 v118, s63
	v_cmp_eq_u32_e32 vcc_lo, 0, v115
	s_add_i32 s63, s63, 16
	ds_read_b128 v[120:123], v118
	s_or_b32 s5, vcc_lo, s5
	s_waitcnt vmcnt(2) lgkmcnt(0)
	v_mul_f64 v[126:127], v[122:123], v[116:117]
	v_mul_f64 v[116:117], v[120:121], v[116:117]
	s_waitcnt vmcnt(0)
	v_fma_f64 v[120:121], v[120:121], v[124:125], -v[126:127]
	v_fma_f64 v[116:117], v[122:123], v[124:125], v[116:117]
	v_add_f64 v[1:2], v[1:2], v[120:121]
	v_add_f64 v[3:4], v[3:4], v[116:117]
	s_andn2_b32 exec_lo, exec_lo, s5
	s_cbranch_execnz .LBB117_152
; %bb.153:
	s_or_b32 exec_lo, exec_lo, s5
.LBB117_154:
	s_or_b32 exec_lo, exec_lo, s8
	v_mov_b32_e32 v115, 0
	ds_read_b128 v[115:118], v115 offset:544
	s_waitcnt lgkmcnt(0)
	v_mul_f64 v[120:121], v[3:4], v[117:118]
	v_mul_f64 v[117:118], v[1:2], v[117:118]
	v_fma_f64 v[1:2], v[1:2], v[115:116], -v[120:121]
	v_fma_f64 v[3:4], v[3:4], v[115:116], v[117:118]
	buffer_store_dword v2, off, s[0:3], 0 offset:548
	buffer_store_dword v1, off, s[0:3], 0 offset:544
	;; [unrolled: 1-line block ×4, first 2 shown]
.LBB117_155:
	s_or_b32 exec_lo, exec_lo, s6
	v_mov_b32_e32 v4, s28
	v_cmp_lt_u32_e64 s5, 33, v0
	s_clause 0x3
	buffer_load_dword v1, v4, s[0:3], 0 offen
	buffer_load_dword v2, v4, s[0:3], 0 offen offset:4
	buffer_load_dword v3, v4, s[0:3], 0 offen offset:8
	buffer_load_dword v4, v4, s[0:3], 0 offen offset:12
	s_waitcnt vmcnt(0)
	ds_write_b128 v114, v[1:4]
	s_waitcnt lgkmcnt(0)
	s_waitcnt_vscnt null, 0x0
	s_barrier
	buffer_gl0_inv
	s_and_saveexec_b32 s6, s5
	s_cbranch_execz .LBB117_163
; %bb.156:
	ds_read_b128 v[1:4], v114
	s_andn2_b32 vcc_lo, exec_lo, s62
	s_cbranch_vccnz .LBB117_158
; %bb.157:
	s_clause 0x3
	buffer_load_dword v115, v113, s[0:3], 0 offen offset:8
	buffer_load_dword v116, v113, s[0:3], 0 offen offset:12
	buffer_load_dword v117, v113, s[0:3], 0 offen
	buffer_load_dword v118, v113, s[0:3], 0 offen offset:4
	s_waitcnt vmcnt(2) lgkmcnt(0)
	v_mul_f64 v[120:121], v[3:4], v[115:116]
	v_mul_f64 v[115:116], v[1:2], v[115:116]
	s_waitcnt vmcnt(0)
	v_fma_f64 v[1:2], v[1:2], v[117:118], -v[120:121]
	v_fma_f64 v[3:4], v[3:4], v[117:118], v[115:116]
.LBB117_158:
	s_and_saveexec_b32 s8, s4
	s_cbranch_execz .LBB117_162
; %bb.159:
	v_subrev_nc_u32_e32 v115, 34, v0
	s_movk_i32 s63, 0x580
	s_mov_b32 s4, 0
	s_mov_b32 s64, s27
	.p2align	6
.LBB117_160:                            ; =>This Inner Loop Header: Depth=1
	v_mov_b32_e32 v118, s64
	v_add_nc_u32_e32 v115, -1, v115
	s_add_i32 s64, s64, 16
	s_clause 0x3
	buffer_load_dword v116, v118, s[0:3], 0 offen offset:8
	buffer_load_dword v117, v118, s[0:3], 0 offen offset:12
	buffer_load_dword v124, v118, s[0:3], 0 offen
	buffer_load_dword v125, v118, s[0:3], 0 offen offset:4
	v_mov_b32_e32 v118, s63
	v_cmp_eq_u32_e32 vcc_lo, 0, v115
	s_add_i32 s63, s63, 16
	ds_read_b128 v[120:123], v118
	s_or_b32 s4, vcc_lo, s4
	s_waitcnt vmcnt(2) lgkmcnt(0)
	v_mul_f64 v[126:127], v[122:123], v[116:117]
	v_mul_f64 v[116:117], v[120:121], v[116:117]
	s_waitcnt vmcnt(0)
	v_fma_f64 v[120:121], v[120:121], v[124:125], -v[126:127]
	v_fma_f64 v[116:117], v[122:123], v[124:125], v[116:117]
	v_add_f64 v[1:2], v[1:2], v[120:121]
	v_add_f64 v[3:4], v[3:4], v[116:117]
	s_andn2_b32 exec_lo, exec_lo, s4
	s_cbranch_execnz .LBB117_160
; %bb.161:
	s_or_b32 exec_lo, exec_lo, s4
.LBB117_162:
	s_or_b32 exec_lo, exec_lo, s8
	v_mov_b32_e32 v115, 0
	ds_read_b128 v[115:118], v115 offset:528
	s_waitcnt lgkmcnt(0)
	v_mul_f64 v[120:121], v[3:4], v[117:118]
	v_mul_f64 v[117:118], v[1:2], v[117:118]
	v_fma_f64 v[1:2], v[1:2], v[115:116], -v[120:121]
	v_fma_f64 v[3:4], v[3:4], v[115:116], v[117:118]
	buffer_store_dword v2, off, s[0:3], 0 offset:532
	buffer_store_dword v1, off, s[0:3], 0 offset:528
	;; [unrolled: 1-line block ×4, first 2 shown]
.LBB117_163:
	s_or_b32 exec_lo, exec_lo, s6
	v_mov_b32_e32 v4, s29
	v_cmp_lt_u32_e64 s4, 32, v0
	s_clause 0x3
	buffer_load_dword v1, v4, s[0:3], 0 offen
	buffer_load_dword v2, v4, s[0:3], 0 offen offset:4
	buffer_load_dword v3, v4, s[0:3], 0 offen offset:8
	;; [unrolled: 1-line block ×3, first 2 shown]
	s_waitcnt vmcnt(0)
	ds_write_b128 v114, v[1:4]
	s_waitcnt lgkmcnt(0)
	s_waitcnt_vscnt null, 0x0
	s_barrier
	buffer_gl0_inv
	s_and_saveexec_b32 s6, s4
	s_cbranch_execz .LBB117_171
; %bb.164:
	ds_read_b128 v[1:4], v114
	s_andn2_b32 vcc_lo, exec_lo, s62
	s_cbranch_vccnz .LBB117_166
; %bb.165:
	s_clause 0x3
	buffer_load_dword v115, v113, s[0:3], 0 offen offset:8
	buffer_load_dword v116, v113, s[0:3], 0 offen offset:12
	buffer_load_dword v117, v113, s[0:3], 0 offen
	buffer_load_dword v118, v113, s[0:3], 0 offen offset:4
	s_waitcnt vmcnt(2) lgkmcnt(0)
	v_mul_f64 v[120:121], v[3:4], v[115:116]
	v_mul_f64 v[115:116], v[1:2], v[115:116]
	s_waitcnt vmcnt(0)
	v_fma_f64 v[1:2], v[1:2], v[117:118], -v[120:121]
	v_fma_f64 v[3:4], v[3:4], v[117:118], v[115:116]
.LBB117_166:
	s_and_saveexec_b32 s8, s5
	s_cbranch_execz .LBB117_170
; %bb.167:
	v_subrev_nc_u32_e32 v115, 33, v0
	s_movk_i32 s63, 0x570
	s_mov_b32 s5, 0
	s_mov_b32 s64, s28
	.p2align	6
.LBB117_168:                            ; =>This Inner Loop Header: Depth=1
	v_mov_b32_e32 v118, s64
	v_add_nc_u32_e32 v115, -1, v115
	s_add_i32 s64, s64, 16
	s_clause 0x3
	buffer_load_dword v116, v118, s[0:3], 0 offen offset:8
	buffer_load_dword v117, v118, s[0:3], 0 offen offset:12
	buffer_load_dword v124, v118, s[0:3], 0 offen
	buffer_load_dword v125, v118, s[0:3], 0 offen offset:4
	v_mov_b32_e32 v118, s63
	v_cmp_eq_u32_e32 vcc_lo, 0, v115
	s_add_i32 s63, s63, 16
	ds_read_b128 v[120:123], v118
	s_or_b32 s5, vcc_lo, s5
	s_waitcnt vmcnt(2) lgkmcnt(0)
	v_mul_f64 v[126:127], v[122:123], v[116:117]
	v_mul_f64 v[116:117], v[120:121], v[116:117]
	s_waitcnt vmcnt(0)
	v_fma_f64 v[120:121], v[120:121], v[124:125], -v[126:127]
	v_fma_f64 v[116:117], v[122:123], v[124:125], v[116:117]
	v_add_f64 v[1:2], v[1:2], v[120:121]
	v_add_f64 v[3:4], v[3:4], v[116:117]
	s_andn2_b32 exec_lo, exec_lo, s5
	s_cbranch_execnz .LBB117_168
; %bb.169:
	s_or_b32 exec_lo, exec_lo, s5
.LBB117_170:
	s_or_b32 exec_lo, exec_lo, s8
	v_mov_b32_e32 v115, 0
	ds_read_b128 v[115:118], v115 offset:512
	s_waitcnt lgkmcnt(0)
	v_mul_f64 v[120:121], v[3:4], v[117:118]
	v_mul_f64 v[117:118], v[1:2], v[117:118]
	v_fma_f64 v[1:2], v[1:2], v[115:116], -v[120:121]
	v_fma_f64 v[3:4], v[3:4], v[115:116], v[117:118]
	buffer_store_dword v2, off, s[0:3], 0 offset:516
	buffer_store_dword v1, off, s[0:3], 0 offset:512
	;; [unrolled: 1-line block ×4, first 2 shown]
.LBB117_171:
	s_or_b32 exec_lo, exec_lo, s6
	v_mov_b32_e32 v4, s30
	v_cmp_lt_u32_e64 s5, 31, v0
	s_clause 0x3
	buffer_load_dword v1, v4, s[0:3], 0 offen
	buffer_load_dword v2, v4, s[0:3], 0 offen offset:4
	buffer_load_dword v3, v4, s[0:3], 0 offen offset:8
	;; [unrolled: 1-line block ×3, first 2 shown]
	s_waitcnt vmcnt(0)
	ds_write_b128 v114, v[1:4]
	s_waitcnt lgkmcnt(0)
	s_waitcnt_vscnt null, 0x0
	s_barrier
	buffer_gl0_inv
	s_and_saveexec_b32 s6, s5
	s_cbranch_execz .LBB117_179
; %bb.172:
	ds_read_b128 v[1:4], v114
	s_andn2_b32 vcc_lo, exec_lo, s62
	s_cbranch_vccnz .LBB117_174
; %bb.173:
	s_clause 0x3
	buffer_load_dword v115, v113, s[0:3], 0 offen offset:8
	buffer_load_dword v116, v113, s[0:3], 0 offen offset:12
	buffer_load_dword v117, v113, s[0:3], 0 offen
	buffer_load_dword v118, v113, s[0:3], 0 offen offset:4
	s_waitcnt vmcnt(2) lgkmcnt(0)
	v_mul_f64 v[120:121], v[3:4], v[115:116]
	v_mul_f64 v[115:116], v[1:2], v[115:116]
	s_waitcnt vmcnt(0)
	v_fma_f64 v[1:2], v[1:2], v[117:118], -v[120:121]
	v_fma_f64 v[3:4], v[3:4], v[117:118], v[115:116]
.LBB117_174:
	s_and_saveexec_b32 s8, s4
	s_cbranch_execz .LBB117_178
; %bb.175:
	v_subrev_nc_u32_e32 v115, 32, v0
	s_movk_i32 s63, 0x560
	s_mov_b32 s4, 0
	s_mov_b32 s64, s29
	.p2align	6
.LBB117_176:                            ; =>This Inner Loop Header: Depth=1
	v_mov_b32_e32 v118, s64
	v_add_nc_u32_e32 v115, -1, v115
	s_add_i32 s64, s64, 16
	s_clause 0x3
	buffer_load_dword v116, v118, s[0:3], 0 offen offset:8
	buffer_load_dword v117, v118, s[0:3], 0 offen offset:12
	buffer_load_dword v124, v118, s[0:3], 0 offen
	buffer_load_dword v125, v118, s[0:3], 0 offen offset:4
	v_mov_b32_e32 v118, s63
	v_cmp_eq_u32_e32 vcc_lo, 0, v115
	s_add_i32 s63, s63, 16
	ds_read_b128 v[120:123], v118
	s_or_b32 s4, vcc_lo, s4
	s_waitcnt vmcnt(2) lgkmcnt(0)
	v_mul_f64 v[126:127], v[122:123], v[116:117]
	v_mul_f64 v[116:117], v[120:121], v[116:117]
	s_waitcnt vmcnt(0)
	v_fma_f64 v[120:121], v[120:121], v[124:125], -v[126:127]
	v_fma_f64 v[116:117], v[122:123], v[124:125], v[116:117]
	v_add_f64 v[1:2], v[1:2], v[120:121]
	v_add_f64 v[3:4], v[3:4], v[116:117]
	s_andn2_b32 exec_lo, exec_lo, s4
	s_cbranch_execnz .LBB117_176
; %bb.177:
	s_or_b32 exec_lo, exec_lo, s4
.LBB117_178:
	s_or_b32 exec_lo, exec_lo, s8
	v_mov_b32_e32 v115, 0
	ds_read_b128 v[115:118], v115 offset:496
	s_waitcnt lgkmcnt(0)
	v_mul_f64 v[120:121], v[3:4], v[117:118]
	v_mul_f64 v[117:118], v[1:2], v[117:118]
	v_fma_f64 v[1:2], v[1:2], v[115:116], -v[120:121]
	v_fma_f64 v[3:4], v[3:4], v[115:116], v[117:118]
	buffer_store_dword v2, off, s[0:3], 0 offset:500
	buffer_store_dword v1, off, s[0:3], 0 offset:496
	;; [unrolled: 1-line block ×4, first 2 shown]
.LBB117_179:
	s_or_b32 exec_lo, exec_lo, s6
	v_mov_b32_e32 v4, s31
	v_cmp_lt_u32_e64 s4, 30, v0
	s_clause 0x3
	buffer_load_dword v1, v4, s[0:3], 0 offen
	buffer_load_dword v2, v4, s[0:3], 0 offen offset:4
	buffer_load_dword v3, v4, s[0:3], 0 offen offset:8
	;; [unrolled: 1-line block ×3, first 2 shown]
	s_waitcnt vmcnt(0)
	ds_write_b128 v114, v[1:4]
	s_waitcnt lgkmcnt(0)
	s_waitcnt_vscnt null, 0x0
	s_barrier
	buffer_gl0_inv
	s_and_saveexec_b32 s6, s4
	s_cbranch_execz .LBB117_187
; %bb.180:
	ds_read_b128 v[1:4], v114
	s_andn2_b32 vcc_lo, exec_lo, s62
	s_cbranch_vccnz .LBB117_182
; %bb.181:
	s_clause 0x3
	buffer_load_dword v115, v113, s[0:3], 0 offen offset:8
	buffer_load_dword v116, v113, s[0:3], 0 offen offset:12
	buffer_load_dword v117, v113, s[0:3], 0 offen
	buffer_load_dword v118, v113, s[0:3], 0 offen offset:4
	s_waitcnt vmcnt(2) lgkmcnt(0)
	v_mul_f64 v[120:121], v[3:4], v[115:116]
	v_mul_f64 v[115:116], v[1:2], v[115:116]
	s_waitcnt vmcnt(0)
	v_fma_f64 v[1:2], v[1:2], v[117:118], -v[120:121]
	v_fma_f64 v[3:4], v[3:4], v[117:118], v[115:116]
.LBB117_182:
	s_and_saveexec_b32 s8, s5
	s_cbranch_execz .LBB117_186
; %bb.183:
	v_subrev_nc_u32_e32 v115, 31, v0
	s_movk_i32 s63, 0x550
	s_mov_b32 s5, 0
	s_mov_b32 s64, s30
	.p2align	6
.LBB117_184:                            ; =>This Inner Loop Header: Depth=1
	v_mov_b32_e32 v118, s64
	v_add_nc_u32_e32 v115, -1, v115
	s_add_i32 s64, s64, 16
	s_clause 0x3
	buffer_load_dword v116, v118, s[0:3], 0 offen offset:8
	buffer_load_dword v117, v118, s[0:3], 0 offen offset:12
	buffer_load_dword v124, v118, s[0:3], 0 offen
	buffer_load_dword v125, v118, s[0:3], 0 offen offset:4
	v_mov_b32_e32 v118, s63
	v_cmp_eq_u32_e32 vcc_lo, 0, v115
	s_add_i32 s63, s63, 16
	ds_read_b128 v[120:123], v118
	s_or_b32 s5, vcc_lo, s5
	s_waitcnt vmcnt(2) lgkmcnt(0)
	v_mul_f64 v[126:127], v[122:123], v[116:117]
	v_mul_f64 v[116:117], v[120:121], v[116:117]
	s_waitcnt vmcnt(0)
	v_fma_f64 v[120:121], v[120:121], v[124:125], -v[126:127]
	v_fma_f64 v[116:117], v[122:123], v[124:125], v[116:117]
	v_add_f64 v[1:2], v[1:2], v[120:121]
	v_add_f64 v[3:4], v[3:4], v[116:117]
	s_andn2_b32 exec_lo, exec_lo, s5
	s_cbranch_execnz .LBB117_184
; %bb.185:
	s_or_b32 exec_lo, exec_lo, s5
.LBB117_186:
	s_or_b32 exec_lo, exec_lo, s8
	v_mov_b32_e32 v115, 0
	ds_read_b128 v[115:118], v115 offset:480
	s_waitcnt lgkmcnt(0)
	v_mul_f64 v[120:121], v[3:4], v[117:118]
	v_mul_f64 v[117:118], v[1:2], v[117:118]
	v_fma_f64 v[1:2], v[1:2], v[115:116], -v[120:121]
	v_fma_f64 v[3:4], v[3:4], v[115:116], v[117:118]
	buffer_store_dword v2, off, s[0:3], 0 offset:484
	buffer_store_dword v1, off, s[0:3], 0 offset:480
	buffer_store_dword v4, off, s[0:3], 0 offset:492
	buffer_store_dword v3, off, s[0:3], 0 offset:488
.LBB117_187:
	s_or_b32 exec_lo, exec_lo, s6
	v_mov_b32_e32 v4, s33
	v_cmp_lt_u32_e64 s5, 29, v0
	s_clause 0x3
	buffer_load_dword v1, v4, s[0:3], 0 offen
	buffer_load_dword v2, v4, s[0:3], 0 offen offset:4
	buffer_load_dword v3, v4, s[0:3], 0 offen offset:8
	;; [unrolled: 1-line block ×3, first 2 shown]
	s_waitcnt vmcnt(0)
	ds_write_b128 v114, v[1:4]
	s_waitcnt lgkmcnt(0)
	s_waitcnt_vscnt null, 0x0
	s_barrier
	buffer_gl0_inv
	s_and_saveexec_b32 s6, s5
	s_cbranch_execz .LBB117_195
; %bb.188:
	ds_read_b128 v[1:4], v114
	s_andn2_b32 vcc_lo, exec_lo, s62
	s_cbranch_vccnz .LBB117_190
; %bb.189:
	s_clause 0x3
	buffer_load_dword v115, v113, s[0:3], 0 offen offset:8
	buffer_load_dword v116, v113, s[0:3], 0 offen offset:12
	buffer_load_dword v117, v113, s[0:3], 0 offen
	buffer_load_dword v118, v113, s[0:3], 0 offen offset:4
	s_waitcnt vmcnt(2) lgkmcnt(0)
	v_mul_f64 v[120:121], v[3:4], v[115:116]
	v_mul_f64 v[115:116], v[1:2], v[115:116]
	s_waitcnt vmcnt(0)
	v_fma_f64 v[1:2], v[1:2], v[117:118], -v[120:121]
	v_fma_f64 v[3:4], v[3:4], v[117:118], v[115:116]
.LBB117_190:
	s_and_saveexec_b32 s8, s4
	s_cbranch_execz .LBB117_194
; %bb.191:
	v_subrev_nc_u32_e32 v115, 30, v0
	s_movk_i32 s63, 0x540
	s_mov_b32 s4, 0
	s_mov_b32 s64, s31
	.p2align	6
.LBB117_192:                            ; =>This Inner Loop Header: Depth=1
	v_mov_b32_e32 v118, s64
	v_add_nc_u32_e32 v115, -1, v115
	s_add_i32 s64, s64, 16
	s_clause 0x3
	buffer_load_dword v116, v118, s[0:3], 0 offen offset:8
	buffer_load_dword v117, v118, s[0:3], 0 offen offset:12
	buffer_load_dword v124, v118, s[0:3], 0 offen
	buffer_load_dword v125, v118, s[0:3], 0 offen offset:4
	v_mov_b32_e32 v118, s63
	v_cmp_eq_u32_e32 vcc_lo, 0, v115
	s_add_i32 s63, s63, 16
	ds_read_b128 v[120:123], v118
	s_or_b32 s4, vcc_lo, s4
	s_waitcnt vmcnt(2) lgkmcnt(0)
	v_mul_f64 v[126:127], v[122:123], v[116:117]
	v_mul_f64 v[116:117], v[120:121], v[116:117]
	s_waitcnt vmcnt(0)
	v_fma_f64 v[120:121], v[120:121], v[124:125], -v[126:127]
	v_fma_f64 v[116:117], v[122:123], v[124:125], v[116:117]
	v_add_f64 v[1:2], v[1:2], v[120:121]
	v_add_f64 v[3:4], v[3:4], v[116:117]
	s_andn2_b32 exec_lo, exec_lo, s4
	s_cbranch_execnz .LBB117_192
; %bb.193:
	s_or_b32 exec_lo, exec_lo, s4
.LBB117_194:
	s_or_b32 exec_lo, exec_lo, s8
	v_mov_b32_e32 v115, 0
	ds_read_b128 v[115:118], v115 offset:464
	s_waitcnt lgkmcnt(0)
	v_mul_f64 v[120:121], v[3:4], v[117:118]
	v_mul_f64 v[117:118], v[1:2], v[117:118]
	v_fma_f64 v[1:2], v[1:2], v[115:116], -v[120:121]
	v_fma_f64 v[3:4], v[3:4], v[115:116], v[117:118]
	buffer_store_dword v2, off, s[0:3], 0 offset:468
	buffer_store_dword v1, off, s[0:3], 0 offset:464
	;; [unrolled: 1-line block ×4, first 2 shown]
.LBB117_195:
	s_or_b32 exec_lo, exec_lo, s6
	v_mov_b32_e32 v4, s34
	v_cmp_lt_u32_e64 s4, 28, v0
	s_clause 0x3
	buffer_load_dword v1, v4, s[0:3], 0 offen
	buffer_load_dword v2, v4, s[0:3], 0 offen offset:4
	buffer_load_dword v3, v4, s[0:3], 0 offen offset:8
	;; [unrolled: 1-line block ×3, first 2 shown]
	s_waitcnt vmcnt(0)
	ds_write_b128 v114, v[1:4]
	s_waitcnt lgkmcnt(0)
	s_waitcnt_vscnt null, 0x0
	s_barrier
	buffer_gl0_inv
	s_and_saveexec_b32 s6, s4
	s_cbranch_execz .LBB117_203
; %bb.196:
	ds_read_b128 v[1:4], v114
	s_andn2_b32 vcc_lo, exec_lo, s62
	s_cbranch_vccnz .LBB117_198
; %bb.197:
	s_clause 0x3
	buffer_load_dword v115, v113, s[0:3], 0 offen offset:8
	buffer_load_dword v116, v113, s[0:3], 0 offen offset:12
	buffer_load_dword v117, v113, s[0:3], 0 offen
	buffer_load_dword v118, v113, s[0:3], 0 offen offset:4
	s_waitcnt vmcnt(2) lgkmcnt(0)
	v_mul_f64 v[120:121], v[3:4], v[115:116]
	v_mul_f64 v[115:116], v[1:2], v[115:116]
	s_waitcnt vmcnt(0)
	v_fma_f64 v[1:2], v[1:2], v[117:118], -v[120:121]
	v_fma_f64 v[3:4], v[3:4], v[117:118], v[115:116]
.LBB117_198:
	s_and_saveexec_b32 s8, s5
	s_cbranch_execz .LBB117_202
; %bb.199:
	v_subrev_nc_u32_e32 v115, 29, v0
	s_movk_i32 s63, 0x530
	s_mov_b32 s5, 0
	s_mov_b32 s64, s33
	.p2align	6
.LBB117_200:                            ; =>This Inner Loop Header: Depth=1
	v_mov_b32_e32 v118, s64
	v_add_nc_u32_e32 v115, -1, v115
	s_add_i32 s64, s64, 16
	s_clause 0x3
	buffer_load_dword v116, v118, s[0:3], 0 offen offset:8
	buffer_load_dword v117, v118, s[0:3], 0 offen offset:12
	buffer_load_dword v124, v118, s[0:3], 0 offen
	buffer_load_dword v125, v118, s[0:3], 0 offen offset:4
	v_mov_b32_e32 v118, s63
	v_cmp_eq_u32_e32 vcc_lo, 0, v115
	s_add_i32 s63, s63, 16
	ds_read_b128 v[120:123], v118
	s_or_b32 s5, vcc_lo, s5
	s_waitcnt vmcnt(2) lgkmcnt(0)
	v_mul_f64 v[126:127], v[122:123], v[116:117]
	v_mul_f64 v[116:117], v[120:121], v[116:117]
	s_waitcnt vmcnt(0)
	v_fma_f64 v[120:121], v[120:121], v[124:125], -v[126:127]
	v_fma_f64 v[116:117], v[122:123], v[124:125], v[116:117]
	v_add_f64 v[1:2], v[1:2], v[120:121]
	v_add_f64 v[3:4], v[3:4], v[116:117]
	s_andn2_b32 exec_lo, exec_lo, s5
	s_cbranch_execnz .LBB117_200
; %bb.201:
	s_or_b32 exec_lo, exec_lo, s5
.LBB117_202:
	s_or_b32 exec_lo, exec_lo, s8
	v_mov_b32_e32 v115, 0
	ds_read_b128 v[115:118], v115 offset:448
	s_waitcnt lgkmcnt(0)
	v_mul_f64 v[120:121], v[3:4], v[117:118]
	v_mul_f64 v[117:118], v[1:2], v[117:118]
	v_fma_f64 v[1:2], v[1:2], v[115:116], -v[120:121]
	v_fma_f64 v[3:4], v[3:4], v[115:116], v[117:118]
	buffer_store_dword v2, off, s[0:3], 0 offset:452
	buffer_store_dword v1, off, s[0:3], 0 offset:448
	;; [unrolled: 1-line block ×4, first 2 shown]
.LBB117_203:
	s_or_b32 exec_lo, exec_lo, s6
	v_mov_b32_e32 v4, s35
	v_cmp_lt_u32_e64 s5, 27, v0
	s_clause 0x3
	buffer_load_dword v1, v4, s[0:3], 0 offen
	buffer_load_dword v2, v4, s[0:3], 0 offen offset:4
	buffer_load_dword v3, v4, s[0:3], 0 offen offset:8
	;; [unrolled: 1-line block ×3, first 2 shown]
	s_waitcnt vmcnt(0)
	ds_write_b128 v114, v[1:4]
	s_waitcnt lgkmcnt(0)
	s_waitcnt_vscnt null, 0x0
	s_barrier
	buffer_gl0_inv
	s_and_saveexec_b32 s6, s5
	s_cbranch_execz .LBB117_211
; %bb.204:
	ds_read_b128 v[1:4], v114
	s_andn2_b32 vcc_lo, exec_lo, s62
	s_cbranch_vccnz .LBB117_206
; %bb.205:
	s_clause 0x3
	buffer_load_dword v115, v113, s[0:3], 0 offen offset:8
	buffer_load_dword v116, v113, s[0:3], 0 offen offset:12
	buffer_load_dword v117, v113, s[0:3], 0 offen
	buffer_load_dword v118, v113, s[0:3], 0 offen offset:4
	s_waitcnt vmcnt(2) lgkmcnt(0)
	v_mul_f64 v[120:121], v[3:4], v[115:116]
	v_mul_f64 v[115:116], v[1:2], v[115:116]
	s_waitcnt vmcnt(0)
	v_fma_f64 v[1:2], v[1:2], v[117:118], -v[120:121]
	v_fma_f64 v[3:4], v[3:4], v[117:118], v[115:116]
.LBB117_206:
	s_and_saveexec_b32 s8, s4
	s_cbranch_execz .LBB117_210
; %bb.207:
	v_subrev_nc_u32_e32 v115, 28, v0
	s_movk_i32 s63, 0x520
	s_mov_b32 s4, 0
	s_mov_b32 s64, s34
	.p2align	6
.LBB117_208:                            ; =>This Inner Loop Header: Depth=1
	v_mov_b32_e32 v118, s64
	v_add_nc_u32_e32 v115, -1, v115
	s_add_i32 s64, s64, 16
	s_clause 0x3
	buffer_load_dword v116, v118, s[0:3], 0 offen offset:8
	buffer_load_dword v117, v118, s[0:3], 0 offen offset:12
	buffer_load_dword v124, v118, s[0:3], 0 offen
	buffer_load_dword v125, v118, s[0:3], 0 offen offset:4
	v_mov_b32_e32 v118, s63
	v_cmp_eq_u32_e32 vcc_lo, 0, v115
	s_add_i32 s63, s63, 16
	ds_read_b128 v[120:123], v118
	s_or_b32 s4, vcc_lo, s4
	s_waitcnt vmcnt(2) lgkmcnt(0)
	v_mul_f64 v[126:127], v[122:123], v[116:117]
	v_mul_f64 v[116:117], v[120:121], v[116:117]
	s_waitcnt vmcnt(0)
	v_fma_f64 v[120:121], v[120:121], v[124:125], -v[126:127]
	v_fma_f64 v[116:117], v[122:123], v[124:125], v[116:117]
	v_add_f64 v[1:2], v[1:2], v[120:121]
	v_add_f64 v[3:4], v[3:4], v[116:117]
	s_andn2_b32 exec_lo, exec_lo, s4
	s_cbranch_execnz .LBB117_208
; %bb.209:
	s_or_b32 exec_lo, exec_lo, s4
.LBB117_210:
	s_or_b32 exec_lo, exec_lo, s8
	v_mov_b32_e32 v115, 0
	ds_read_b128 v[115:118], v115 offset:432
	s_waitcnt lgkmcnt(0)
	v_mul_f64 v[120:121], v[3:4], v[117:118]
	v_mul_f64 v[117:118], v[1:2], v[117:118]
	v_fma_f64 v[1:2], v[1:2], v[115:116], -v[120:121]
	v_fma_f64 v[3:4], v[3:4], v[115:116], v[117:118]
	buffer_store_dword v2, off, s[0:3], 0 offset:436
	buffer_store_dword v1, off, s[0:3], 0 offset:432
	;; [unrolled: 1-line block ×4, first 2 shown]
.LBB117_211:
	s_or_b32 exec_lo, exec_lo, s6
	v_mov_b32_e32 v4, s36
	v_cmp_lt_u32_e64 s4, 26, v0
	s_clause 0x3
	buffer_load_dword v1, v4, s[0:3], 0 offen
	buffer_load_dword v2, v4, s[0:3], 0 offen offset:4
	buffer_load_dword v3, v4, s[0:3], 0 offen offset:8
	;; [unrolled: 1-line block ×3, first 2 shown]
	s_waitcnt vmcnt(0)
	ds_write_b128 v114, v[1:4]
	s_waitcnt lgkmcnt(0)
	s_waitcnt_vscnt null, 0x0
	s_barrier
	buffer_gl0_inv
	s_and_saveexec_b32 s6, s4
	s_cbranch_execz .LBB117_219
; %bb.212:
	ds_read_b128 v[1:4], v114
	s_andn2_b32 vcc_lo, exec_lo, s62
	s_cbranch_vccnz .LBB117_214
; %bb.213:
	s_clause 0x3
	buffer_load_dword v115, v113, s[0:3], 0 offen offset:8
	buffer_load_dword v116, v113, s[0:3], 0 offen offset:12
	buffer_load_dword v117, v113, s[0:3], 0 offen
	buffer_load_dword v118, v113, s[0:3], 0 offen offset:4
	s_waitcnt vmcnt(2) lgkmcnt(0)
	v_mul_f64 v[120:121], v[3:4], v[115:116]
	v_mul_f64 v[115:116], v[1:2], v[115:116]
	s_waitcnt vmcnt(0)
	v_fma_f64 v[1:2], v[1:2], v[117:118], -v[120:121]
	v_fma_f64 v[3:4], v[3:4], v[117:118], v[115:116]
.LBB117_214:
	s_and_saveexec_b32 s8, s5
	s_cbranch_execz .LBB117_218
; %bb.215:
	v_subrev_nc_u32_e32 v115, 27, v0
	s_movk_i32 s63, 0x510
	s_mov_b32 s5, 0
	s_mov_b32 s64, s35
	.p2align	6
.LBB117_216:                            ; =>This Inner Loop Header: Depth=1
	v_mov_b32_e32 v118, s64
	v_add_nc_u32_e32 v115, -1, v115
	s_add_i32 s64, s64, 16
	s_clause 0x3
	buffer_load_dword v116, v118, s[0:3], 0 offen offset:8
	buffer_load_dword v117, v118, s[0:3], 0 offen offset:12
	buffer_load_dword v124, v118, s[0:3], 0 offen
	buffer_load_dword v125, v118, s[0:3], 0 offen offset:4
	v_mov_b32_e32 v118, s63
	v_cmp_eq_u32_e32 vcc_lo, 0, v115
	s_add_i32 s63, s63, 16
	ds_read_b128 v[120:123], v118
	s_or_b32 s5, vcc_lo, s5
	s_waitcnt vmcnt(2) lgkmcnt(0)
	v_mul_f64 v[126:127], v[122:123], v[116:117]
	v_mul_f64 v[116:117], v[120:121], v[116:117]
	s_waitcnt vmcnt(0)
	v_fma_f64 v[120:121], v[120:121], v[124:125], -v[126:127]
	v_fma_f64 v[116:117], v[122:123], v[124:125], v[116:117]
	v_add_f64 v[1:2], v[1:2], v[120:121]
	v_add_f64 v[3:4], v[3:4], v[116:117]
	s_andn2_b32 exec_lo, exec_lo, s5
	s_cbranch_execnz .LBB117_216
; %bb.217:
	s_or_b32 exec_lo, exec_lo, s5
.LBB117_218:
	s_or_b32 exec_lo, exec_lo, s8
	v_mov_b32_e32 v115, 0
	ds_read_b128 v[115:118], v115 offset:416
	s_waitcnt lgkmcnt(0)
	v_mul_f64 v[120:121], v[3:4], v[117:118]
	v_mul_f64 v[117:118], v[1:2], v[117:118]
	v_fma_f64 v[1:2], v[1:2], v[115:116], -v[120:121]
	v_fma_f64 v[3:4], v[3:4], v[115:116], v[117:118]
	buffer_store_dword v2, off, s[0:3], 0 offset:420
	buffer_store_dword v1, off, s[0:3], 0 offset:416
	;; [unrolled: 1-line block ×4, first 2 shown]
.LBB117_219:
	s_or_b32 exec_lo, exec_lo, s6
	v_mov_b32_e32 v4, s37
	v_cmp_lt_u32_e64 s5, 25, v0
	s_clause 0x3
	buffer_load_dword v1, v4, s[0:3], 0 offen
	buffer_load_dword v2, v4, s[0:3], 0 offen offset:4
	buffer_load_dword v3, v4, s[0:3], 0 offen offset:8
	;; [unrolled: 1-line block ×3, first 2 shown]
	s_waitcnt vmcnt(0)
	ds_write_b128 v114, v[1:4]
	s_waitcnt lgkmcnt(0)
	s_waitcnt_vscnt null, 0x0
	s_barrier
	buffer_gl0_inv
	s_and_saveexec_b32 s6, s5
	s_cbranch_execz .LBB117_227
; %bb.220:
	ds_read_b128 v[1:4], v114
	s_andn2_b32 vcc_lo, exec_lo, s62
	s_cbranch_vccnz .LBB117_222
; %bb.221:
	s_clause 0x3
	buffer_load_dword v115, v113, s[0:3], 0 offen offset:8
	buffer_load_dword v116, v113, s[0:3], 0 offen offset:12
	buffer_load_dword v117, v113, s[0:3], 0 offen
	buffer_load_dword v118, v113, s[0:3], 0 offen offset:4
	s_waitcnt vmcnt(2) lgkmcnt(0)
	v_mul_f64 v[120:121], v[3:4], v[115:116]
	v_mul_f64 v[115:116], v[1:2], v[115:116]
	s_waitcnt vmcnt(0)
	v_fma_f64 v[1:2], v[1:2], v[117:118], -v[120:121]
	v_fma_f64 v[3:4], v[3:4], v[117:118], v[115:116]
.LBB117_222:
	s_and_saveexec_b32 s8, s4
	s_cbranch_execz .LBB117_226
; %bb.223:
	v_subrev_nc_u32_e32 v115, 26, v0
	s_movk_i32 s63, 0x500
	s_mov_b32 s4, 0
	s_mov_b32 s64, s36
	.p2align	6
.LBB117_224:                            ; =>This Inner Loop Header: Depth=1
	v_mov_b32_e32 v118, s64
	v_add_nc_u32_e32 v115, -1, v115
	s_add_i32 s64, s64, 16
	s_clause 0x3
	buffer_load_dword v116, v118, s[0:3], 0 offen offset:8
	buffer_load_dword v117, v118, s[0:3], 0 offen offset:12
	buffer_load_dword v124, v118, s[0:3], 0 offen
	buffer_load_dword v125, v118, s[0:3], 0 offen offset:4
	v_mov_b32_e32 v118, s63
	v_cmp_eq_u32_e32 vcc_lo, 0, v115
	s_add_i32 s63, s63, 16
	ds_read_b128 v[120:123], v118
	s_or_b32 s4, vcc_lo, s4
	s_waitcnt vmcnt(2) lgkmcnt(0)
	v_mul_f64 v[126:127], v[122:123], v[116:117]
	v_mul_f64 v[116:117], v[120:121], v[116:117]
	s_waitcnt vmcnt(0)
	v_fma_f64 v[120:121], v[120:121], v[124:125], -v[126:127]
	v_fma_f64 v[116:117], v[122:123], v[124:125], v[116:117]
	v_add_f64 v[1:2], v[1:2], v[120:121]
	v_add_f64 v[3:4], v[3:4], v[116:117]
	s_andn2_b32 exec_lo, exec_lo, s4
	s_cbranch_execnz .LBB117_224
; %bb.225:
	s_or_b32 exec_lo, exec_lo, s4
.LBB117_226:
	s_or_b32 exec_lo, exec_lo, s8
	v_mov_b32_e32 v115, 0
	ds_read_b128 v[115:118], v115 offset:400
	s_waitcnt lgkmcnt(0)
	v_mul_f64 v[120:121], v[3:4], v[117:118]
	v_mul_f64 v[117:118], v[1:2], v[117:118]
	v_fma_f64 v[1:2], v[1:2], v[115:116], -v[120:121]
	v_fma_f64 v[3:4], v[3:4], v[115:116], v[117:118]
	buffer_store_dword v2, off, s[0:3], 0 offset:404
	buffer_store_dword v1, off, s[0:3], 0 offset:400
	;; [unrolled: 1-line block ×4, first 2 shown]
.LBB117_227:
	s_or_b32 exec_lo, exec_lo, s6
	v_mov_b32_e32 v4, s38
	v_cmp_lt_u32_e64 s4, 24, v0
	s_clause 0x3
	buffer_load_dword v1, v4, s[0:3], 0 offen
	buffer_load_dword v2, v4, s[0:3], 0 offen offset:4
	buffer_load_dword v3, v4, s[0:3], 0 offen offset:8
	;; [unrolled: 1-line block ×3, first 2 shown]
	s_waitcnt vmcnt(0)
	ds_write_b128 v114, v[1:4]
	s_waitcnt lgkmcnt(0)
	s_waitcnt_vscnt null, 0x0
	s_barrier
	buffer_gl0_inv
	s_and_saveexec_b32 s6, s4
	s_cbranch_execz .LBB117_235
; %bb.228:
	ds_read_b128 v[1:4], v114
	s_andn2_b32 vcc_lo, exec_lo, s62
	s_cbranch_vccnz .LBB117_230
; %bb.229:
	s_clause 0x3
	buffer_load_dword v115, v113, s[0:3], 0 offen offset:8
	buffer_load_dword v116, v113, s[0:3], 0 offen offset:12
	buffer_load_dword v117, v113, s[0:3], 0 offen
	buffer_load_dword v118, v113, s[0:3], 0 offen offset:4
	s_waitcnt vmcnt(2) lgkmcnt(0)
	v_mul_f64 v[120:121], v[3:4], v[115:116]
	v_mul_f64 v[115:116], v[1:2], v[115:116]
	s_waitcnt vmcnt(0)
	v_fma_f64 v[1:2], v[1:2], v[117:118], -v[120:121]
	v_fma_f64 v[3:4], v[3:4], v[117:118], v[115:116]
.LBB117_230:
	s_and_saveexec_b32 s8, s5
	s_cbranch_execz .LBB117_234
; %bb.231:
	v_subrev_nc_u32_e32 v115, 25, v0
	s_movk_i32 s63, 0x4f0
	s_mov_b32 s5, 0
	s_mov_b32 s64, s37
	.p2align	6
.LBB117_232:                            ; =>This Inner Loop Header: Depth=1
	v_mov_b32_e32 v118, s64
	v_add_nc_u32_e32 v115, -1, v115
	s_add_i32 s64, s64, 16
	s_clause 0x3
	buffer_load_dword v116, v118, s[0:3], 0 offen offset:8
	buffer_load_dword v117, v118, s[0:3], 0 offen offset:12
	buffer_load_dword v124, v118, s[0:3], 0 offen
	buffer_load_dword v125, v118, s[0:3], 0 offen offset:4
	v_mov_b32_e32 v118, s63
	v_cmp_eq_u32_e32 vcc_lo, 0, v115
	s_add_i32 s63, s63, 16
	ds_read_b128 v[120:123], v118
	s_or_b32 s5, vcc_lo, s5
	s_waitcnt vmcnt(2) lgkmcnt(0)
	v_mul_f64 v[126:127], v[122:123], v[116:117]
	v_mul_f64 v[116:117], v[120:121], v[116:117]
	s_waitcnt vmcnt(0)
	v_fma_f64 v[120:121], v[120:121], v[124:125], -v[126:127]
	v_fma_f64 v[116:117], v[122:123], v[124:125], v[116:117]
	v_add_f64 v[1:2], v[1:2], v[120:121]
	v_add_f64 v[3:4], v[3:4], v[116:117]
	s_andn2_b32 exec_lo, exec_lo, s5
	s_cbranch_execnz .LBB117_232
; %bb.233:
	s_or_b32 exec_lo, exec_lo, s5
.LBB117_234:
	s_or_b32 exec_lo, exec_lo, s8
	v_mov_b32_e32 v115, 0
	ds_read_b128 v[115:118], v115 offset:384
	s_waitcnt lgkmcnt(0)
	v_mul_f64 v[120:121], v[3:4], v[117:118]
	v_mul_f64 v[117:118], v[1:2], v[117:118]
	v_fma_f64 v[1:2], v[1:2], v[115:116], -v[120:121]
	v_fma_f64 v[3:4], v[3:4], v[115:116], v[117:118]
	buffer_store_dword v2, off, s[0:3], 0 offset:388
	buffer_store_dword v1, off, s[0:3], 0 offset:384
	;; [unrolled: 1-line block ×4, first 2 shown]
.LBB117_235:
	s_or_b32 exec_lo, exec_lo, s6
	v_mov_b32_e32 v4, s39
	v_cmp_lt_u32_e64 s5, 23, v0
	s_clause 0x3
	buffer_load_dword v1, v4, s[0:3], 0 offen
	buffer_load_dword v2, v4, s[0:3], 0 offen offset:4
	buffer_load_dword v3, v4, s[0:3], 0 offen offset:8
	;; [unrolled: 1-line block ×3, first 2 shown]
	s_waitcnt vmcnt(0)
	ds_write_b128 v114, v[1:4]
	s_waitcnt lgkmcnt(0)
	s_waitcnt_vscnt null, 0x0
	s_barrier
	buffer_gl0_inv
	s_and_saveexec_b32 s6, s5
	s_cbranch_execz .LBB117_243
; %bb.236:
	ds_read_b128 v[1:4], v114
	s_andn2_b32 vcc_lo, exec_lo, s62
	s_cbranch_vccnz .LBB117_238
; %bb.237:
	s_clause 0x3
	buffer_load_dword v115, v113, s[0:3], 0 offen offset:8
	buffer_load_dword v116, v113, s[0:3], 0 offen offset:12
	buffer_load_dword v117, v113, s[0:3], 0 offen
	buffer_load_dword v118, v113, s[0:3], 0 offen offset:4
	s_waitcnt vmcnt(2) lgkmcnt(0)
	v_mul_f64 v[120:121], v[3:4], v[115:116]
	v_mul_f64 v[115:116], v[1:2], v[115:116]
	s_waitcnt vmcnt(0)
	v_fma_f64 v[1:2], v[1:2], v[117:118], -v[120:121]
	v_fma_f64 v[3:4], v[3:4], v[117:118], v[115:116]
.LBB117_238:
	s_and_saveexec_b32 s8, s4
	s_cbranch_execz .LBB117_242
; %bb.239:
	v_subrev_nc_u32_e32 v115, 24, v0
	s_movk_i32 s63, 0x4e0
	s_mov_b32 s4, 0
	s_mov_b32 s64, s38
	.p2align	6
.LBB117_240:                            ; =>This Inner Loop Header: Depth=1
	v_mov_b32_e32 v118, s64
	v_add_nc_u32_e32 v115, -1, v115
	s_add_i32 s64, s64, 16
	s_clause 0x3
	buffer_load_dword v116, v118, s[0:3], 0 offen offset:8
	buffer_load_dword v117, v118, s[0:3], 0 offen offset:12
	buffer_load_dword v124, v118, s[0:3], 0 offen
	buffer_load_dword v125, v118, s[0:3], 0 offen offset:4
	v_mov_b32_e32 v118, s63
	v_cmp_eq_u32_e32 vcc_lo, 0, v115
	s_add_i32 s63, s63, 16
	ds_read_b128 v[120:123], v118
	s_or_b32 s4, vcc_lo, s4
	s_waitcnt vmcnt(2) lgkmcnt(0)
	v_mul_f64 v[126:127], v[122:123], v[116:117]
	v_mul_f64 v[116:117], v[120:121], v[116:117]
	s_waitcnt vmcnt(0)
	v_fma_f64 v[120:121], v[120:121], v[124:125], -v[126:127]
	v_fma_f64 v[116:117], v[122:123], v[124:125], v[116:117]
	v_add_f64 v[1:2], v[1:2], v[120:121]
	v_add_f64 v[3:4], v[3:4], v[116:117]
	s_andn2_b32 exec_lo, exec_lo, s4
	s_cbranch_execnz .LBB117_240
; %bb.241:
	s_or_b32 exec_lo, exec_lo, s4
.LBB117_242:
	s_or_b32 exec_lo, exec_lo, s8
	v_mov_b32_e32 v115, 0
	ds_read_b128 v[115:118], v115 offset:368
	s_waitcnt lgkmcnt(0)
	v_mul_f64 v[120:121], v[3:4], v[117:118]
	v_mul_f64 v[117:118], v[1:2], v[117:118]
	v_fma_f64 v[1:2], v[1:2], v[115:116], -v[120:121]
	v_fma_f64 v[3:4], v[3:4], v[115:116], v[117:118]
	buffer_store_dword v2, off, s[0:3], 0 offset:372
	buffer_store_dword v1, off, s[0:3], 0 offset:368
	;; [unrolled: 1-line block ×4, first 2 shown]
.LBB117_243:
	s_or_b32 exec_lo, exec_lo, s6
	v_mov_b32_e32 v4, s40
	v_cmp_lt_u32_e64 s4, 22, v0
	s_clause 0x3
	buffer_load_dword v1, v4, s[0:3], 0 offen
	buffer_load_dword v2, v4, s[0:3], 0 offen offset:4
	buffer_load_dword v3, v4, s[0:3], 0 offen offset:8
	;; [unrolled: 1-line block ×3, first 2 shown]
	s_waitcnt vmcnt(0)
	ds_write_b128 v114, v[1:4]
	s_waitcnt lgkmcnt(0)
	s_waitcnt_vscnt null, 0x0
	s_barrier
	buffer_gl0_inv
	s_and_saveexec_b32 s6, s4
	s_cbranch_execz .LBB117_251
; %bb.244:
	ds_read_b128 v[1:4], v114
	s_andn2_b32 vcc_lo, exec_lo, s62
	s_cbranch_vccnz .LBB117_246
; %bb.245:
	s_clause 0x3
	buffer_load_dword v115, v113, s[0:3], 0 offen offset:8
	buffer_load_dword v116, v113, s[0:3], 0 offen offset:12
	buffer_load_dword v117, v113, s[0:3], 0 offen
	buffer_load_dword v118, v113, s[0:3], 0 offen offset:4
	s_waitcnt vmcnt(2) lgkmcnt(0)
	v_mul_f64 v[120:121], v[3:4], v[115:116]
	v_mul_f64 v[115:116], v[1:2], v[115:116]
	s_waitcnt vmcnt(0)
	v_fma_f64 v[1:2], v[1:2], v[117:118], -v[120:121]
	v_fma_f64 v[3:4], v[3:4], v[117:118], v[115:116]
.LBB117_246:
	s_and_saveexec_b32 s8, s5
	s_cbranch_execz .LBB117_250
; %bb.247:
	v_subrev_nc_u32_e32 v115, 23, v0
	s_movk_i32 s63, 0x4d0
	s_mov_b32 s5, 0
	s_mov_b32 s64, s39
	.p2align	6
.LBB117_248:                            ; =>This Inner Loop Header: Depth=1
	v_mov_b32_e32 v118, s64
	v_add_nc_u32_e32 v115, -1, v115
	s_add_i32 s64, s64, 16
	s_clause 0x3
	buffer_load_dword v116, v118, s[0:3], 0 offen offset:8
	buffer_load_dword v117, v118, s[0:3], 0 offen offset:12
	buffer_load_dword v124, v118, s[0:3], 0 offen
	buffer_load_dword v125, v118, s[0:3], 0 offen offset:4
	v_mov_b32_e32 v118, s63
	v_cmp_eq_u32_e32 vcc_lo, 0, v115
	s_add_i32 s63, s63, 16
	ds_read_b128 v[120:123], v118
	s_or_b32 s5, vcc_lo, s5
	s_waitcnt vmcnt(2) lgkmcnt(0)
	v_mul_f64 v[126:127], v[122:123], v[116:117]
	v_mul_f64 v[116:117], v[120:121], v[116:117]
	s_waitcnt vmcnt(0)
	v_fma_f64 v[120:121], v[120:121], v[124:125], -v[126:127]
	v_fma_f64 v[116:117], v[122:123], v[124:125], v[116:117]
	v_add_f64 v[1:2], v[1:2], v[120:121]
	v_add_f64 v[3:4], v[3:4], v[116:117]
	s_andn2_b32 exec_lo, exec_lo, s5
	s_cbranch_execnz .LBB117_248
; %bb.249:
	s_or_b32 exec_lo, exec_lo, s5
.LBB117_250:
	s_or_b32 exec_lo, exec_lo, s8
	v_mov_b32_e32 v115, 0
	ds_read_b128 v[115:118], v115 offset:352
	s_waitcnt lgkmcnt(0)
	v_mul_f64 v[120:121], v[3:4], v[117:118]
	v_mul_f64 v[117:118], v[1:2], v[117:118]
	v_fma_f64 v[1:2], v[1:2], v[115:116], -v[120:121]
	v_fma_f64 v[3:4], v[3:4], v[115:116], v[117:118]
	buffer_store_dword v2, off, s[0:3], 0 offset:356
	buffer_store_dword v1, off, s[0:3], 0 offset:352
	;; [unrolled: 1-line block ×4, first 2 shown]
.LBB117_251:
	s_or_b32 exec_lo, exec_lo, s6
	v_mov_b32_e32 v4, s41
	v_cmp_lt_u32_e64 s5, 21, v0
	s_clause 0x3
	buffer_load_dword v1, v4, s[0:3], 0 offen
	buffer_load_dword v2, v4, s[0:3], 0 offen offset:4
	buffer_load_dword v3, v4, s[0:3], 0 offen offset:8
	buffer_load_dword v4, v4, s[0:3], 0 offen offset:12
	s_waitcnt vmcnt(0)
	ds_write_b128 v114, v[1:4]
	s_waitcnt lgkmcnt(0)
	s_waitcnt_vscnt null, 0x0
	s_barrier
	buffer_gl0_inv
	s_and_saveexec_b32 s6, s5
	s_cbranch_execz .LBB117_259
; %bb.252:
	ds_read_b128 v[1:4], v114
	s_andn2_b32 vcc_lo, exec_lo, s62
	s_cbranch_vccnz .LBB117_254
; %bb.253:
	s_clause 0x3
	buffer_load_dword v115, v113, s[0:3], 0 offen offset:8
	buffer_load_dword v116, v113, s[0:3], 0 offen offset:12
	buffer_load_dword v117, v113, s[0:3], 0 offen
	buffer_load_dword v118, v113, s[0:3], 0 offen offset:4
	s_waitcnt vmcnt(2) lgkmcnt(0)
	v_mul_f64 v[120:121], v[3:4], v[115:116]
	v_mul_f64 v[115:116], v[1:2], v[115:116]
	s_waitcnt vmcnt(0)
	v_fma_f64 v[1:2], v[1:2], v[117:118], -v[120:121]
	v_fma_f64 v[3:4], v[3:4], v[117:118], v[115:116]
.LBB117_254:
	s_and_saveexec_b32 s8, s4
	s_cbranch_execz .LBB117_258
; %bb.255:
	v_subrev_nc_u32_e32 v115, 22, v0
	s_movk_i32 s63, 0x4c0
	s_mov_b32 s4, 0
	s_mov_b32 s64, s40
	.p2align	6
.LBB117_256:                            ; =>This Inner Loop Header: Depth=1
	v_mov_b32_e32 v118, s64
	v_add_nc_u32_e32 v115, -1, v115
	s_add_i32 s64, s64, 16
	s_clause 0x3
	buffer_load_dword v116, v118, s[0:3], 0 offen offset:8
	buffer_load_dword v117, v118, s[0:3], 0 offen offset:12
	buffer_load_dword v124, v118, s[0:3], 0 offen
	buffer_load_dword v125, v118, s[0:3], 0 offen offset:4
	v_mov_b32_e32 v118, s63
	v_cmp_eq_u32_e32 vcc_lo, 0, v115
	s_add_i32 s63, s63, 16
	ds_read_b128 v[120:123], v118
	s_or_b32 s4, vcc_lo, s4
	s_waitcnt vmcnt(2) lgkmcnt(0)
	v_mul_f64 v[126:127], v[122:123], v[116:117]
	v_mul_f64 v[116:117], v[120:121], v[116:117]
	s_waitcnt vmcnt(0)
	v_fma_f64 v[120:121], v[120:121], v[124:125], -v[126:127]
	v_fma_f64 v[116:117], v[122:123], v[124:125], v[116:117]
	v_add_f64 v[1:2], v[1:2], v[120:121]
	v_add_f64 v[3:4], v[3:4], v[116:117]
	s_andn2_b32 exec_lo, exec_lo, s4
	s_cbranch_execnz .LBB117_256
; %bb.257:
	s_or_b32 exec_lo, exec_lo, s4
.LBB117_258:
	s_or_b32 exec_lo, exec_lo, s8
	v_mov_b32_e32 v115, 0
	ds_read_b128 v[115:118], v115 offset:336
	s_waitcnt lgkmcnt(0)
	v_mul_f64 v[120:121], v[3:4], v[117:118]
	v_mul_f64 v[117:118], v[1:2], v[117:118]
	v_fma_f64 v[1:2], v[1:2], v[115:116], -v[120:121]
	v_fma_f64 v[3:4], v[3:4], v[115:116], v[117:118]
	buffer_store_dword v2, off, s[0:3], 0 offset:340
	buffer_store_dword v1, off, s[0:3], 0 offset:336
	;; [unrolled: 1-line block ×4, first 2 shown]
.LBB117_259:
	s_or_b32 exec_lo, exec_lo, s6
	v_mov_b32_e32 v4, s42
	v_cmp_lt_u32_e64 s4, 20, v0
	s_clause 0x3
	buffer_load_dword v1, v4, s[0:3], 0 offen
	buffer_load_dword v2, v4, s[0:3], 0 offen offset:4
	buffer_load_dword v3, v4, s[0:3], 0 offen offset:8
	;; [unrolled: 1-line block ×3, first 2 shown]
	s_waitcnt vmcnt(0)
	ds_write_b128 v114, v[1:4]
	s_waitcnt lgkmcnt(0)
	s_waitcnt_vscnt null, 0x0
	s_barrier
	buffer_gl0_inv
	s_and_saveexec_b32 s6, s4
	s_cbranch_execz .LBB117_267
; %bb.260:
	ds_read_b128 v[1:4], v114
	s_andn2_b32 vcc_lo, exec_lo, s62
	s_cbranch_vccnz .LBB117_262
; %bb.261:
	s_clause 0x3
	buffer_load_dword v115, v113, s[0:3], 0 offen offset:8
	buffer_load_dword v116, v113, s[0:3], 0 offen offset:12
	buffer_load_dword v117, v113, s[0:3], 0 offen
	buffer_load_dword v118, v113, s[0:3], 0 offen offset:4
	s_waitcnt vmcnt(2) lgkmcnt(0)
	v_mul_f64 v[120:121], v[3:4], v[115:116]
	v_mul_f64 v[115:116], v[1:2], v[115:116]
	s_waitcnt vmcnt(0)
	v_fma_f64 v[1:2], v[1:2], v[117:118], -v[120:121]
	v_fma_f64 v[3:4], v[3:4], v[117:118], v[115:116]
.LBB117_262:
	s_and_saveexec_b32 s8, s5
	s_cbranch_execz .LBB117_266
; %bb.263:
	v_subrev_nc_u32_e32 v115, 21, v0
	s_movk_i32 s63, 0x4b0
	s_mov_b32 s5, 0
	s_mov_b32 s64, s41
	.p2align	6
.LBB117_264:                            ; =>This Inner Loop Header: Depth=1
	v_mov_b32_e32 v118, s64
	v_add_nc_u32_e32 v115, -1, v115
	s_add_i32 s64, s64, 16
	s_clause 0x3
	buffer_load_dword v116, v118, s[0:3], 0 offen offset:8
	buffer_load_dword v117, v118, s[0:3], 0 offen offset:12
	buffer_load_dword v124, v118, s[0:3], 0 offen
	buffer_load_dword v125, v118, s[0:3], 0 offen offset:4
	v_mov_b32_e32 v118, s63
	v_cmp_eq_u32_e32 vcc_lo, 0, v115
	s_add_i32 s63, s63, 16
	ds_read_b128 v[120:123], v118
	s_or_b32 s5, vcc_lo, s5
	s_waitcnt vmcnt(2) lgkmcnt(0)
	v_mul_f64 v[126:127], v[122:123], v[116:117]
	v_mul_f64 v[116:117], v[120:121], v[116:117]
	s_waitcnt vmcnt(0)
	v_fma_f64 v[120:121], v[120:121], v[124:125], -v[126:127]
	v_fma_f64 v[116:117], v[122:123], v[124:125], v[116:117]
	v_add_f64 v[1:2], v[1:2], v[120:121]
	v_add_f64 v[3:4], v[3:4], v[116:117]
	s_andn2_b32 exec_lo, exec_lo, s5
	s_cbranch_execnz .LBB117_264
; %bb.265:
	s_or_b32 exec_lo, exec_lo, s5
.LBB117_266:
	s_or_b32 exec_lo, exec_lo, s8
	v_mov_b32_e32 v115, 0
	ds_read_b128 v[115:118], v115 offset:320
	s_waitcnt lgkmcnt(0)
	v_mul_f64 v[120:121], v[3:4], v[117:118]
	v_mul_f64 v[117:118], v[1:2], v[117:118]
	v_fma_f64 v[1:2], v[1:2], v[115:116], -v[120:121]
	v_fma_f64 v[3:4], v[3:4], v[115:116], v[117:118]
	buffer_store_dword v2, off, s[0:3], 0 offset:324
	buffer_store_dword v1, off, s[0:3], 0 offset:320
	;; [unrolled: 1-line block ×4, first 2 shown]
.LBB117_267:
	s_or_b32 exec_lo, exec_lo, s6
	v_mov_b32_e32 v4, s43
	v_cmp_lt_u32_e64 s5, 19, v0
	s_clause 0x3
	buffer_load_dword v1, v4, s[0:3], 0 offen
	buffer_load_dword v2, v4, s[0:3], 0 offen offset:4
	buffer_load_dword v3, v4, s[0:3], 0 offen offset:8
	;; [unrolled: 1-line block ×3, first 2 shown]
	s_waitcnt vmcnt(0)
	ds_write_b128 v114, v[1:4]
	s_waitcnt lgkmcnt(0)
	s_waitcnt_vscnt null, 0x0
	s_barrier
	buffer_gl0_inv
	s_and_saveexec_b32 s6, s5
	s_cbranch_execz .LBB117_275
; %bb.268:
	ds_read_b128 v[1:4], v114
	s_andn2_b32 vcc_lo, exec_lo, s62
	s_cbranch_vccnz .LBB117_270
; %bb.269:
	s_clause 0x3
	buffer_load_dword v115, v113, s[0:3], 0 offen offset:8
	buffer_load_dword v116, v113, s[0:3], 0 offen offset:12
	buffer_load_dword v117, v113, s[0:3], 0 offen
	buffer_load_dword v118, v113, s[0:3], 0 offen offset:4
	s_waitcnt vmcnt(2) lgkmcnt(0)
	v_mul_f64 v[120:121], v[3:4], v[115:116]
	v_mul_f64 v[115:116], v[1:2], v[115:116]
	s_waitcnt vmcnt(0)
	v_fma_f64 v[1:2], v[1:2], v[117:118], -v[120:121]
	v_fma_f64 v[3:4], v[3:4], v[117:118], v[115:116]
.LBB117_270:
	s_and_saveexec_b32 s8, s4
	s_cbranch_execz .LBB117_274
; %bb.271:
	v_subrev_nc_u32_e32 v115, 20, v0
	s_movk_i32 s63, 0x4a0
	s_mov_b32 s4, 0
	s_mov_b32 s64, s42
	.p2align	6
.LBB117_272:                            ; =>This Inner Loop Header: Depth=1
	v_mov_b32_e32 v118, s64
	v_add_nc_u32_e32 v115, -1, v115
	s_add_i32 s64, s64, 16
	s_clause 0x3
	buffer_load_dword v116, v118, s[0:3], 0 offen offset:8
	buffer_load_dword v117, v118, s[0:3], 0 offen offset:12
	buffer_load_dword v124, v118, s[0:3], 0 offen
	buffer_load_dword v125, v118, s[0:3], 0 offen offset:4
	v_mov_b32_e32 v118, s63
	v_cmp_eq_u32_e32 vcc_lo, 0, v115
	s_add_i32 s63, s63, 16
	ds_read_b128 v[120:123], v118
	s_or_b32 s4, vcc_lo, s4
	s_waitcnt vmcnt(2) lgkmcnt(0)
	v_mul_f64 v[126:127], v[122:123], v[116:117]
	v_mul_f64 v[116:117], v[120:121], v[116:117]
	s_waitcnt vmcnt(0)
	v_fma_f64 v[120:121], v[120:121], v[124:125], -v[126:127]
	v_fma_f64 v[116:117], v[122:123], v[124:125], v[116:117]
	v_add_f64 v[1:2], v[1:2], v[120:121]
	v_add_f64 v[3:4], v[3:4], v[116:117]
	s_andn2_b32 exec_lo, exec_lo, s4
	s_cbranch_execnz .LBB117_272
; %bb.273:
	s_or_b32 exec_lo, exec_lo, s4
.LBB117_274:
	s_or_b32 exec_lo, exec_lo, s8
	v_mov_b32_e32 v115, 0
	ds_read_b128 v[115:118], v115 offset:304
	s_waitcnt lgkmcnt(0)
	v_mul_f64 v[120:121], v[3:4], v[117:118]
	v_mul_f64 v[117:118], v[1:2], v[117:118]
	v_fma_f64 v[1:2], v[1:2], v[115:116], -v[120:121]
	v_fma_f64 v[3:4], v[3:4], v[115:116], v[117:118]
	buffer_store_dword v2, off, s[0:3], 0 offset:308
	buffer_store_dword v1, off, s[0:3], 0 offset:304
	;; [unrolled: 1-line block ×4, first 2 shown]
.LBB117_275:
	s_or_b32 exec_lo, exec_lo, s6
	v_mov_b32_e32 v4, s44
	v_cmp_lt_u32_e64 s4, 18, v0
	s_clause 0x3
	buffer_load_dword v1, v4, s[0:3], 0 offen
	buffer_load_dword v2, v4, s[0:3], 0 offen offset:4
	buffer_load_dword v3, v4, s[0:3], 0 offen offset:8
	;; [unrolled: 1-line block ×3, first 2 shown]
	s_waitcnt vmcnt(0)
	ds_write_b128 v114, v[1:4]
	s_waitcnt lgkmcnt(0)
	s_waitcnt_vscnt null, 0x0
	s_barrier
	buffer_gl0_inv
	s_and_saveexec_b32 s6, s4
	s_cbranch_execz .LBB117_283
; %bb.276:
	ds_read_b128 v[1:4], v114
	s_andn2_b32 vcc_lo, exec_lo, s62
	s_cbranch_vccnz .LBB117_278
; %bb.277:
	s_clause 0x3
	buffer_load_dword v115, v113, s[0:3], 0 offen offset:8
	buffer_load_dword v116, v113, s[0:3], 0 offen offset:12
	buffer_load_dword v117, v113, s[0:3], 0 offen
	buffer_load_dword v118, v113, s[0:3], 0 offen offset:4
	s_waitcnt vmcnt(2) lgkmcnt(0)
	v_mul_f64 v[120:121], v[3:4], v[115:116]
	v_mul_f64 v[115:116], v[1:2], v[115:116]
	s_waitcnt vmcnt(0)
	v_fma_f64 v[1:2], v[1:2], v[117:118], -v[120:121]
	v_fma_f64 v[3:4], v[3:4], v[117:118], v[115:116]
.LBB117_278:
	s_and_saveexec_b32 s8, s5
	s_cbranch_execz .LBB117_282
; %bb.279:
	v_subrev_nc_u32_e32 v115, 19, v0
	s_movk_i32 s63, 0x490
	s_mov_b32 s5, 0
	s_mov_b32 s64, s43
	.p2align	6
.LBB117_280:                            ; =>This Inner Loop Header: Depth=1
	v_mov_b32_e32 v118, s64
	v_add_nc_u32_e32 v115, -1, v115
	s_add_i32 s64, s64, 16
	s_clause 0x3
	buffer_load_dword v116, v118, s[0:3], 0 offen offset:8
	buffer_load_dword v117, v118, s[0:3], 0 offen offset:12
	buffer_load_dword v124, v118, s[0:3], 0 offen
	buffer_load_dword v125, v118, s[0:3], 0 offen offset:4
	v_mov_b32_e32 v118, s63
	v_cmp_eq_u32_e32 vcc_lo, 0, v115
	s_add_i32 s63, s63, 16
	ds_read_b128 v[120:123], v118
	s_or_b32 s5, vcc_lo, s5
	s_waitcnt vmcnt(2) lgkmcnt(0)
	v_mul_f64 v[126:127], v[122:123], v[116:117]
	v_mul_f64 v[116:117], v[120:121], v[116:117]
	s_waitcnt vmcnt(0)
	v_fma_f64 v[120:121], v[120:121], v[124:125], -v[126:127]
	v_fma_f64 v[116:117], v[122:123], v[124:125], v[116:117]
	v_add_f64 v[1:2], v[1:2], v[120:121]
	v_add_f64 v[3:4], v[3:4], v[116:117]
	s_andn2_b32 exec_lo, exec_lo, s5
	s_cbranch_execnz .LBB117_280
; %bb.281:
	s_or_b32 exec_lo, exec_lo, s5
.LBB117_282:
	s_or_b32 exec_lo, exec_lo, s8
	v_mov_b32_e32 v115, 0
	ds_read_b128 v[115:118], v115 offset:288
	s_waitcnt lgkmcnt(0)
	v_mul_f64 v[120:121], v[3:4], v[117:118]
	v_mul_f64 v[117:118], v[1:2], v[117:118]
	v_fma_f64 v[1:2], v[1:2], v[115:116], -v[120:121]
	v_fma_f64 v[3:4], v[3:4], v[115:116], v[117:118]
	buffer_store_dword v2, off, s[0:3], 0 offset:292
	buffer_store_dword v1, off, s[0:3], 0 offset:288
	;; [unrolled: 1-line block ×4, first 2 shown]
.LBB117_283:
	s_or_b32 exec_lo, exec_lo, s6
	v_mov_b32_e32 v4, s45
	v_cmp_lt_u32_e64 s5, 17, v0
	s_clause 0x3
	buffer_load_dword v1, v4, s[0:3], 0 offen
	buffer_load_dword v2, v4, s[0:3], 0 offen offset:4
	buffer_load_dword v3, v4, s[0:3], 0 offen offset:8
	;; [unrolled: 1-line block ×3, first 2 shown]
	s_waitcnt vmcnt(0)
	ds_write_b128 v114, v[1:4]
	s_waitcnt lgkmcnt(0)
	s_waitcnt_vscnt null, 0x0
	s_barrier
	buffer_gl0_inv
	s_and_saveexec_b32 s6, s5
	s_cbranch_execz .LBB117_291
; %bb.284:
	ds_read_b128 v[1:4], v114
	s_andn2_b32 vcc_lo, exec_lo, s62
	s_cbranch_vccnz .LBB117_286
; %bb.285:
	s_clause 0x3
	buffer_load_dword v115, v113, s[0:3], 0 offen offset:8
	buffer_load_dword v116, v113, s[0:3], 0 offen offset:12
	buffer_load_dword v117, v113, s[0:3], 0 offen
	buffer_load_dword v118, v113, s[0:3], 0 offen offset:4
	s_waitcnt vmcnt(2) lgkmcnt(0)
	v_mul_f64 v[120:121], v[3:4], v[115:116]
	v_mul_f64 v[115:116], v[1:2], v[115:116]
	s_waitcnt vmcnt(0)
	v_fma_f64 v[1:2], v[1:2], v[117:118], -v[120:121]
	v_fma_f64 v[3:4], v[3:4], v[117:118], v[115:116]
.LBB117_286:
	s_and_saveexec_b32 s8, s4
	s_cbranch_execz .LBB117_290
; %bb.287:
	v_subrev_nc_u32_e32 v115, 18, v0
	s_movk_i32 s63, 0x480
	s_mov_b32 s4, 0
	s_mov_b32 s64, s44
	.p2align	6
.LBB117_288:                            ; =>This Inner Loop Header: Depth=1
	v_mov_b32_e32 v118, s64
	v_add_nc_u32_e32 v115, -1, v115
	s_add_i32 s64, s64, 16
	s_clause 0x3
	buffer_load_dword v116, v118, s[0:3], 0 offen offset:8
	buffer_load_dword v117, v118, s[0:3], 0 offen offset:12
	buffer_load_dword v124, v118, s[0:3], 0 offen
	buffer_load_dword v125, v118, s[0:3], 0 offen offset:4
	v_mov_b32_e32 v118, s63
	v_cmp_eq_u32_e32 vcc_lo, 0, v115
	s_add_i32 s63, s63, 16
	ds_read_b128 v[120:123], v118
	s_or_b32 s4, vcc_lo, s4
	s_waitcnt vmcnt(2) lgkmcnt(0)
	v_mul_f64 v[126:127], v[122:123], v[116:117]
	v_mul_f64 v[116:117], v[120:121], v[116:117]
	s_waitcnt vmcnt(0)
	v_fma_f64 v[120:121], v[120:121], v[124:125], -v[126:127]
	v_fma_f64 v[116:117], v[122:123], v[124:125], v[116:117]
	v_add_f64 v[1:2], v[1:2], v[120:121]
	v_add_f64 v[3:4], v[3:4], v[116:117]
	s_andn2_b32 exec_lo, exec_lo, s4
	s_cbranch_execnz .LBB117_288
; %bb.289:
	s_or_b32 exec_lo, exec_lo, s4
.LBB117_290:
	s_or_b32 exec_lo, exec_lo, s8
	v_mov_b32_e32 v115, 0
	ds_read_b128 v[115:118], v115 offset:272
	s_waitcnt lgkmcnt(0)
	v_mul_f64 v[120:121], v[3:4], v[117:118]
	v_mul_f64 v[117:118], v[1:2], v[117:118]
	v_fma_f64 v[1:2], v[1:2], v[115:116], -v[120:121]
	v_fma_f64 v[3:4], v[3:4], v[115:116], v[117:118]
	buffer_store_dword v2, off, s[0:3], 0 offset:276
	buffer_store_dword v1, off, s[0:3], 0 offset:272
	;; [unrolled: 1-line block ×4, first 2 shown]
.LBB117_291:
	s_or_b32 exec_lo, exec_lo, s6
	v_mov_b32_e32 v4, s46
	v_cmp_lt_u32_e64 s4, 16, v0
	s_clause 0x3
	buffer_load_dword v1, v4, s[0:3], 0 offen
	buffer_load_dword v2, v4, s[0:3], 0 offen offset:4
	buffer_load_dword v3, v4, s[0:3], 0 offen offset:8
	;; [unrolled: 1-line block ×3, first 2 shown]
	s_waitcnt vmcnt(0)
	ds_write_b128 v114, v[1:4]
	s_waitcnt lgkmcnt(0)
	s_waitcnt_vscnt null, 0x0
	s_barrier
	buffer_gl0_inv
	s_and_saveexec_b32 s6, s4
	s_cbranch_execz .LBB117_299
; %bb.292:
	ds_read_b128 v[1:4], v114
	s_andn2_b32 vcc_lo, exec_lo, s62
	s_cbranch_vccnz .LBB117_294
; %bb.293:
	s_clause 0x3
	buffer_load_dword v115, v113, s[0:3], 0 offen offset:8
	buffer_load_dword v116, v113, s[0:3], 0 offen offset:12
	buffer_load_dword v117, v113, s[0:3], 0 offen
	buffer_load_dword v118, v113, s[0:3], 0 offen offset:4
	s_waitcnt vmcnt(2) lgkmcnt(0)
	v_mul_f64 v[120:121], v[3:4], v[115:116]
	v_mul_f64 v[115:116], v[1:2], v[115:116]
	s_waitcnt vmcnt(0)
	v_fma_f64 v[1:2], v[1:2], v[117:118], -v[120:121]
	v_fma_f64 v[3:4], v[3:4], v[117:118], v[115:116]
.LBB117_294:
	s_and_saveexec_b32 s8, s5
	s_cbranch_execz .LBB117_298
; %bb.295:
	v_subrev_nc_u32_e32 v115, 17, v0
	s_movk_i32 s63, 0x470
	s_mov_b32 s5, 0
	s_mov_b32 s64, s45
	.p2align	6
.LBB117_296:                            ; =>This Inner Loop Header: Depth=1
	v_mov_b32_e32 v118, s64
	v_add_nc_u32_e32 v115, -1, v115
	s_add_i32 s64, s64, 16
	s_clause 0x3
	buffer_load_dword v116, v118, s[0:3], 0 offen offset:8
	buffer_load_dword v117, v118, s[0:3], 0 offen offset:12
	buffer_load_dword v124, v118, s[0:3], 0 offen
	buffer_load_dword v125, v118, s[0:3], 0 offen offset:4
	v_mov_b32_e32 v118, s63
	v_cmp_eq_u32_e32 vcc_lo, 0, v115
	s_add_i32 s63, s63, 16
	ds_read_b128 v[120:123], v118
	s_or_b32 s5, vcc_lo, s5
	s_waitcnt vmcnt(2) lgkmcnt(0)
	v_mul_f64 v[126:127], v[122:123], v[116:117]
	v_mul_f64 v[116:117], v[120:121], v[116:117]
	s_waitcnt vmcnt(0)
	v_fma_f64 v[120:121], v[120:121], v[124:125], -v[126:127]
	v_fma_f64 v[116:117], v[122:123], v[124:125], v[116:117]
	v_add_f64 v[1:2], v[1:2], v[120:121]
	v_add_f64 v[3:4], v[3:4], v[116:117]
	s_andn2_b32 exec_lo, exec_lo, s5
	s_cbranch_execnz .LBB117_296
; %bb.297:
	s_or_b32 exec_lo, exec_lo, s5
.LBB117_298:
	s_or_b32 exec_lo, exec_lo, s8
	v_mov_b32_e32 v115, 0
	ds_read_b128 v[115:118], v115 offset:256
	s_waitcnt lgkmcnt(0)
	v_mul_f64 v[120:121], v[3:4], v[117:118]
	v_mul_f64 v[117:118], v[1:2], v[117:118]
	v_fma_f64 v[1:2], v[1:2], v[115:116], -v[120:121]
	v_fma_f64 v[3:4], v[3:4], v[115:116], v[117:118]
	buffer_store_dword v2, off, s[0:3], 0 offset:260
	buffer_store_dword v1, off, s[0:3], 0 offset:256
	;; [unrolled: 1-line block ×4, first 2 shown]
.LBB117_299:
	s_or_b32 exec_lo, exec_lo, s6
	v_mov_b32_e32 v4, s47
	v_cmp_lt_u32_e64 s5, 15, v0
	s_clause 0x3
	buffer_load_dword v1, v4, s[0:3], 0 offen
	buffer_load_dword v2, v4, s[0:3], 0 offen offset:4
	buffer_load_dword v3, v4, s[0:3], 0 offen offset:8
	;; [unrolled: 1-line block ×3, first 2 shown]
	s_waitcnt vmcnt(0)
	ds_write_b128 v114, v[1:4]
	s_waitcnt lgkmcnt(0)
	s_waitcnt_vscnt null, 0x0
	s_barrier
	buffer_gl0_inv
	s_and_saveexec_b32 s6, s5
	s_cbranch_execz .LBB117_307
; %bb.300:
	ds_read_b128 v[1:4], v114
	s_andn2_b32 vcc_lo, exec_lo, s62
	s_cbranch_vccnz .LBB117_302
; %bb.301:
	s_clause 0x3
	buffer_load_dword v115, v113, s[0:3], 0 offen offset:8
	buffer_load_dword v116, v113, s[0:3], 0 offen offset:12
	buffer_load_dword v117, v113, s[0:3], 0 offen
	buffer_load_dword v118, v113, s[0:3], 0 offen offset:4
	s_waitcnt vmcnt(2) lgkmcnt(0)
	v_mul_f64 v[120:121], v[3:4], v[115:116]
	v_mul_f64 v[115:116], v[1:2], v[115:116]
	s_waitcnt vmcnt(0)
	v_fma_f64 v[1:2], v[1:2], v[117:118], -v[120:121]
	v_fma_f64 v[3:4], v[3:4], v[117:118], v[115:116]
.LBB117_302:
	s_and_saveexec_b32 s8, s4
	s_cbranch_execz .LBB117_306
; %bb.303:
	v_add_nc_u32_e32 v115, -16, v0
	s_movk_i32 s63, 0x460
	s_mov_b32 s4, 0
	s_mov_b32 s64, s46
	.p2align	6
.LBB117_304:                            ; =>This Inner Loop Header: Depth=1
	v_mov_b32_e32 v118, s64
	v_add_nc_u32_e32 v115, -1, v115
	s_add_i32 s64, s64, 16
	s_clause 0x3
	buffer_load_dword v116, v118, s[0:3], 0 offen offset:8
	buffer_load_dword v117, v118, s[0:3], 0 offen offset:12
	buffer_load_dword v124, v118, s[0:3], 0 offen
	buffer_load_dword v125, v118, s[0:3], 0 offen offset:4
	v_mov_b32_e32 v118, s63
	v_cmp_eq_u32_e32 vcc_lo, 0, v115
	s_add_i32 s63, s63, 16
	ds_read_b128 v[120:123], v118
	s_or_b32 s4, vcc_lo, s4
	s_waitcnt vmcnt(2) lgkmcnt(0)
	v_mul_f64 v[126:127], v[122:123], v[116:117]
	v_mul_f64 v[116:117], v[120:121], v[116:117]
	s_waitcnt vmcnt(0)
	v_fma_f64 v[120:121], v[120:121], v[124:125], -v[126:127]
	v_fma_f64 v[116:117], v[122:123], v[124:125], v[116:117]
	v_add_f64 v[1:2], v[1:2], v[120:121]
	v_add_f64 v[3:4], v[3:4], v[116:117]
	s_andn2_b32 exec_lo, exec_lo, s4
	s_cbranch_execnz .LBB117_304
; %bb.305:
	s_or_b32 exec_lo, exec_lo, s4
.LBB117_306:
	s_or_b32 exec_lo, exec_lo, s8
	v_mov_b32_e32 v115, 0
	ds_read_b128 v[115:118], v115 offset:240
	s_waitcnt lgkmcnt(0)
	v_mul_f64 v[120:121], v[3:4], v[117:118]
	v_mul_f64 v[117:118], v[1:2], v[117:118]
	v_fma_f64 v[1:2], v[1:2], v[115:116], -v[120:121]
	v_fma_f64 v[3:4], v[3:4], v[115:116], v[117:118]
	buffer_store_dword v2, off, s[0:3], 0 offset:244
	buffer_store_dword v1, off, s[0:3], 0 offset:240
	;; [unrolled: 1-line block ×4, first 2 shown]
.LBB117_307:
	s_or_b32 exec_lo, exec_lo, s6
	v_mov_b32_e32 v4, s48
	v_cmp_lt_u32_e64 s4, 14, v0
	s_clause 0x3
	buffer_load_dword v1, v4, s[0:3], 0 offen
	buffer_load_dword v2, v4, s[0:3], 0 offen offset:4
	buffer_load_dword v3, v4, s[0:3], 0 offen offset:8
	;; [unrolled: 1-line block ×3, first 2 shown]
	s_waitcnt vmcnt(0)
	ds_write_b128 v114, v[1:4]
	s_waitcnt lgkmcnt(0)
	s_waitcnt_vscnt null, 0x0
	s_barrier
	buffer_gl0_inv
	s_and_saveexec_b32 s6, s4
	s_cbranch_execz .LBB117_315
; %bb.308:
	ds_read_b128 v[1:4], v114
	s_andn2_b32 vcc_lo, exec_lo, s62
	s_cbranch_vccnz .LBB117_310
; %bb.309:
	s_clause 0x3
	buffer_load_dword v115, v113, s[0:3], 0 offen offset:8
	buffer_load_dword v116, v113, s[0:3], 0 offen offset:12
	buffer_load_dword v117, v113, s[0:3], 0 offen
	buffer_load_dword v118, v113, s[0:3], 0 offen offset:4
	s_waitcnt vmcnt(2) lgkmcnt(0)
	v_mul_f64 v[120:121], v[3:4], v[115:116]
	v_mul_f64 v[115:116], v[1:2], v[115:116]
	s_waitcnt vmcnt(0)
	v_fma_f64 v[1:2], v[1:2], v[117:118], -v[120:121]
	v_fma_f64 v[3:4], v[3:4], v[117:118], v[115:116]
.LBB117_310:
	s_and_saveexec_b32 s8, s5
	s_cbranch_execz .LBB117_314
; %bb.311:
	v_add_nc_u32_e32 v115, -15, v0
	s_movk_i32 s63, 0x450
	s_mov_b32 s5, 0
	s_mov_b32 s64, s47
	.p2align	6
.LBB117_312:                            ; =>This Inner Loop Header: Depth=1
	v_mov_b32_e32 v118, s64
	v_add_nc_u32_e32 v115, -1, v115
	s_add_i32 s64, s64, 16
	s_clause 0x3
	buffer_load_dword v116, v118, s[0:3], 0 offen offset:8
	buffer_load_dword v117, v118, s[0:3], 0 offen offset:12
	buffer_load_dword v124, v118, s[0:3], 0 offen
	buffer_load_dword v125, v118, s[0:3], 0 offen offset:4
	v_mov_b32_e32 v118, s63
	v_cmp_eq_u32_e32 vcc_lo, 0, v115
	s_add_i32 s63, s63, 16
	ds_read_b128 v[120:123], v118
	s_or_b32 s5, vcc_lo, s5
	s_waitcnt vmcnt(2) lgkmcnt(0)
	v_mul_f64 v[126:127], v[122:123], v[116:117]
	v_mul_f64 v[116:117], v[120:121], v[116:117]
	s_waitcnt vmcnt(0)
	v_fma_f64 v[120:121], v[120:121], v[124:125], -v[126:127]
	v_fma_f64 v[116:117], v[122:123], v[124:125], v[116:117]
	v_add_f64 v[1:2], v[1:2], v[120:121]
	v_add_f64 v[3:4], v[3:4], v[116:117]
	s_andn2_b32 exec_lo, exec_lo, s5
	s_cbranch_execnz .LBB117_312
; %bb.313:
	s_or_b32 exec_lo, exec_lo, s5
.LBB117_314:
	s_or_b32 exec_lo, exec_lo, s8
	v_mov_b32_e32 v115, 0
	ds_read_b128 v[115:118], v115 offset:224
	s_waitcnt lgkmcnt(0)
	v_mul_f64 v[120:121], v[3:4], v[117:118]
	v_mul_f64 v[117:118], v[1:2], v[117:118]
	v_fma_f64 v[1:2], v[1:2], v[115:116], -v[120:121]
	v_fma_f64 v[3:4], v[3:4], v[115:116], v[117:118]
	buffer_store_dword v2, off, s[0:3], 0 offset:228
	buffer_store_dword v1, off, s[0:3], 0 offset:224
	;; [unrolled: 1-line block ×4, first 2 shown]
.LBB117_315:
	s_or_b32 exec_lo, exec_lo, s6
	v_mov_b32_e32 v4, s49
	v_cmp_lt_u32_e64 s5, 13, v0
	s_clause 0x3
	buffer_load_dword v1, v4, s[0:3], 0 offen
	buffer_load_dword v2, v4, s[0:3], 0 offen offset:4
	buffer_load_dword v3, v4, s[0:3], 0 offen offset:8
	;; [unrolled: 1-line block ×3, first 2 shown]
	s_waitcnt vmcnt(0)
	ds_write_b128 v114, v[1:4]
	s_waitcnt lgkmcnt(0)
	s_waitcnt_vscnt null, 0x0
	s_barrier
	buffer_gl0_inv
	s_and_saveexec_b32 s6, s5
	s_cbranch_execz .LBB117_323
; %bb.316:
	ds_read_b128 v[1:4], v114
	s_andn2_b32 vcc_lo, exec_lo, s62
	s_cbranch_vccnz .LBB117_318
; %bb.317:
	s_clause 0x3
	buffer_load_dword v115, v113, s[0:3], 0 offen offset:8
	buffer_load_dword v116, v113, s[0:3], 0 offen offset:12
	buffer_load_dword v117, v113, s[0:3], 0 offen
	buffer_load_dword v118, v113, s[0:3], 0 offen offset:4
	s_waitcnt vmcnt(2) lgkmcnt(0)
	v_mul_f64 v[120:121], v[3:4], v[115:116]
	v_mul_f64 v[115:116], v[1:2], v[115:116]
	s_waitcnt vmcnt(0)
	v_fma_f64 v[1:2], v[1:2], v[117:118], -v[120:121]
	v_fma_f64 v[3:4], v[3:4], v[117:118], v[115:116]
.LBB117_318:
	s_and_saveexec_b32 s8, s4
	s_cbranch_execz .LBB117_322
; %bb.319:
	v_add_nc_u32_e32 v115, -14, v0
	s_movk_i32 s63, 0x440
	s_mov_b32 s4, 0
	s_mov_b32 s64, s48
	.p2align	6
.LBB117_320:                            ; =>This Inner Loop Header: Depth=1
	v_mov_b32_e32 v118, s64
	v_add_nc_u32_e32 v115, -1, v115
	s_add_i32 s64, s64, 16
	s_clause 0x3
	buffer_load_dword v116, v118, s[0:3], 0 offen offset:8
	buffer_load_dword v117, v118, s[0:3], 0 offen offset:12
	buffer_load_dword v124, v118, s[0:3], 0 offen
	buffer_load_dword v125, v118, s[0:3], 0 offen offset:4
	v_mov_b32_e32 v118, s63
	v_cmp_eq_u32_e32 vcc_lo, 0, v115
	s_add_i32 s63, s63, 16
	ds_read_b128 v[120:123], v118
	s_or_b32 s4, vcc_lo, s4
	s_waitcnt vmcnt(2) lgkmcnt(0)
	v_mul_f64 v[126:127], v[122:123], v[116:117]
	v_mul_f64 v[116:117], v[120:121], v[116:117]
	s_waitcnt vmcnt(0)
	v_fma_f64 v[120:121], v[120:121], v[124:125], -v[126:127]
	v_fma_f64 v[116:117], v[122:123], v[124:125], v[116:117]
	v_add_f64 v[1:2], v[1:2], v[120:121]
	v_add_f64 v[3:4], v[3:4], v[116:117]
	s_andn2_b32 exec_lo, exec_lo, s4
	s_cbranch_execnz .LBB117_320
; %bb.321:
	s_or_b32 exec_lo, exec_lo, s4
.LBB117_322:
	s_or_b32 exec_lo, exec_lo, s8
	v_mov_b32_e32 v115, 0
	ds_read_b128 v[115:118], v115 offset:208
	s_waitcnt lgkmcnt(0)
	v_mul_f64 v[120:121], v[3:4], v[117:118]
	v_mul_f64 v[117:118], v[1:2], v[117:118]
	v_fma_f64 v[1:2], v[1:2], v[115:116], -v[120:121]
	v_fma_f64 v[3:4], v[3:4], v[115:116], v[117:118]
	buffer_store_dword v2, off, s[0:3], 0 offset:212
	buffer_store_dword v1, off, s[0:3], 0 offset:208
	;; [unrolled: 1-line block ×4, first 2 shown]
.LBB117_323:
	s_or_b32 exec_lo, exec_lo, s6
	v_mov_b32_e32 v4, s50
	v_cmp_lt_u32_e64 s4, 12, v0
	s_clause 0x3
	buffer_load_dword v1, v4, s[0:3], 0 offen
	buffer_load_dword v2, v4, s[0:3], 0 offen offset:4
	buffer_load_dword v3, v4, s[0:3], 0 offen offset:8
	;; [unrolled: 1-line block ×3, first 2 shown]
	s_waitcnt vmcnt(0)
	ds_write_b128 v114, v[1:4]
	s_waitcnt lgkmcnt(0)
	s_waitcnt_vscnt null, 0x0
	s_barrier
	buffer_gl0_inv
	s_and_saveexec_b32 s6, s4
	s_cbranch_execz .LBB117_331
; %bb.324:
	ds_read_b128 v[1:4], v114
	s_andn2_b32 vcc_lo, exec_lo, s62
	s_cbranch_vccnz .LBB117_326
; %bb.325:
	s_clause 0x3
	buffer_load_dword v115, v113, s[0:3], 0 offen offset:8
	buffer_load_dword v116, v113, s[0:3], 0 offen offset:12
	buffer_load_dword v117, v113, s[0:3], 0 offen
	buffer_load_dword v118, v113, s[0:3], 0 offen offset:4
	s_waitcnt vmcnt(2) lgkmcnt(0)
	v_mul_f64 v[120:121], v[3:4], v[115:116]
	v_mul_f64 v[115:116], v[1:2], v[115:116]
	s_waitcnt vmcnt(0)
	v_fma_f64 v[1:2], v[1:2], v[117:118], -v[120:121]
	v_fma_f64 v[3:4], v[3:4], v[117:118], v[115:116]
.LBB117_326:
	s_and_saveexec_b32 s8, s5
	s_cbranch_execz .LBB117_330
; %bb.327:
	v_add_nc_u32_e32 v115, -13, v0
	s_movk_i32 s63, 0x430
	s_mov_b32 s5, 0
	s_mov_b32 s64, s49
	.p2align	6
.LBB117_328:                            ; =>This Inner Loop Header: Depth=1
	v_mov_b32_e32 v118, s64
	v_add_nc_u32_e32 v115, -1, v115
	s_add_i32 s64, s64, 16
	s_clause 0x3
	buffer_load_dword v116, v118, s[0:3], 0 offen offset:8
	buffer_load_dword v117, v118, s[0:3], 0 offen offset:12
	buffer_load_dword v124, v118, s[0:3], 0 offen
	buffer_load_dword v125, v118, s[0:3], 0 offen offset:4
	v_mov_b32_e32 v118, s63
	v_cmp_eq_u32_e32 vcc_lo, 0, v115
	s_add_i32 s63, s63, 16
	ds_read_b128 v[120:123], v118
	s_or_b32 s5, vcc_lo, s5
	s_waitcnt vmcnt(2) lgkmcnt(0)
	v_mul_f64 v[126:127], v[122:123], v[116:117]
	v_mul_f64 v[116:117], v[120:121], v[116:117]
	s_waitcnt vmcnt(0)
	v_fma_f64 v[120:121], v[120:121], v[124:125], -v[126:127]
	v_fma_f64 v[116:117], v[122:123], v[124:125], v[116:117]
	v_add_f64 v[1:2], v[1:2], v[120:121]
	v_add_f64 v[3:4], v[3:4], v[116:117]
	s_andn2_b32 exec_lo, exec_lo, s5
	s_cbranch_execnz .LBB117_328
; %bb.329:
	s_or_b32 exec_lo, exec_lo, s5
.LBB117_330:
	s_or_b32 exec_lo, exec_lo, s8
	v_mov_b32_e32 v115, 0
	ds_read_b128 v[115:118], v115 offset:192
	s_waitcnt lgkmcnt(0)
	v_mul_f64 v[120:121], v[3:4], v[117:118]
	v_mul_f64 v[117:118], v[1:2], v[117:118]
	v_fma_f64 v[1:2], v[1:2], v[115:116], -v[120:121]
	v_fma_f64 v[3:4], v[3:4], v[115:116], v[117:118]
	buffer_store_dword v2, off, s[0:3], 0 offset:196
	buffer_store_dword v1, off, s[0:3], 0 offset:192
	;; [unrolled: 1-line block ×4, first 2 shown]
.LBB117_331:
	s_or_b32 exec_lo, exec_lo, s6
	v_mov_b32_e32 v4, s51
	v_cmp_lt_u32_e64 s5, 11, v0
	s_clause 0x3
	buffer_load_dword v1, v4, s[0:3], 0 offen
	buffer_load_dword v2, v4, s[0:3], 0 offen offset:4
	buffer_load_dword v3, v4, s[0:3], 0 offen offset:8
	;; [unrolled: 1-line block ×3, first 2 shown]
	s_waitcnt vmcnt(0)
	ds_write_b128 v114, v[1:4]
	s_waitcnt lgkmcnt(0)
	s_waitcnt_vscnt null, 0x0
	s_barrier
	buffer_gl0_inv
	s_and_saveexec_b32 s6, s5
	s_cbranch_execz .LBB117_339
; %bb.332:
	ds_read_b128 v[1:4], v114
	s_andn2_b32 vcc_lo, exec_lo, s62
	s_cbranch_vccnz .LBB117_334
; %bb.333:
	s_clause 0x3
	buffer_load_dword v115, v113, s[0:3], 0 offen offset:8
	buffer_load_dword v116, v113, s[0:3], 0 offen offset:12
	buffer_load_dword v117, v113, s[0:3], 0 offen
	buffer_load_dword v118, v113, s[0:3], 0 offen offset:4
	s_waitcnt vmcnt(2) lgkmcnt(0)
	v_mul_f64 v[120:121], v[3:4], v[115:116]
	v_mul_f64 v[115:116], v[1:2], v[115:116]
	s_waitcnt vmcnt(0)
	v_fma_f64 v[1:2], v[1:2], v[117:118], -v[120:121]
	v_fma_f64 v[3:4], v[3:4], v[117:118], v[115:116]
.LBB117_334:
	s_and_saveexec_b32 s8, s4
	s_cbranch_execz .LBB117_338
; %bb.335:
	v_add_nc_u32_e32 v115, -12, v0
	s_movk_i32 s63, 0x420
	s_mov_b32 s4, 0
	s_mov_b32 s64, s50
	.p2align	6
.LBB117_336:                            ; =>This Inner Loop Header: Depth=1
	v_mov_b32_e32 v118, s64
	v_add_nc_u32_e32 v115, -1, v115
	s_add_i32 s64, s64, 16
	s_clause 0x3
	buffer_load_dword v116, v118, s[0:3], 0 offen offset:8
	buffer_load_dword v117, v118, s[0:3], 0 offen offset:12
	buffer_load_dword v124, v118, s[0:3], 0 offen
	buffer_load_dword v125, v118, s[0:3], 0 offen offset:4
	v_mov_b32_e32 v118, s63
	v_cmp_eq_u32_e32 vcc_lo, 0, v115
	s_add_i32 s63, s63, 16
	ds_read_b128 v[120:123], v118
	s_or_b32 s4, vcc_lo, s4
	s_waitcnt vmcnt(2) lgkmcnt(0)
	v_mul_f64 v[126:127], v[122:123], v[116:117]
	v_mul_f64 v[116:117], v[120:121], v[116:117]
	s_waitcnt vmcnt(0)
	v_fma_f64 v[120:121], v[120:121], v[124:125], -v[126:127]
	v_fma_f64 v[116:117], v[122:123], v[124:125], v[116:117]
	v_add_f64 v[1:2], v[1:2], v[120:121]
	v_add_f64 v[3:4], v[3:4], v[116:117]
	s_andn2_b32 exec_lo, exec_lo, s4
	s_cbranch_execnz .LBB117_336
; %bb.337:
	s_or_b32 exec_lo, exec_lo, s4
.LBB117_338:
	s_or_b32 exec_lo, exec_lo, s8
	v_mov_b32_e32 v115, 0
	ds_read_b128 v[115:118], v115 offset:176
	s_waitcnt lgkmcnt(0)
	v_mul_f64 v[120:121], v[3:4], v[117:118]
	v_mul_f64 v[117:118], v[1:2], v[117:118]
	v_fma_f64 v[1:2], v[1:2], v[115:116], -v[120:121]
	v_fma_f64 v[3:4], v[3:4], v[115:116], v[117:118]
	buffer_store_dword v2, off, s[0:3], 0 offset:180
	buffer_store_dword v1, off, s[0:3], 0 offset:176
	;; [unrolled: 1-line block ×4, first 2 shown]
.LBB117_339:
	s_or_b32 exec_lo, exec_lo, s6
	v_mov_b32_e32 v4, s52
	v_cmp_lt_u32_e64 s4, 10, v0
	s_clause 0x3
	buffer_load_dword v1, v4, s[0:3], 0 offen
	buffer_load_dword v2, v4, s[0:3], 0 offen offset:4
	buffer_load_dword v3, v4, s[0:3], 0 offen offset:8
	;; [unrolled: 1-line block ×3, first 2 shown]
	s_waitcnt vmcnt(0)
	ds_write_b128 v114, v[1:4]
	s_waitcnt lgkmcnt(0)
	s_waitcnt_vscnt null, 0x0
	s_barrier
	buffer_gl0_inv
	s_and_saveexec_b32 s6, s4
	s_cbranch_execz .LBB117_347
; %bb.340:
	ds_read_b128 v[1:4], v114
	s_andn2_b32 vcc_lo, exec_lo, s62
	s_cbranch_vccnz .LBB117_342
; %bb.341:
	s_clause 0x3
	buffer_load_dword v115, v113, s[0:3], 0 offen offset:8
	buffer_load_dword v116, v113, s[0:3], 0 offen offset:12
	buffer_load_dword v117, v113, s[0:3], 0 offen
	buffer_load_dword v118, v113, s[0:3], 0 offen offset:4
	s_waitcnt vmcnt(2) lgkmcnt(0)
	v_mul_f64 v[120:121], v[3:4], v[115:116]
	v_mul_f64 v[115:116], v[1:2], v[115:116]
	s_waitcnt vmcnt(0)
	v_fma_f64 v[1:2], v[1:2], v[117:118], -v[120:121]
	v_fma_f64 v[3:4], v[3:4], v[117:118], v[115:116]
.LBB117_342:
	s_and_saveexec_b32 s8, s5
	s_cbranch_execz .LBB117_346
; %bb.343:
	v_add_nc_u32_e32 v115, -11, v0
	s_movk_i32 s63, 0x410
	s_mov_b32 s5, 0
	s_mov_b32 s64, s51
	.p2align	6
.LBB117_344:                            ; =>This Inner Loop Header: Depth=1
	v_mov_b32_e32 v118, s64
	v_add_nc_u32_e32 v115, -1, v115
	s_add_i32 s64, s64, 16
	s_clause 0x3
	buffer_load_dword v116, v118, s[0:3], 0 offen offset:8
	buffer_load_dword v117, v118, s[0:3], 0 offen offset:12
	buffer_load_dword v124, v118, s[0:3], 0 offen
	buffer_load_dword v125, v118, s[0:3], 0 offen offset:4
	v_mov_b32_e32 v118, s63
	v_cmp_eq_u32_e32 vcc_lo, 0, v115
	s_add_i32 s63, s63, 16
	ds_read_b128 v[120:123], v118
	s_or_b32 s5, vcc_lo, s5
	s_waitcnt vmcnt(2) lgkmcnt(0)
	v_mul_f64 v[126:127], v[122:123], v[116:117]
	v_mul_f64 v[116:117], v[120:121], v[116:117]
	s_waitcnt vmcnt(0)
	v_fma_f64 v[120:121], v[120:121], v[124:125], -v[126:127]
	v_fma_f64 v[116:117], v[122:123], v[124:125], v[116:117]
	v_add_f64 v[1:2], v[1:2], v[120:121]
	v_add_f64 v[3:4], v[3:4], v[116:117]
	s_andn2_b32 exec_lo, exec_lo, s5
	s_cbranch_execnz .LBB117_344
; %bb.345:
	s_or_b32 exec_lo, exec_lo, s5
.LBB117_346:
	s_or_b32 exec_lo, exec_lo, s8
	v_mov_b32_e32 v115, 0
	ds_read_b128 v[115:118], v115 offset:160
	s_waitcnt lgkmcnt(0)
	v_mul_f64 v[120:121], v[3:4], v[117:118]
	v_mul_f64 v[117:118], v[1:2], v[117:118]
	v_fma_f64 v[1:2], v[1:2], v[115:116], -v[120:121]
	v_fma_f64 v[3:4], v[3:4], v[115:116], v[117:118]
	buffer_store_dword v2, off, s[0:3], 0 offset:164
	buffer_store_dword v1, off, s[0:3], 0 offset:160
	;; [unrolled: 1-line block ×4, first 2 shown]
.LBB117_347:
	s_or_b32 exec_lo, exec_lo, s6
	v_mov_b32_e32 v4, s53
	v_cmp_lt_u32_e64 s5, 9, v0
	s_clause 0x3
	buffer_load_dword v1, v4, s[0:3], 0 offen
	buffer_load_dword v2, v4, s[0:3], 0 offen offset:4
	buffer_load_dword v3, v4, s[0:3], 0 offen offset:8
	;; [unrolled: 1-line block ×3, first 2 shown]
	s_waitcnt vmcnt(0)
	ds_write_b128 v114, v[1:4]
	s_waitcnt lgkmcnt(0)
	s_waitcnt_vscnt null, 0x0
	s_barrier
	buffer_gl0_inv
	s_and_saveexec_b32 s6, s5
	s_cbranch_execz .LBB117_355
; %bb.348:
	ds_read_b128 v[1:4], v114
	s_andn2_b32 vcc_lo, exec_lo, s62
	s_cbranch_vccnz .LBB117_350
; %bb.349:
	s_clause 0x3
	buffer_load_dword v115, v113, s[0:3], 0 offen offset:8
	buffer_load_dword v116, v113, s[0:3], 0 offen offset:12
	buffer_load_dword v117, v113, s[0:3], 0 offen
	buffer_load_dword v118, v113, s[0:3], 0 offen offset:4
	s_waitcnt vmcnt(2) lgkmcnt(0)
	v_mul_f64 v[120:121], v[3:4], v[115:116]
	v_mul_f64 v[115:116], v[1:2], v[115:116]
	s_waitcnt vmcnt(0)
	v_fma_f64 v[1:2], v[1:2], v[117:118], -v[120:121]
	v_fma_f64 v[3:4], v[3:4], v[117:118], v[115:116]
.LBB117_350:
	s_and_saveexec_b32 s8, s4
	s_cbranch_execz .LBB117_354
; %bb.351:
	v_add_nc_u32_e32 v115, -10, v0
	s_movk_i32 s63, 0x400
	s_mov_b32 s4, 0
	s_mov_b32 s64, s52
	.p2align	6
.LBB117_352:                            ; =>This Inner Loop Header: Depth=1
	v_mov_b32_e32 v118, s64
	v_add_nc_u32_e32 v115, -1, v115
	s_add_i32 s64, s64, 16
	s_clause 0x3
	buffer_load_dword v116, v118, s[0:3], 0 offen offset:8
	buffer_load_dword v117, v118, s[0:3], 0 offen offset:12
	buffer_load_dword v124, v118, s[0:3], 0 offen
	buffer_load_dword v125, v118, s[0:3], 0 offen offset:4
	v_mov_b32_e32 v118, s63
	v_cmp_eq_u32_e32 vcc_lo, 0, v115
	s_add_i32 s63, s63, 16
	ds_read_b128 v[120:123], v118
	s_or_b32 s4, vcc_lo, s4
	s_waitcnt vmcnt(2) lgkmcnt(0)
	v_mul_f64 v[126:127], v[122:123], v[116:117]
	v_mul_f64 v[116:117], v[120:121], v[116:117]
	s_waitcnt vmcnt(0)
	v_fma_f64 v[120:121], v[120:121], v[124:125], -v[126:127]
	v_fma_f64 v[116:117], v[122:123], v[124:125], v[116:117]
	v_add_f64 v[1:2], v[1:2], v[120:121]
	v_add_f64 v[3:4], v[3:4], v[116:117]
	s_andn2_b32 exec_lo, exec_lo, s4
	s_cbranch_execnz .LBB117_352
; %bb.353:
	s_or_b32 exec_lo, exec_lo, s4
.LBB117_354:
	s_or_b32 exec_lo, exec_lo, s8
	v_mov_b32_e32 v115, 0
	ds_read_b128 v[115:118], v115 offset:144
	s_waitcnt lgkmcnt(0)
	v_mul_f64 v[120:121], v[3:4], v[117:118]
	v_mul_f64 v[117:118], v[1:2], v[117:118]
	v_fma_f64 v[1:2], v[1:2], v[115:116], -v[120:121]
	v_fma_f64 v[3:4], v[3:4], v[115:116], v[117:118]
	buffer_store_dword v2, off, s[0:3], 0 offset:148
	buffer_store_dword v1, off, s[0:3], 0 offset:144
	;; [unrolled: 1-line block ×4, first 2 shown]
.LBB117_355:
	s_or_b32 exec_lo, exec_lo, s6
	v_mov_b32_e32 v4, s54
	v_cmp_lt_u32_e64 s4, 8, v0
	s_clause 0x3
	buffer_load_dword v1, v4, s[0:3], 0 offen
	buffer_load_dword v2, v4, s[0:3], 0 offen offset:4
	buffer_load_dword v3, v4, s[0:3], 0 offen offset:8
	;; [unrolled: 1-line block ×3, first 2 shown]
	s_waitcnt vmcnt(0)
	ds_write_b128 v114, v[1:4]
	s_waitcnt lgkmcnt(0)
	s_waitcnt_vscnt null, 0x0
	s_barrier
	buffer_gl0_inv
	s_and_saveexec_b32 s6, s4
	s_cbranch_execz .LBB117_363
; %bb.356:
	ds_read_b128 v[1:4], v114
	s_andn2_b32 vcc_lo, exec_lo, s62
	s_cbranch_vccnz .LBB117_358
; %bb.357:
	s_clause 0x3
	buffer_load_dword v115, v113, s[0:3], 0 offen offset:8
	buffer_load_dword v116, v113, s[0:3], 0 offen offset:12
	buffer_load_dword v117, v113, s[0:3], 0 offen
	buffer_load_dword v118, v113, s[0:3], 0 offen offset:4
	s_waitcnt vmcnt(2) lgkmcnt(0)
	v_mul_f64 v[120:121], v[3:4], v[115:116]
	v_mul_f64 v[115:116], v[1:2], v[115:116]
	s_waitcnt vmcnt(0)
	v_fma_f64 v[1:2], v[1:2], v[117:118], -v[120:121]
	v_fma_f64 v[3:4], v[3:4], v[117:118], v[115:116]
.LBB117_358:
	s_and_saveexec_b32 s8, s5
	s_cbranch_execz .LBB117_362
; %bb.359:
	v_add_nc_u32_e32 v115, -9, v0
	s_movk_i32 s63, 0x3f0
	s_mov_b32 s5, 0
	s_mov_b32 s64, s53
	.p2align	6
.LBB117_360:                            ; =>This Inner Loop Header: Depth=1
	v_mov_b32_e32 v118, s64
	v_add_nc_u32_e32 v115, -1, v115
	s_add_i32 s64, s64, 16
	s_clause 0x3
	buffer_load_dword v116, v118, s[0:3], 0 offen offset:8
	buffer_load_dword v117, v118, s[0:3], 0 offen offset:12
	buffer_load_dword v124, v118, s[0:3], 0 offen
	buffer_load_dword v125, v118, s[0:3], 0 offen offset:4
	v_mov_b32_e32 v118, s63
	v_cmp_eq_u32_e32 vcc_lo, 0, v115
	s_add_i32 s63, s63, 16
	ds_read_b128 v[120:123], v118
	s_or_b32 s5, vcc_lo, s5
	s_waitcnt vmcnt(2) lgkmcnt(0)
	v_mul_f64 v[126:127], v[122:123], v[116:117]
	v_mul_f64 v[116:117], v[120:121], v[116:117]
	s_waitcnt vmcnt(0)
	v_fma_f64 v[120:121], v[120:121], v[124:125], -v[126:127]
	v_fma_f64 v[116:117], v[122:123], v[124:125], v[116:117]
	v_add_f64 v[1:2], v[1:2], v[120:121]
	v_add_f64 v[3:4], v[3:4], v[116:117]
	s_andn2_b32 exec_lo, exec_lo, s5
	s_cbranch_execnz .LBB117_360
; %bb.361:
	s_or_b32 exec_lo, exec_lo, s5
.LBB117_362:
	s_or_b32 exec_lo, exec_lo, s8
	v_mov_b32_e32 v115, 0
	ds_read_b128 v[115:118], v115 offset:128
	s_waitcnt lgkmcnt(0)
	v_mul_f64 v[120:121], v[3:4], v[117:118]
	v_mul_f64 v[117:118], v[1:2], v[117:118]
	v_fma_f64 v[1:2], v[1:2], v[115:116], -v[120:121]
	v_fma_f64 v[3:4], v[3:4], v[115:116], v[117:118]
	buffer_store_dword v2, off, s[0:3], 0 offset:132
	buffer_store_dword v1, off, s[0:3], 0 offset:128
	;; [unrolled: 1-line block ×4, first 2 shown]
.LBB117_363:
	s_or_b32 exec_lo, exec_lo, s6
	v_mov_b32_e32 v4, s55
	v_cmp_lt_u32_e64 s5, 7, v0
	s_clause 0x3
	buffer_load_dword v1, v4, s[0:3], 0 offen
	buffer_load_dword v2, v4, s[0:3], 0 offen offset:4
	buffer_load_dword v3, v4, s[0:3], 0 offen offset:8
	;; [unrolled: 1-line block ×3, first 2 shown]
	s_waitcnt vmcnt(0)
	ds_write_b128 v114, v[1:4]
	s_waitcnt lgkmcnt(0)
	s_waitcnt_vscnt null, 0x0
	s_barrier
	buffer_gl0_inv
	s_and_saveexec_b32 s6, s5
	s_cbranch_execz .LBB117_371
; %bb.364:
	ds_read_b128 v[1:4], v114
	s_andn2_b32 vcc_lo, exec_lo, s62
	s_cbranch_vccnz .LBB117_366
; %bb.365:
	s_clause 0x3
	buffer_load_dword v115, v113, s[0:3], 0 offen offset:8
	buffer_load_dword v116, v113, s[0:3], 0 offen offset:12
	buffer_load_dword v117, v113, s[0:3], 0 offen
	buffer_load_dword v118, v113, s[0:3], 0 offen offset:4
	s_waitcnt vmcnt(2) lgkmcnt(0)
	v_mul_f64 v[120:121], v[3:4], v[115:116]
	v_mul_f64 v[115:116], v[1:2], v[115:116]
	s_waitcnt vmcnt(0)
	v_fma_f64 v[1:2], v[1:2], v[117:118], -v[120:121]
	v_fma_f64 v[3:4], v[3:4], v[117:118], v[115:116]
.LBB117_366:
	s_and_saveexec_b32 s8, s4
	s_cbranch_execz .LBB117_370
; %bb.367:
	v_add_nc_u32_e32 v115, -8, v0
	s_movk_i32 s63, 0x3e0
	s_mov_b32 s4, 0
	s_mov_b32 s64, s54
	.p2align	6
.LBB117_368:                            ; =>This Inner Loop Header: Depth=1
	v_mov_b32_e32 v118, s64
	v_add_nc_u32_e32 v115, -1, v115
	s_add_i32 s64, s64, 16
	s_clause 0x3
	buffer_load_dword v116, v118, s[0:3], 0 offen offset:8
	buffer_load_dword v117, v118, s[0:3], 0 offen offset:12
	buffer_load_dword v124, v118, s[0:3], 0 offen
	buffer_load_dword v125, v118, s[0:3], 0 offen offset:4
	v_mov_b32_e32 v118, s63
	v_cmp_eq_u32_e32 vcc_lo, 0, v115
	s_add_i32 s63, s63, 16
	ds_read_b128 v[120:123], v118
	s_or_b32 s4, vcc_lo, s4
	s_waitcnt vmcnt(2) lgkmcnt(0)
	v_mul_f64 v[126:127], v[122:123], v[116:117]
	v_mul_f64 v[116:117], v[120:121], v[116:117]
	s_waitcnt vmcnt(0)
	v_fma_f64 v[120:121], v[120:121], v[124:125], -v[126:127]
	v_fma_f64 v[116:117], v[122:123], v[124:125], v[116:117]
	v_add_f64 v[1:2], v[1:2], v[120:121]
	v_add_f64 v[3:4], v[3:4], v[116:117]
	s_andn2_b32 exec_lo, exec_lo, s4
	s_cbranch_execnz .LBB117_368
; %bb.369:
	s_or_b32 exec_lo, exec_lo, s4
.LBB117_370:
	s_or_b32 exec_lo, exec_lo, s8
	v_mov_b32_e32 v115, 0
	ds_read_b128 v[115:118], v115 offset:112
	s_waitcnt lgkmcnt(0)
	v_mul_f64 v[120:121], v[3:4], v[117:118]
	v_mul_f64 v[117:118], v[1:2], v[117:118]
	v_fma_f64 v[1:2], v[1:2], v[115:116], -v[120:121]
	v_fma_f64 v[3:4], v[3:4], v[115:116], v[117:118]
	buffer_store_dword v2, off, s[0:3], 0 offset:116
	buffer_store_dword v1, off, s[0:3], 0 offset:112
	;; [unrolled: 1-line block ×4, first 2 shown]
.LBB117_371:
	s_or_b32 exec_lo, exec_lo, s6
	v_mov_b32_e32 v4, s56
	v_cmp_lt_u32_e64 s4, 6, v0
	s_clause 0x3
	buffer_load_dword v1, v4, s[0:3], 0 offen
	buffer_load_dword v2, v4, s[0:3], 0 offen offset:4
	buffer_load_dword v3, v4, s[0:3], 0 offen offset:8
	;; [unrolled: 1-line block ×3, first 2 shown]
	s_waitcnt vmcnt(0)
	ds_write_b128 v114, v[1:4]
	s_waitcnt lgkmcnt(0)
	s_waitcnt_vscnt null, 0x0
	s_barrier
	buffer_gl0_inv
	s_and_saveexec_b32 s6, s4
	s_cbranch_execz .LBB117_379
; %bb.372:
	ds_read_b128 v[1:4], v114
	s_andn2_b32 vcc_lo, exec_lo, s62
	s_cbranch_vccnz .LBB117_374
; %bb.373:
	s_clause 0x3
	buffer_load_dword v115, v113, s[0:3], 0 offen offset:8
	buffer_load_dword v116, v113, s[0:3], 0 offen offset:12
	buffer_load_dword v117, v113, s[0:3], 0 offen
	buffer_load_dword v118, v113, s[0:3], 0 offen offset:4
	s_waitcnt vmcnt(2) lgkmcnt(0)
	v_mul_f64 v[120:121], v[3:4], v[115:116]
	v_mul_f64 v[115:116], v[1:2], v[115:116]
	s_waitcnt vmcnt(0)
	v_fma_f64 v[1:2], v[1:2], v[117:118], -v[120:121]
	v_fma_f64 v[3:4], v[3:4], v[117:118], v[115:116]
.LBB117_374:
	s_and_saveexec_b32 s8, s5
	s_cbranch_execz .LBB117_378
; %bb.375:
	v_add_nc_u32_e32 v115, -7, v0
	s_movk_i32 s63, 0x3d0
	s_mov_b32 s5, 0
	s_mov_b32 s64, s55
	.p2align	6
.LBB117_376:                            ; =>This Inner Loop Header: Depth=1
	v_mov_b32_e32 v118, s64
	v_add_nc_u32_e32 v115, -1, v115
	s_add_i32 s64, s64, 16
	s_clause 0x3
	buffer_load_dword v116, v118, s[0:3], 0 offen offset:8
	buffer_load_dword v117, v118, s[0:3], 0 offen offset:12
	buffer_load_dword v124, v118, s[0:3], 0 offen
	buffer_load_dword v125, v118, s[0:3], 0 offen offset:4
	v_mov_b32_e32 v118, s63
	v_cmp_eq_u32_e32 vcc_lo, 0, v115
	s_add_i32 s63, s63, 16
	ds_read_b128 v[120:123], v118
	s_or_b32 s5, vcc_lo, s5
	s_waitcnt vmcnt(2) lgkmcnt(0)
	v_mul_f64 v[126:127], v[122:123], v[116:117]
	v_mul_f64 v[116:117], v[120:121], v[116:117]
	s_waitcnt vmcnt(0)
	v_fma_f64 v[120:121], v[120:121], v[124:125], -v[126:127]
	v_fma_f64 v[116:117], v[122:123], v[124:125], v[116:117]
	v_add_f64 v[1:2], v[1:2], v[120:121]
	v_add_f64 v[3:4], v[3:4], v[116:117]
	s_andn2_b32 exec_lo, exec_lo, s5
	s_cbranch_execnz .LBB117_376
; %bb.377:
	s_or_b32 exec_lo, exec_lo, s5
.LBB117_378:
	s_or_b32 exec_lo, exec_lo, s8
	v_mov_b32_e32 v115, 0
	ds_read_b128 v[115:118], v115 offset:96
	s_waitcnt lgkmcnt(0)
	v_mul_f64 v[120:121], v[3:4], v[117:118]
	v_mul_f64 v[117:118], v[1:2], v[117:118]
	v_fma_f64 v[1:2], v[1:2], v[115:116], -v[120:121]
	v_fma_f64 v[3:4], v[3:4], v[115:116], v[117:118]
	buffer_store_dword v2, off, s[0:3], 0 offset:100
	buffer_store_dword v1, off, s[0:3], 0 offset:96
	;; [unrolled: 1-line block ×4, first 2 shown]
.LBB117_379:
	s_or_b32 exec_lo, exec_lo, s6
	v_mov_b32_e32 v4, s57
	v_cmp_lt_u32_e64 s5, 5, v0
	s_clause 0x3
	buffer_load_dword v1, v4, s[0:3], 0 offen
	buffer_load_dword v2, v4, s[0:3], 0 offen offset:4
	buffer_load_dword v3, v4, s[0:3], 0 offen offset:8
	;; [unrolled: 1-line block ×3, first 2 shown]
	s_waitcnt vmcnt(0)
	ds_write_b128 v114, v[1:4]
	s_waitcnt lgkmcnt(0)
	s_waitcnt_vscnt null, 0x0
	s_barrier
	buffer_gl0_inv
	s_and_saveexec_b32 s6, s5
	s_cbranch_execz .LBB117_387
; %bb.380:
	ds_read_b128 v[1:4], v114
	s_andn2_b32 vcc_lo, exec_lo, s62
	s_cbranch_vccnz .LBB117_382
; %bb.381:
	s_clause 0x3
	buffer_load_dword v115, v113, s[0:3], 0 offen offset:8
	buffer_load_dword v116, v113, s[0:3], 0 offen offset:12
	buffer_load_dword v117, v113, s[0:3], 0 offen
	buffer_load_dword v118, v113, s[0:3], 0 offen offset:4
	s_waitcnt vmcnt(2) lgkmcnt(0)
	v_mul_f64 v[120:121], v[3:4], v[115:116]
	v_mul_f64 v[115:116], v[1:2], v[115:116]
	s_waitcnt vmcnt(0)
	v_fma_f64 v[1:2], v[1:2], v[117:118], -v[120:121]
	v_fma_f64 v[3:4], v[3:4], v[117:118], v[115:116]
.LBB117_382:
	s_and_saveexec_b32 s8, s4
	s_cbranch_execz .LBB117_386
; %bb.383:
	v_add_nc_u32_e32 v115, -6, v0
	s_movk_i32 s63, 0x3c0
	s_mov_b32 s4, 0
	s_mov_b32 s64, s56
	.p2align	6
.LBB117_384:                            ; =>This Inner Loop Header: Depth=1
	v_mov_b32_e32 v118, s64
	v_add_nc_u32_e32 v115, -1, v115
	s_add_i32 s64, s64, 16
	s_clause 0x3
	buffer_load_dword v116, v118, s[0:3], 0 offen offset:8
	buffer_load_dword v117, v118, s[0:3], 0 offen offset:12
	buffer_load_dword v124, v118, s[0:3], 0 offen
	buffer_load_dword v125, v118, s[0:3], 0 offen offset:4
	v_mov_b32_e32 v118, s63
	v_cmp_eq_u32_e32 vcc_lo, 0, v115
	s_add_i32 s63, s63, 16
	ds_read_b128 v[120:123], v118
	s_or_b32 s4, vcc_lo, s4
	s_waitcnt vmcnt(2) lgkmcnt(0)
	v_mul_f64 v[126:127], v[122:123], v[116:117]
	v_mul_f64 v[116:117], v[120:121], v[116:117]
	s_waitcnt vmcnt(0)
	v_fma_f64 v[120:121], v[120:121], v[124:125], -v[126:127]
	v_fma_f64 v[116:117], v[122:123], v[124:125], v[116:117]
	v_add_f64 v[1:2], v[1:2], v[120:121]
	v_add_f64 v[3:4], v[3:4], v[116:117]
	s_andn2_b32 exec_lo, exec_lo, s4
	s_cbranch_execnz .LBB117_384
; %bb.385:
	s_or_b32 exec_lo, exec_lo, s4
.LBB117_386:
	s_or_b32 exec_lo, exec_lo, s8
	v_mov_b32_e32 v115, 0
	ds_read_b128 v[115:118], v115 offset:80
	s_waitcnt lgkmcnt(0)
	v_mul_f64 v[120:121], v[3:4], v[117:118]
	v_mul_f64 v[117:118], v[1:2], v[117:118]
	v_fma_f64 v[1:2], v[1:2], v[115:116], -v[120:121]
	v_fma_f64 v[3:4], v[3:4], v[115:116], v[117:118]
	buffer_store_dword v2, off, s[0:3], 0 offset:84
	buffer_store_dword v1, off, s[0:3], 0 offset:80
	;; [unrolled: 1-line block ×4, first 2 shown]
.LBB117_387:
	s_or_b32 exec_lo, exec_lo, s6
	v_mov_b32_e32 v4, s58
	v_cmp_lt_u32_e64 s4, 4, v0
	s_clause 0x3
	buffer_load_dword v1, v4, s[0:3], 0 offen
	buffer_load_dword v2, v4, s[0:3], 0 offen offset:4
	buffer_load_dword v3, v4, s[0:3], 0 offen offset:8
	;; [unrolled: 1-line block ×3, first 2 shown]
	s_waitcnt vmcnt(0)
	ds_write_b128 v114, v[1:4]
	s_waitcnt lgkmcnt(0)
	s_waitcnt_vscnt null, 0x0
	s_barrier
	buffer_gl0_inv
	s_and_saveexec_b32 s6, s4
	s_cbranch_execz .LBB117_395
; %bb.388:
	ds_read_b128 v[1:4], v114
	s_andn2_b32 vcc_lo, exec_lo, s62
	s_cbranch_vccnz .LBB117_390
; %bb.389:
	s_clause 0x3
	buffer_load_dword v115, v113, s[0:3], 0 offen offset:8
	buffer_load_dword v116, v113, s[0:3], 0 offen offset:12
	buffer_load_dword v117, v113, s[0:3], 0 offen
	buffer_load_dword v118, v113, s[0:3], 0 offen offset:4
	s_waitcnt vmcnt(2) lgkmcnt(0)
	v_mul_f64 v[120:121], v[3:4], v[115:116]
	v_mul_f64 v[115:116], v[1:2], v[115:116]
	s_waitcnt vmcnt(0)
	v_fma_f64 v[1:2], v[1:2], v[117:118], -v[120:121]
	v_fma_f64 v[3:4], v[3:4], v[117:118], v[115:116]
.LBB117_390:
	s_and_saveexec_b32 s8, s5
	s_cbranch_execz .LBB117_394
; %bb.391:
	v_add_nc_u32_e32 v115, -5, v0
	s_movk_i32 s63, 0x3b0
	s_mov_b32 s5, 0
	s_mov_b32 s64, s57
	.p2align	6
.LBB117_392:                            ; =>This Inner Loop Header: Depth=1
	v_mov_b32_e32 v118, s64
	v_add_nc_u32_e32 v115, -1, v115
	s_add_i32 s64, s64, 16
	s_clause 0x3
	buffer_load_dword v116, v118, s[0:3], 0 offen offset:8
	buffer_load_dword v117, v118, s[0:3], 0 offen offset:12
	buffer_load_dword v124, v118, s[0:3], 0 offen
	buffer_load_dword v125, v118, s[0:3], 0 offen offset:4
	v_mov_b32_e32 v118, s63
	v_cmp_eq_u32_e32 vcc_lo, 0, v115
	s_add_i32 s63, s63, 16
	ds_read_b128 v[120:123], v118
	s_or_b32 s5, vcc_lo, s5
	s_waitcnt vmcnt(2) lgkmcnt(0)
	v_mul_f64 v[126:127], v[122:123], v[116:117]
	v_mul_f64 v[116:117], v[120:121], v[116:117]
	s_waitcnt vmcnt(0)
	v_fma_f64 v[120:121], v[120:121], v[124:125], -v[126:127]
	v_fma_f64 v[116:117], v[122:123], v[124:125], v[116:117]
	v_add_f64 v[1:2], v[1:2], v[120:121]
	v_add_f64 v[3:4], v[3:4], v[116:117]
	s_andn2_b32 exec_lo, exec_lo, s5
	s_cbranch_execnz .LBB117_392
; %bb.393:
	s_or_b32 exec_lo, exec_lo, s5
.LBB117_394:
	s_or_b32 exec_lo, exec_lo, s8
	v_mov_b32_e32 v115, 0
	ds_read_b128 v[115:118], v115 offset:64
	s_waitcnt lgkmcnt(0)
	v_mul_f64 v[120:121], v[3:4], v[117:118]
	v_mul_f64 v[117:118], v[1:2], v[117:118]
	v_fma_f64 v[1:2], v[1:2], v[115:116], -v[120:121]
	v_fma_f64 v[3:4], v[3:4], v[115:116], v[117:118]
	buffer_store_dword v2, off, s[0:3], 0 offset:68
	buffer_store_dword v1, off, s[0:3], 0 offset:64
	;; [unrolled: 1-line block ×4, first 2 shown]
.LBB117_395:
	s_or_b32 exec_lo, exec_lo, s6
	v_mov_b32_e32 v4, s59
	v_cmp_lt_u32_e64 s5, 3, v0
	s_clause 0x3
	buffer_load_dword v1, v4, s[0:3], 0 offen
	buffer_load_dword v2, v4, s[0:3], 0 offen offset:4
	buffer_load_dword v3, v4, s[0:3], 0 offen offset:8
	;; [unrolled: 1-line block ×3, first 2 shown]
	s_waitcnt vmcnt(0)
	ds_write_b128 v114, v[1:4]
	s_waitcnt lgkmcnt(0)
	s_waitcnt_vscnt null, 0x0
	s_barrier
	buffer_gl0_inv
	s_and_saveexec_b32 s6, s5
	s_cbranch_execz .LBB117_403
; %bb.396:
	ds_read_b128 v[1:4], v114
	s_andn2_b32 vcc_lo, exec_lo, s62
	s_cbranch_vccnz .LBB117_398
; %bb.397:
	s_clause 0x3
	buffer_load_dword v115, v113, s[0:3], 0 offen offset:8
	buffer_load_dword v116, v113, s[0:3], 0 offen offset:12
	buffer_load_dword v117, v113, s[0:3], 0 offen
	buffer_load_dword v118, v113, s[0:3], 0 offen offset:4
	s_waitcnt vmcnt(2) lgkmcnt(0)
	v_mul_f64 v[120:121], v[3:4], v[115:116]
	v_mul_f64 v[115:116], v[1:2], v[115:116]
	s_waitcnt vmcnt(0)
	v_fma_f64 v[1:2], v[1:2], v[117:118], -v[120:121]
	v_fma_f64 v[3:4], v[3:4], v[117:118], v[115:116]
.LBB117_398:
	s_and_saveexec_b32 s8, s4
	s_cbranch_execz .LBB117_402
; %bb.399:
	v_add_nc_u32_e32 v115, -4, v0
	s_movk_i32 s63, 0x3a0
	s_mov_b32 s4, 0
	s_mov_b32 s64, s58
	.p2align	6
.LBB117_400:                            ; =>This Inner Loop Header: Depth=1
	v_mov_b32_e32 v118, s64
	v_add_nc_u32_e32 v115, -1, v115
	s_add_i32 s64, s64, 16
	s_clause 0x3
	buffer_load_dword v116, v118, s[0:3], 0 offen offset:8
	buffer_load_dword v117, v118, s[0:3], 0 offen offset:12
	buffer_load_dword v124, v118, s[0:3], 0 offen
	buffer_load_dword v125, v118, s[0:3], 0 offen offset:4
	v_mov_b32_e32 v118, s63
	v_cmp_eq_u32_e32 vcc_lo, 0, v115
	s_add_i32 s63, s63, 16
	ds_read_b128 v[120:123], v118
	s_or_b32 s4, vcc_lo, s4
	s_waitcnt vmcnt(2) lgkmcnt(0)
	v_mul_f64 v[126:127], v[122:123], v[116:117]
	v_mul_f64 v[116:117], v[120:121], v[116:117]
	s_waitcnt vmcnt(0)
	v_fma_f64 v[120:121], v[120:121], v[124:125], -v[126:127]
	v_fma_f64 v[116:117], v[122:123], v[124:125], v[116:117]
	v_add_f64 v[1:2], v[1:2], v[120:121]
	v_add_f64 v[3:4], v[3:4], v[116:117]
	s_andn2_b32 exec_lo, exec_lo, s4
	s_cbranch_execnz .LBB117_400
; %bb.401:
	s_or_b32 exec_lo, exec_lo, s4
.LBB117_402:
	s_or_b32 exec_lo, exec_lo, s8
	v_mov_b32_e32 v115, 0
	ds_read_b128 v[115:118], v115 offset:48
	s_waitcnt lgkmcnt(0)
	v_mul_f64 v[120:121], v[3:4], v[117:118]
	v_mul_f64 v[117:118], v[1:2], v[117:118]
	v_fma_f64 v[1:2], v[1:2], v[115:116], -v[120:121]
	v_fma_f64 v[3:4], v[3:4], v[115:116], v[117:118]
	buffer_store_dword v2, off, s[0:3], 0 offset:52
	buffer_store_dword v1, off, s[0:3], 0 offset:48
	;; [unrolled: 1-line block ×4, first 2 shown]
.LBB117_403:
	s_or_b32 exec_lo, exec_lo, s6
	v_mov_b32_e32 v4, s60
	v_cmp_lt_u32_e64 s6, 2, v0
	s_clause 0x3
	buffer_load_dword v1, v4, s[0:3], 0 offen
	buffer_load_dword v2, v4, s[0:3], 0 offen offset:4
	buffer_load_dword v3, v4, s[0:3], 0 offen offset:8
	;; [unrolled: 1-line block ×3, first 2 shown]
	s_waitcnt vmcnt(0)
	ds_write_b128 v114, v[1:4]
	s_waitcnt lgkmcnt(0)
	s_waitcnt_vscnt null, 0x0
	s_barrier
	buffer_gl0_inv
	s_and_saveexec_b32 s4, s6
	s_cbranch_execz .LBB117_411
; %bb.404:
	ds_read_b128 v[1:4], v114
	s_andn2_b32 vcc_lo, exec_lo, s62
	s_cbranch_vccnz .LBB117_406
; %bb.405:
	s_clause 0x3
	buffer_load_dword v115, v113, s[0:3], 0 offen offset:8
	buffer_load_dword v116, v113, s[0:3], 0 offen offset:12
	buffer_load_dword v117, v113, s[0:3], 0 offen
	buffer_load_dword v118, v113, s[0:3], 0 offen offset:4
	s_waitcnt vmcnt(2) lgkmcnt(0)
	v_mul_f64 v[120:121], v[3:4], v[115:116]
	v_mul_f64 v[115:116], v[1:2], v[115:116]
	s_waitcnt vmcnt(0)
	v_fma_f64 v[1:2], v[1:2], v[117:118], -v[120:121]
	v_fma_f64 v[3:4], v[3:4], v[117:118], v[115:116]
.LBB117_406:
	s_and_saveexec_b32 s8, s5
	s_cbranch_execz .LBB117_410
; %bb.407:
	v_add_nc_u32_e32 v115, -3, v0
	s_movk_i32 s63, 0x390
	s_mov_b32 s5, 0
	s_mov_b32 s64, s59
	.p2align	6
.LBB117_408:                            ; =>This Inner Loop Header: Depth=1
	v_mov_b32_e32 v118, s64
	v_add_nc_u32_e32 v115, -1, v115
	s_add_i32 s64, s64, 16
	s_clause 0x3
	buffer_load_dword v116, v118, s[0:3], 0 offen offset:8
	buffer_load_dword v117, v118, s[0:3], 0 offen offset:12
	buffer_load_dword v124, v118, s[0:3], 0 offen
	buffer_load_dword v125, v118, s[0:3], 0 offen offset:4
	v_mov_b32_e32 v118, s63
	v_cmp_eq_u32_e32 vcc_lo, 0, v115
	s_add_i32 s63, s63, 16
	ds_read_b128 v[120:123], v118
	s_or_b32 s5, vcc_lo, s5
	s_waitcnt vmcnt(2) lgkmcnt(0)
	v_mul_f64 v[126:127], v[122:123], v[116:117]
	v_mul_f64 v[116:117], v[120:121], v[116:117]
	s_waitcnt vmcnt(0)
	v_fma_f64 v[120:121], v[120:121], v[124:125], -v[126:127]
	v_fma_f64 v[116:117], v[122:123], v[124:125], v[116:117]
	v_add_f64 v[1:2], v[1:2], v[120:121]
	v_add_f64 v[3:4], v[3:4], v[116:117]
	s_andn2_b32 exec_lo, exec_lo, s5
	s_cbranch_execnz .LBB117_408
; %bb.409:
	s_or_b32 exec_lo, exec_lo, s5
.LBB117_410:
	s_or_b32 exec_lo, exec_lo, s8
	v_mov_b32_e32 v115, 0
	ds_read_b128 v[115:118], v115 offset:32
	s_waitcnt lgkmcnt(0)
	v_mul_f64 v[120:121], v[3:4], v[117:118]
	v_mul_f64 v[117:118], v[1:2], v[117:118]
	v_fma_f64 v[1:2], v[1:2], v[115:116], -v[120:121]
	v_fma_f64 v[3:4], v[3:4], v[115:116], v[117:118]
	buffer_store_dword v2, off, s[0:3], 0 offset:36
	buffer_store_dword v1, off, s[0:3], 0 offset:32
	;; [unrolled: 1-line block ×4, first 2 shown]
.LBB117_411:
	s_or_b32 exec_lo, exec_lo, s4
	v_mov_b32_e32 v4, s61
	v_cmp_lt_u32_e64 s4, 1, v0
	s_clause 0x3
	buffer_load_dword v1, v4, s[0:3], 0 offen
	buffer_load_dword v2, v4, s[0:3], 0 offen offset:4
	buffer_load_dword v3, v4, s[0:3], 0 offen offset:8
	;; [unrolled: 1-line block ×3, first 2 shown]
	s_waitcnt vmcnt(0)
	ds_write_b128 v114, v[1:4]
	s_waitcnt lgkmcnt(0)
	s_waitcnt_vscnt null, 0x0
	s_barrier
	buffer_gl0_inv
	s_and_saveexec_b32 s5, s4
	s_cbranch_execz .LBB117_419
; %bb.412:
	ds_read_b128 v[1:4], v114
	s_andn2_b32 vcc_lo, exec_lo, s62
	s_cbranch_vccnz .LBB117_414
; %bb.413:
	s_clause 0x3
	buffer_load_dword v115, v113, s[0:3], 0 offen offset:8
	buffer_load_dword v116, v113, s[0:3], 0 offen offset:12
	buffer_load_dword v117, v113, s[0:3], 0 offen
	buffer_load_dword v118, v113, s[0:3], 0 offen offset:4
	s_waitcnt vmcnt(2) lgkmcnt(0)
	v_mul_f64 v[120:121], v[3:4], v[115:116]
	v_mul_f64 v[115:116], v[1:2], v[115:116]
	s_waitcnt vmcnt(0)
	v_fma_f64 v[1:2], v[1:2], v[117:118], -v[120:121]
	v_fma_f64 v[3:4], v[3:4], v[117:118], v[115:116]
.LBB117_414:
	s_and_saveexec_b32 s8, s6
	s_cbranch_execz .LBB117_418
; %bb.415:
	v_add_nc_u32_e32 v115, -2, v0
	s_movk_i32 s63, 0x380
	s_mov_b32 s6, 0
	s_mov_b32 s64, s60
	.p2align	6
.LBB117_416:                            ; =>This Inner Loop Header: Depth=1
	v_mov_b32_e32 v118, s64
	v_add_nc_u32_e32 v115, -1, v115
	s_add_i32 s64, s64, 16
	s_clause 0x3
	buffer_load_dword v116, v118, s[0:3], 0 offen offset:8
	buffer_load_dword v117, v118, s[0:3], 0 offen offset:12
	buffer_load_dword v124, v118, s[0:3], 0 offen
	buffer_load_dword v125, v118, s[0:3], 0 offen offset:4
	v_mov_b32_e32 v118, s63
	v_cmp_eq_u32_e32 vcc_lo, 0, v115
	s_add_i32 s63, s63, 16
	ds_read_b128 v[120:123], v118
	s_or_b32 s6, vcc_lo, s6
	s_waitcnt vmcnt(2) lgkmcnt(0)
	v_mul_f64 v[126:127], v[122:123], v[116:117]
	v_mul_f64 v[116:117], v[120:121], v[116:117]
	s_waitcnt vmcnt(0)
	v_fma_f64 v[120:121], v[120:121], v[124:125], -v[126:127]
	v_fma_f64 v[116:117], v[122:123], v[124:125], v[116:117]
	v_add_f64 v[1:2], v[1:2], v[120:121]
	v_add_f64 v[3:4], v[3:4], v[116:117]
	s_andn2_b32 exec_lo, exec_lo, s6
	s_cbranch_execnz .LBB117_416
; %bb.417:
	s_or_b32 exec_lo, exec_lo, s6
.LBB117_418:
	s_or_b32 exec_lo, exec_lo, s8
	v_mov_b32_e32 v115, 0
	ds_read_b128 v[115:118], v115 offset:16
	s_waitcnt lgkmcnt(0)
	v_mul_f64 v[120:121], v[3:4], v[117:118]
	v_mul_f64 v[117:118], v[1:2], v[117:118]
	v_fma_f64 v[1:2], v[1:2], v[115:116], -v[120:121]
	v_fma_f64 v[3:4], v[3:4], v[115:116], v[117:118]
	buffer_store_dword v2, off, s[0:3], 0 offset:20
	buffer_store_dword v1, off, s[0:3], 0 offset:16
	;; [unrolled: 1-line block ×4, first 2 shown]
.LBB117_419:
	s_or_b32 exec_lo, exec_lo, s5
	s_clause 0x3
	buffer_load_dword v1, off, s[0:3], 0
	buffer_load_dword v2, off, s[0:3], 0 offset:4
	buffer_load_dword v3, off, s[0:3], 0 offset:8
	;; [unrolled: 1-line block ×3, first 2 shown]
	s_mov_b32 s6, 0
	s_mov_b32 s5, 0
	s_mov_b32 s8, exec_lo
                                        ; implicit-def: $sgpr63
	s_waitcnt vmcnt(0)
	ds_write_b128 v114, v[1:4]
	s_waitcnt lgkmcnt(0)
	s_waitcnt_vscnt null, 0x0
	s_barrier
	buffer_gl0_inv
                                        ; implicit-def: $vgpr1_vgpr2
	v_cmpx_ne_u32_e32 0, v0
	s_cbranch_execz .LBB117_427
; %bb.420:
	ds_read_b128 v[1:4], v114
	s_andn2_b32 vcc_lo, exec_lo, s62
	s_cbranch_vccnz .LBB117_422
; %bb.421:
	s_clause 0x3
	buffer_load_dword v115, v113, s[0:3], 0 offen offset:8
	buffer_load_dword v116, v113, s[0:3], 0 offen offset:12
	buffer_load_dword v117, v113, s[0:3], 0 offen
	buffer_load_dword v118, v113, s[0:3], 0 offen offset:4
	s_waitcnt vmcnt(2) lgkmcnt(0)
	v_mul_f64 v[120:121], v[3:4], v[115:116]
	v_mul_f64 v[115:116], v[1:2], v[115:116]
	s_waitcnt vmcnt(0)
	v_fma_f64 v[1:2], v[1:2], v[117:118], -v[120:121]
	v_fma_f64 v[3:4], v[3:4], v[117:118], v[115:116]
.LBB117_422:
	s_and_saveexec_b32 s5, s4
	s_cbranch_execz .LBB117_426
; %bb.423:
	v_add_nc_u32_e32 v115, -1, v0
	s_movk_i32 s63, 0x370
	s_mov_b32 s4, 0
	s_mov_b32 s64, s61
	.p2align	6
.LBB117_424:                            ; =>This Inner Loop Header: Depth=1
	v_mov_b32_e32 v118, s64
	v_add_nc_u32_e32 v115, -1, v115
	s_add_i32 s64, s64, 16
	s_clause 0x3
	buffer_load_dword v116, v118, s[0:3], 0 offen offset:8
	buffer_load_dword v117, v118, s[0:3], 0 offen offset:12
	buffer_load_dword v124, v118, s[0:3], 0 offen
	buffer_load_dword v125, v118, s[0:3], 0 offen offset:4
	v_mov_b32_e32 v118, s63
	v_cmp_eq_u32_e32 vcc_lo, 0, v115
	s_add_i32 s63, s63, 16
	ds_read_b128 v[120:123], v118
	s_or_b32 s4, vcc_lo, s4
	s_waitcnt vmcnt(2) lgkmcnt(0)
	v_mul_f64 v[126:127], v[122:123], v[116:117]
	v_mul_f64 v[116:117], v[120:121], v[116:117]
	s_waitcnt vmcnt(0)
	v_fma_f64 v[120:121], v[120:121], v[124:125], -v[126:127]
	v_fma_f64 v[116:117], v[122:123], v[124:125], v[116:117]
	v_add_f64 v[1:2], v[1:2], v[120:121]
	v_add_f64 v[3:4], v[3:4], v[116:117]
	s_andn2_b32 exec_lo, exec_lo, s4
	s_cbranch_execnz .LBB117_424
; %bb.425:
	s_or_b32 exec_lo, exec_lo, s4
.LBB117_426:
	s_or_b32 exec_lo, exec_lo, s5
	v_mov_b32_e32 v115, 0
	s_mov_b32 s5, exec_lo
	s_or_b32 s63, 0, 8
	ds_read_b128 v[115:118], v115
	s_waitcnt lgkmcnt(0)
	v_mul_f64 v[120:121], v[3:4], v[117:118]
	v_mul_f64 v[117:118], v[1:2], v[117:118]
	v_fma_f64 v[120:121], v[1:2], v[115:116], -v[120:121]
	v_fma_f64 v[1:2], v[3:4], v[115:116], v[117:118]
	buffer_store_dword v121, off, s[0:3], 0 offset:4
	buffer_store_dword v120, off, s[0:3], 0
.LBB117_427:
	s_or_b32 exec_lo, exec_lo, s8
	s_and_b32 vcc_lo, exec_lo, s6
	s_cbranch_vccnz .LBB117_429
	s_branch .LBB117_848
.LBB117_428:
	s_mov_b32 s5, 0
                                        ; implicit-def: $vgpr1_vgpr2
                                        ; implicit-def: $sgpr63
	s_cbranch_execz .LBB117_848
.LBB117_429:
	v_mov_b32_e32 v4, s61
	v_cmp_eq_u32_e64 s4, 0, v0
	v_cndmask_b32_e64 v115, 0, 1, s62
	s_clause 0x3
	buffer_load_dword v1, v4, s[0:3], 0 offen
	buffer_load_dword v2, v4, s[0:3], 0 offen offset:4
	buffer_load_dword v3, v4, s[0:3], 0 offen offset:8
	;; [unrolled: 1-line block ×3, first 2 shown]
	s_waitcnt vmcnt(0)
	ds_write_b128 v114, v[1:4]
	s_waitcnt lgkmcnt(0)
	s_waitcnt_vscnt null, 0x0
	s_barrier
	buffer_gl0_inv
	s_and_saveexec_b32 s6, s4
	s_cbranch_execz .LBB117_433
; %bb.430:
	ds_read_b128 v[1:4], v114
	s_andn2_b32 vcc_lo, exec_lo, s62
	s_cbranch_vccnz .LBB117_432
; %bb.431:
	s_clause 0x3
	buffer_load_dword v116, v113, s[0:3], 0 offen offset:8
	buffer_load_dword v117, v113, s[0:3], 0 offen offset:12
	buffer_load_dword v120, v113, s[0:3], 0 offen
	buffer_load_dword v121, v113, s[0:3], 0 offen offset:4
	s_waitcnt vmcnt(2) lgkmcnt(0)
	v_mul_f64 v[122:123], v[3:4], v[116:117]
	v_mul_f64 v[116:117], v[1:2], v[116:117]
	s_waitcnt vmcnt(0)
	v_fma_f64 v[1:2], v[1:2], v[120:121], -v[122:123]
	v_fma_f64 v[3:4], v[3:4], v[120:121], v[116:117]
.LBB117_432:
	v_mov_b32_e32 v116, 0
	ds_read_b128 v[120:123], v116 offset:16
	s_waitcnt lgkmcnt(0)
	v_mul_f64 v[116:117], v[3:4], v[122:123]
	v_mul_f64 v[122:123], v[1:2], v[122:123]
	v_fma_f64 v[1:2], v[1:2], v[120:121], -v[116:117]
	v_fma_f64 v[3:4], v[3:4], v[120:121], v[122:123]
	buffer_store_dword v2, off, s[0:3], 0 offset:20
	buffer_store_dword v1, off, s[0:3], 0 offset:16
	;; [unrolled: 1-line block ×4, first 2 shown]
.LBB117_433:
	s_or_b32 exec_lo, exec_lo, s6
	v_mov_b32_e32 v4, s60
	s_mov_b32 s6, exec_lo
	s_clause 0x3
	buffer_load_dword v1, v4, s[0:3], 0 offen
	buffer_load_dword v2, v4, s[0:3], 0 offen offset:4
	buffer_load_dword v3, v4, s[0:3], 0 offen offset:8
	;; [unrolled: 1-line block ×3, first 2 shown]
	s_waitcnt vmcnt(0)
	ds_write_b128 v114, v[1:4]
	s_waitcnt lgkmcnt(0)
	s_waitcnt_vscnt null, 0x0
	s_barrier
	buffer_gl0_inv
	v_cmpx_gt_u32_e32 2, v0
	s_cbranch_execz .LBB117_439
; %bb.434:
	ds_read_b128 v[1:4], v114
	v_cmp_ne_u32_e32 vcc_lo, 1, v115
	s_cbranch_vccnz .LBB117_436
; %bb.435:
	s_clause 0x3
	buffer_load_dword v116, v113, s[0:3], 0 offen offset:8
	buffer_load_dword v117, v113, s[0:3], 0 offen offset:12
	buffer_load_dword v120, v113, s[0:3], 0 offen
	buffer_load_dword v121, v113, s[0:3], 0 offen offset:4
	s_waitcnt vmcnt(2) lgkmcnt(0)
	v_mul_f64 v[122:123], v[3:4], v[116:117]
	v_mul_f64 v[116:117], v[1:2], v[116:117]
	s_waitcnt vmcnt(0)
	v_fma_f64 v[1:2], v[1:2], v[120:121], -v[122:123]
	v_fma_f64 v[3:4], v[3:4], v[120:121], v[116:117]
.LBB117_436:
	s_and_saveexec_b32 s8, s4
	s_cbranch_execz .LBB117_438
; %bb.437:
	s_clause 0x3
	buffer_load_dword v116, off, s[0:3], 0 offset:24
	buffer_load_dword v117, off, s[0:3], 0 offset:28
	;; [unrolled: 1-line block ×4, first 2 shown]
	v_mov_b32_e32 v118, 0
	ds_read_b128 v[120:123], v118 offset:880
	s_waitcnt vmcnt(2) lgkmcnt(0)
	v_mul_f64 v[126:127], v[122:123], v[116:117]
	v_mul_f64 v[116:117], v[120:121], v[116:117]
	s_waitcnt vmcnt(0)
	v_fma_f64 v[120:121], v[120:121], v[124:125], -v[126:127]
	v_fma_f64 v[116:117], v[122:123], v[124:125], v[116:117]
	v_add_f64 v[1:2], v[1:2], v[120:121]
	v_add_f64 v[3:4], v[3:4], v[116:117]
.LBB117_438:
	s_or_b32 exec_lo, exec_lo, s8
	v_mov_b32_e32 v116, 0
	ds_read_b128 v[120:123], v116 offset:32
	s_waitcnt lgkmcnt(0)
	v_mul_f64 v[116:117], v[3:4], v[122:123]
	v_mul_f64 v[122:123], v[1:2], v[122:123]
	v_fma_f64 v[1:2], v[1:2], v[120:121], -v[116:117]
	v_fma_f64 v[3:4], v[3:4], v[120:121], v[122:123]
	buffer_store_dword v2, off, s[0:3], 0 offset:36
	buffer_store_dword v1, off, s[0:3], 0 offset:32
	;; [unrolled: 1-line block ×4, first 2 shown]
.LBB117_439:
	s_or_b32 exec_lo, exec_lo, s6
	v_mov_b32_e32 v4, s59
	s_mov_b32 s6, exec_lo
	s_clause 0x3
	buffer_load_dword v1, v4, s[0:3], 0 offen
	buffer_load_dword v2, v4, s[0:3], 0 offen offset:4
	buffer_load_dword v3, v4, s[0:3], 0 offen offset:8
	buffer_load_dword v4, v4, s[0:3], 0 offen offset:12
	s_waitcnt vmcnt(0)
	ds_write_b128 v114, v[1:4]
	s_waitcnt lgkmcnt(0)
	s_waitcnt_vscnt null, 0x0
	s_barrier
	buffer_gl0_inv
	v_cmpx_gt_u32_e32 3, v0
	s_cbranch_execz .LBB117_447
; %bb.440:
	ds_read_b128 v[1:4], v114
	v_cmp_ne_u32_e32 vcc_lo, 1, v115
	s_cbranch_vccnz .LBB117_442
; %bb.441:
	s_clause 0x3
	buffer_load_dword v116, v113, s[0:3], 0 offen offset:8
	buffer_load_dword v117, v113, s[0:3], 0 offen offset:12
	buffer_load_dword v120, v113, s[0:3], 0 offen
	buffer_load_dword v121, v113, s[0:3], 0 offen offset:4
	s_waitcnt vmcnt(2) lgkmcnt(0)
	v_mul_f64 v[122:123], v[3:4], v[116:117]
	v_mul_f64 v[116:117], v[1:2], v[116:117]
	s_waitcnt vmcnt(0)
	v_fma_f64 v[1:2], v[1:2], v[120:121], -v[122:123]
	v_fma_f64 v[3:4], v[3:4], v[120:121], v[116:117]
.LBB117_442:
	s_mov_b32 s8, exec_lo
	v_cmpx_ne_u32_e32 2, v0
	s_cbranch_execz .LBB117_446
; %bb.443:
	s_clause 0x3
	buffer_load_dword v116, v113, s[0:3], 0 offen offset:24
	buffer_load_dword v117, v113, s[0:3], 0 offen offset:28
	;; [unrolled: 1-line block ×4, first 2 shown]
	ds_read_b128 v[120:123], v114 offset:16
	s_waitcnt vmcnt(2) lgkmcnt(0)
	v_mul_f64 v[126:127], v[122:123], v[116:117]
	v_mul_f64 v[116:117], v[120:121], v[116:117]
	s_waitcnt vmcnt(0)
	v_fma_f64 v[120:121], v[120:121], v[124:125], -v[126:127]
	v_fma_f64 v[116:117], v[122:123], v[124:125], v[116:117]
	v_add_f64 v[1:2], v[1:2], v[120:121]
	v_add_f64 v[3:4], v[3:4], v[116:117]
	s_and_saveexec_b32 s62, s4
	s_cbranch_execz .LBB117_445
; %bb.444:
	s_clause 0x3
	buffer_load_dword v116, off, s[0:3], 0 offset:40
	buffer_load_dword v117, off, s[0:3], 0 offset:44
	;; [unrolled: 1-line block ×4, first 2 shown]
	v_mov_b32_e32 v118, 0
	ds_read_b128 v[120:123], v118 offset:896
	s_waitcnt vmcnt(2) lgkmcnt(0)
	v_mul_f64 v[126:127], v[120:121], v[116:117]
	v_mul_f64 v[116:117], v[122:123], v[116:117]
	s_waitcnt vmcnt(0)
	v_fma_f64 v[122:123], v[122:123], v[124:125], v[126:127]
	v_fma_f64 v[116:117], v[120:121], v[124:125], -v[116:117]
	v_add_f64 v[3:4], v[3:4], v[122:123]
	v_add_f64 v[1:2], v[1:2], v[116:117]
.LBB117_445:
	s_or_b32 exec_lo, exec_lo, s62
.LBB117_446:
	s_or_b32 exec_lo, exec_lo, s8
	v_mov_b32_e32 v116, 0
	ds_read_b128 v[120:123], v116 offset:48
	s_waitcnt lgkmcnt(0)
	v_mul_f64 v[116:117], v[3:4], v[122:123]
	v_mul_f64 v[122:123], v[1:2], v[122:123]
	v_fma_f64 v[1:2], v[1:2], v[120:121], -v[116:117]
	v_fma_f64 v[3:4], v[3:4], v[120:121], v[122:123]
	buffer_store_dword v2, off, s[0:3], 0 offset:52
	buffer_store_dword v1, off, s[0:3], 0 offset:48
	;; [unrolled: 1-line block ×4, first 2 shown]
.LBB117_447:
	s_or_b32 exec_lo, exec_lo, s6
	v_mov_b32_e32 v4, s58
	s_mov_b32 s4, exec_lo
	s_clause 0x3
	buffer_load_dword v1, v4, s[0:3], 0 offen
	buffer_load_dword v2, v4, s[0:3], 0 offen offset:4
	buffer_load_dword v3, v4, s[0:3], 0 offen offset:8
	;; [unrolled: 1-line block ×3, first 2 shown]
	s_waitcnt vmcnt(0)
	ds_write_b128 v114, v[1:4]
	s_waitcnt lgkmcnt(0)
	s_waitcnt_vscnt null, 0x0
	s_barrier
	buffer_gl0_inv
	v_cmpx_gt_u32_e32 4, v0
	s_cbranch_execz .LBB117_455
; %bb.448:
	ds_read_b128 v[1:4], v114
	v_cmp_ne_u32_e32 vcc_lo, 1, v115
	s_cbranch_vccnz .LBB117_450
; %bb.449:
	s_clause 0x3
	buffer_load_dword v116, v113, s[0:3], 0 offen offset:8
	buffer_load_dword v117, v113, s[0:3], 0 offen offset:12
	buffer_load_dword v120, v113, s[0:3], 0 offen
	buffer_load_dword v121, v113, s[0:3], 0 offen offset:4
	s_waitcnt vmcnt(2) lgkmcnt(0)
	v_mul_f64 v[122:123], v[3:4], v[116:117]
	v_mul_f64 v[116:117], v[1:2], v[116:117]
	s_waitcnt vmcnt(0)
	v_fma_f64 v[1:2], v[1:2], v[120:121], -v[122:123]
	v_fma_f64 v[3:4], v[3:4], v[120:121], v[116:117]
.LBB117_450:
	s_mov_b32 s6, exec_lo
	v_cmpx_ne_u32_e32 3, v0
	s_cbranch_execz .LBB117_454
; %bb.451:
	v_add_nc_u32_e32 v116, 0x370, v119
	v_add3_u32 v117, 0, v119, 16
	v_mov_b32_e32 v118, v0
	s_mov_b32 s8, 0
	.p2align	6
.LBB117_452:                            ; =>This Inner Loop Header: Depth=1
	s_clause 0x3
	buffer_load_dword v124, v117, s[0:3], 0 offen offset:8
	buffer_load_dword v125, v117, s[0:3], 0 offen offset:12
	buffer_load_dword v126, v117, s[0:3], 0 offen
	buffer_load_dword v127, v117, s[0:3], 0 offen offset:4
	ds_read_b128 v[120:123], v116
	v_add_nc_u32_e32 v118, 1, v118
	v_add_nc_u32_e32 v116, 16, v116
	;; [unrolled: 1-line block ×3, first 2 shown]
	v_cmp_lt_u32_e32 vcc_lo, 2, v118
	s_or_b32 s8, vcc_lo, s8
	s_waitcnt vmcnt(2) lgkmcnt(0)
	v_mul_f64 v[128:129], v[122:123], v[124:125]
	v_mul_f64 v[124:125], v[120:121], v[124:125]
	s_waitcnt vmcnt(0)
	v_fma_f64 v[120:121], v[120:121], v[126:127], -v[128:129]
	v_fma_f64 v[122:123], v[122:123], v[126:127], v[124:125]
	v_add_f64 v[1:2], v[1:2], v[120:121]
	v_add_f64 v[3:4], v[3:4], v[122:123]
	s_andn2_b32 exec_lo, exec_lo, s8
	s_cbranch_execnz .LBB117_452
; %bb.453:
	s_or_b32 exec_lo, exec_lo, s8
.LBB117_454:
	s_or_b32 exec_lo, exec_lo, s6
	v_mov_b32_e32 v116, 0
	ds_read_b128 v[120:123], v116 offset:64
	s_waitcnt lgkmcnt(0)
	v_mul_f64 v[116:117], v[3:4], v[122:123]
	v_mul_f64 v[122:123], v[1:2], v[122:123]
	v_fma_f64 v[1:2], v[1:2], v[120:121], -v[116:117]
	v_fma_f64 v[3:4], v[3:4], v[120:121], v[122:123]
	buffer_store_dword v2, off, s[0:3], 0 offset:68
	buffer_store_dword v1, off, s[0:3], 0 offset:64
	;; [unrolled: 1-line block ×4, first 2 shown]
.LBB117_455:
	s_or_b32 exec_lo, exec_lo, s4
	v_mov_b32_e32 v4, s57
	s_mov_b32 s4, exec_lo
	s_clause 0x3
	buffer_load_dword v1, v4, s[0:3], 0 offen
	buffer_load_dword v2, v4, s[0:3], 0 offen offset:4
	buffer_load_dword v3, v4, s[0:3], 0 offen offset:8
	;; [unrolled: 1-line block ×3, first 2 shown]
	s_waitcnt vmcnt(0)
	ds_write_b128 v114, v[1:4]
	s_waitcnt lgkmcnt(0)
	s_waitcnt_vscnt null, 0x0
	s_barrier
	buffer_gl0_inv
	v_cmpx_gt_u32_e32 5, v0
	s_cbranch_execz .LBB117_463
; %bb.456:
	ds_read_b128 v[1:4], v114
	v_cmp_ne_u32_e32 vcc_lo, 1, v115
	s_cbranch_vccnz .LBB117_458
; %bb.457:
	s_clause 0x3
	buffer_load_dword v116, v113, s[0:3], 0 offen offset:8
	buffer_load_dword v117, v113, s[0:3], 0 offen offset:12
	buffer_load_dword v120, v113, s[0:3], 0 offen
	buffer_load_dword v121, v113, s[0:3], 0 offen offset:4
	s_waitcnt vmcnt(2) lgkmcnt(0)
	v_mul_f64 v[122:123], v[3:4], v[116:117]
	v_mul_f64 v[116:117], v[1:2], v[116:117]
	s_waitcnt vmcnt(0)
	v_fma_f64 v[1:2], v[1:2], v[120:121], -v[122:123]
	v_fma_f64 v[3:4], v[3:4], v[120:121], v[116:117]
.LBB117_458:
	s_mov_b32 s6, exec_lo
	v_cmpx_ne_u32_e32 4, v0
	s_cbranch_execz .LBB117_462
; %bb.459:
	v_add_nc_u32_e32 v116, 0x370, v119
	v_add3_u32 v117, 0, v119, 16
	v_mov_b32_e32 v118, v0
	s_mov_b32 s8, 0
	.p2align	6
.LBB117_460:                            ; =>This Inner Loop Header: Depth=1
	s_clause 0x3
	buffer_load_dword v124, v117, s[0:3], 0 offen offset:8
	buffer_load_dword v125, v117, s[0:3], 0 offen offset:12
	buffer_load_dword v126, v117, s[0:3], 0 offen
	buffer_load_dword v127, v117, s[0:3], 0 offen offset:4
	ds_read_b128 v[120:123], v116
	v_add_nc_u32_e32 v118, 1, v118
	v_add_nc_u32_e32 v116, 16, v116
	;; [unrolled: 1-line block ×3, first 2 shown]
	v_cmp_lt_u32_e32 vcc_lo, 3, v118
	s_or_b32 s8, vcc_lo, s8
	s_waitcnt vmcnt(2) lgkmcnt(0)
	v_mul_f64 v[128:129], v[122:123], v[124:125]
	v_mul_f64 v[124:125], v[120:121], v[124:125]
	s_waitcnt vmcnt(0)
	v_fma_f64 v[120:121], v[120:121], v[126:127], -v[128:129]
	v_fma_f64 v[122:123], v[122:123], v[126:127], v[124:125]
	v_add_f64 v[1:2], v[1:2], v[120:121]
	v_add_f64 v[3:4], v[3:4], v[122:123]
	s_andn2_b32 exec_lo, exec_lo, s8
	s_cbranch_execnz .LBB117_460
; %bb.461:
	s_or_b32 exec_lo, exec_lo, s8
.LBB117_462:
	s_or_b32 exec_lo, exec_lo, s6
	v_mov_b32_e32 v116, 0
	ds_read_b128 v[120:123], v116 offset:80
	s_waitcnt lgkmcnt(0)
	v_mul_f64 v[116:117], v[3:4], v[122:123]
	v_mul_f64 v[122:123], v[1:2], v[122:123]
	v_fma_f64 v[1:2], v[1:2], v[120:121], -v[116:117]
	v_fma_f64 v[3:4], v[3:4], v[120:121], v[122:123]
	buffer_store_dword v2, off, s[0:3], 0 offset:84
	buffer_store_dword v1, off, s[0:3], 0 offset:80
	;; [unrolled: 1-line block ×4, first 2 shown]
.LBB117_463:
	s_or_b32 exec_lo, exec_lo, s4
	v_mov_b32_e32 v4, s56
	s_mov_b32 s4, exec_lo
	s_clause 0x3
	buffer_load_dword v1, v4, s[0:3], 0 offen
	buffer_load_dword v2, v4, s[0:3], 0 offen offset:4
	buffer_load_dword v3, v4, s[0:3], 0 offen offset:8
	;; [unrolled: 1-line block ×3, first 2 shown]
	s_waitcnt vmcnt(0)
	ds_write_b128 v114, v[1:4]
	s_waitcnt lgkmcnt(0)
	s_waitcnt_vscnt null, 0x0
	s_barrier
	buffer_gl0_inv
	v_cmpx_gt_u32_e32 6, v0
	s_cbranch_execz .LBB117_471
; %bb.464:
	ds_read_b128 v[1:4], v114
	v_cmp_ne_u32_e32 vcc_lo, 1, v115
	s_cbranch_vccnz .LBB117_466
; %bb.465:
	s_clause 0x3
	buffer_load_dword v116, v113, s[0:3], 0 offen offset:8
	buffer_load_dword v117, v113, s[0:3], 0 offen offset:12
	buffer_load_dword v120, v113, s[0:3], 0 offen
	buffer_load_dword v121, v113, s[0:3], 0 offen offset:4
	s_waitcnt vmcnt(2) lgkmcnt(0)
	v_mul_f64 v[122:123], v[3:4], v[116:117]
	v_mul_f64 v[116:117], v[1:2], v[116:117]
	s_waitcnt vmcnt(0)
	v_fma_f64 v[1:2], v[1:2], v[120:121], -v[122:123]
	v_fma_f64 v[3:4], v[3:4], v[120:121], v[116:117]
.LBB117_466:
	s_mov_b32 s6, exec_lo
	v_cmpx_ne_u32_e32 5, v0
	s_cbranch_execz .LBB117_470
; %bb.467:
	v_add_nc_u32_e32 v116, 0x370, v119
	v_add3_u32 v117, 0, v119, 16
	v_mov_b32_e32 v118, v0
	s_mov_b32 s8, 0
	.p2align	6
.LBB117_468:                            ; =>This Inner Loop Header: Depth=1
	s_clause 0x3
	buffer_load_dword v124, v117, s[0:3], 0 offen offset:8
	buffer_load_dword v125, v117, s[0:3], 0 offen offset:12
	buffer_load_dword v126, v117, s[0:3], 0 offen
	buffer_load_dword v127, v117, s[0:3], 0 offen offset:4
	ds_read_b128 v[120:123], v116
	v_add_nc_u32_e32 v118, 1, v118
	v_add_nc_u32_e32 v116, 16, v116
	;; [unrolled: 1-line block ×3, first 2 shown]
	v_cmp_lt_u32_e32 vcc_lo, 4, v118
	s_or_b32 s8, vcc_lo, s8
	s_waitcnt vmcnt(2) lgkmcnt(0)
	v_mul_f64 v[128:129], v[122:123], v[124:125]
	v_mul_f64 v[124:125], v[120:121], v[124:125]
	s_waitcnt vmcnt(0)
	v_fma_f64 v[120:121], v[120:121], v[126:127], -v[128:129]
	v_fma_f64 v[122:123], v[122:123], v[126:127], v[124:125]
	v_add_f64 v[1:2], v[1:2], v[120:121]
	v_add_f64 v[3:4], v[3:4], v[122:123]
	s_andn2_b32 exec_lo, exec_lo, s8
	s_cbranch_execnz .LBB117_468
; %bb.469:
	s_or_b32 exec_lo, exec_lo, s8
.LBB117_470:
	s_or_b32 exec_lo, exec_lo, s6
	v_mov_b32_e32 v116, 0
	ds_read_b128 v[120:123], v116 offset:96
	s_waitcnt lgkmcnt(0)
	v_mul_f64 v[116:117], v[3:4], v[122:123]
	v_mul_f64 v[122:123], v[1:2], v[122:123]
	v_fma_f64 v[1:2], v[1:2], v[120:121], -v[116:117]
	v_fma_f64 v[3:4], v[3:4], v[120:121], v[122:123]
	buffer_store_dword v2, off, s[0:3], 0 offset:100
	buffer_store_dword v1, off, s[0:3], 0 offset:96
	;; [unrolled: 1-line block ×4, first 2 shown]
.LBB117_471:
	s_or_b32 exec_lo, exec_lo, s4
	v_mov_b32_e32 v4, s55
	s_mov_b32 s4, exec_lo
	s_clause 0x3
	buffer_load_dword v1, v4, s[0:3], 0 offen
	buffer_load_dword v2, v4, s[0:3], 0 offen offset:4
	buffer_load_dword v3, v4, s[0:3], 0 offen offset:8
	;; [unrolled: 1-line block ×3, first 2 shown]
	s_waitcnt vmcnt(0)
	ds_write_b128 v114, v[1:4]
	s_waitcnt lgkmcnt(0)
	s_waitcnt_vscnt null, 0x0
	s_barrier
	buffer_gl0_inv
	v_cmpx_gt_u32_e32 7, v0
	s_cbranch_execz .LBB117_479
; %bb.472:
	ds_read_b128 v[1:4], v114
	v_cmp_ne_u32_e32 vcc_lo, 1, v115
	s_cbranch_vccnz .LBB117_474
; %bb.473:
	s_clause 0x3
	buffer_load_dword v116, v113, s[0:3], 0 offen offset:8
	buffer_load_dword v117, v113, s[0:3], 0 offen offset:12
	buffer_load_dword v120, v113, s[0:3], 0 offen
	buffer_load_dword v121, v113, s[0:3], 0 offen offset:4
	s_waitcnt vmcnt(2) lgkmcnt(0)
	v_mul_f64 v[122:123], v[3:4], v[116:117]
	v_mul_f64 v[116:117], v[1:2], v[116:117]
	s_waitcnt vmcnt(0)
	v_fma_f64 v[1:2], v[1:2], v[120:121], -v[122:123]
	v_fma_f64 v[3:4], v[3:4], v[120:121], v[116:117]
.LBB117_474:
	s_mov_b32 s6, exec_lo
	v_cmpx_ne_u32_e32 6, v0
	s_cbranch_execz .LBB117_478
; %bb.475:
	v_add_nc_u32_e32 v116, 0x370, v119
	v_add3_u32 v117, 0, v119, 16
	v_mov_b32_e32 v118, v0
	s_mov_b32 s8, 0
	.p2align	6
.LBB117_476:                            ; =>This Inner Loop Header: Depth=1
	s_clause 0x3
	buffer_load_dword v124, v117, s[0:3], 0 offen offset:8
	buffer_load_dword v125, v117, s[0:3], 0 offen offset:12
	buffer_load_dword v126, v117, s[0:3], 0 offen
	buffer_load_dword v127, v117, s[0:3], 0 offen offset:4
	ds_read_b128 v[120:123], v116
	v_add_nc_u32_e32 v118, 1, v118
	v_add_nc_u32_e32 v116, 16, v116
	;; [unrolled: 1-line block ×3, first 2 shown]
	v_cmp_lt_u32_e32 vcc_lo, 5, v118
	s_or_b32 s8, vcc_lo, s8
	s_waitcnt vmcnt(2) lgkmcnt(0)
	v_mul_f64 v[128:129], v[122:123], v[124:125]
	v_mul_f64 v[124:125], v[120:121], v[124:125]
	s_waitcnt vmcnt(0)
	v_fma_f64 v[120:121], v[120:121], v[126:127], -v[128:129]
	v_fma_f64 v[122:123], v[122:123], v[126:127], v[124:125]
	v_add_f64 v[1:2], v[1:2], v[120:121]
	v_add_f64 v[3:4], v[3:4], v[122:123]
	s_andn2_b32 exec_lo, exec_lo, s8
	s_cbranch_execnz .LBB117_476
; %bb.477:
	s_or_b32 exec_lo, exec_lo, s8
.LBB117_478:
	s_or_b32 exec_lo, exec_lo, s6
	v_mov_b32_e32 v116, 0
	ds_read_b128 v[120:123], v116 offset:112
	s_waitcnt lgkmcnt(0)
	v_mul_f64 v[116:117], v[3:4], v[122:123]
	v_mul_f64 v[122:123], v[1:2], v[122:123]
	v_fma_f64 v[1:2], v[1:2], v[120:121], -v[116:117]
	v_fma_f64 v[3:4], v[3:4], v[120:121], v[122:123]
	buffer_store_dword v2, off, s[0:3], 0 offset:116
	buffer_store_dword v1, off, s[0:3], 0 offset:112
	;; [unrolled: 1-line block ×4, first 2 shown]
.LBB117_479:
	s_or_b32 exec_lo, exec_lo, s4
	v_mov_b32_e32 v4, s54
	s_mov_b32 s4, exec_lo
	s_clause 0x3
	buffer_load_dword v1, v4, s[0:3], 0 offen
	buffer_load_dword v2, v4, s[0:3], 0 offen offset:4
	buffer_load_dword v3, v4, s[0:3], 0 offen offset:8
	;; [unrolled: 1-line block ×3, first 2 shown]
	s_waitcnt vmcnt(0)
	ds_write_b128 v114, v[1:4]
	s_waitcnt lgkmcnt(0)
	s_waitcnt_vscnt null, 0x0
	s_barrier
	buffer_gl0_inv
	v_cmpx_gt_u32_e32 8, v0
	s_cbranch_execz .LBB117_487
; %bb.480:
	ds_read_b128 v[1:4], v114
	v_cmp_ne_u32_e32 vcc_lo, 1, v115
	s_cbranch_vccnz .LBB117_482
; %bb.481:
	s_clause 0x3
	buffer_load_dword v116, v113, s[0:3], 0 offen offset:8
	buffer_load_dword v117, v113, s[0:3], 0 offen offset:12
	buffer_load_dword v120, v113, s[0:3], 0 offen
	buffer_load_dword v121, v113, s[0:3], 0 offen offset:4
	s_waitcnt vmcnt(2) lgkmcnt(0)
	v_mul_f64 v[122:123], v[3:4], v[116:117]
	v_mul_f64 v[116:117], v[1:2], v[116:117]
	s_waitcnt vmcnt(0)
	v_fma_f64 v[1:2], v[1:2], v[120:121], -v[122:123]
	v_fma_f64 v[3:4], v[3:4], v[120:121], v[116:117]
.LBB117_482:
	s_mov_b32 s6, exec_lo
	v_cmpx_ne_u32_e32 7, v0
	s_cbranch_execz .LBB117_486
; %bb.483:
	v_add_nc_u32_e32 v116, 0x370, v119
	v_add3_u32 v117, 0, v119, 16
	v_mov_b32_e32 v118, v0
	s_mov_b32 s8, 0
	.p2align	6
.LBB117_484:                            ; =>This Inner Loop Header: Depth=1
	s_clause 0x3
	buffer_load_dword v124, v117, s[0:3], 0 offen offset:8
	buffer_load_dword v125, v117, s[0:3], 0 offen offset:12
	buffer_load_dword v126, v117, s[0:3], 0 offen
	buffer_load_dword v127, v117, s[0:3], 0 offen offset:4
	ds_read_b128 v[120:123], v116
	v_add_nc_u32_e32 v118, 1, v118
	v_add_nc_u32_e32 v116, 16, v116
	;; [unrolled: 1-line block ×3, first 2 shown]
	v_cmp_lt_u32_e32 vcc_lo, 6, v118
	s_or_b32 s8, vcc_lo, s8
	s_waitcnt vmcnt(2) lgkmcnt(0)
	v_mul_f64 v[128:129], v[122:123], v[124:125]
	v_mul_f64 v[124:125], v[120:121], v[124:125]
	s_waitcnt vmcnt(0)
	v_fma_f64 v[120:121], v[120:121], v[126:127], -v[128:129]
	v_fma_f64 v[122:123], v[122:123], v[126:127], v[124:125]
	v_add_f64 v[1:2], v[1:2], v[120:121]
	v_add_f64 v[3:4], v[3:4], v[122:123]
	s_andn2_b32 exec_lo, exec_lo, s8
	s_cbranch_execnz .LBB117_484
; %bb.485:
	s_or_b32 exec_lo, exec_lo, s8
.LBB117_486:
	s_or_b32 exec_lo, exec_lo, s6
	v_mov_b32_e32 v116, 0
	ds_read_b128 v[120:123], v116 offset:128
	s_waitcnt lgkmcnt(0)
	v_mul_f64 v[116:117], v[3:4], v[122:123]
	v_mul_f64 v[122:123], v[1:2], v[122:123]
	v_fma_f64 v[1:2], v[1:2], v[120:121], -v[116:117]
	v_fma_f64 v[3:4], v[3:4], v[120:121], v[122:123]
	buffer_store_dword v2, off, s[0:3], 0 offset:132
	buffer_store_dword v1, off, s[0:3], 0 offset:128
	;; [unrolled: 1-line block ×4, first 2 shown]
.LBB117_487:
	s_or_b32 exec_lo, exec_lo, s4
	v_mov_b32_e32 v4, s53
	s_mov_b32 s4, exec_lo
	s_clause 0x3
	buffer_load_dword v1, v4, s[0:3], 0 offen
	buffer_load_dword v2, v4, s[0:3], 0 offen offset:4
	buffer_load_dword v3, v4, s[0:3], 0 offen offset:8
	;; [unrolled: 1-line block ×3, first 2 shown]
	s_waitcnt vmcnt(0)
	ds_write_b128 v114, v[1:4]
	s_waitcnt lgkmcnt(0)
	s_waitcnt_vscnt null, 0x0
	s_barrier
	buffer_gl0_inv
	v_cmpx_gt_u32_e32 9, v0
	s_cbranch_execz .LBB117_495
; %bb.488:
	ds_read_b128 v[1:4], v114
	v_cmp_ne_u32_e32 vcc_lo, 1, v115
	s_cbranch_vccnz .LBB117_490
; %bb.489:
	s_clause 0x3
	buffer_load_dword v116, v113, s[0:3], 0 offen offset:8
	buffer_load_dword v117, v113, s[0:3], 0 offen offset:12
	buffer_load_dword v120, v113, s[0:3], 0 offen
	buffer_load_dword v121, v113, s[0:3], 0 offen offset:4
	s_waitcnt vmcnt(2) lgkmcnt(0)
	v_mul_f64 v[122:123], v[3:4], v[116:117]
	v_mul_f64 v[116:117], v[1:2], v[116:117]
	s_waitcnt vmcnt(0)
	v_fma_f64 v[1:2], v[1:2], v[120:121], -v[122:123]
	v_fma_f64 v[3:4], v[3:4], v[120:121], v[116:117]
.LBB117_490:
	s_mov_b32 s6, exec_lo
	v_cmpx_ne_u32_e32 8, v0
	s_cbranch_execz .LBB117_494
; %bb.491:
	v_add_nc_u32_e32 v116, 0x370, v119
	v_add3_u32 v117, 0, v119, 16
	v_mov_b32_e32 v118, v0
	s_mov_b32 s8, 0
	.p2align	6
.LBB117_492:                            ; =>This Inner Loop Header: Depth=1
	s_clause 0x3
	buffer_load_dword v124, v117, s[0:3], 0 offen offset:8
	buffer_load_dword v125, v117, s[0:3], 0 offen offset:12
	buffer_load_dword v126, v117, s[0:3], 0 offen
	buffer_load_dword v127, v117, s[0:3], 0 offen offset:4
	ds_read_b128 v[120:123], v116
	v_add_nc_u32_e32 v118, 1, v118
	v_add_nc_u32_e32 v116, 16, v116
	;; [unrolled: 1-line block ×3, first 2 shown]
	v_cmp_lt_u32_e32 vcc_lo, 7, v118
	s_or_b32 s8, vcc_lo, s8
	s_waitcnt vmcnt(2) lgkmcnt(0)
	v_mul_f64 v[128:129], v[122:123], v[124:125]
	v_mul_f64 v[124:125], v[120:121], v[124:125]
	s_waitcnt vmcnt(0)
	v_fma_f64 v[120:121], v[120:121], v[126:127], -v[128:129]
	v_fma_f64 v[122:123], v[122:123], v[126:127], v[124:125]
	v_add_f64 v[1:2], v[1:2], v[120:121]
	v_add_f64 v[3:4], v[3:4], v[122:123]
	s_andn2_b32 exec_lo, exec_lo, s8
	s_cbranch_execnz .LBB117_492
; %bb.493:
	s_or_b32 exec_lo, exec_lo, s8
.LBB117_494:
	s_or_b32 exec_lo, exec_lo, s6
	v_mov_b32_e32 v116, 0
	ds_read_b128 v[120:123], v116 offset:144
	s_waitcnt lgkmcnt(0)
	v_mul_f64 v[116:117], v[3:4], v[122:123]
	v_mul_f64 v[122:123], v[1:2], v[122:123]
	v_fma_f64 v[1:2], v[1:2], v[120:121], -v[116:117]
	v_fma_f64 v[3:4], v[3:4], v[120:121], v[122:123]
	buffer_store_dword v2, off, s[0:3], 0 offset:148
	buffer_store_dword v1, off, s[0:3], 0 offset:144
	;; [unrolled: 1-line block ×4, first 2 shown]
.LBB117_495:
	s_or_b32 exec_lo, exec_lo, s4
	v_mov_b32_e32 v4, s52
	s_mov_b32 s4, exec_lo
	s_clause 0x3
	buffer_load_dword v1, v4, s[0:3], 0 offen
	buffer_load_dword v2, v4, s[0:3], 0 offen offset:4
	buffer_load_dword v3, v4, s[0:3], 0 offen offset:8
	;; [unrolled: 1-line block ×3, first 2 shown]
	s_waitcnt vmcnt(0)
	ds_write_b128 v114, v[1:4]
	s_waitcnt lgkmcnt(0)
	s_waitcnt_vscnt null, 0x0
	s_barrier
	buffer_gl0_inv
	v_cmpx_gt_u32_e32 10, v0
	s_cbranch_execz .LBB117_503
; %bb.496:
	ds_read_b128 v[1:4], v114
	v_cmp_ne_u32_e32 vcc_lo, 1, v115
	s_cbranch_vccnz .LBB117_498
; %bb.497:
	s_clause 0x3
	buffer_load_dword v116, v113, s[0:3], 0 offen offset:8
	buffer_load_dword v117, v113, s[0:3], 0 offen offset:12
	buffer_load_dword v120, v113, s[0:3], 0 offen
	buffer_load_dword v121, v113, s[0:3], 0 offen offset:4
	s_waitcnt vmcnt(2) lgkmcnt(0)
	v_mul_f64 v[122:123], v[3:4], v[116:117]
	v_mul_f64 v[116:117], v[1:2], v[116:117]
	s_waitcnt vmcnt(0)
	v_fma_f64 v[1:2], v[1:2], v[120:121], -v[122:123]
	v_fma_f64 v[3:4], v[3:4], v[120:121], v[116:117]
.LBB117_498:
	s_mov_b32 s6, exec_lo
	v_cmpx_ne_u32_e32 9, v0
	s_cbranch_execz .LBB117_502
; %bb.499:
	v_add_nc_u32_e32 v116, 0x370, v119
	v_add3_u32 v117, 0, v119, 16
	v_mov_b32_e32 v118, v0
	s_mov_b32 s8, 0
	.p2align	6
.LBB117_500:                            ; =>This Inner Loop Header: Depth=1
	s_clause 0x3
	buffer_load_dword v124, v117, s[0:3], 0 offen offset:8
	buffer_load_dword v125, v117, s[0:3], 0 offen offset:12
	buffer_load_dword v126, v117, s[0:3], 0 offen
	buffer_load_dword v127, v117, s[0:3], 0 offen offset:4
	ds_read_b128 v[120:123], v116
	v_add_nc_u32_e32 v118, 1, v118
	v_add_nc_u32_e32 v116, 16, v116
	;; [unrolled: 1-line block ×3, first 2 shown]
	v_cmp_lt_u32_e32 vcc_lo, 8, v118
	s_or_b32 s8, vcc_lo, s8
	s_waitcnt vmcnt(2) lgkmcnt(0)
	v_mul_f64 v[128:129], v[122:123], v[124:125]
	v_mul_f64 v[124:125], v[120:121], v[124:125]
	s_waitcnt vmcnt(0)
	v_fma_f64 v[120:121], v[120:121], v[126:127], -v[128:129]
	v_fma_f64 v[122:123], v[122:123], v[126:127], v[124:125]
	v_add_f64 v[1:2], v[1:2], v[120:121]
	v_add_f64 v[3:4], v[3:4], v[122:123]
	s_andn2_b32 exec_lo, exec_lo, s8
	s_cbranch_execnz .LBB117_500
; %bb.501:
	s_or_b32 exec_lo, exec_lo, s8
.LBB117_502:
	s_or_b32 exec_lo, exec_lo, s6
	v_mov_b32_e32 v116, 0
	ds_read_b128 v[120:123], v116 offset:160
	s_waitcnt lgkmcnt(0)
	v_mul_f64 v[116:117], v[3:4], v[122:123]
	v_mul_f64 v[122:123], v[1:2], v[122:123]
	v_fma_f64 v[1:2], v[1:2], v[120:121], -v[116:117]
	v_fma_f64 v[3:4], v[3:4], v[120:121], v[122:123]
	buffer_store_dword v2, off, s[0:3], 0 offset:164
	buffer_store_dword v1, off, s[0:3], 0 offset:160
	buffer_store_dword v4, off, s[0:3], 0 offset:172
	buffer_store_dword v3, off, s[0:3], 0 offset:168
.LBB117_503:
	s_or_b32 exec_lo, exec_lo, s4
	v_mov_b32_e32 v4, s51
	s_mov_b32 s4, exec_lo
	s_clause 0x3
	buffer_load_dword v1, v4, s[0:3], 0 offen
	buffer_load_dword v2, v4, s[0:3], 0 offen offset:4
	buffer_load_dword v3, v4, s[0:3], 0 offen offset:8
	;; [unrolled: 1-line block ×3, first 2 shown]
	s_waitcnt vmcnt(0)
	ds_write_b128 v114, v[1:4]
	s_waitcnt lgkmcnt(0)
	s_waitcnt_vscnt null, 0x0
	s_barrier
	buffer_gl0_inv
	v_cmpx_gt_u32_e32 11, v0
	s_cbranch_execz .LBB117_511
; %bb.504:
	ds_read_b128 v[1:4], v114
	v_cmp_ne_u32_e32 vcc_lo, 1, v115
	s_cbranch_vccnz .LBB117_506
; %bb.505:
	s_clause 0x3
	buffer_load_dword v116, v113, s[0:3], 0 offen offset:8
	buffer_load_dword v117, v113, s[0:3], 0 offen offset:12
	buffer_load_dword v120, v113, s[0:3], 0 offen
	buffer_load_dword v121, v113, s[0:3], 0 offen offset:4
	s_waitcnt vmcnt(2) lgkmcnt(0)
	v_mul_f64 v[122:123], v[3:4], v[116:117]
	v_mul_f64 v[116:117], v[1:2], v[116:117]
	s_waitcnt vmcnt(0)
	v_fma_f64 v[1:2], v[1:2], v[120:121], -v[122:123]
	v_fma_f64 v[3:4], v[3:4], v[120:121], v[116:117]
.LBB117_506:
	s_mov_b32 s6, exec_lo
	v_cmpx_ne_u32_e32 10, v0
	s_cbranch_execz .LBB117_510
; %bb.507:
	v_add_nc_u32_e32 v116, 0x370, v119
	v_add3_u32 v117, 0, v119, 16
	v_mov_b32_e32 v118, v0
	s_mov_b32 s8, 0
	.p2align	6
.LBB117_508:                            ; =>This Inner Loop Header: Depth=1
	s_clause 0x3
	buffer_load_dword v124, v117, s[0:3], 0 offen offset:8
	buffer_load_dword v125, v117, s[0:3], 0 offen offset:12
	buffer_load_dword v126, v117, s[0:3], 0 offen
	buffer_load_dword v127, v117, s[0:3], 0 offen offset:4
	ds_read_b128 v[120:123], v116
	v_add_nc_u32_e32 v118, 1, v118
	v_add_nc_u32_e32 v116, 16, v116
	;; [unrolled: 1-line block ×3, first 2 shown]
	v_cmp_lt_u32_e32 vcc_lo, 9, v118
	s_or_b32 s8, vcc_lo, s8
	s_waitcnt vmcnt(2) lgkmcnt(0)
	v_mul_f64 v[128:129], v[122:123], v[124:125]
	v_mul_f64 v[124:125], v[120:121], v[124:125]
	s_waitcnt vmcnt(0)
	v_fma_f64 v[120:121], v[120:121], v[126:127], -v[128:129]
	v_fma_f64 v[122:123], v[122:123], v[126:127], v[124:125]
	v_add_f64 v[1:2], v[1:2], v[120:121]
	v_add_f64 v[3:4], v[3:4], v[122:123]
	s_andn2_b32 exec_lo, exec_lo, s8
	s_cbranch_execnz .LBB117_508
; %bb.509:
	s_or_b32 exec_lo, exec_lo, s8
.LBB117_510:
	s_or_b32 exec_lo, exec_lo, s6
	v_mov_b32_e32 v116, 0
	ds_read_b128 v[120:123], v116 offset:176
	s_waitcnt lgkmcnt(0)
	v_mul_f64 v[116:117], v[3:4], v[122:123]
	v_mul_f64 v[122:123], v[1:2], v[122:123]
	v_fma_f64 v[1:2], v[1:2], v[120:121], -v[116:117]
	v_fma_f64 v[3:4], v[3:4], v[120:121], v[122:123]
	buffer_store_dword v2, off, s[0:3], 0 offset:180
	buffer_store_dword v1, off, s[0:3], 0 offset:176
	;; [unrolled: 1-line block ×4, first 2 shown]
.LBB117_511:
	s_or_b32 exec_lo, exec_lo, s4
	v_mov_b32_e32 v4, s50
	s_mov_b32 s4, exec_lo
	s_clause 0x3
	buffer_load_dword v1, v4, s[0:3], 0 offen
	buffer_load_dword v2, v4, s[0:3], 0 offen offset:4
	buffer_load_dword v3, v4, s[0:3], 0 offen offset:8
	;; [unrolled: 1-line block ×3, first 2 shown]
	s_waitcnt vmcnt(0)
	ds_write_b128 v114, v[1:4]
	s_waitcnt lgkmcnt(0)
	s_waitcnt_vscnt null, 0x0
	s_barrier
	buffer_gl0_inv
	v_cmpx_gt_u32_e32 12, v0
	s_cbranch_execz .LBB117_519
; %bb.512:
	ds_read_b128 v[1:4], v114
	v_cmp_ne_u32_e32 vcc_lo, 1, v115
	s_cbranch_vccnz .LBB117_514
; %bb.513:
	s_clause 0x3
	buffer_load_dword v116, v113, s[0:3], 0 offen offset:8
	buffer_load_dword v117, v113, s[0:3], 0 offen offset:12
	buffer_load_dword v120, v113, s[0:3], 0 offen
	buffer_load_dword v121, v113, s[0:3], 0 offen offset:4
	s_waitcnt vmcnt(2) lgkmcnt(0)
	v_mul_f64 v[122:123], v[3:4], v[116:117]
	v_mul_f64 v[116:117], v[1:2], v[116:117]
	s_waitcnt vmcnt(0)
	v_fma_f64 v[1:2], v[1:2], v[120:121], -v[122:123]
	v_fma_f64 v[3:4], v[3:4], v[120:121], v[116:117]
.LBB117_514:
	s_mov_b32 s6, exec_lo
	v_cmpx_ne_u32_e32 11, v0
	s_cbranch_execz .LBB117_518
; %bb.515:
	v_add_nc_u32_e32 v116, 0x370, v119
	v_add3_u32 v117, 0, v119, 16
	v_mov_b32_e32 v118, v0
	s_mov_b32 s8, 0
	.p2align	6
.LBB117_516:                            ; =>This Inner Loop Header: Depth=1
	s_clause 0x3
	buffer_load_dword v124, v117, s[0:3], 0 offen offset:8
	buffer_load_dword v125, v117, s[0:3], 0 offen offset:12
	buffer_load_dword v126, v117, s[0:3], 0 offen
	buffer_load_dword v127, v117, s[0:3], 0 offen offset:4
	ds_read_b128 v[120:123], v116
	v_add_nc_u32_e32 v118, 1, v118
	v_add_nc_u32_e32 v116, 16, v116
	;; [unrolled: 1-line block ×3, first 2 shown]
	v_cmp_lt_u32_e32 vcc_lo, 10, v118
	s_or_b32 s8, vcc_lo, s8
	s_waitcnt vmcnt(2) lgkmcnt(0)
	v_mul_f64 v[128:129], v[122:123], v[124:125]
	v_mul_f64 v[124:125], v[120:121], v[124:125]
	s_waitcnt vmcnt(0)
	v_fma_f64 v[120:121], v[120:121], v[126:127], -v[128:129]
	v_fma_f64 v[122:123], v[122:123], v[126:127], v[124:125]
	v_add_f64 v[1:2], v[1:2], v[120:121]
	v_add_f64 v[3:4], v[3:4], v[122:123]
	s_andn2_b32 exec_lo, exec_lo, s8
	s_cbranch_execnz .LBB117_516
; %bb.517:
	s_or_b32 exec_lo, exec_lo, s8
.LBB117_518:
	s_or_b32 exec_lo, exec_lo, s6
	v_mov_b32_e32 v116, 0
	ds_read_b128 v[120:123], v116 offset:192
	s_waitcnt lgkmcnt(0)
	v_mul_f64 v[116:117], v[3:4], v[122:123]
	v_mul_f64 v[122:123], v[1:2], v[122:123]
	v_fma_f64 v[1:2], v[1:2], v[120:121], -v[116:117]
	v_fma_f64 v[3:4], v[3:4], v[120:121], v[122:123]
	buffer_store_dword v2, off, s[0:3], 0 offset:196
	buffer_store_dword v1, off, s[0:3], 0 offset:192
	;; [unrolled: 1-line block ×4, first 2 shown]
.LBB117_519:
	s_or_b32 exec_lo, exec_lo, s4
	v_mov_b32_e32 v4, s49
	s_mov_b32 s4, exec_lo
	s_clause 0x3
	buffer_load_dword v1, v4, s[0:3], 0 offen
	buffer_load_dword v2, v4, s[0:3], 0 offen offset:4
	buffer_load_dword v3, v4, s[0:3], 0 offen offset:8
	;; [unrolled: 1-line block ×3, first 2 shown]
	s_waitcnt vmcnt(0)
	ds_write_b128 v114, v[1:4]
	s_waitcnt lgkmcnt(0)
	s_waitcnt_vscnt null, 0x0
	s_barrier
	buffer_gl0_inv
	v_cmpx_gt_u32_e32 13, v0
	s_cbranch_execz .LBB117_527
; %bb.520:
	ds_read_b128 v[1:4], v114
	v_cmp_ne_u32_e32 vcc_lo, 1, v115
	s_cbranch_vccnz .LBB117_522
; %bb.521:
	s_clause 0x3
	buffer_load_dword v116, v113, s[0:3], 0 offen offset:8
	buffer_load_dword v117, v113, s[0:3], 0 offen offset:12
	buffer_load_dword v120, v113, s[0:3], 0 offen
	buffer_load_dword v121, v113, s[0:3], 0 offen offset:4
	s_waitcnt vmcnt(2) lgkmcnt(0)
	v_mul_f64 v[122:123], v[3:4], v[116:117]
	v_mul_f64 v[116:117], v[1:2], v[116:117]
	s_waitcnt vmcnt(0)
	v_fma_f64 v[1:2], v[1:2], v[120:121], -v[122:123]
	v_fma_f64 v[3:4], v[3:4], v[120:121], v[116:117]
.LBB117_522:
	s_mov_b32 s6, exec_lo
	v_cmpx_ne_u32_e32 12, v0
	s_cbranch_execz .LBB117_526
; %bb.523:
	v_add_nc_u32_e32 v116, 0x370, v119
	v_add3_u32 v117, 0, v119, 16
	v_mov_b32_e32 v118, v0
	s_mov_b32 s8, 0
	.p2align	6
.LBB117_524:                            ; =>This Inner Loop Header: Depth=1
	s_clause 0x3
	buffer_load_dword v124, v117, s[0:3], 0 offen offset:8
	buffer_load_dword v125, v117, s[0:3], 0 offen offset:12
	buffer_load_dword v126, v117, s[0:3], 0 offen
	buffer_load_dword v127, v117, s[0:3], 0 offen offset:4
	ds_read_b128 v[120:123], v116
	v_add_nc_u32_e32 v118, 1, v118
	v_add_nc_u32_e32 v116, 16, v116
	;; [unrolled: 1-line block ×3, first 2 shown]
	v_cmp_lt_u32_e32 vcc_lo, 11, v118
	s_or_b32 s8, vcc_lo, s8
	s_waitcnt vmcnt(2) lgkmcnt(0)
	v_mul_f64 v[128:129], v[122:123], v[124:125]
	v_mul_f64 v[124:125], v[120:121], v[124:125]
	s_waitcnt vmcnt(0)
	v_fma_f64 v[120:121], v[120:121], v[126:127], -v[128:129]
	v_fma_f64 v[122:123], v[122:123], v[126:127], v[124:125]
	v_add_f64 v[1:2], v[1:2], v[120:121]
	v_add_f64 v[3:4], v[3:4], v[122:123]
	s_andn2_b32 exec_lo, exec_lo, s8
	s_cbranch_execnz .LBB117_524
; %bb.525:
	s_or_b32 exec_lo, exec_lo, s8
.LBB117_526:
	s_or_b32 exec_lo, exec_lo, s6
	v_mov_b32_e32 v116, 0
	ds_read_b128 v[120:123], v116 offset:208
	s_waitcnt lgkmcnt(0)
	v_mul_f64 v[116:117], v[3:4], v[122:123]
	v_mul_f64 v[122:123], v[1:2], v[122:123]
	v_fma_f64 v[1:2], v[1:2], v[120:121], -v[116:117]
	v_fma_f64 v[3:4], v[3:4], v[120:121], v[122:123]
	buffer_store_dword v2, off, s[0:3], 0 offset:212
	buffer_store_dword v1, off, s[0:3], 0 offset:208
	;; [unrolled: 1-line block ×4, first 2 shown]
.LBB117_527:
	s_or_b32 exec_lo, exec_lo, s4
	v_mov_b32_e32 v4, s48
	s_mov_b32 s4, exec_lo
	s_clause 0x3
	buffer_load_dword v1, v4, s[0:3], 0 offen
	buffer_load_dword v2, v4, s[0:3], 0 offen offset:4
	buffer_load_dword v3, v4, s[0:3], 0 offen offset:8
	;; [unrolled: 1-line block ×3, first 2 shown]
	s_waitcnt vmcnt(0)
	ds_write_b128 v114, v[1:4]
	s_waitcnt lgkmcnt(0)
	s_waitcnt_vscnt null, 0x0
	s_barrier
	buffer_gl0_inv
	v_cmpx_gt_u32_e32 14, v0
	s_cbranch_execz .LBB117_535
; %bb.528:
	ds_read_b128 v[1:4], v114
	v_cmp_ne_u32_e32 vcc_lo, 1, v115
	s_cbranch_vccnz .LBB117_530
; %bb.529:
	s_clause 0x3
	buffer_load_dword v116, v113, s[0:3], 0 offen offset:8
	buffer_load_dword v117, v113, s[0:3], 0 offen offset:12
	buffer_load_dword v120, v113, s[0:3], 0 offen
	buffer_load_dword v121, v113, s[0:3], 0 offen offset:4
	s_waitcnt vmcnt(2) lgkmcnt(0)
	v_mul_f64 v[122:123], v[3:4], v[116:117]
	v_mul_f64 v[116:117], v[1:2], v[116:117]
	s_waitcnt vmcnt(0)
	v_fma_f64 v[1:2], v[1:2], v[120:121], -v[122:123]
	v_fma_f64 v[3:4], v[3:4], v[120:121], v[116:117]
.LBB117_530:
	s_mov_b32 s6, exec_lo
	v_cmpx_ne_u32_e32 13, v0
	s_cbranch_execz .LBB117_534
; %bb.531:
	v_add_nc_u32_e32 v116, 0x370, v119
	v_add3_u32 v117, 0, v119, 16
	v_mov_b32_e32 v118, v0
	s_mov_b32 s8, 0
	.p2align	6
.LBB117_532:                            ; =>This Inner Loop Header: Depth=1
	s_clause 0x3
	buffer_load_dword v124, v117, s[0:3], 0 offen offset:8
	buffer_load_dword v125, v117, s[0:3], 0 offen offset:12
	buffer_load_dword v126, v117, s[0:3], 0 offen
	buffer_load_dword v127, v117, s[0:3], 0 offen offset:4
	ds_read_b128 v[120:123], v116
	v_add_nc_u32_e32 v118, 1, v118
	v_add_nc_u32_e32 v116, 16, v116
	;; [unrolled: 1-line block ×3, first 2 shown]
	v_cmp_lt_u32_e32 vcc_lo, 12, v118
	s_or_b32 s8, vcc_lo, s8
	s_waitcnt vmcnt(2) lgkmcnt(0)
	v_mul_f64 v[128:129], v[122:123], v[124:125]
	v_mul_f64 v[124:125], v[120:121], v[124:125]
	s_waitcnt vmcnt(0)
	v_fma_f64 v[120:121], v[120:121], v[126:127], -v[128:129]
	v_fma_f64 v[122:123], v[122:123], v[126:127], v[124:125]
	v_add_f64 v[1:2], v[1:2], v[120:121]
	v_add_f64 v[3:4], v[3:4], v[122:123]
	s_andn2_b32 exec_lo, exec_lo, s8
	s_cbranch_execnz .LBB117_532
; %bb.533:
	s_or_b32 exec_lo, exec_lo, s8
.LBB117_534:
	s_or_b32 exec_lo, exec_lo, s6
	v_mov_b32_e32 v116, 0
	ds_read_b128 v[120:123], v116 offset:224
	s_waitcnt lgkmcnt(0)
	v_mul_f64 v[116:117], v[3:4], v[122:123]
	v_mul_f64 v[122:123], v[1:2], v[122:123]
	v_fma_f64 v[1:2], v[1:2], v[120:121], -v[116:117]
	v_fma_f64 v[3:4], v[3:4], v[120:121], v[122:123]
	buffer_store_dword v2, off, s[0:3], 0 offset:228
	buffer_store_dword v1, off, s[0:3], 0 offset:224
	;; [unrolled: 1-line block ×4, first 2 shown]
.LBB117_535:
	s_or_b32 exec_lo, exec_lo, s4
	v_mov_b32_e32 v4, s47
	s_mov_b32 s4, exec_lo
	s_clause 0x3
	buffer_load_dword v1, v4, s[0:3], 0 offen
	buffer_load_dword v2, v4, s[0:3], 0 offen offset:4
	buffer_load_dword v3, v4, s[0:3], 0 offen offset:8
	;; [unrolled: 1-line block ×3, first 2 shown]
	s_waitcnt vmcnt(0)
	ds_write_b128 v114, v[1:4]
	s_waitcnt lgkmcnt(0)
	s_waitcnt_vscnt null, 0x0
	s_barrier
	buffer_gl0_inv
	v_cmpx_gt_u32_e32 15, v0
	s_cbranch_execz .LBB117_543
; %bb.536:
	ds_read_b128 v[1:4], v114
	v_cmp_ne_u32_e32 vcc_lo, 1, v115
	s_cbranch_vccnz .LBB117_538
; %bb.537:
	s_clause 0x3
	buffer_load_dword v116, v113, s[0:3], 0 offen offset:8
	buffer_load_dword v117, v113, s[0:3], 0 offen offset:12
	buffer_load_dword v120, v113, s[0:3], 0 offen
	buffer_load_dword v121, v113, s[0:3], 0 offen offset:4
	s_waitcnt vmcnt(2) lgkmcnt(0)
	v_mul_f64 v[122:123], v[3:4], v[116:117]
	v_mul_f64 v[116:117], v[1:2], v[116:117]
	s_waitcnt vmcnt(0)
	v_fma_f64 v[1:2], v[1:2], v[120:121], -v[122:123]
	v_fma_f64 v[3:4], v[3:4], v[120:121], v[116:117]
.LBB117_538:
	s_mov_b32 s6, exec_lo
	v_cmpx_ne_u32_e32 14, v0
	s_cbranch_execz .LBB117_542
; %bb.539:
	v_add_nc_u32_e32 v116, 0x370, v119
	v_add3_u32 v117, 0, v119, 16
	v_mov_b32_e32 v118, v0
	s_mov_b32 s8, 0
	.p2align	6
.LBB117_540:                            ; =>This Inner Loop Header: Depth=1
	s_clause 0x3
	buffer_load_dword v124, v117, s[0:3], 0 offen offset:8
	buffer_load_dword v125, v117, s[0:3], 0 offen offset:12
	buffer_load_dword v126, v117, s[0:3], 0 offen
	buffer_load_dword v127, v117, s[0:3], 0 offen offset:4
	ds_read_b128 v[120:123], v116
	v_add_nc_u32_e32 v118, 1, v118
	v_add_nc_u32_e32 v116, 16, v116
	;; [unrolled: 1-line block ×3, first 2 shown]
	v_cmp_lt_u32_e32 vcc_lo, 13, v118
	s_or_b32 s8, vcc_lo, s8
	s_waitcnt vmcnt(2) lgkmcnt(0)
	v_mul_f64 v[128:129], v[122:123], v[124:125]
	v_mul_f64 v[124:125], v[120:121], v[124:125]
	s_waitcnt vmcnt(0)
	v_fma_f64 v[120:121], v[120:121], v[126:127], -v[128:129]
	v_fma_f64 v[122:123], v[122:123], v[126:127], v[124:125]
	v_add_f64 v[1:2], v[1:2], v[120:121]
	v_add_f64 v[3:4], v[3:4], v[122:123]
	s_andn2_b32 exec_lo, exec_lo, s8
	s_cbranch_execnz .LBB117_540
; %bb.541:
	s_or_b32 exec_lo, exec_lo, s8
.LBB117_542:
	s_or_b32 exec_lo, exec_lo, s6
	v_mov_b32_e32 v116, 0
	ds_read_b128 v[120:123], v116 offset:240
	s_waitcnt lgkmcnt(0)
	v_mul_f64 v[116:117], v[3:4], v[122:123]
	v_mul_f64 v[122:123], v[1:2], v[122:123]
	v_fma_f64 v[1:2], v[1:2], v[120:121], -v[116:117]
	v_fma_f64 v[3:4], v[3:4], v[120:121], v[122:123]
	buffer_store_dword v2, off, s[0:3], 0 offset:244
	buffer_store_dword v1, off, s[0:3], 0 offset:240
	;; [unrolled: 1-line block ×4, first 2 shown]
.LBB117_543:
	s_or_b32 exec_lo, exec_lo, s4
	v_mov_b32_e32 v4, s46
	s_mov_b32 s4, exec_lo
	s_clause 0x3
	buffer_load_dword v1, v4, s[0:3], 0 offen
	buffer_load_dword v2, v4, s[0:3], 0 offen offset:4
	buffer_load_dword v3, v4, s[0:3], 0 offen offset:8
	;; [unrolled: 1-line block ×3, first 2 shown]
	s_waitcnt vmcnt(0)
	ds_write_b128 v114, v[1:4]
	s_waitcnt lgkmcnt(0)
	s_waitcnt_vscnt null, 0x0
	s_barrier
	buffer_gl0_inv
	v_cmpx_gt_u32_e32 16, v0
	s_cbranch_execz .LBB117_551
; %bb.544:
	ds_read_b128 v[1:4], v114
	v_cmp_ne_u32_e32 vcc_lo, 1, v115
	s_cbranch_vccnz .LBB117_546
; %bb.545:
	s_clause 0x3
	buffer_load_dword v116, v113, s[0:3], 0 offen offset:8
	buffer_load_dword v117, v113, s[0:3], 0 offen offset:12
	buffer_load_dword v120, v113, s[0:3], 0 offen
	buffer_load_dword v121, v113, s[0:3], 0 offen offset:4
	s_waitcnt vmcnt(2) lgkmcnt(0)
	v_mul_f64 v[122:123], v[3:4], v[116:117]
	v_mul_f64 v[116:117], v[1:2], v[116:117]
	s_waitcnt vmcnt(0)
	v_fma_f64 v[1:2], v[1:2], v[120:121], -v[122:123]
	v_fma_f64 v[3:4], v[3:4], v[120:121], v[116:117]
.LBB117_546:
	s_mov_b32 s6, exec_lo
	v_cmpx_ne_u32_e32 15, v0
	s_cbranch_execz .LBB117_550
; %bb.547:
	v_add_nc_u32_e32 v116, 0x370, v119
	v_add3_u32 v117, 0, v119, 16
	v_mov_b32_e32 v118, v0
	s_mov_b32 s8, 0
	.p2align	6
.LBB117_548:                            ; =>This Inner Loop Header: Depth=1
	s_clause 0x3
	buffer_load_dword v124, v117, s[0:3], 0 offen offset:8
	buffer_load_dword v125, v117, s[0:3], 0 offen offset:12
	buffer_load_dword v126, v117, s[0:3], 0 offen
	buffer_load_dword v127, v117, s[0:3], 0 offen offset:4
	ds_read_b128 v[120:123], v116
	v_add_nc_u32_e32 v118, 1, v118
	v_add_nc_u32_e32 v116, 16, v116
	;; [unrolled: 1-line block ×3, first 2 shown]
	v_cmp_lt_u32_e32 vcc_lo, 14, v118
	s_or_b32 s8, vcc_lo, s8
	s_waitcnt vmcnt(2) lgkmcnt(0)
	v_mul_f64 v[128:129], v[122:123], v[124:125]
	v_mul_f64 v[124:125], v[120:121], v[124:125]
	s_waitcnt vmcnt(0)
	v_fma_f64 v[120:121], v[120:121], v[126:127], -v[128:129]
	v_fma_f64 v[122:123], v[122:123], v[126:127], v[124:125]
	v_add_f64 v[1:2], v[1:2], v[120:121]
	v_add_f64 v[3:4], v[3:4], v[122:123]
	s_andn2_b32 exec_lo, exec_lo, s8
	s_cbranch_execnz .LBB117_548
; %bb.549:
	s_or_b32 exec_lo, exec_lo, s8
.LBB117_550:
	s_or_b32 exec_lo, exec_lo, s6
	v_mov_b32_e32 v116, 0
	ds_read_b128 v[120:123], v116 offset:256
	s_waitcnt lgkmcnt(0)
	v_mul_f64 v[116:117], v[3:4], v[122:123]
	v_mul_f64 v[122:123], v[1:2], v[122:123]
	v_fma_f64 v[1:2], v[1:2], v[120:121], -v[116:117]
	v_fma_f64 v[3:4], v[3:4], v[120:121], v[122:123]
	buffer_store_dword v2, off, s[0:3], 0 offset:260
	buffer_store_dword v1, off, s[0:3], 0 offset:256
	;; [unrolled: 1-line block ×4, first 2 shown]
.LBB117_551:
	s_or_b32 exec_lo, exec_lo, s4
	v_mov_b32_e32 v4, s45
	s_mov_b32 s4, exec_lo
	s_clause 0x3
	buffer_load_dword v1, v4, s[0:3], 0 offen
	buffer_load_dword v2, v4, s[0:3], 0 offen offset:4
	buffer_load_dword v3, v4, s[0:3], 0 offen offset:8
	;; [unrolled: 1-line block ×3, first 2 shown]
	s_waitcnt vmcnt(0)
	ds_write_b128 v114, v[1:4]
	s_waitcnt lgkmcnt(0)
	s_waitcnt_vscnt null, 0x0
	s_barrier
	buffer_gl0_inv
	v_cmpx_gt_u32_e32 17, v0
	s_cbranch_execz .LBB117_559
; %bb.552:
	ds_read_b128 v[1:4], v114
	v_cmp_ne_u32_e32 vcc_lo, 1, v115
	s_cbranch_vccnz .LBB117_554
; %bb.553:
	s_clause 0x3
	buffer_load_dword v116, v113, s[0:3], 0 offen offset:8
	buffer_load_dword v117, v113, s[0:3], 0 offen offset:12
	buffer_load_dword v120, v113, s[0:3], 0 offen
	buffer_load_dword v121, v113, s[0:3], 0 offen offset:4
	s_waitcnt vmcnt(2) lgkmcnt(0)
	v_mul_f64 v[122:123], v[3:4], v[116:117]
	v_mul_f64 v[116:117], v[1:2], v[116:117]
	s_waitcnt vmcnt(0)
	v_fma_f64 v[1:2], v[1:2], v[120:121], -v[122:123]
	v_fma_f64 v[3:4], v[3:4], v[120:121], v[116:117]
.LBB117_554:
	s_mov_b32 s6, exec_lo
	v_cmpx_ne_u32_e32 16, v0
	s_cbranch_execz .LBB117_558
; %bb.555:
	v_add_nc_u32_e32 v116, 0x370, v119
	v_add3_u32 v117, 0, v119, 16
	v_mov_b32_e32 v118, v0
	s_mov_b32 s8, 0
	.p2align	6
.LBB117_556:                            ; =>This Inner Loop Header: Depth=1
	s_clause 0x3
	buffer_load_dword v124, v117, s[0:3], 0 offen offset:8
	buffer_load_dword v125, v117, s[0:3], 0 offen offset:12
	buffer_load_dword v126, v117, s[0:3], 0 offen
	buffer_load_dword v127, v117, s[0:3], 0 offen offset:4
	ds_read_b128 v[120:123], v116
	v_add_nc_u32_e32 v118, 1, v118
	v_add_nc_u32_e32 v116, 16, v116
	;; [unrolled: 1-line block ×3, first 2 shown]
	v_cmp_lt_u32_e32 vcc_lo, 15, v118
	s_or_b32 s8, vcc_lo, s8
	s_waitcnt vmcnt(2) lgkmcnt(0)
	v_mul_f64 v[128:129], v[122:123], v[124:125]
	v_mul_f64 v[124:125], v[120:121], v[124:125]
	s_waitcnt vmcnt(0)
	v_fma_f64 v[120:121], v[120:121], v[126:127], -v[128:129]
	v_fma_f64 v[122:123], v[122:123], v[126:127], v[124:125]
	v_add_f64 v[1:2], v[1:2], v[120:121]
	v_add_f64 v[3:4], v[3:4], v[122:123]
	s_andn2_b32 exec_lo, exec_lo, s8
	s_cbranch_execnz .LBB117_556
; %bb.557:
	s_or_b32 exec_lo, exec_lo, s8
.LBB117_558:
	s_or_b32 exec_lo, exec_lo, s6
	v_mov_b32_e32 v116, 0
	ds_read_b128 v[120:123], v116 offset:272
	s_waitcnt lgkmcnt(0)
	v_mul_f64 v[116:117], v[3:4], v[122:123]
	v_mul_f64 v[122:123], v[1:2], v[122:123]
	v_fma_f64 v[1:2], v[1:2], v[120:121], -v[116:117]
	v_fma_f64 v[3:4], v[3:4], v[120:121], v[122:123]
	buffer_store_dword v2, off, s[0:3], 0 offset:276
	buffer_store_dword v1, off, s[0:3], 0 offset:272
	;; [unrolled: 1-line block ×4, first 2 shown]
.LBB117_559:
	s_or_b32 exec_lo, exec_lo, s4
	v_mov_b32_e32 v4, s44
	s_mov_b32 s4, exec_lo
	s_clause 0x3
	buffer_load_dword v1, v4, s[0:3], 0 offen
	buffer_load_dword v2, v4, s[0:3], 0 offen offset:4
	buffer_load_dword v3, v4, s[0:3], 0 offen offset:8
	;; [unrolled: 1-line block ×3, first 2 shown]
	s_waitcnt vmcnt(0)
	ds_write_b128 v114, v[1:4]
	s_waitcnt lgkmcnt(0)
	s_waitcnt_vscnt null, 0x0
	s_barrier
	buffer_gl0_inv
	v_cmpx_gt_u32_e32 18, v0
	s_cbranch_execz .LBB117_567
; %bb.560:
	ds_read_b128 v[1:4], v114
	v_cmp_ne_u32_e32 vcc_lo, 1, v115
	s_cbranch_vccnz .LBB117_562
; %bb.561:
	s_clause 0x3
	buffer_load_dword v116, v113, s[0:3], 0 offen offset:8
	buffer_load_dword v117, v113, s[0:3], 0 offen offset:12
	buffer_load_dword v120, v113, s[0:3], 0 offen
	buffer_load_dword v121, v113, s[0:3], 0 offen offset:4
	s_waitcnt vmcnt(2) lgkmcnt(0)
	v_mul_f64 v[122:123], v[3:4], v[116:117]
	v_mul_f64 v[116:117], v[1:2], v[116:117]
	s_waitcnt vmcnt(0)
	v_fma_f64 v[1:2], v[1:2], v[120:121], -v[122:123]
	v_fma_f64 v[3:4], v[3:4], v[120:121], v[116:117]
.LBB117_562:
	s_mov_b32 s6, exec_lo
	v_cmpx_ne_u32_e32 17, v0
	s_cbranch_execz .LBB117_566
; %bb.563:
	v_add_nc_u32_e32 v116, 0x370, v119
	v_add3_u32 v117, 0, v119, 16
	v_mov_b32_e32 v118, v0
	s_mov_b32 s8, 0
	.p2align	6
.LBB117_564:                            ; =>This Inner Loop Header: Depth=1
	s_clause 0x3
	buffer_load_dword v124, v117, s[0:3], 0 offen offset:8
	buffer_load_dword v125, v117, s[0:3], 0 offen offset:12
	buffer_load_dword v126, v117, s[0:3], 0 offen
	buffer_load_dword v127, v117, s[0:3], 0 offen offset:4
	ds_read_b128 v[120:123], v116
	v_add_nc_u32_e32 v118, 1, v118
	v_add_nc_u32_e32 v116, 16, v116
	v_add_nc_u32_e32 v117, 16, v117
	v_cmp_lt_u32_e32 vcc_lo, 16, v118
	s_or_b32 s8, vcc_lo, s8
	s_waitcnt vmcnt(2) lgkmcnt(0)
	v_mul_f64 v[128:129], v[122:123], v[124:125]
	v_mul_f64 v[124:125], v[120:121], v[124:125]
	s_waitcnt vmcnt(0)
	v_fma_f64 v[120:121], v[120:121], v[126:127], -v[128:129]
	v_fma_f64 v[122:123], v[122:123], v[126:127], v[124:125]
	v_add_f64 v[1:2], v[1:2], v[120:121]
	v_add_f64 v[3:4], v[3:4], v[122:123]
	s_andn2_b32 exec_lo, exec_lo, s8
	s_cbranch_execnz .LBB117_564
; %bb.565:
	s_or_b32 exec_lo, exec_lo, s8
.LBB117_566:
	s_or_b32 exec_lo, exec_lo, s6
	v_mov_b32_e32 v116, 0
	ds_read_b128 v[120:123], v116 offset:288
	s_waitcnt lgkmcnt(0)
	v_mul_f64 v[116:117], v[3:4], v[122:123]
	v_mul_f64 v[122:123], v[1:2], v[122:123]
	v_fma_f64 v[1:2], v[1:2], v[120:121], -v[116:117]
	v_fma_f64 v[3:4], v[3:4], v[120:121], v[122:123]
	buffer_store_dword v2, off, s[0:3], 0 offset:292
	buffer_store_dword v1, off, s[0:3], 0 offset:288
	;; [unrolled: 1-line block ×4, first 2 shown]
.LBB117_567:
	s_or_b32 exec_lo, exec_lo, s4
	v_mov_b32_e32 v4, s43
	s_mov_b32 s4, exec_lo
	s_clause 0x3
	buffer_load_dword v1, v4, s[0:3], 0 offen
	buffer_load_dword v2, v4, s[0:3], 0 offen offset:4
	buffer_load_dword v3, v4, s[0:3], 0 offen offset:8
	;; [unrolled: 1-line block ×3, first 2 shown]
	s_waitcnt vmcnt(0)
	ds_write_b128 v114, v[1:4]
	s_waitcnt lgkmcnt(0)
	s_waitcnt_vscnt null, 0x0
	s_barrier
	buffer_gl0_inv
	v_cmpx_gt_u32_e32 19, v0
	s_cbranch_execz .LBB117_575
; %bb.568:
	ds_read_b128 v[1:4], v114
	v_cmp_ne_u32_e32 vcc_lo, 1, v115
	s_cbranch_vccnz .LBB117_570
; %bb.569:
	s_clause 0x3
	buffer_load_dword v116, v113, s[0:3], 0 offen offset:8
	buffer_load_dword v117, v113, s[0:3], 0 offen offset:12
	buffer_load_dword v120, v113, s[0:3], 0 offen
	buffer_load_dword v121, v113, s[0:3], 0 offen offset:4
	s_waitcnt vmcnt(2) lgkmcnt(0)
	v_mul_f64 v[122:123], v[3:4], v[116:117]
	v_mul_f64 v[116:117], v[1:2], v[116:117]
	s_waitcnt vmcnt(0)
	v_fma_f64 v[1:2], v[1:2], v[120:121], -v[122:123]
	v_fma_f64 v[3:4], v[3:4], v[120:121], v[116:117]
.LBB117_570:
	s_mov_b32 s6, exec_lo
	v_cmpx_ne_u32_e32 18, v0
	s_cbranch_execz .LBB117_574
; %bb.571:
	v_add_nc_u32_e32 v116, 0x370, v119
	v_add3_u32 v117, 0, v119, 16
	v_mov_b32_e32 v118, v0
	s_mov_b32 s8, 0
	.p2align	6
.LBB117_572:                            ; =>This Inner Loop Header: Depth=1
	s_clause 0x3
	buffer_load_dword v124, v117, s[0:3], 0 offen offset:8
	buffer_load_dword v125, v117, s[0:3], 0 offen offset:12
	buffer_load_dword v126, v117, s[0:3], 0 offen
	buffer_load_dword v127, v117, s[0:3], 0 offen offset:4
	ds_read_b128 v[120:123], v116
	v_add_nc_u32_e32 v118, 1, v118
	v_add_nc_u32_e32 v116, 16, v116
	;; [unrolled: 1-line block ×3, first 2 shown]
	v_cmp_lt_u32_e32 vcc_lo, 17, v118
	s_or_b32 s8, vcc_lo, s8
	s_waitcnt vmcnt(2) lgkmcnt(0)
	v_mul_f64 v[128:129], v[122:123], v[124:125]
	v_mul_f64 v[124:125], v[120:121], v[124:125]
	s_waitcnt vmcnt(0)
	v_fma_f64 v[120:121], v[120:121], v[126:127], -v[128:129]
	v_fma_f64 v[122:123], v[122:123], v[126:127], v[124:125]
	v_add_f64 v[1:2], v[1:2], v[120:121]
	v_add_f64 v[3:4], v[3:4], v[122:123]
	s_andn2_b32 exec_lo, exec_lo, s8
	s_cbranch_execnz .LBB117_572
; %bb.573:
	s_or_b32 exec_lo, exec_lo, s8
.LBB117_574:
	s_or_b32 exec_lo, exec_lo, s6
	v_mov_b32_e32 v116, 0
	ds_read_b128 v[120:123], v116 offset:304
	s_waitcnt lgkmcnt(0)
	v_mul_f64 v[116:117], v[3:4], v[122:123]
	v_mul_f64 v[122:123], v[1:2], v[122:123]
	v_fma_f64 v[1:2], v[1:2], v[120:121], -v[116:117]
	v_fma_f64 v[3:4], v[3:4], v[120:121], v[122:123]
	buffer_store_dword v2, off, s[0:3], 0 offset:308
	buffer_store_dword v1, off, s[0:3], 0 offset:304
	;; [unrolled: 1-line block ×4, first 2 shown]
.LBB117_575:
	s_or_b32 exec_lo, exec_lo, s4
	v_mov_b32_e32 v4, s42
	s_mov_b32 s4, exec_lo
	s_clause 0x3
	buffer_load_dword v1, v4, s[0:3], 0 offen
	buffer_load_dword v2, v4, s[0:3], 0 offen offset:4
	buffer_load_dword v3, v4, s[0:3], 0 offen offset:8
	;; [unrolled: 1-line block ×3, first 2 shown]
	s_waitcnt vmcnt(0)
	ds_write_b128 v114, v[1:4]
	s_waitcnt lgkmcnt(0)
	s_waitcnt_vscnt null, 0x0
	s_barrier
	buffer_gl0_inv
	v_cmpx_gt_u32_e32 20, v0
	s_cbranch_execz .LBB117_583
; %bb.576:
	ds_read_b128 v[1:4], v114
	v_cmp_ne_u32_e32 vcc_lo, 1, v115
	s_cbranch_vccnz .LBB117_578
; %bb.577:
	s_clause 0x3
	buffer_load_dword v116, v113, s[0:3], 0 offen offset:8
	buffer_load_dword v117, v113, s[0:3], 0 offen offset:12
	buffer_load_dword v120, v113, s[0:3], 0 offen
	buffer_load_dword v121, v113, s[0:3], 0 offen offset:4
	s_waitcnt vmcnt(2) lgkmcnt(0)
	v_mul_f64 v[122:123], v[3:4], v[116:117]
	v_mul_f64 v[116:117], v[1:2], v[116:117]
	s_waitcnt vmcnt(0)
	v_fma_f64 v[1:2], v[1:2], v[120:121], -v[122:123]
	v_fma_f64 v[3:4], v[3:4], v[120:121], v[116:117]
.LBB117_578:
	s_mov_b32 s6, exec_lo
	v_cmpx_ne_u32_e32 19, v0
	s_cbranch_execz .LBB117_582
; %bb.579:
	v_add_nc_u32_e32 v116, 0x370, v119
	v_add3_u32 v117, 0, v119, 16
	v_mov_b32_e32 v118, v0
	s_mov_b32 s8, 0
	.p2align	6
.LBB117_580:                            ; =>This Inner Loop Header: Depth=1
	s_clause 0x3
	buffer_load_dword v124, v117, s[0:3], 0 offen offset:8
	buffer_load_dword v125, v117, s[0:3], 0 offen offset:12
	buffer_load_dword v126, v117, s[0:3], 0 offen
	buffer_load_dword v127, v117, s[0:3], 0 offen offset:4
	ds_read_b128 v[120:123], v116
	v_add_nc_u32_e32 v118, 1, v118
	v_add_nc_u32_e32 v116, 16, v116
	;; [unrolled: 1-line block ×3, first 2 shown]
	v_cmp_lt_u32_e32 vcc_lo, 18, v118
	s_or_b32 s8, vcc_lo, s8
	s_waitcnt vmcnt(2) lgkmcnt(0)
	v_mul_f64 v[128:129], v[122:123], v[124:125]
	v_mul_f64 v[124:125], v[120:121], v[124:125]
	s_waitcnt vmcnt(0)
	v_fma_f64 v[120:121], v[120:121], v[126:127], -v[128:129]
	v_fma_f64 v[122:123], v[122:123], v[126:127], v[124:125]
	v_add_f64 v[1:2], v[1:2], v[120:121]
	v_add_f64 v[3:4], v[3:4], v[122:123]
	s_andn2_b32 exec_lo, exec_lo, s8
	s_cbranch_execnz .LBB117_580
; %bb.581:
	s_or_b32 exec_lo, exec_lo, s8
.LBB117_582:
	s_or_b32 exec_lo, exec_lo, s6
	v_mov_b32_e32 v116, 0
	ds_read_b128 v[120:123], v116 offset:320
	s_waitcnt lgkmcnt(0)
	v_mul_f64 v[116:117], v[3:4], v[122:123]
	v_mul_f64 v[122:123], v[1:2], v[122:123]
	v_fma_f64 v[1:2], v[1:2], v[120:121], -v[116:117]
	v_fma_f64 v[3:4], v[3:4], v[120:121], v[122:123]
	buffer_store_dword v2, off, s[0:3], 0 offset:324
	buffer_store_dword v1, off, s[0:3], 0 offset:320
	;; [unrolled: 1-line block ×4, first 2 shown]
.LBB117_583:
	s_or_b32 exec_lo, exec_lo, s4
	v_mov_b32_e32 v4, s41
	s_mov_b32 s4, exec_lo
	s_clause 0x3
	buffer_load_dword v1, v4, s[0:3], 0 offen
	buffer_load_dword v2, v4, s[0:3], 0 offen offset:4
	buffer_load_dword v3, v4, s[0:3], 0 offen offset:8
	;; [unrolled: 1-line block ×3, first 2 shown]
	s_waitcnt vmcnt(0)
	ds_write_b128 v114, v[1:4]
	s_waitcnt lgkmcnt(0)
	s_waitcnt_vscnt null, 0x0
	s_barrier
	buffer_gl0_inv
	v_cmpx_gt_u32_e32 21, v0
	s_cbranch_execz .LBB117_591
; %bb.584:
	ds_read_b128 v[1:4], v114
	v_cmp_ne_u32_e32 vcc_lo, 1, v115
	s_cbranch_vccnz .LBB117_586
; %bb.585:
	s_clause 0x3
	buffer_load_dword v116, v113, s[0:3], 0 offen offset:8
	buffer_load_dword v117, v113, s[0:3], 0 offen offset:12
	buffer_load_dword v120, v113, s[0:3], 0 offen
	buffer_load_dword v121, v113, s[0:3], 0 offen offset:4
	s_waitcnt vmcnt(2) lgkmcnt(0)
	v_mul_f64 v[122:123], v[3:4], v[116:117]
	v_mul_f64 v[116:117], v[1:2], v[116:117]
	s_waitcnt vmcnt(0)
	v_fma_f64 v[1:2], v[1:2], v[120:121], -v[122:123]
	v_fma_f64 v[3:4], v[3:4], v[120:121], v[116:117]
.LBB117_586:
	s_mov_b32 s6, exec_lo
	v_cmpx_ne_u32_e32 20, v0
	s_cbranch_execz .LBB117_590
; %bb.587:
	v_add_nc_u32_e32 v116, 0x370, v119
	v_add3_u32 v117, 0, v119, 16
	v_mov_b32_e32 v118, v0
	s_mov_b32 s8, 0
	.p2align	6
.LBB117_588:                            ; =>This Inner Loop Header: Depth=1
	s_clause 0x3
	buffer_load_dword v124, v117, s[0:3], 0 offen offset:8
	buffer_load_dword v125, v117, s[0:3], 0 offen offset:12
	buffer_load_dword v126, v117, s[0:3], 0 offen
	buffer_load_dword v127, v117, s[0:3], 0 offen offset:4
	ds_read_b128 v[120:123], v116
	v_add_nc_u32_e32 v118, 1, v118
	v_add_nc_u32_e32 v116, 16, v116
	;; [unrolled: 1-line block ×3, first 2 shown]
	v_cmp_lt_u32_e32 vcc_lo, 19, v118
	s_or_b32 s8, vcc_lo, s8
	s_waitcnt vmcnt(2) lgkmcnt(0)
	v_mul_f64 v[128:129], v[122:123], v[124:125]
	v_mul_f64 v[124:125], v[120:121], v[124:125]
	s_waitcnt vmcnt(0)
	v_fma_f64 v[120:121], v[120:121], v[126:127], -v[128:129]
	v_fma_f64 v[122:123], v[122:123], v[126:127], v[124:125]
	v_add_f64 v[1:2], v[1:2], v[120:121]
	v_add_f64 v[3:4], v[3:4], v[122:123]
	s_andn2_b32 exec_lo, exec_lo, s8
	s_cbranch_execnz .LBB117_588
; %bb.589:
	s_or_b32 exec_lo, exec_lo, s8
.LBB117_590:
	s_or_b32 exec_lo, exec_lo, s6
	v_mov_b32_e32 v116, 0
	ds_read_b128 v[120:123], v116 offset:336
	s_waitcnt lgkmcnt(0)
	v_mul_f64 v[116:117], v[3:4], v[122:123]
	v_mul_f64 v[122:123], v[1:2], v[122:123]
	v_fma_f64 v[1:2], v[1:2], v[120:121], -v[116:117]
	v_fma_f64 v[3:4], v[3:4], v[120:121], v[122:123]
	buffer_store_dword v2, off, s[0:3], 0 offset:340
	buffer_store_dword v1, off, s[0:3], 0 offset:336
	buffer_store_dword v4, off, s[0:3], 0 offset:348
	buffer_store_dword v3, off, s[0:3], 0 offset:344
.LBB117_591:
	s_or_b32 exec_lo, exec_lo, s4
	v_mov_b32_e32 v4, s40
	s_mov_b32 s4, exec_lo
	s_clause 0x3
	buffer_load_dword v1, v4, s[0:3], 0 offen
	buffer_load_dword v2, v4, s[0:3], 0 offen offset:4
	buffer_load_dword v3, v4, s[0:3], 0 offen offset:8
	;; [unrolled: 1-line block ×3, first 2 shown]
	s_waitcnt vmcnt(0)
	ds_write_b128 v114, v[1:4]
	s_waitcnt lgkmcnt(0)
	s_waitcnt_vscnt null, 0x0
	s_barrier
	buffer_gl0_inv
	v_cmpx_gt_u32_e32 22, v0
	s_cbranch_execz .LBB117_599
; %bb.592:
	ds_read_b128 v[1:4], v114
	v_cmp_ne_u32_e32 vcc_lo, 1, v115
	s_cbranch_vccnz .LBB117_594
; %bb.593:
	s_clause 0x3
	buffer_load_dword v116, v113, s[0:3], 0 offen offset:8
	buffer_load_dword v117, v113, s[0:3], 0 offen offset:12
	buffer_load_dword v120, v113, s[0:3], 0 offen
	buffer_load_dword v121, v113, s[0:3], 0 offen offset:4
	s_waitcnt vmcnt(2) lgkmcnt(0)
	v_mul_f64 v[122:123], v[3:4], v[116:117]
	v_mul_f64 v[116:117], v[1:2], v[116:117]
	s_waitcnt vmcnt(0)
	v_fma_f64 v[1:2], v[1:2], v[120:121], -v[122:123]
	v_fma_f64 v[3:4], v[3:4], v[120:121], v[116:117]
.LBB117_594:
	s_mov_b32 s6, exec_lo
	v_cmpx_ne_u32_e32 21, v0
	s_cbranch_execz .LBB117_598
; %bb.595:
	v_add_nc_u32_e32 v116, 0x370, v119
	v_add3_u32 v117, 0, v119, 16
	v_mov_b32_e32 v118, v0
	s_mov_b32 s8, 0
	.p2align	6
.LBB117_596:                            ; =>This Inner Loop Header: Depth=1
	s_clause 0x3
	buffer_load_dword v124, v117, s[0:3], 0 offen offset:8
	buffer_load_dword v125, v117, s[0:3], 0 offen offset:12
	buffer_load_dword v126, v117, s[0:3], 0 offen
	buffer_load_dword v127, v117, s[0:3], 0 offen offset:4
	ds_read_b128 v[120:123], v116
	v_add_nc_u32_e32 v118, 1, v118
	v_add_nc_u32_e32 v116, 16, v116
	;; [unrolled: 1-line block ×3, first 2 shown]
	v_cmp_lt_u32_e32 vcc_lo, 20, v118
	s_or_b32 s8, vcc_lo, s8
	s_waitcnt vmcnt(2) lgkmcnt(0)
	v_mul_f64 v[128:129], v[122:123], v[124:125]
	v_mul_f64 v[124:125], v[120:121], v[124:125]
	s_waitcnt vmcnt(0)
	v_fma_f64 v[120:121], v[120:121], v[126:127], -v[128:129]
	v_fma_f64 v[122:123], v[122:123], v[126:127], v[124:125]
	v_add_f64 v[1:2], v[1:2], v[120:121]
	v_add_f64 v[3:4], v[3:4], v[122:123]
	s_andn2_b32 exec_lo, exec_lo, s8
	s_cbranch_execnz .LBB117_596
; %bb.597:
	s_or_b32 exec_lo, exec_lo, s8
.LBB117_598:
	s_or_b32 exec_lo, exec_lo, s6
	v_mov_b32_e32 v116, 0
	ds_read_b128 v[120:123], v116 offset:352
	s_waitcnt lgkmcnt(0)
	v_mul_f64 v[116:117], v[3:4], v[122:123]
	v_mul_f64 v[122:123], v[1:2], v[122:123]
	v_fma_f64 v[1:2], v[1:2], v[120:121], -v[116:117]
	v_fma_f64 v[3:4], v[3:4], v[120:121], v[122:123]
	buffer_store_dword v2, off, s[0:3], 0 offset:356
	buffer_store_dword v1, off, s[0:3], 0 offset:352
	;; [unrolled: 1-line block ×4, first 2 shown]
.LBB117_599:
	s_or_b32 exec_lo, exec_lo, s4
	v_mov_b32_e32 v4, s39
	s_mov_b32 s4, exec_lo
	s_clause 0x3
	buffer_load_dword v1, v4, s[0:3], 0 offen
	buffer_load_dword v2, v4, s[0:3], 0 offen offset:4
	buffer_load_dword v3, v4, s[0:3], 0 offen offset:8
	;; [unrolled: 1-line block ×3, first 2 shown]
	s_waitcnt vmcnt(0)
	ds_write_b128 v114, v[1:4]
	s_waitcnt lgkmcnt(0)
	s_waitcnt_vscnt null, 0x0
	s_barrier
	buffer_gl0_inv
	v_cmpx_gt_u32_e32 23, v0
	s_cbranch_execz .LBB117_607
; %bb.600:
	ds_read_b128 v[1:4], v114
	v_cmp_ne_u32_e32 vcc_lo, 1, v115
	s_cbranch_vccnz .LBB117_602
; %bb.601:
	s_clause 0x3
	buffer_load_dword v116, v113, s[0:3], 0 offen offset:8
	buffer_load_dword v117, v113, s[0:3], 0 offen offset:12
	buffer_load_dword v120, v113, s[0:3], 0 offen
	buffer_load_dword v121, v113, s[0:3], 0 offen offset:4
	s_waitcnt vmcnt(2) lgkmcnt(0)
	v_mul_f64 v[122:123], v[3:4], v[116:117]
	v_mul_f64 v[116:117], v[1:2], v[116:117]
	s_waitcnt vmcnt(0)
	v_fma_f64 v[1:2], v[1:2], v[120:121], -v[122:123]
	v_fma_f64 v[3:4], v[3:4], v[120:121], v[116:117]
.LBB117_602:
	s_mov_b32 s6, exec_lo
	v_cmpx_ne_u32_e32 22, v0
	s_cbranch_execz .LBB117_606
; %bb.603:
	v_add_nc_u32_e32 v116, 0x370, v119
	v_add3_u32 v117, 0, v119, 16
	v_mov_b32_e32 v118, v0
	s_mov_b32 s8, 0
	.p2align	6
.LBB117_604:                            ; =>This Inner Loop Header: Depth=1
	s_clause 0x3
	buffer_load_dword v124, v117, s[0:3], 0 offen offset:8
	buffer_load_dword v125, v117, s[0:3], 0 offen offset:12
	buffer_load_dword v126, v117, s[0:3], 0 offen
	buffer_load_dword v127, v117, s[0:3], 0 offen offset:4
	ds_read_b128 v[120:123], v116
	v_add_nc_u32_e32 v118, 1, v118
	v_add_nc_u32_e32 v116, 16, v116
	;; [unrolled: 1-line block ×3, first 2 shown]
	v_cmp_lt_u32_e32 vcc_lo, 21, v118
	s_or_b32 s8, vcc_lo, s8
	s_waitcnt vmcnt(2) lgkmcnt(0)
	v_mul_f64 v[128:129], v[122:123], v[124:125]
	v_mul_f64 v[124:125], v[120:121], v[124:125]
	s_waitcnt vmcnt(0)
	v_fma_f64 v[120:121], v[120:121], v[126:127], -v[128:129]
	v_fma_f64 v[122:123], v[122:123], v[126:127], v[124:125]
	v_add_f64 v[1:2], v[1:2], v[120:121]
	v_add_f64 v[3:4], v[3:4], v[122:123]
	s_andn2_b32 exec_lo, exec_lo, s8
	s_cbranch_execnz .LBB117_604
; %bb.605:
	s_or_b32 exec_lo, exec_lo, s8
.LBB117_606:
	s_or_b32 exec_lo, exec_lo, s6
	v_mov_b32_e32 v116, 0
	ds_read_b128 v[120:123], v116 offset:368
	s_waitcnt lgkmcnt(0)
	v_mul_f64 v[116:117], v[3:4], v[122:123]
	v_mul_f64 v[122:123], v[1:2], v[122:123]
	v_fma_f64 v[1:2], v[1:2], v[120:121], -v[116:117]
	v_fma_f64 v[3:4], v[3:4], v[120:121], v[122:123]
	buffer_store_dword v2, off, s[0:3], 0 offset:372
	buffer_store_dword v1, off, s[0:3], 0 offset:368
	;; [unrolled: 1-line block ×4, first 2 shown]
.LBB117_607:
	s_or_b32 exec_lo, exec_lo, s4
	v_mov_b32_e32 v4, s38
	s_mov_b32 s4, exec_lo
	s_clause 0x3
	buffer_load_dword v1, v4, s[0:3], 0 offen
	buffer_load_dword v2, v4, s[0:3], 0 offen offset:4
	buffer_load_dword v3, v4, s[0:3], 0 offen offset:8
	;; [unrolled: 1-line block ×3, first 2 shown]
	s_waitcnt vmcnt(0)
	ds_write_b128 v114, v[1:4]
	s_waitcnt lgkmcnt(0)
	s_waitcnt_vscnt null, 0x0
	s_barrier
	buffer_gl0_inv
	v_cmpx_gt_u32_e32 24, v0
	s_cbranch_execz .LBB117_615
; %bb.608:
	ds_read_b128 v[1:4], v114
	v_cmp_ne_u32_e32 vcc_lo, 1, v115
	s_cbranch_vccnz .LBB117_610
; %bb.609:
	s_clause 0x3
	buffer_load_dword v116, v113, s[0:3], 0 offen offset:8
	buffer_load_dword v117, v113, s[0:3], 0 offen offset:12
	buffer_load_dword v120, v113, s[0:3], 0 offen
	buffer_load_dword v121, v113, s[0:3], 0 offen offset:4
	s_waitcnt vmcnt(2) lgkmcnt(0)
	v_mul_f64 v[122:123], v[3:4], v[116:117]
	v_mul_f64 v[116:117], v[1:2], v[116:117]
	s_waitcnt vmcnt(0)
	v_fma_f64 v[1:2], v[1:2], v[120:121], -v[122:123]
	v_fma_f64 v[3:4], v[3:4], v[120:121], v[116:117]
.LBB117_610:
	s_mov_b32 s6, exec_lo
	v_cmpx_ne_u32_e32 23, v0
	s_cbranch_execz .LBB117_614
; %bb.611:
	v_add_nc_u32_e32 v116, 0x370, v119
	v_add3_u32 v117, 0, v119, 16
	v_mov_b32_e32 v118, v0
	s_mov_b32 s8, 0
	.p2align	6
.LBB117_612:                            ; =>This Inner Loop Header: Depth=1
	s_clause 0x3
	buffer_load_dword v124, v117, s[0:3], 0 offen offset:8
	buffer_load_dword v125, v117, s[0:3], 0 offen offset:12
	buffer_load_dword v126, v117, s[0:3], 0 offen
	buffer_load_dword v127, v117, s[0:3], 0 offen offset:4
	ds_read_b128 v[120:123], v116
	v_add_nc_u32_e32 v118, 1, v118
	v_add_nc_u32_e32 v116, 16, v116
	;; [unrolled: 1-line block ×3, first 2 shown]
	v_cmp_lt_u32_e32 vcc_lo, 22, v118
	s_or_b32 s8, vcc_lo, s8
	s_waitcnt vmcnt(2) lgkmcnt(0)
	v_mul_f64 v[128:129], v[122:123], v[124:125]
	v_mul_f64 v[124:125], v[120:121], v[124:125]
	s_waitcnt vmcnt(0)
	v_fma_f64 v[120:121], v[120:121], v[126:127], -v[128:129]
	v_fma_f64 v[122:123], v[122:123], v[126:127], v[124:125]
	v_add_f64 v[1:2], v[1:2], v[120:121]
	v_add_f64 v[3:4], v[3:4], v[122:123]
	s_andn2_b32 exec_lo, exec_lo, s8
	s_cbranch_execnz .LBB117_612
; %bb.613:
	s_or_b32 exec_lo, exec_lo, s8
.LBB117_614:
	s_or_b32 exec_lo, exec_lo, s6
	v_mov_b32_e32 v116, 0
	ds_read_b128 v[120:123], v116 offset:384
	s_waitcnt lgkmcnt(0)
	v_mul_f64 v[116:117], v[3:4], v[122:123]
	v_mul_f64 v[122:123], v[1:2], v[122:123]
	v_fma_f64 v[1:2], v[1:2], v[120:121], -v[116:117]
	v_fma_f64 v[3:4], v[3:4], v[120:121], v[122:123]
	buffer_store_dword v2, off, s[0:3], 0 offset:388
	buffer_store_dword v1, off, s[0:3], 0 offset:384
	;; [unrolled: 1-line block ×4, first 2 shown]
.LBB117_615:
	s_or_b32 exec_lo, exec_lo, s4
	v_mov_b32_e32 v4, s37
	s_mov_b32 s4, exec_lo
	s_clause 0x3
	buffer_load_dword v1, v4, s[0:3], 0 offen
	buffer_load_dword v2, v4, s[0:3], 0 offen offset:4
	buffer_load_dword v3, v4, s[0:3], 0 offen offset:8
	;; [unrolled: 1-line block ×3, first 2 shown]
	s_waitcnt vmcnt(0)
	ds_write_b128 v114, v[1:4]
	s_waitcnt lgkmcnt(0)
	s_waitcnt_vscnt null, 0x0
	s_barrier
	buffer_gl0_inv
	v_cmpx_gt_u32_e32 25, v0
	s_cbranch_execz .LBB117_623
; %bb.616:
	ds_read_b128 v[1:4], v114
	v_cmp_ne_u32_e32 vcc_lo, 1, v115
	s_cbranch_vccnz .LBB117_618
; %bb.617:
	s_clause 0x3
	buffer_load_dword v116, v113, s[0:3], 0 offen offset:8
	buffer_load_dword v117, v113, s[0:3], 0 offen offset:12
	buffer_load_dword v120, v113, s[0:3], 0 offen
	buffer_load_dword v121, v113, s[0:3], 0 offen offset:4
	s_waitcnt vmcnt(2) lgkmcnt(0)
	v_mul_f64 v[122:123], v[3:4], v[116:117]
	v_mul_f64 v[116:117], v[1:2], v[116:117]
	s_waitcnt vmcnt(0)
	v_fma_f64 v[1:2], v[1:2], v[120:121], -v[122:123]
	v_fma_f64 v[3:4], v[3:4], v[120:121], v[116:117]
.LBB117_618:
	s_mov_b32 s6, exec_lo
	v_cmpx_ne_u32_e32 24, v0
	s_cbranch_execz .LBB117_622
; %bb.619:
	v_add_nc_u32_e32 v116, 0x370, v119
	v_add3_u32 v117, 0, v119, 16
	v_mov_b32_e32 v118, v0
	s_mov_b32 s8, 0
	.p2align	6
.LBB117_620:                            ; =>This Inner Loop Header: Depth=1
	s_clause 0x3
	buffer_load_dword v124, v117, s[0:3], 0 offen offset:8
	buffer_load_dword v125, v117, s[0:3], 0 offen offset:12
	buffer_load_dword v126, v117, s[0:3], 0 offen
	buffer_load_dword v127, v117, s[0:3], 0 offen offset:4
	ds_read_b128 v[120:123], v116
	v_add_nc_u32_e32 v118, 1, v118
	v_add_nc_u32_e32 v116, 16, v116
	;; [unrolled: 1-line block ×3, first 2 shown]
	v_cmp_lt_u32_e32 vcc_lo, 23, v118
	s_or_b32 s8, vcc_lo, s8
	s_waitcnt vmcnt(2) lgkmcnt(0)
	v_mul_f64 v[128:129], v[122:123], v[124:125]
	v_mul_f64 v[124:125], v[120:121], v[124:125]
	s_waitcnt vmcnt(0)
	v_fma_f64 v[120:121], v[120:121], v[126:127], -v[128:129]
	v_fma_f64 v[122:123], v[122:123], v[126:127], v[124:125]
	v_add_f64 v[1:2], v[1:2], v[120:121]
	v_add_f64 v[3:4], v[3:4], v[122:123]
	s_andn2_b32 exec_lo, exec_lo, s8
	s_cbranch_execnz .LBB117_620
; %bb.621:
	s_or_b32 exec_lo, exec_lo, s8
.LBB117_622:
	s_or_b32 exec_lo, exec_lo, s6
	v_mov_b32_e32 v116, 0
	ds_read_b128 v[120:123], v116 offset:400
	s_waitcnt lgkmcnt(0)
	v_mul_f64 v[116:117], v[3:4], v[122:123]
	v_mul_f64 v[122:123], v[1:2], v[122:123]
	v_fma_f64 v[1:2], v[1:2], v[120:121], -v[116:117]
	v_fma_f64 v[3:4], v[3:4], v[120:121], v[122:123]
	buffer_store_dword v2, off, s[0:3], 0 offset:404
	buffer_store_dword v1, off, s[0:3], 0 offset:400
	buffer_store_dword v4, off, s[0:3], 0 offset:412
	buffer_store_dword v3, off, s[0:3], 0 offset:408
.LBB117_623:
	s_or_b32 exec_lo, exec_lo, s4
	v_mov_b32_e32 v4, s36
	s_mov_b32 s4, exec_lo
	s_clause 0x3
	buffer_load_dword v1, v4, s[0:3], 0 offen
	buffer_load_dword v2, v4, s[0:3], 0 offen offset:4
	buffer_load_dword v3, v4, s[0:3], 0 offen offset:8
	;; [unrolled: 1-line block ×3, first 2 shown]
	s_waitcnt vmcnt(0)
	ds_write_b128 v114, v[1:4]
	s_waitcnt lgkmcnt(0)
	s_waitcnt_vscnt null, 0x0
	s_barrier
	buffer_gl0_inv
	v_cmpx_gt_u32_e32 26, v0
	s_cbranch_execz .LBB117_631
; %bb.624:
	ds_read_b128 v[1:4], v114
	v_cmp_ne_u32_e32 vcc_lo, 1, v115
	s_cbranch_vccnz .LBB117_626
; %bb.625:
	s_clause 0x3
	buffer_load_dword v116, v113, s[0:3], 0 offen offset:8
	buffer_load_dword v117, v113, s[0:3], 0 offen offset:12
	buffer_load_dword v120, v113, s[0:3], 0 offen
	buffer_load_dword v121, v113, s[0:3], 0 offen offset:4
	s_waitcnt vmcnt(2) lgkmcnt(0)
	v_mul_f64 v[122:123], v[3:4], v[116:117]
	v_mul_f64 v[116:117], v[1:2], v[116:117]
	s_waitcnt vmcnt(0)
	v_fma_f64 v[1:2], v[1:2], v[120:121], -v[122:123]
	v_fma_f64 v[3:4], v[3:4], v[120:121], v[116:117]
.LBB117_626:
	s_mov_b32 s6, exec_lo
	v_cmpx_ne_u32_e32 25, v0
	s_cbranch_execz .LBB117_630
; %bb.627:
	v_add_nc_u32_e32 v116, 0x370, v119
	v_add3_u32 v117, 0, v119, 16
	v_mov_b32_e32 v118, v0
	s_mov_b32 s8, 0
	.p2align	6
.LBB117_628:                            ; =>This Inner Loop Header: Depth=1
	s_clause 0x3
	buffer_load_dword v124, v117, s[0:3], 0 offen offset:8
	buffer_load_dword v125, v117, s[0:3], 0 offen offset:12
	buffer_load_dword v126, v117, s[0:3], 0 offen
	buffer_load_dword v127, v117, s[0:3], 0 offen offset:4
	ds_read_b128 v[120:123], v116
	v_add_nc_u32_e32 v118, 1, v118
	v_add_nc_u32_e32 v116, 16, v116
	;; [unrolled: 1-line block ×3, first 2 shown]
	v_cmp_lt_u32_e32 vcc_lo, 24, v118
	s_or_b32 s8, vcc_lo, s8
	s_waitcnt vmcnt(2) lgkmcnt(0)
	v_mul_f64 v[128:129], v[122:123], v[124:125]
	v_mul_f64 v[124:125], v[120:121], v[124:125]
	s_waitcnt vmcnt(0)
	v_fma_f64 v[120:121], v[120:121], v[126:127], -v[128:129]
	v_fma_f64 v[122:123], v[122:123], v[126:127], v[124:125]
	v_add_f64 v[1:2], v[1:2], v[120:121]
	v_add_f64 v[3:4], v[3:4], v[122:123]
	s_andn2_b32 exec_lo, exec_lo, s8
	s_cbranch_execnz .LBB117_628
; %bb.629:
	s_or_b32 exec_lo, exec_lo, s8
.LBB117_630:
	s_or_b32 exec_lo, exec_lo, s6
	v_mov_b32_e32 v116, 0
	ds_read_b128 v[120:123], v116 offset:416
	s_waitcnt lgkmcnt(0)
	v_mul_f64 v[116:117], v[3:4], v[122:123]
	v_mul_f64 v[122:123], v[1:2], v[122:123]
	v_fma_f64 v[1:2], v[1:2], v[120:121], -v[116:117]
	v_fma_f64 v[3:4], v[3:4], v[120:121], v[122:123]
	buffer_store_dword v2, off, s[0:3], 0 offset:420
	buffer_store_dword v1, off, s[0:3], 0 offset:416
	;; [unrolled: 1-line block ×4, first 2 shown]
.LBB117_631:
	s_or_b32 exec_lo, exec_lo, s4
	v_mov_b32_e32 v4, s35
	s_mov_b32 s4, exec_lo
	s_clause 0x3
	buffer_load_dword v1, v4, s[0:3], 0 offen
	buffer_load_dword v2, v4, s[0:3], 0 offen offset:4
	buffer_load_dword v3, v4, s[0:3], 0 offen offset:8
	;; [unrolled: 1-line block ×3, first 2 shown]
	s_waitcnt vmcnt(0)
	ds_write_b128 v114, v[1:4]
	s_waitcnt lgkmcnt(0)
	s_waitcnt_vscnt null, 0x0
	s_barrier
	buffer_gl0_inv
	v_cmpx_gt_u32_e32 27, v0
	s_cbranch_execz .LBB117_639
; %bb.632:
	ds_read_b128 v[1:4], v114
	v_cmp_ne_u32_e32 vcc_lo, 1, v115
	s_cbranch_vccnz .LBB117_634
; %bb.633:
	s_clause 0x3
	buffer_load_dword v116, v113, s[0:3], 0 offen offset:8
	buffer_load_dword v117, v113, s[0:3], 0 offen offset:12
	buffer_load_dword v120, v113, s[0:3], 0 offen
	buffer_load_dword v121, v113, s[0:3], 0 offen offset:4
	s_waitcnt vmcnt(2) lgkmcnt(0)
	v_mul_f64 v[122:123], v[3:4], v[116:117]
	v_mul_f64 v[116:117], v[1:2], v[116:117]
	s_waitcnt vmcnt(0)
	v_fma_f64 v[1:2], v[1:2], v[120:121], -v[122:123]
	v_fma_f64 v[3:4], v[3:4], v[120:121], v[116:117]
.LBB117_634:
	s_mov_b32 s6, exec_lo
	v_cmpx_ne_u32_e32 26, v0
	s_cbranch_execz .LBB117_638
; %bb.635:
	v_add_nc_u32_e32 v116, 0x370, v119
	v_add3_u32 v117, 0, v119, 16
	v_mov_b32_e32 v118, v0
	s_mov_b32 s8, 0
	.p2align	6
.LBB117_636:                            ; =>This Inner Loop Header: Depth=1
	s_clause 0x3
	buffer_load_dword v124, v117, s[0:3], 0 offen offset:8
	buffer_load_dword v125, v117, s[0:3], 0 offen offset:12
	buffer_load_dword v126, v117, s[0:3], 0 offen
	buffer_load_dword v127, v117, s[0:3], 0 offen offset:4
	ds_read_b128 v[120:123], v116
	v_add_nc_u32_e32 v118, 1, v118
	v_add_nc_u32_e32 v116, 16, v116
	;; [unrolled: 1-line block ×3, first 2 shown]
	v_cmp_lt_u32_e32 vcc_lo, 25, v118
	s_or_b32 s8, vcc_lo, s8
	s_waitcnt vmcnt(2) lgkmcnt(0)
	v_mul_f64 v[128:129], v[122:123], v[124:125]
	v_mul_f64 v[124:125], v[120:121], v[124:125]
	s_waitcnt vmcnt(0)
	v_fma_f64 v[120:121], v[120:121], v[126:127], -v[128:129]
	v_fma_f64 v[122:123], v[122:123], v[126:127], v[124:125]
	v_add_f64 v[1:2], v[1:2], v[120:121]
	v_add_f64 v[3:4], v[3:4], v[122:123]
	s_andn2_b32 exec_lo, exec_lo, s8
	s_cbranch_execnz .LBB117_636
; %bb.637:
	s_or_b32 exec_lo, exec_lo, s8
.LBB117_638:
	s_or_b32 exec_lo, exec_lo, s6
	v_mov_b32_e32 v116, 0
	ds_read_b128 v[120:123], v116 offset:432
	s_waitcnt lgkmcnt(0)
	v_mul_f64 v[116:117], v[3:4], v[122:123]
	v_mul_f64 v[122:123], v[1:2], v[122:123]
	v_fma_f64 v[1:2], v[1:2], v[120:121], -v[116:117]
	v_fma_f64 v[3:4], v[3:4], v[120:121], v[122:123]
	buffer_store_dword v2, off, s[0:3], 0 offset:436
	buffer_store_dword v1, off, s[0:3], 0 offset:432
	;; [unrolled: 1-line block ×4, first 2 shown]
.LBB117_639:
	s_or_b32 exec_lo, exec_lo, s4
	v_mov_b32_e32 v4, s34
	s_mov_b32 s4, exec_lo
	s_clause 0x3
	buffer_load_dword v1, v4, s[0:3], 0 offen
	buffer_load_dword v2, v4, s[0:3], 0 offen offset:4
	buffer_load_dword v3, v4, s[0:3], 0 offen offset:8
	;; [unrolled: 1-line block ×3, first 2 shown]
	s_waitcnt vmcnt(0)
	ds_write_b128 v114, v[1:4]
	s_waitcnt lgkmcnt(0)
	s_waitcnt_vscnt null, 0x0
	s_barrier
	buffer_gl0_inv
	v_cmpx_gt_u32_e32 28, v0
	s_cbranch_execz .LBB117_647
; %bb.640:
	ds_read_b128 v[1:4], v114
	v_cmp_ne_u32_e32 vcc_lo, 1, v115
	s_cbranch_vccnz .LBB117_642
; %bb.641:
	s_clause 0x3
	buffer_load_dword v116, v113, s[0:3], 0 offen offset:8
	buffer_load_dword v117, v113, s[0:3], 0 offen offset:12
	buffer_load_dword v120, v113, s[0:3], 0 offen
	buffer_load_dword v121, v113, s[0:3], 0 offen offset:4
	s_waitcnt vmcnt(2) lgkmcnt(0)
	v_mul_f64 v[122:123], v[3:4], v[116:117]
	v_mul_f64 v[116:117], v[1:2], v[116:117]
	s_waitcnt vmcnt(0)
	v_fma_f64 v[1:2], v[1:2], v[120:121], -v[122:123]
	v_fma_f64 v[3:4], v[3:4], v[120:121], v[116:117]
.LBB117_642:
	s_mov_b32 s6, exec_lo
	v_cmpx_ne_u32_e32 27, v0
	s_cbranch_execz .LBB117_646
; %bb.643:
	v_add_nc_u32_e32 v116, 0x370, v119
	v_add3_u32 v117, 0, v119, 16
	v_mov_b32_e32 v118, v0
	s_mov_b32 s8, 0
	.p2align	6
.LBB117_644:                            ; =>This Inner Loop Header: Depth=1
	s_clause 0x3
	buffer_load_dword v124, v117, s[0:3], 0 offen offset:8
	buffer_load_dword v125, v117, s[0:3], 0 offen offset:12
	buffer_load_dword v126, v117, s[0:3], 0 offen
	buffer_load_dword v127, v117, s[0:3], 0 offen offset:4
	ds_read_b128 v[120:123], v116
	v_add_nc_u32_e32 v118, 1, v118
	v_add_nc_u32_e32 v116, 16, v116
	;; [unrolled: 1-line block ×3, first 2 shown]
	v_cmp_lt_u32_e32 vcc_lo, 26, v118
	s_or_b32 s8, vcc_lo, s8
	s_waitcnt vmcnt(2) lgkmcnt(0)
	v_mul_f64 v[128:129], v[122:123], v[124:125]
	v_mul_f64 v[124:125], v[120:121], v[124:125]
	s_waitcnt vmcnt(0)
	v_fma_f64 v[120:121], v[120:121], v[126:127], -v[128:129]
	v_fma_f64 v[122:123], v[122:123], v[126:127], v[124:125]
	v_add_f64 v[1:2], v[1:2], v[120:121]
	v_add_f64 v[3:4], v[3:4], v[122:123]
	s_andn2_b32 exec_lo, exec_lo, s8
	s_cbranch_execnz .LBB117_644
; %bb.645:
	s_or_b32 exec_lo, exec_lo, s8
.LBB117_646:
	s_or_b32 exec_lo, exec_lo, s6
	v_mov_b32_e32 v116, 0
	ds_read_b128 v[120:123], v116 offset:448
	s_waitcnt lgkmcnt(0)
	v_mul_f64 v[116:117], v[3:4], v[122:123]
	v_mul_f64 v[122:123], v[1:2], v[122:123]
	v_fma_f64 v[1:2], v[1:2], v[120:121], -v[116:117]
	v_fma_f64 v[3:4], v[3:4], v[120:121], v[122:123]
	buffer_store_dword v2, off, s[0:3], 0 offset:452
	buffer_store_dword v1, off, s[0:3], 0 offset:448
	;; [unrolled: 1-line block ×4, first 2 shown]
.LBB117_647:
	s_or_b32 exec_lo, exec_lo, s4
	v_mov_b32_e32 v4, s33
	s_mov_b32 s4, exec_lo
	s_clause 0x3
	buffer_load_dword v1, v4, s[0:3], 0 offen
	buffer_load_dword v2, v4, s[0:3], 0 offen offset:4
	buffer_load_dword v3, v4, s[0:3], 0 offen offset:8
	;; [unrolled: 1-line block ×3, first 2 shown]
	s_waitcnt vmcnt(0)
	ds_write_b128 v114, v[1:4]
	s_waitcnt lgkmcnt(0)
	s_waitcnt_vscnt null, 0x0
	s_barrier
	buffer_gl0_inv
	v_cmpx_gt_u32_e32 29, v0
	s_cbranch_execz .LBB117_655
; %bb.648:
	ds_read_b128 v[1:4], v114
	v_cmp_ne_u32_e32 vcc_lo, 1, v115
	s_cbranch_vccnz .LBB117_650
; %bb.649:
	s_clause 0x3
	buffer_load_dword v116, v113, s[0:3], 0 offen offset:8
	buffer_load_dword v117, v113, s[0:3], 0 offen offset:12
	buffer_load_dword v120, v113, s[0:3], 0 offen
	buffer_load_dword v121, v113, s[0:3], 0 offen offset:4
	s_waitcnt vmcnt(2) lgkmcnt(0)
	v_mul_f64 v[122:123], v[3:4], v[116:117]
	v_mul_f64 v[116:117], v[1:2], v[116:117]
	s_waitcnt vmcnt(0)
	v_fma_f64 v[1:2], v[1:2], v[120:121], -v[122:123]
	v_fma_f64 v[3:4], v[3:4], v[120:121], v[116:117]
.LBB117_650:
	s_mov_b32 s6, exec_lo
	v_cmpx_ne_u32_e32 28, v0
	s_cbranch_execz .LBB117_654
; %bb.651:
	v_add_nc_u32_e32 v116, 0x370, v119
	v_add3_u32 v117, 0, v119, 16
	v_mov_b32_e32 v118, v0
	s_mov_b32 s8, 0
	.p2align	6
.LBB117_652:                            ; =>This Inner Loop Header: Depth=1
	s_clause 0x3
	buffer_load_dword v124, v117, s[0:3], 0 offen offset:8
	buffer_load_dword v125, v117, s[0:3], 0 offen offset:12
	buffer_load_dword v126, v117, s[0:3], 0 offen
	buffer_load_dword v127, v117, s[0:3], 0 offen offset:4
	ds_read_b128 v[120:123], v116
	v_add_nc_u32_e32 v118, 1, v118
	v_add_nc_u32_e32 v116, 16, v116
	;; [unrolled: 1-line block ×3, first 2 shown]
	v_cmp_lt_u32_e32 vcc_lo, 27, v118
	s_or_b32 s8, vcc_lo, s8
	s_waitcnt vmcnt(2) lgkmcnt(0)
	v_mul_f64 v[128:129], v[122:123], v[124:125]
	v_mul_f64 v[124:125], v[120:121], v[124:125]
	s_waitcnt vmcnt(0)
	v_fma_f64 v[120:121], v[120:121], v[126:127], -v[128:129]
	v_fma_f64 v[122:123], v[122:123], v[126:127], v[124:125]
	v_add_f64 v[1:2], v[1:2], v[120:121]
	v_add_f64 v[3:4], v[3:4], v[122:123]
	s_andn2_b32 exec_lo, exec_lo, s8
	s_cbranch_execnz .LBB117_652
; %bb.653:
	s_or_b32 exec_lo, exec_lo, s8
.LBB117_654:
	s_or_b32 exec_lo, exec_lo, s6
	v_mov_b32_e32 v116, 0
	ds_read_b128 v[120:123], v116 offset:464
	s_waitcnt lgkmcnt(0)
	v_mul_f64 v[116:117], v[3:4], v[122:123]
	v_mul_f64 v[122:123], v[1:2], v[122:123]
	v_fma_f64 v[1:2], v[1:2], v[120:121], -v[116:117]
	v_fma_f64 v[3:4], v[3:4], v[120:121], v[122:123]
	buffer_store_dword v2, off, s[0:3], 0 offset:468
	buffer_store_dword v1, off, s[0:3], 0 offset:464
	;; [unrolled: 1-line block ×4, first 2 shown]
.LBB117_655:
	s_or_b32 exec_lo, exec_lo, s4
	v_mov_b32_e32 v4, s31
	s_mov_b32 s4, exec_lo
	s_clause 0x3
	buffer_load_dword v1, v4, s[0:3], 0 offen
	buffer_load_dword v2, v4, s[0:3], 0 offen offset:4
	buffer_load_dword v3, v4, s[0:3], 0 offen offset:8
	;; [unrolled: 1-line block ×3, first 2 shown]
	s_waitcnt vmcnt(0)
	ds_write_b128 v114, v[1:4]
	s_waitcnt lgkmcnt(0)
	s_waitcnt_vscnt null, 0x0
	s_barrier
	buffer_gl0_inv
	v_cmpx_gt_u32_e32 30, v0
	s_cbranch_execz .LBB117_663
; %bb.656:
	ds_read_b128 v[1:4], v114
	v_cmp_ne_u32_e32 vcc_lo, 1, v115
	s_cbranch_vccnz .LBB117_658
; %bb.657:
	s_clause 0x3
	buffer_load_dword v116, v113, s[0:3], 0 offen offset:8
	buffer_load_dword v117, v113, s[0:3], 0 offen offset:12
	buffer_load_dword v120, v113, s[0:3], 0 offen
	buffer_load_dword v121, v113, s[0:3], 0 offen offset:4
	s_waitcnt vmcnt(2) lgkmcnt(0)
	v_mul_f64 v[122:123], v[3:4], v[116:117]
	v_mul_f64 v[116:117], v[1:2], v[116:117]
	s_waitcnt vmcnt(0)
	v_fma_f64 v[1:2], v[1:2], v[120:121], -v[122:123]
	v_fma_f64 v[3:4], v[3:4], v[120:121], v[116:117]
.LBB117_658:
	s_mov_b32 s6, exec_lo
	v_cmpx_ne_u32_e32 29, v0
	s_cbranch_execz .LBB117_662
; %bb.659:
	v_add_nc_u32_e32 v116, 0x370, v119
	v_add3_u32 v117, 0, v119, 16
	v_mov_b32_e32 v118, v0
	s_mov_b32 s8, 0
	.p2align	6
.LBB117_660:                            ; =>This Inner Loop Header: Depth=1
	s_clause 0x3
	buffer_load_dword v124, v117, s[0:3], 0 offen offset:8
	buffer_load_dword v125, v117, s[0:3], 0 offen offset:12
	buffer_load_dword v126, v117, s[0:3], 0 offen
	buffer_load_dword v127, v117, s[0:3], 0 offen offset:4
	ds_read_b128 v[120:123], v116
	v_add_nc_u32_e32 v118, 1, v118
	v_add_nc_u32_e32 v116, 16, v116
	v_add_nc_u32_e32 v117, 16, v117
	v_cmp_lt_u32_e32 vcc_lo, 28, v118
	s_or_b32 s8, vcc_lo, s8
	s_waitcnt vmcnt(2) lgkmcnt(0)
	v_mul_f64 v[128:129], v[122:123], v[124:125]
	v_mul_f64 v[124:125], v[120:121], v[124:125]
	s_waitcnt vmcnt(0)
	v_fma_f64 v[120:121], v[120:121], v[126:127], -v[128:129]
	v_fma_f64 v[122:123], v[122:123], v[126:127], v[124:125]
	v_add_f64 v[1:2], v[1:2], v[120:121]
	v_add_f64 v[3:4], v[3:4], v[122:123]
	s_andn2_b32 exec_lo, exec_lo, s8
	s_cbranch_execnz .LBB117_660
; %bb.661:
	s_or_b32 exec_lo, exec_lo, s8
.LBB117_662:
	s_or_b32 exec_lo, exec_lo, s6
	v_mov_b32_e32 v116, 0
	ds_read_b128 v[120:123], v116 offset:480
	s_waitcnt lgkmcnt(0)
	v_mul_f64 v[116:117], v[3:4], v[122:123]
	v_mul_f64 v[122:123], v[1:2], v[122:123]
	v_fma_f64 v[1:2], v[1:2], v[120:121], -v[116:117]
	v_fma_f64 v[3:4], v[3:4], v[120:121], v[122:123]
	buffer_store_dword v2, off, s[0:3], 0 offset:484
	buffer_store_dword v1, off, s[0:3], 0 offset:480
	;; [unrolled: 1-line block ×4, first 2 shown]
.LBB117_663:
	s_or_b32 exec_lo, exec_lo, s4
	v_mov_b32_e32 v4, s30
	s_mov_b32 s4, exec_lo
	s_clause 0x3
	buffer_load_dword v1, v4, s[0:3], 0 offen
	buffer_load_dword v2, v4, s[0:3], 0 offen offset:4
	buffer_load_dword v3, v4, s[0:3], 0 offen offset:8
	;; [unrolled: 1-line block ×3, first 2 shown]
	s_waitcnt vmcnt(0)
	ds_write_b128 v114, v[1:4]
	s_waitcnt lgkmcnt(0)
	s_waitcnt_vscnt null, 0x0
	s_barrier
	buffer_gl0_inv
	v_cmpx_gt_u32_e32 31, v0
	s_cbranch_execz .LBB117_671
; %bb.664:
	ds_read_b128 v[1:4], v114
	v_cmp_ne_u32_e32 vcc_lo, 1, v115
	s_cbranch_vccnz .LBB117_666
; %bb.665:
	s_clause 0x3
	buffer_load_dword v116, v113, s[0:3], 0 offen offset:8
	buffer_load_dword v117, v113, s[0:3], 0 offen offset:12
	buffer_load_dword v120, v113, s[0:3], 0 offen
	buffer_load_dword v121, v113, s[0:3], 0 offen offset:4
	s_waitcnt vmcnt(2) lgkmcnt(0)
	v_mul_f64 v[122:123], v[3:4], v[116:117]
	v_mul_f64 v[116:117], v[1:2], v[116:117]
	s_waitcnt vmcnt(0)
	v_fma_f64 v[1:2], v[1:2], v[120:121], -v[122:123]
	v_fma_f64 v[3:4], v[3:4], v[120:121], v[116:117]
.LBB117_666:
	s_mov_b32 s6, exec_lo
	v_cmpx_ne_u32_e32 30, v0
	s_cbranch_execz .LBB117_670
; %bb.667:
	v_add_nc_u32_e32 v116, 0x370, v119
	v_add3_u32 v117, 0, v119, 16
	v_mov_b32_e32 v118, v0
	s_mov_b32 s8, 0
	.p2align	6
.LBB117_668:                            ; =>This Inner Loop Header: Depth=1
	s_clause 0x3
	buffer_load_dword v124, v117, s[0:3], 0 offen offset:8
	buffer_load_dword v125, v117, s[0:3], 0 offen offset:12
	buffer_load_dword v126, v117, s[0:3], 0 offen
	buffer_load_dword v127, v117, s[0:3], 0 offen offset:4
	ds_read_b128 v[120:123], v116
	v_add_nc_u32_e32 v118, 1, v118
	v_add_nc_u32_e32 v116, 16, v116
	;; [unrolled: 1-line block ×3, first 2 shown]
	v_cmp_lt_u32_e32 vcc_lo, 29, v118
	s_or_b32 s8, vcc_lo, s8
	s_waitcnt vmcnt(2) lgkmcnt(0)
	v_mul_f64 v[128:129], v[122:123], v[124:125]
	v_mul_f64 v[124:125], v[120:121], v[124:125]
	s_waitcnt vmcnt(0)
	v_fma_f64 v[120:121], v[120:121], v[126:127], -v[128:129]
	v_fma_f64 v[122:123], v[122:123], v[126:127], v[124:125]
	v_add_f64 v[1:2], v[1:2], v[120:121]
	v_add_f64 v[3:4], v[3:4], v[122:123]
	s_andn2_b32 exec_lo, exec_lo, s8
	s_cbranch_execnz .LBB117_668
; %bb.669:
	s_or_b32 exec_lo, exec_lo, s8
.LBB117_670:
	s_or_b32 exec_lo, exec_lo, s6
	v_mov_b32_e32 v116, 0
	ds_read_b128 v[120:123], v116 offset:496
	s_waitcnt lgkmcnt(0)
	v_mul_f64 v[116:117], v[3:4], v[122:123]
	v_mul_f64 v[122:123], v[1:2], v[122:123]
	v_fma_f64 v[1:2], v[1:2], v[120:121], -v[116:117]
	v_fma_f64 v[3:4], v[3:4], v[120:121], v[122:123]
	buffer_store_dword v2, off, s[0:3], 0 offset:500
	buffer_store_dword v1, off, s[0:3], 0 offset:496
	;; [unrolled: 1-line block ×4, first 2 shown]
.LBB117_671:
	s_or_b32 exec_lo, exec_lo, s4
	v_mov_b32_e32 v4, s29
	s_mov_b32 s4, exec_lo
	s_clause 0x3
	buffer_load_dword v1, v4, s[0:3], 0 offen
	buffer_load_dword v2, v4, s[0:3], 0 offen offset:4
	buffer_load_dword v3, v4, s[0:3], 0 offen offset:8
	;; [unrolled: 1-line block ×3, first 2 shown]
	s_waitcnt vmcnt(0)
	ds_write_b128 v114, v[1:4]
	s_waitcnt lgkmcnt(0)
	s_waitcnt_vscnt null, 0x0
	s_barrier
	buffer_gl0_inv
	v_cmpx_gt_u32_e32 32, v0
	s_cbranch_execz .LBB117_679
; %bb.672:
	ds_read_b128 v[1:4], v114
	v_cmp_ne_u32_e32 vcc_lo, 1, v115
	s_cbranch_vccnz .LBB117_674
; %bb.673:
	s_clause 0x3
	buffer_load_dword v116, v113, s[0:3], 0 offen offset:8
	buffer_load_dword v117, v113, s[0:3], 0 offen offset:12
	buffer_load_dword v120, v113, s[0:3], 0 offen
	buffer_load_dword v121, v113, s[0:3], 0 offen offset:4
	s_waitcnt vmcnt(2) lgkmcnt(0)
	v_mul_f64 v[122:123], v[3:4], v[116:117]
	v_mul_f64 v[116:117], v[1:2], v[116:117]
	s_waitcnt vmcnt(0)
	v_fma_f64 v[1:2], v[1:2], v[120:121], -v[122:123]
	v_fma_f64 v[3:4], v[3:4], v[120:121], v[116:117]
.LBB117_674:
	s_mov_b32 s6, exec_lo
	v_cmpx_ne_u32_e32 31, v0
	s_cbranch_execz .LBB117_678
; %bb.675:
	v_add_nc_u32_e32 v116, 0x370, v119
	v_add3_u32 v117, 0, v119, 16
	v_mov_b32_e32 v118, v0
	s_mov_b32 s8, 0
	.p2align	6
.LBB117_676:                            ; =>This Inner Loop Header: Depth=1
	s_clause 0x3
	buffer_load_dword v124, v117, s[0:3], 0 offen offset:8
	buffer_load_dword v125, v117, s[0:3], 0 offen offset:12
	buffer_load_dword v126, v117, s[0:3], 0 offen
	buffer_load_dword v127, v117, s[0:3], 0 offen offset:4
	ds_read_b128 v[120:123], v116
	v_add_nc_u32_e32 v118, 1, v118
	v_add_nc_u32_e32 v116, 16, v116
	;; [unrolled: 1-line block ×3, first 2 shown]
	v_cmp_lt_u32_e32 vcc_lo, 30, v118
	s_or_b32 s8, vcc_lo, s8
	s_waitcnt vmcnt(2) lgkmcnt(0)
	v_mul_f64 v[128:129], v[122:123], v[124:125]
	v_mul_f64 v[124:125], v[120:121], v[124:125]
	s_waitcnt vmcnt(0)
	v_fma_f64 v[120:121], v[120:121], v[126:127], -v[128:129]
	v_fma_f64 v[122:123], v[122:123], v[126:127], v[124:125]
	v_add_f64 v[1:2], v[1:2], v[120:121]
	v_add_f64 v[3:4], v[3:4], v[122:123]
	s_andn2_b32 exec_lo, exec_lo, s8
	s_cbranch_execnz .LBB117_676
; %bb.677:
	s_or_b32 exec_lo, exec_lo, s8
.LBB117_678:
	s_or_b32 exec_lo, exec_lo, s6
	v_mov_b32_e32 v116, 0
	ds_read_b128 v[120:123], v116 offset:512
	s_waitcnt lgkmcnt(0)
	v_mul_f64 v[116:117], v[3:4], v[122:123]
	v_mul_f64 v[122:123], v[1:2], v[122:123]
	v_fma_f64 v[1:2], v[1:2], v[120:121], -v[116:117]
	v_fma_f64 v[3:4], v[3:4], v[120:121], v[122:123]
	buffer_store_dword v2, off, s[0:3], 0 offset:516
	buffer_store_dword v1, off, s[0:3], 0 offset:512
	;; [unrolled: 1-line block ×4, first 2 shown]
.LBB117_679:
	s_or_b32 exec_lo, exec_lo, s4
	v_mov_b32_e32 v4, s28
	s_mov_b32 s4, exec_lo
	s_clause 0x3
	buffer_load_dword v1, v4, s[0:3], 0 offen
	buffer_load_dword v2, v4, s[0:3], 0 offen offset:4
	buffer_load_dword v3, v4, s[0:3], 0 offen offset:8
	;; [unrolled: 1-line block ×3, first 2 shown]
	s_waitcnt vmcnt(0)
	ds_write_b128 v114, v[1:4]
	s_waitcnt lgkmcnt(0)
	s_waitcnt_vscnt null, 0x0
	s_barrier
	buffer_gl0_inv
	v_cmpx_gt_u32_e32 33, v0
	s_cbranch_execz .LBB117_687
; %bb.680:
	ds_read_b128 v[1:4], v114
	v_cmp_ne_u32_e32 vcc_lo, 1, v115
	s_cbranch_vccnz .LBB117_682
; %bb.681:
	s_clause 0x3
	buffer_load_dword v116, v113, s[0:3], 0 offen offset:8
	buffer_load_dword v117, v113, s[0:3], 0 offen offset:12
	buffer_load_dword v120, v113, s[0:3], 0 offen
	buffer_load_dword v121, v113, s[0:3], 0 offen offset:4
	s_waitcnt vmcnt(2) lgkmcnt(0)
	v_mul_f64 v[122:123], v[3:4], v[116:117]
	v_mul_f64 v[116:117], v[1:2], v[116:117]
	s_waitcnt vmcnt(0)
	v_fma_f64 v[1:2], v[1:2], v[120:121], -v[122:123]
	v_fma_f64 v[3:4], v[3:4], v[120:121], v[116:117]
.LBB117_682:
	s_mov_b32 s6, exec_lo
	v_cmpx_ne_u32_e32 32, v0
	s_cbranch_execz .LBB117_686
; %bb.683:
	v_add_nc_u32_e32 v116, 0x370, v119
	v_add3_u32 v117, 0, v119, 16
	v_mov_b32_e32 v118, v0
	s_mov_b32 s8, 0
	.p2align	6
.LBB117_684:                            ; =>This Inner Loop Header: Depth=1
	s_clause 0x3
	buffer_load_dword v124, v117, s[0:3], 0 offen offset:8
	buffer_load_dword v125, v117, s[0:3], 0 offen offset:12
	buffer_load_dword v126, v117, s[0:3], 0 offen
	buffer_load_dword v127, v117, s[0:3], 0 offen offset:4
	ds_read_b128 v[120:123], v116
	v_add_nc_u32_e32 v118, 1, v118
	v_add_nc_u32_e32 v116, 16, v116
	;; [unrolled: 1-line block ×3, first 2 shown]
	v_cmp_lt_u32_e32 vcc_lo, 31, v118
	s_or_b32 s8, vcc_lo, s8
	s_waitcnt vmcnt(2) lgkmcnt(0)
	v_mul_f64 v[128:129], v[122:123], v[124:125]
	v_mul_f64 v[124:125], v[120:121], v[124:125]
	s_waitcnt vmcnt(0)
	v_fma_f64 v[120:121], v[120:121], v[126:127], -v[128:129]
	v_fma_f64 v[122:123], v[122:123], v[126:127], v[124:125]
	v_add_f64 v[1:2], v[1:2], v[120:121]
	v_add_f64 v[3:4], v[3:4], v[122:123]
	s_andn2_b32 exec_lo, exec_lo, s8
	s_cbranch_execnz .LBB117_684
; %bb.685:
	s_or_b32 exec_lo, exec_lo, s8
.LBB117_686:
	s_or_b32 exec_lo, exec_lo, s6
	v_mov_b32_e32 v116, 0
	ds_read_b128 v[120:123], v116 offset:528
	s_waitcnt lgkmcnt(0)
	v_mul_f64 v[116:117], v[3:4], v[122:123]
	v_mul_f64 v[122:123], v[1:2], v[122:123]
	v_fma_f64 v[1:2], v[1:2], v[120:121], -v[116:117]
	v_fma_f64 v[3:4], v[3:4], v[120:121], v[122:123]
	buffer_store_dword v2, off, s[0:3], 0 offset:532
	buffer_store_dword v1, off, s[0:3], 0 offset:528
	;; [unrolled: 1-line block ×4, first 2 shown]
.LBB117_687:
	s_or_b32 exec_lo, exec_lo, s4
	v_mov_b32_e32 v4, s27
	s_mov_b32 s4, exec_lo
	s_clause 0x3
	buffer_load_dword v1, v4, s[0:3], 0 offen
	buffer_load_dword v2, v4, s[0:3], 0 offen offset:4
	buffer_load_dword v3, v4, s[0:3], 0 offen offset:8
	;; [unrolled: 1-line block ×3, first 2 shown]
	s_waitcnt vmcnt(0)
	ds_write_b128 v114, v[1:4]
	s_waitcnt lgkmcnt(0)
	s_waitcnt_vscnt null, 0x0
	s_barrier
	buffer_gl0_inv
	v_cmpx_gt_u32_e32 34, v0
	s_cbranch_execz .LBB117_695
; %bb.688:
	ds_read_b128 v[1:4], v114
	v_cmp_ne_u32_e32 vcc_lo, 1, v115
	s_cbranch_vccnz .LBB117_690
; %bb.689:
	s_clause 0x3
	buffer_load_dword v116, v113, s[0:3], 0 offen offset:8
	buffer_load_dword v117, v113, s[0:3], 0 offen offset:12
	buffer_load_dword v120, v113, s[0:3], 0 offen
	buffer_load_dword v121, v113, s[0:3], 0 offen offset:4
	s_waitcnt vmcnt(2) lgkmcnt(0)
	v_mul_f64 v[122:123], v[3:4], v[116:117]
	v_mul_f64 v[116:117], v[1:2], v[116:117]
	s_waitcnt vmcnt(0)
	v_fma_f64 v[1:2], v[1:2], v[120:121], -v[122:123]
	v_fma_f64 v[3:4], v[3:4], v[120:121], v[116:117]
.LBB117_690:
	s_mov_b32 s6, exec_lo
	v_cmpx_ne_u32_e32 33, v0
	s_cbranch_execz .LBB117_694
; %bb.691:
	v_add_nc_u32_e32 v116, 0x370, v119
	v_add3_u32 v117, 0, v119, 16
	v_mov_b32_e32 v118, v0
	s_mov_b32 s8, 0
	.p2align	6
.LBB117_692:                            ; =>This Inner Loop Header: Depth=1
	s_clause 0x3
	buffer_load_dword v124, v117, s[0:3], 0 offen offset:8
	buffer_load_dword v125, v117, s[0:3], 0 offen offset:12
	buffer_load_dword v126, v117, s[0:3], 0 offen
	buffer_load_dword v127, v117, s[0:3], 0 offen offset:4
	ds_read_b128 v[120:123], v116
	v_add_nc_u32_e32 v118, 1, v118
	v_add_nc_u32_e32 v116, 16, v116
	;; [unrolled: 1-line block ×3, first 2 shown]
	v_cmp_lt_u32_e32 vcc_lo, 32, v118
	s_or_b32 s8, vcc_lo, s8
	s_waitcnt vmcnt(2) lgkmcnt(0)
	v_mul_f64 v[128:129], v[122:123], v[124:125]
	v_mul_f64 v[124:125], v[120:121], v[124:125]
	s_waitcnt vmcnt(0)
	v_fma_f64 v[120:121], v[120:121], v[126:127], -v[128:129]
	v_fma_f64 v[122:123], v[122:123], v[126:127], v[124:125]
	v_add_f64 v[1:2], v[1:2], v[120:121]
	v_add_f64 v[3:4], v[3:4], v[122:123]
	s_andn2_b32 exec_lo, exec_lo, s8
	s_cbranch_execnz .LBB117_692
; %bb.693:
	s_or_b32 exec_lo, exec_lo, s8
.LBB117_694:
	s_or_b32 exec_lo, exec_lo, s6
	v_mov_b32_e32 v116, 0
	ds_read_b128 v[120:123], v116 offset:544
	s_waitcnt lgkmcnt(0)
	v_mul_f64 v[116:117], v[3:4], v[122:123]
	v_mul_f64 v[122:123], v[1:2], v[122:123]
	v_fma_f64 v[1:2], v[1:2], v[120:121], -v[116:117]
	v_fma_f64 v[3:4], v[3:4], v[120:121], v[122:123]
	buffer_store_dword v2, off, s[0:3], 0 offset:548
	buffer_store_dword v1, off, s[0:3], 0 offset:544
	buffer_store_dword v4, off, s[0:3], 0 offset:556
	buffer_store_dword v3, off, s[0:3], 0 offset:552
.LBB117_695:
	s_or_b32 exec_lo, exec_lo, s4
	v_mov_b32_e32 v4, s26
	s_mov_b32 s4, exec_lo
	s_clause 0x3
	buffer_load_dword v1, v4, s[0:3], 0 offen
	buffer_load_dword v2, v4, s[0:3], 0 offen offset:4
	buffer_load_dword v3, v4, s[0:3], 0 offen offset:8
	;; [unrolled: 1-line block ×3, first 2 shown]
	s_waitcnt vmcnt(0)
	ds_write_b128 v114, v[1:4]
	s_waitcnt lgkmcnt(0)
	s_waitcnt_vscnt null, 0x0
	s_barrier
	buffer_gl0_inv
	v_cmpx_gt_u32_e32 35, v0
	s_cbranch_execz .LBB117_703
; %bb.696:
	ds_read_b128 v[1:4], v114
	v_cmp_ne_u32_e32 vcc_lo, 1, v115
	s_cbranch_vccnz .LBB117_698
; %bb.697:
	s_clause 0x3
	buffer_load_dword v116, v113, s[0:3], 0 offen offset:8
	buffer_load_dword v117, v113, s[0:3], 0 offen offset:12
	buffer_load_dword v120, v113, s[0:3], 0 offen
	buffer_load_dword v121, v113, s[0:3], 0 offen offset:4
	s_waitcnt vmcnt(2) lgkmcnt(0)
	v_mul_f64 v[122:123], v[3:4], v[116:117]
	v_mul_f64 v[116:117], v[1:2], v[116:117]
	s_waitcnt vmcnt(0)
	v_fma_f64 v[1:2], v[1:2], v[120:121], -v[122:123]
	v_fma_f64 v[3:4], v[3:4], v[120:121], v[116:117]
.LBB117_698:
	s_mov_b32 s6, exec_lo
	v_cmpx_ne_u32_e32 34, v0
	s_cbranch_execz .LBB117_702
; %bb.699:
	v_add_nc_u32_e32 v116, 0x370, v119
	v_add3_u32 v117, 0, v119, 16
	v_mov_b32_e32 v118, v0
	s_mov_b32 s8, 0
	.p2align	6
.LBB117_700:                            ; =>This Inner Loop Header: Depth=1
	s_clause 0x3
	buffer_load_dword v124, v117, s[0:3], 0 offen offset:8
	buffer_load_dword v125, v117, s[0:3], 0 offen offset:12
	buffer_load_dword v126, v117, s[0:3], 0 offen
	buffer_load_dword v127, v117, s[0:3], 0 offen offset:4
	ds_read_b128 v[120:123], v116
	v_add_nc_u32_e32 v118, 1, v118
	v_add_nc_u32_e32 v116, 16, v116
	v_add_nc_u32_e32 v117, 16, v117
	v_cmp_lt_u32_e32 vcc_lo, 33, v118
	s_or_b32 s8, vcc_lo, s8
	s_waitcnt vmcnt(2) lgkmcnt(0)
	v_mul_f64 v[128:129], v[122:123], v[124:125]
	v_mul_f64 v[124:125], v[120:121], v[124:125]
	s_waitcnt vmcnt(0)
	v_fma_f64 v[120:121], v[120:121], v[126:127], -v[128:129]
	v_fma_f64 v[122:123], v[122:123], v[126:127], v[124:125]
	v_add_f64 v[1:2], v[1:2], v[120:121]
	v_add_f64 v[3:4], v[3:4], v[122:123]
	s_andn2_b32 exec_lo, exec_lo, s8
	s_cbranch_execnz .LBB117_700
; %bb.701:
	s_or_b32 exec_lo, exec_lo, s8
.LBB117_702:
	s_or_b32 exec_lo, exec_lo, s6
	v_mov_b32_e32 v116, 0
	ds_read_b128 v[120:123], v116 offset:560
	s_waitcnt lgkmcnt(0)
	v_mul_f64 v[116:117], v[3:4], v[122:123]
	v_mul_f64 v[122:123], v[1:2], v[122:123]
	v_fma_f64 v[1:2], v[1:2], v[120:121], -v[116:117]
	v_fma_f64 v[3:4], v[3:4], v[120:121], v[122:123]
	buffer_store_dword v2, off, s[0:3], 0 offset:564
	buffer_store_dword v1, off, s[0:3], 0 offset:560
	;; [unrolled: 1-line block ×4, first 2 shown]
.LBB117_703:
	s_or_b32 exec_lo, exec_lo, s4
	v_mov_b32_e32 v4, s25
	s_mov_b32 s4, exec_lo
	s_clause 0x3
	buffer_load_dword v1, v4, s[0:3], 0 offen
	buffer_load_dword v2, v4, s[0:3], 0 offen offset:4
	buffer_load_dword v3, v4, s[0:3], 0 offen offset:8
	buffer_load_dword v4, v4, s[0:3], 0 offen offset:12
	s_waitcnt vmcnt(0)
	ds_write_b128 v114, v[1:4]
	s_waitcnt lgkmcnt(0)
	s_waitcnt_vscnt null, 0x0
	s_barrier
	buffer_gl0_inv
	v_cmpx_gt_u32_e32 36, v0
	s_cbranch_execz .LBB117_711
; %bb.704:
	ds_read_b128 v[1:4], v114
	v_cmp_ne_u32_e32 vcc_lo, 1, v115
	s_cbranch_vccnz .LBB117_706
; %bb.705:
	s_clause 0x3
	buffer_load_dword v116, v113, s[0:3], 0 offen offset:8
	buffer_load_dword v117, v113, s[0:3], 0 offen offset:12
	buffer_load_dword v120, v113, s[0:3], 0 offen
	buffer_load_dword v121, v113, s[0:3], 0 offen offset:4
	s_waitcnt vmcnt(2) lgkmcnt(0)
	v_mul_f64 v[122:123], v[3:4], v[116:117]
	v_mul_f64 v[116:117], v[1:2], v[116:117]
	s_waitcnt vmcnt(0)
	v_fma_f64 v[1:2], v[1:2], v[120:121], -v[122:123]
	v_fma_f64 v[3:4], v[3:4], v[120:121], v[116:117]
.LBB117_706:
	s_mov_b32 s6, exec_lo
	v_cmpx_ne_u32_e32 35, v0
	s_cbranch_execz .LBB117_710
; %bb.707:
	v_add_nc_u32_e32 v116, 0x370, v119
	v_add3_u32 v117, 0, v119, 16
	v_mov_b32_e32 v118, v0
	s_mov_b32 s8, 0
	.p2align	6
.LBB117_708:                            ; =>This Inner Loop Header: Depth=1
	s_clause 0x3
	buffer_load_dword v124, v117, s[0:3], 0 offen offset:8
	buffer_load_dword v125, v117, s[0:3], 0 offen offset:12
	buffer_load_dword v126, v117, s[0:3], 0 offen
	buffer_load_dword v127, v117, s[0:3], 0 offen offset:4
	ds_read_b128 v[120:123], v116
	v_add_nc_u32_e32 v118, 1, v118
	v_add_nc_u32_e32 v116, 16, v116
	;; [unrolled: 1-line block ×3, first 2 shown]
	v_cmp_lt_u32_e32 vcc_lo, 34, v118
	s_or_b32 s8, vcc_lo, s8
	s_waitcnt vmcnt(2) lgkmcnt(0)
	v_mul_f64 v[128:129], v[122:123], v[124:125]
	v_mul_f64 v[124:125], v[120:121], v[124:125]
	s_waitcnt vmcnt(0)
	v_fma_f64 v[120:121], v[120:121], v[126:127], -v[128:129]
	v_fma_f64 v[122:123], v[122:123], v[126:127], v[124:125]
	v_add_f64 v[1:2], v[1:2], v[120:121]
	v_add_f64 v[3:4], v[3:4], v[122:123]
	s_andn2_b32 exec_lo, exec_lo, s8
	s_cbranch_execnz .LBB117_708
; %bb.709:
	s_or_b32 exec_lo, exec_lo, s8
.LBB117_710:
	s_or_b32 exec_lo, exec_lo, s6
	v_mov_b32_e32 v116, 0
	ds_read_b128 v[120:123], v116 offset:576
	s_waitcnt lgkmcnt(0)
	v_mul_f64 v[116:117], v[3:4], v[122:123]
	v_mul_f64 v[122:123], v[1:2], v[122:123]
	v_fma_f64 v[1:2], v[1:2], v[120:121], -v[116:117]
	v_fma_f64 v[3:4], v[3:4], v[120:121], v[122:123]
	buffer_store_dword v2, off, s[0:3], 0 offset:580
	buffer_store_dword v1, off, s[0:3], 0 offset:576
	;; [unrolled: 1-line block ×4, first 2 shown]
.LBB117_711:
	s_or_b32 exec_lo, exec_lo, s4
	v_mov_b32_e32 v4, s24
	s_mov_b32 s4, exec_lo
	s_clause 0x3
	buffer_load_dword v1, v4, s[0:3], 0 offen
	buffer_load_dword v2, v4, s[0:3], 0 offen offset:4
	buffer_load_dword v3, v4, s[0:3], 0 offen offset:8
	;; [unrolled: 1-line block ×3, first 2 shown]
	s_waitcnt vmcnt(0)
	ds_write_b128 v114, v[1:4]
	s_waitcnt lgkmcnt(0)
	s_waitcnt_vscnt null, 0x0
	s_barrier
	buffer_gl0_inv
	v_cmpx_gt_u32_e32 37, v0
	s_cbranch_execz .LBB117_719
; %bb.712:
	ds_read_b128 v[1:4], v114
	v_cmp_ne_u32_e32 vcc_lo, 1, v115
	s_cbranch_vccnz .LBB117_714
; %bb.713:
	s_clause 0x3
	buffer_load_dword v116, v113, s[0:3], 0 offen offset:8
	buffer_load_dword v117, v113, s[0:3], 0 offen offset:12
	buffer_load_dword v120, v113, s[0:3], 0 offen
	buffer_load_dword v121, v113, s[0:3], 0 offen offset:4
	s_waitcnt vmcnt(2) lgkmcnt(0)
	v_mul_f64 v[122:123], v[3:4], v[116:117]
	v_mul_f64 v[116:117], v[1:2], v[116:117]
	s_waitcnt vmcnt(0)
	v_fma_f64 v[1:2], v[1:2], v[120:121], -v[122:123]
	v_fma_f64 v[3:4], v[3:4], v[120:121], v[116:117]
.LBB117_714:
	s_mov_b32 s6, exec_lo
	v_cmpx_ne_u32_e32 36, v0
	s_cbranch_execz .LBB117_718
; %bb.715:
	v_add_nc_u32_e32 v116, 0x370, v119
	v_add3_u32 v117, 0, v119, 16
	v_mov_b32_e32 v118, v0
	s_mov_b32 s8, 0
	.p2align	6
.LBB117_716:                            ; =>This Inner Loop Header: Depth=1
	s_clause 0x3
	buffer_load_dword v124, v117, s[0:3], 0 offen offset:8
	buffer_load_dword v125, v117, s[0:3], 0 offen offset:12
	buffer_load_dword v126, v117, s[0:3], 0 offen
	buffer_load_dword v127, v117, s[0:3], 0 offen offset:4
	ds_read_b128 v[120:123], v116
	v_add_nc_u32_e32 v118, 1, v118
	v_add_nc_u32_e32 v116, 16, v116
	;; [unrolled: 1-line block ×3, first 2 shown]
	v_cmp_lt_u32_e32 vcc_lo, 35, v118
	s_or_b32 s8, vcc_lo, s8
	s_waitcnt vmcnt(2) lgkmcnt(0)
	v_mul_f64 v[128:129], v[122:123], v[124:125]
	v_mul_f64 v[124:125], v[120:121], v[124:125]
	s_waitcnt vmcnt(0)
	v_fma_f64 v[120:121], v[120:121], v[126:127], -v[128:129]
	v_fma_f64 v[122:123], v[122:123], v[126:127], v[124:125]
	v_add_f64 v[1:2], v[1:2], v[120:121]
	v_add_f64 v[3:4], v[3:4], v[122:123]
	s_andn2_b32 exec_lo, exec_lo, s8
	s_cbranch_execnz .LBB117_716
; %bb.717:
	s_or_b32 exec_lo, exec_lo, s8
.LBB117_718:
	s_or_b32 exec_lo, exec_lo, s6
	v_mov_b32_e32 v116, 0
	ds_read_b128 v[120:123], v116 offset:592
	s_waitcnt lgkmcnt(0)
	v_mul_f64 v[116:117], v[3:4], v[122:123]
	v_mul_f64 v[122:123], v[1:2], v[122:123]
	v_fma_f64 v[1:2], v[1:2], v[120:121], -v[116:117]
	v_fma_f64 v[3:4], v[3:4], v[120:121], v[122:123]
	buffer_store_dword v2, off, s[0:3], 0 offset:596
	buffer_store_dword v1, off, s[0:3], 0 offset:592
	;; [unrolled: 1-line block ×4, first 2 shown]
.LBB117_719:
	s_or_b32 exec_lo, exec_lo, s4
	v_mov_b32_e32 v4, s23
	s_mov_b32 s4, exec_lo
	s_clause 0x3
	buffer_load_dword v1, v4, s[0:3], 0 offen
	buffer_load_dword v2, v4, s[0:3], 0 offen offset:4
	buffer_load_dword v3, v4, s[0:3], 0 offen offset:8
	;; [unrolled: 1-line block ×3, first 2 shown]
	s_waitcnt vmcnt(0)
	ds_write_b128 v114, v[1:4]
	s_waitcnt lgkmcnt(0)
	s_waitcnt_vscnt null, 0x0
	s_barrier
	buffer_gl0_inv
	v_cmpx_gt_u32_e32 38, v0
	s_cbranch_execz .LBB117_727
; %bb.720:
	ds_read_b128 v[1:4], v114
	v_cmp_ne_u32_e32 vcc_lo, 1, v115
	s_cbranch_vccnz .LBB117_722
; %bb.721:
	s_clause 0x3
	buffer_load_dword v116, v113, s[0:3], 0 offen offset:8
	buffer_load_dword v117, v113, s[0:3], 0 offen offset:12
	buffer_load_dword v120, v113, s[0:3], 0 offen
	buffer_load_dword v121, v113, s[0:3], 0 offen offset:4
	s_waitcnt vmcnt(2) lgkmcnt(0)
	v_mul_f64 v[122:123], v[3:4], v[116:117]
	v_mul_f64 v[116:117], v[1:2], v[116:117]
	s_waitcnt vmcnt(0)
	v_fma_f64 v[1:2], v[1:2], v[120:121], -v[122:123]
	v_fma_f64 v[3:4], v[3:4], v[120:121], v[116:117]
.LBB117_722:
	s_mov_b32 s6, exec_lo
	v_cmpx_ne_u32_e32 37, v0
	s_cbranch_execz .LBB117_726
; %bb.723:
	v_add_nc_u32_e32 v116, 0x370, v119
	v_add3_u32 v117, 0, v119, 16
	v_mov_b32_e32 v118, v0
	s_mov_b32 s8, 0
	.p2align	6
.LBB117_724:                            ; =>This Inner Loop Header: Depth=1
	s_clause 0x3
	buffer_load_dword v124, v117, s[0:3], 0 offen offset:8
	buffer_load_dword v125, v117, s[0:3], 0 offen offset:12
	buffer_load_dword v126, v117, s[0:3], 0 offen
	buffer_load_dword v127, v117, s[0:3], 0 offen offset:4
	ds_read_b128 v[120:123], v116
	v_add_nc_u32_e32 v118, 1, v118
	v_add_nc_u32_e32 v116, 16, v116
	;; [unrolled: 1-line block ×3, first 2 shown]
	v_cmp_lt_u32_e32 vcc_lo, 36, v118
	s_or_b32 s8, vcc_lo, s8
	s_waitcnt vmcnt(2) lgkmcnt(0)
	v_mul_f64 v[128:129], v[122:123], v[124:125]
	v_mul_f64 v[124:125], v[120:121], v[124:125]
	s_waitcnt vmcnt(0)
	v_fma_f64 v[120:121], v[120:121], v[126:127], -v[128:129]
	v_fma_f64 v[122:123], v[122:123], v[126:127], v[124:125]
	v_add_f64 v[1:2], v[1:2], v[120:121]
	v_add_f64 v[3:4], v[3:4], v[122:123]
	s_andn2_b32 exec_lo, exec_lo, s8
	s_cbranch_execnz .LBB117_724
; %bb.725:
	s_or_b32 exec_lo, exec_lo, s8
.LBB117_726:
	s_or_b32 exec_lo, exec_lo, s6
	v_mov_b32_e32 v116, 0
	ds_read_b128 v[120:123], v116 offset:608
	s_waitcnt lgkmcnt(0)
	v_mul_f64 v[116:117], v[3:4], v[122:123]
	v_mul_f64 v[122:123], v[1:2], v[122:123]
	v_fma_f64 v[1:2], v[1:2], v[120:121], -v[116:117]
	v_fma_f64 v[3:4], v[3:4], v[120:121], v[122:123]
	buffer_store_dword v2, off, s[0:3], 0 offset:612
	buffer_store_dword v1, off, s[0:3], 0 offset:608
	;; [unrolled: 1-line block ×4, first 2 shown]
.LBB117_727:
	s_or_b32 exec_lo, exec_lo, s4
	v_mov_b32_e32 v4, s22
	s_mov_b32 s4, exec_lo
	s_clause 0x3
	buffer_load_dword v1, v4, s[0:3], 0 offen
	buffer_load_dword v2, v4, s[0:3], 0 offen offset:4
	buffer_load_dword v3, v4, s[0:3], 0 offen offset:8
	;; [unrolled: 1-line block ×3, first 2 shown]
	s_waitcnt vmcnt(0)
	ds_write_b128 v114, v[1:4]
	s_waitcnt lgkmcnt(0)
	s_waitcnt_vscnt null, 0x0
	s_barrier
	buffer_gl0_inv
	v_cmpx_gt_u32_e32 39, v0
	s_cbranch_execz .LBB117_735
; %bb.728:
	ds_read_b128 v[1:4], v114
	v_cmp_ne_u32_e32 vcc_lo, 1, v115
	s_cbranch_vccnz .LBB117_730
; %bb.729:
	s_clause 0x3
	buffer_load_dword v116, v113, s[0:3], 0 offen offset:8
	buffer_load_dword v117, v113, s[0:3], 0 offen offset:12
	buffer_load_dword v120, v113, s[0:3], 0 offen
	buffer_load_dword v121, v113, s[0:3], 0 offen offset:4
	s_waitcnt vmcnt(2) lgkmcnt(0)
	v_mul_f64 v[122:123], v[3:4], v[116:117]
	v_mul_f64 v[116:117], v[1:2], v[116:117]
	s_waitcnt vmcnt(0)
	v_fma_f64 v[1:2], v[1:2], v[120:121], -v[122:123]
	v_fma_f64 v[3:4], v[3:4], v[120:121], v[116:117]
.LBB117_730:
	s_mov_b32 s6, exec_lo
	v_cmpx_ne_u32_e32 38, v0
	s_cbranch_execz .LBB117_734
; %bb.731:
	v_add_nc_u32_e32 v116, 0x370, v119
	v_add3_u32 v117, 0, v119, 16
	v_mov_b32_e32 v118, v0
	s_mov_b32 s8, 0
	.p2align	6
.LBB117_732:                            ; =>This Inner Loop Header: Depth=1
	s_clause 0x3
	buffer_load_dword v124, v117, s[0:3], 0 offen offset:8
	buffer_load_dword v125, v117, s[0:3], 0 offen offset:12
	buffer_load_dword v126, v117, s[0:3], 0 offen
	buffer_load_dword v127, v117, s[0:3], 0 offen offset:4
	ds_read_b128 v[120:123], v116
	v_add_nc_u32_e32 v118, 1, v118
	v_add_nc_u32_e32 v116, 16, v116
	;; [unrolled: 1-line block ×3, first 2 shown]
	v_cmp_lt_u32_e32 vcc_lo, 37, v118
	s_or_b32 s8, vcc_lo, s8
	s_waitcnt vmcnt(2) lgkmcnt(0)
	v_mul_f64 v[128:129], v[122:123], v[124:125]
	v_mul_f64 v[124:125], v[120:121], v[124:125]
	s_waitcnt vmcnt(0)
	v_fma_f64 v[120:121], v[120:121], v[126:127], -v[128:129]
	v_fma_f64 v[122:123], v[122:123], v[126:127], v[124:125]
	v_add_f64 v[1:2], v[1:2], v[120:121]
	v_add_f64 v[3:4], v[3:4], v[122:123]
	s_andn2_b32 exec_lo, exec_lo, s8
	s_cbranch_execnz .LBB117_732
; %bb.733:
	s_or_b32 exec_lo, exec_lo, s8
.LBB117_734:
	s_or_b32 exec_lo, exec_lo, s6
	v_mov_b32_e32 v116, 0
	ds_read_b128 v[120:123], v116 offset:624
	s_waitcnt lgkmcnt(0)
	v_mul_f64 v[116:117], v[3:4], v[122:123]
	v_mul_f64 v[122:123], v[1:2], v[122:123]
	v_fma_f64 v[1:2], v[1:2], v[120:121], -v[116:117]
	v_fma_f64 v[3:4], v[3:4], v[120:121], v[122:123]
	buffer_store_dword v2, off, s[0:3], 0 offset:628
	buffer_store_dword v1, off, s[0:3], 0 offset:624
	;; [unrolled: 1-line block ×4, first 2 shown]
.LBB117_735:
	s_or_b32 exec_lo, exec_lo, s4
	v_mov_b32_e32 v4, s21
	s_mov_b32 s4, exec_lo
	s_clause 0x3
	buffer_load_dword v1, v4, s[0:3], 0 offen
	buffer_load_dword v2, v4, s[0:3], 0 offen offset:4
	buffer_load_dword v3, v4, s[0:3], 0 offen offset:8
	;; [unrolled: 1-line block ×3, first 2 shown]
	s_waitcnt vmcnt(0)
	ds_write_b128 v114, v[1:4]
	s_waitcnt lgkmcnt(0)
	s_waitcnt_vscnt null, 0x0
	s_barrier
	buffer_gl0_inv
	v_cmpx_gt_u32_e32 40, v0
	s_cbranch_execz .LBB117_743
; %bb.736:
	ds_read_b128 v[1:4], v114
	v_cmp_ne_u32_e32 vcc_lo, 1, v115
	s_cbranch_vccnz .LBB117_738
; %bb.737:
	s_clause 0x3
	buffer_load_dword v116, v113, s[0:3], 0 offen offset:8
	buffer_load_dword v117, v113, s[0:3], 0 offen offset:12
	buffer_load_dword v120, v113, s[0:3], 0 offen
	buffer_load_dword v121, v113, s[0:3], 0 offen offset:4
	s_waitcnt vmcnt(2) lgkmcnt(0)
	v_mul_f64 v[122:123], v[3:4], v[116:117]
	v_mul_f64 v[116:117], v[1:2], v[116:117]
	s_waitcnt vmcnt(0)
	v_fma_f64 v[1:2], v[1:2], v[120:121], -v[122:123]
	v_fma_f64 v[3:4], v[3:4], v[120:121], v[116:117]
.LBB117_738:
	s_mov_b32 s6, exec_lo
	v_cmpx_ne_u32_e32 39, v0
	s_cbranch_execz .LBB117_742
; %bb.739:
	v_add_nc_u32_e32 v116, 0x370, v119
	v_add3_u32 v117, 0, v119, 16
	v_mov_b32_e32 v118, v0
	s_mov_b32 s8, 0
	.p2align	6
.LBB117_740:                            ; =>This Inner Loop Header: Depth=1
	s_clause 0x3
	buffer_load_dword v124, v117, s[0:3], 0 offen offset:8
	buffer_load_dword v125, v117, s[0:3], 0 offen offset:12
	buffer_load_dword v126, v117, s[0:3], 0 offen
	buffer_load_dword v127, v117, s[0:3], 0 offen offset:4
	ds_read_b128 v[120:123], v116
	v_add_nc_u32_e32 v118, 1, v118
	v_add_nc_u32_e32 v116, 16, v116
	;; [unrolled: 1-line block ×3, first 2 shown]
	v_cmp_lt_u32_e32 vcc_lo, 38, v118
	s_or_b32 s8, vcc_lo, s8
	s_waitcnt vmcnt(2) lgkmcnt(0)
	v_mul_f64 v[128:129], v[122:123], v[124:125]
	v_mul_f64 v[124:125], v[120:121], v[124:125]
	s_waitcnt vmcnt(0)
	v_fma_f64 v[120:121], v[120:121], v[126:127], -v[128:129]
	v_fma_f64 v[122:123], v[122:123], v[126:127], v[124:125]
	v_add_f64 v[1:2], v[1:2], v[120:121]
	v_add_f64 v[3:4], v[3:4], v[122:123]
	s_andn2_b32 exec_lo, exec_lo, s8
	s_cbranch_execnz .LBB117_740
; %bb.741:
	s_or_b32 exec_lo, exec_lo, s8
.LBB117_742:
	s_or_b32 exec_lo, exec_lo, s6
	v_mov_b32_e32 v116, 0
	ds_read_b128 v[120:123], v116 offset:640
	s_waitcnt lgkmcnt(0)
	v_mul_f64 v[116:117], v[3:4], v[122:123]
	v_mul_f64 v[122:123], v[1:2], v[122:123]
	v_fma_f64 v[1:2], v[1:2], v[120:121], -v[116:117]
	v_fma_f64 v[3:4], v[3:4], v[120:121], v[122:123]
	buffer_store_dword v2, off, s[0:3], 0 offset:644
	buffer_store_dword v1, off, s[0:3], 0 offset:640
	;; [unrolled: 1-line block ×4, first 2 shown]
.LBB117_743:
	s_or_b32 exec_lo, exec_lo, s4
	v_mov_b32_e32 v4, s20
	s_mov_b32 s4, exec_lo
	s_clause 0x3
	buffer_load_dword v1, v4, s[0:3], 0 offen
	buffer_load_dword v2, v4, s[0:3], 0 offen offset:4
	buffer_load_dword v3, v4, s[0:3], 0 offen offset:8
	;; [unrolled: 1-line block ×3, first 2 shown]
	s_waitcnt vmcnt(0)
	ds_write_b128 v114, v[1:4]
	s_waitcnt lgkmcnt(0)
	s_waitcnt_vscnt null, 0x0
	s_barrier
	buffer_gl0_inv
	v_cmpx_gt_u32_e32 41, v0
	s_cbranch_execz .LBB117_751
; %bb.744:
	ds_read_b128 v[1:4], v114
	v_cmp_ne_u32_e32 vcc_lo, 1, v115
	s_cbranch_vccnz .LBB117_746
; %bb.745:
	s_clause 0x3
	buffer_load_dword v116, v113, s[0:3], 0 offen offset:8
	buffer_load_dword v117, v113, s[0:3], 0 offen offset:12
	buffer_load_dword v120, v113, s[0:3], 0 offen
	buffer_load_dword v121, v113, s[0:3], 0 offen offset:4
	s_waitcnt vmcnt(2) lgkmcnt(0)
	v_mul_f64 v[122:123], v[3:4], v[116:117]
	v_mul_f64 v[116:117], v[1:2], v[116:117]
	s_waitcnt vmcnt(0)
	v_fma_f64 v[1:2], v[1:2], v[120:121], -v[122:123]
	v_fma_f64 v[3:4], v[3:4], v[120:121], v[116:117]
.LBB117_746:
	s_mov_b32 s6, exec_lo
	v_cmpx_ne_u32_e32 40, v0
	s_cbranch_execz .LBB117_750
; %bb.747:
	v_add_nc_u32_e32 v116, 0x370, v119
	v_add3_u32 v117, 0, v119, 16
	v_mov_b32_e32 v118, v0
	s_mov_b32 s8, 0
	.p2align	6
.LBB117_748:                            ; =>This Inner Loop Header: Depth=1
	s_clause 0x3
	buffer_load_dword v124, v117, s[0:3], 0 offen offset:8
	buffer_load_dword v125, v117, s[0:3], 0 offen offset:12
	buffer_load_dword v126, v117, s[0:3], 0 offen
	buffer_load_dword v127, v117, s[0:3], 0 offen offset:4
	ds_read_b128 v[120:123], v116
	v_add_nc_u32_e32 v118, 1, v118
	v_add_nc_u32_e32 v116, 16, v116
	;; [unrolled: 1-line block ×3, first 2 shown]
	v_cmp_lt_u32_e32 vcc_lo, 39, v118
	s_or_b32 s8, vcc_lo, s8
	s_waitcnt vmcnt(2) lgkmcnt(0)
	v_mul_f64 v[128:129], v[122:123], v[124:125]
	v_mul_f64 v[124:125], v[120:121], v[124:125]
	s_waitcnt vmcnt(0)
	v_fma_f64 v[120:121], v[120:121], v[126:127], -v[128:129]
	v_fma_f64 v[122:123], v[122:123], v[126:127], v[124:125]
	v_add_f64 v[1:2], v[1:2], v[120:121]
	v_add_f64 v[3:4], v[3:4], v[122:123]
	s_andn2_b32 exec_lo, exec_lo, s8
	s_cbranch_execnz .LBB117_748
; %bb.749:
	s_or_b32 exec_lo, exec_lo, s8
.LBB117_750:
	s_or_b32 exec_lo, exec_lo, s6
	v_mov_b32_e32 v116, 0
	ds_read_b128 v[120:123], v116 offset:656
	s_waitcnt lgkmcnt(0)
	v_mul_f64 v[116:117], v[3:4], v[122:123]
	v_mul_f64 v[122:123], v[1:2], v[122:123]
	v_fma_f64 v[1:2], v[1:2], v[120:121], -v[116:117]
	v_fma_f64 v[3:4], v[3:4], v[120:121], v[122:123]
	buffer_store_dword v2, off, s[0:3], 0 offset:660
	buffer_store_dword v1, off, s[0:3], 0 offset:656
	;; [unrolled: 1-line block ×4, first 2 shown]
.LBB117_751:
	s_or_b32 exec_lo, exec_lo, s4
	v_mov_b32_e32 v4, s19
	s_mov_b32 s4, exec_lo
	s_clause 0x3
	buffer_load_dword v1, v4, s[0:3], 0 offen
	buffer_load_dword v2, v4, s[0:3], 0 offen offset:4
	buffer_load_dword v3, v4, s[0:3], 0 offen offset:8
	;; [unrolled: 1-line block ×3, first 2 shown]
	s_waitcnt vmcnt(0)
	ds_write_b128 v114, v[1:4]
	s_waitcnt lgkmcnt(0)
	s_waitcnt_vscnt null, 0x0
	s_barrier
	buffer_gl0_inv
	v_cmpx_gt_u32_e32 42, v0
	s_cbranch_execz .LBB117_759
; %bb.752:
	ds_read_b128 v[1:4], v114
	v_cmp_ne_u32_e32 vcc_lo, 1, v115
	s_cbranch_vccnz .LBB117_754
; %bb.753:
	s_clause 0x3
	buffer_load_dword v116, v113, s[0:3], 0 offen offset:8
	buffer_load_dword v117, v113, s[0:3], 0 offen offset:12
	buffer_load_dword v120, v113, s[0:3], 0 offen
	buffer_load_dword v121, v113, s[0:3], 0 offen offset:4
	s_waitcnt vmcnt(2) lgkmcnt(0)
	v_mul_f64 v[122:123], v[3:4], v[116:117]
	v_mul_f64 v[116:117], v[1:2], v[116:117]
	s_waitcnt vmcnt(0)
	v_fma_f64 v[1:2], v[1:2], v[120:121], -v[122:123]
	v_fma_f64 v[3:4], v[3:4], v[120:121], v[116:117]
.LBB117_754:
	s_mov_b32 s6, exec_lo
	v_cmpx_ne_u32_e32 41, v0
	s_cbranch_execz .LBB117_758
; %bb.755:
	v_add_nc_u32_e32 v116, 0x370, v119
	v_add3_u32 v117, 0, v119, 16
	v_mov_b32_e32 v118, v0
	s_mov_b32 s8, 0
	.p2align	6
.LBB117_756:                            ; =>This Inner Loop Header: Depth=1
	s_clause 0x3
	buffer_load_dword v124, v117, s[0:3], 0 offen offset:8
	buffer_load_dword v125, v117, s[0:3], 0 offen offset:12
	buffer_load_dword v126, v117, s[0:3], 0 offen
	buffer_load_dword v127, v117, s[0:3], 0 offen offset:4
	ds_read_b128 v[120:123], v116
	v_add_nc_u32_e32 v118, 1, v118
	v_add_nc_u32_e32 v116, 16, v116
	;; [unrolled: 1-line block ×3, first 2 shown]
	v_cmp_lt_u32_e32 vcc_lo, 40, v118
	s_or_b32 s8, vcc_lo, s8
	s_waitcnt vmcnt(2) lgkmcnt(0)
	v_mul_f64 v[128:129], v[122:123], v[124:125]
	v_mul_f64 v[124:125], v[120:121], v[124:125]
	s_waitcnt vmcnt(0)
	v_fma_f64 v[120:121], v[120:121], v[126:127], -v[128:129]
	v_fma_f64 v[122:123], v[122:123], v[126:127], v[124:125]
	v_add_f64 v[1:2], v[1:2], v[120:121]
	v_add_f64 v[3:4], v[3:4], v[122:123]
	s_andn2_b32 exec_lo, exec_lo, s8
	s_cbranch_execnz .LBB117_756
; %bb.757:
	s_or_b32 exec_lo, exec_lo, s8
.LBB117_758:
	s_or_b32 exec_lo, exec_lo, s6
	v_mov_b32_e32 v116, 0
	ds_read_b128 v[120:123], v116 offset:672
	s_waitcnt lgkmcnt(0)
	v_mul_f64 v[116:117], v[3:4], v[122:123]
	v_mul_f64 v[122:123], v[1:2], v[122:123]
	v_fma_f64 v[1:2], v[1:2], v[120:121], -v[116:117]
	v_fma_f64 v[3:4], v[3:4], v[120:121], v[122:123]
	buffer_store_dword v2, off, s[0:3], 0 offset:676
	buffer_store_dword v1, off, s[0:3], 0 offset:672
	;; [unrolled: 1-line block ×4, first 2 shown]
.LBB117_759:
	s_or_b32 exec_lo, exec_lo, s4
	v_mov_b32_e32 v4, s18
	s_mov_b32 s4, exec_lo
	s_clause 0x3
	buffer_load_dword v1, v4, s[0:3], 0 offen
	buffer_load_dword v2, v4, s[0:3], 0 offen offset:4
	buffer_load_dword v3, v4, s[0:3], 0 offen offset:8
	;; [unrolled: 1-line block ×3, first 2 shown]
	s_waitcnt vmcnt(0)
	ds_write_b128 v114, v[1:4]
	s_waitcnt lgkmcnt(0)
	s_waitcnt_vscnt null, 0x0
	s_barrier
	buffer_gl0_inv
	v_cmpx_gt_u32_e32 43, v0
	s_cbranch_execz .LBB117_767
; %bb.760:
	ds_read_b128 v[1:4], v114
	v_cmp_ne_u32_e32 vcc_lo, 1, v115
	s_cbranch_vccnz .LBB117_762
; %bb.761:
	s_clause 0x3
	buffer_load_dword v116, v113, s[0:3], 0 offen offset:8
	buffer_load_dword v117, v113, s[0:3], 0 offen offset:12
	buffer_load_dword v120, v113, s[0:3], 0 offen
	buffer_load_dword v121, v113, s[0:3], 0 offen offset:4
	s_waitcnt vmcnt(2) lgkmcnt(0)
	v_mul_f64 v[122:123], v[3:4], v[116:117]
	v_mul_f64 v[116:117], v[1:2], v[116:117]
	s_waitcnt vmcnt(0)
	v_fma_f64 v[1:2], v[1:2], v[120:121], -v[122:123]
	v_fma_f64 v[3:4], v[3:4], v[120:121], v[116:117]
.LBB117_762:
	s_mov_b32 s6, exec_lo
	v_cmpx_ne_u32_e32 42, v0
	s_cbranch_execz .LBB117_766
; %bb.763:
	v_add_nc_u32_e32 v116, 0x370, v119
	v_add3_u32 v117, 0, v119, 16
	v_mov_b32_e32 v118, v0
	s_mov_b32 s8, 0
	.p2align	6
.LBB117_764:                            ; =>This Inner Loop Header: Depth=1
	s_clause 0x3
	buffer_load_dword v124, v117, s[0:3], 0 offen offset:8
	buffer_load_dword v125, v117, s[0:3], 0 offen offset:12
	buffer_load_dword v126, v117, s[0:3], 0 offen
	buffer_load_dword v127, v117, s[0:3], 0 offen offset:4
	ds_read_b128 v[120:123], v116
	v_add_nc_u32_e32 v118, 1, v118
	v_add_nc_u32_e32 v116, 16, v116
	;; [unrolled: 1-line block ×3, first 2 shown]
	v_cmp_lt_u32_e32 vcc_lo, 41, v118
	s_or_b32 s8, vcc_lo, s8
	s_waitcnt vmcnt(2) lgkmcnt(0)
	v_mul_f64 v[128:129], v[122:123], v[124:125]
	v_mul_f64 v[124:125], v[120:121], v[124:125]
	s_waitcnt vmcnt(0)
	v_fma_f64 v[120:121], v[120:121], v[126:127], -v[128:129]
	v_fma_f64 v[122:123], v[122:123], v[126:127], v[124:125]
	v_add_f64 v[1:2], v[1:2], v[120:121]
	v_add_f64 v[3:4], v[3:4], v[122:123]
	s_andn2_b32 exec_lo, exec_lo, s8
	s_cbranch_execnz .LBB117_764
; %bb.765:
	s_or_b32 exec_lo, exec_lo, s8
.LBB117_766:
	s_or_b32 exec_lo, exec_lo, s6
	v_mov_b32_e32 v116, 0
	ds_read_b128 v[120:123], v116 offset:688
	s_waitcnt lgkmcnt(0)
	v_mul_f64 v[116:117], v[3:4], v[122:123]
	v_mul_f64 v[122:123], v[1:2], v[122:123]
	v_fma_f64 v[1:2], v[1:2], v[120:121], -v[116:117]
	v_fma_f64 v[3:4], v[3:4], v[120:121], v[122:123]
	buffer_store_dword v2, off, s[0:3], 0 offset:692
	buffer_store_dword v1, off, s[0:3], 0 offset:688
	;; [unrolled: 1-line block ×4, first 2 shown]
.LBB117_767:
	s_or_b32 exec_lo, exec_lo, s4
	v_mov_b32_e32 v4, s17
	s_mov_b32 s4, exec_lo
	s_clause 0x3
	buffer_load_dword v1, v4, s[0:3], 0 offen
	buffer_load_dword v2, v4, s[0:3], 0 offen offset:4
	buffer_load_dword v3, v4, s[0:3], 0 offen offset:8
	;; [unrolled: 1-line block ×3, first 2 shown]
	s_waitcnt vmcnt(0)
	ds_write_b128 v114, v[1:4]
	s_waitcnt lgkmcnt(0)
	s_waitcnt_vscnt null, 0x0
	s_barrier
	buffer_gl0_inv
	v_cmpx_gt_u32_e32 44, v0
	s_cbranch_execz .LBB117_775
; %bb.768:
	ds_read_b128 v[1:4], v114
	v_cmp_ne_u32_e32 vcc_lo, 1, v115
	s_cbranch_vccnz .LBB117_770
; %bb.769:
	s_clause 0x3
	buffer_load_dword v116, v113, s[0:3], 0 offen offset:8
	buffer_load_dword v117, v113, s[0:3], 0 offen offset:12
	buffer_load_dword v120, v113, s[0:3], 0 offen
	buffer_load_dword v121, v113, s[0:3], 0 offen offset:4
	s_waitcnt vmcnt(2) lgkmcnt(0)
	v_mul_f64 v[122:123], v[3:4], v[116:117]
	v_mul_f64 v[116:117], v[1:2], v[116:117]
	s_waitcnt vmcnt(0)
	v_fma_f64 v[1:2], v[1:2], v[120:121], -v[122:123]
	v_fma_f64 v[3:4], v[3:4], v[120:121], v[116:117]
.LBB117_770:
	s_mov_b32 s6, exec_lo
	v_cmpx_ne_u32_e32 43, v0
	s_cbranch_execz .LBB117_774
; %bb.771:
	v_add_nc_u32_e32 v116, 0x370, v119
	v_add3_u32 v117, 0, v119, 16
	v_mov_b32_e32 v118, v0
	s_mov_b32 s8, 0
	.p2align	6
.LBB117_772:                            ; =>This Inner Loop Header: Depth=1
	s_clause 0x3
	buffer_load_dword v124, v117, s[0:3], 0 offen offset:8
	buffer_load_dword v125, v117, s[0:3], 0 offen offset:12
	buffer_load_dword v126, v117, s[0:3], 0 offen
	buffer_load_dword v127, v117, s[0:3], 0 offen offset:4
	ds_read_b128 v[120:123], v116
	v_add_nc_u32_e32 v118, 1, v118
	v_add_nc_u32_e32 v116, 16, v116
	;; [unrolled: 1-line block ×3, first 2 shown]
	v_cmp_lt_u32_e32 vcc_lo, 42, v118
	s_or_b32 s8, vcc_lo, s8
	s_waitcnt vmcnt(2) lgkmcnt(0)
	v_mul_f64 v[128:129], v[122:123], v[124:125]
	v_mul_f64 v[124:125], v[120:121], v[124:125]
	s_waitcnt vmcnt(0)
	v_fma_f64 v[120:121], v[120:121], v[126:127], -v[128:129]
	v_fma_f64 v[122:123], v[122:123], v[126:127], v[124:125]
	v_add_f64 v[1:2], v[1:2], v[120:121]
	v_add_f64 v[3:4], v[3:4], v[122:123]
	s_andn2_b32 exec_lo, exec_lo, s8
	s_cbranch_execnz .LBB117_772
; %bb.773:
	s_or_b32 exec_lo, exec_lo, s8
.LBB117_774:
	s_or_b32 exec_lo, exec_lo, s6
	v_mov_b32_e32 v116, 0
	ds_read_b128 v[120:123], v116 offset:704
	s_waitcnt lgkmcnt(0)
	v_mul_f64 v[116:117], v[3:4], v[122:123]
	v_mul_f64 v[122:123], v[1:2], v[122:123]
	v_fma_f64 v[1:2], v[1:2], v[120:121], -v[116:117]
	v_fma_f64 v[3:4], v[3:4], v[120:121], v[122:123]
	buffer_store_dword v2, off, s[0:3], 0 offset:708
	buffer_store_dword v1, off, s[0:3], 0 offset:704
	;; [unrolled: 1-line block ×4, first 2 shown]
.LBB117_775:
	s_or_b32 exec_lo, exec_lo, s4
	v_mov_b32_e32 v4, s16
	s_mov_b32 s4, exec_lo
	s_clause 0x3
	buffer_load_dword v1, v4, s[0:3], 0 offen
	buffer_load_dword v2, v4, s[0:3], 0 offen offset:4
	buffer_load_dword v3, v4, s[0:3], 0 offen offset:8
	;; [unrolled: 1-line block ×3, first 2 shown]
	s_waitcnt vmcnt(0)
	ds_write_b128 v114, v[1:4]
	s_waitcnt lgkmcnt(0)
	s_waitcnt_vscnt null, 0x0
	s_barrier
	buffer_gl0_inv
	v_cmpx_gt_u32_e32 45, v0
	s_cbranch_execz .LBB117_783
; %bb.776:
	ds_read_b128 v[1:4], v114
	v_cmp_ne_u32_e32 vcc_lo, 1, v115
	s_cbranch_vccnz .LBB117_778
; %bb.777:
	s_clause 0x3
	buffer_load_dword v116, v113, s[0:3], 0 offen offset:8
	buffer_load_dword v117, v113, s[0:3], 0 offen offset:12
	buffer_load_dword v120, v113, s[0:3], 0 offen
	buffer_load_dword v121, v113, s[0:3], 0 offen offset:4
	s_waitcnt vmcnt(2) lgkmcnt(0)
	v_mul_f64 v[122:123], v[3:4], v[116:117]
	v_mul_f64 v[116:117], v[1:2], v[116:117]
	s_waitcnt vmcnt(0)
	v_fma_f64 v[1:2], v[1:2], v[120:121], -v[122:123]
	v_fma_f64 v[3:4], v[3:4], v[120:121], v[116:117]
.LBB117_778:
	s_mov_b32 s6, exec_lo
	v_cmpx_ne_u32_e32 44, v0
	s_cbranch_execz .LBB117_782
; %bb.779:
	v_add_nc_u32_e32 v116, 0x370, v119
	v_add3_u32 v117, 0, v119, 16
	v_mov_b32_e32 v118, v0
	s_mov_b32 s8, 0
	.p2align	6
.LBB117_780:                            ; =>This Inner Loop Header: Depth=1
	s_clause 0x3
	buffer_load_dword v124, v117, s[0:3], 0 offen offset:8
	buffer_load_dword v125, v117, s[0:3], 0 offen offset:12
	buffer_load_dword v126, v117, s[0:3], 0 offen
	buffer_load_dword v127, v117, s[0:3], 0 offen offset:4
	ds_read_b128 v[120:123], v116
	v_add_nc_u32_e32 v118, 1, v118
	v_add_nc_u32_e32 v116, 16, v116
	v_add_nc_u32_e32 v117, 16, v117
	v_cmp_lt_u32_e32 vcc_lo, 43, v118
	s_or_b32 s8, vcc_lo, s8
	s_waitcnt vmcnt(2) lgkmcnt(0)
	v_mul_f64 v[128:129], v[122:123], v[124:125]
	v_mul_f64 v[124:125], v[120:121], v[124:125]
	s_waitcnt vmcnt(0)
	v_fma_f64 v[120:121], v[120:121], v[126:127], -v[128:129]
	v_fma_f64 v[122:123], v[122:123], v[126:127], v[124:125]
	v_add_f64 v[1:2], v[1:2], v[120:121]
	v_add_f64 v[3:4], v[3:4], v[122:123]
	s_andn2_b32 exec_lo, exec_lo, s8
	s_cbranch_execnz .LBB117_780
; %bb.781:
	s_or_b32 exec_lo, exec_lo, s8
.LBB117_782:
	s_or_b32 exec_lo, exec_lo, s6
	v_mov_b32_e32 v116, 0
	ds_read_b128 v[120:123], v116 offset:720
	s_waitcnt lgkmcnt(0)
	v_mul_f64 v[116:117], v[3:4], v[122:123]
	v_mul_f64 v[122:123], v[1:2], v[122:123]
	v_fma_f64 v[1:2], v[1:2], v[120:121], -v[116:117]
	v_fma_f64 v[3:4], v[3:4], v[120:121], v[122:123]
	buffer_store_dword v2, off, s[0:3], 0 offset:724
	buffer_store_dword v1, off, s[0:3], 0 offset:720
	;; [unrolled: 1-line block ×4, first 2 shown]
.LBB117_783:
	s_or_b32 exec_lo, exec_lo, s4
	v_mov_b32_e32 v4, s15
	s_mov_b32 s4, exec_lo
	s_clause 0x3
	buffer_load_dword v1, v4, s[0:3], 0 offen
	buffer_load_dword v2, v4, s[0:3], 0 offen offset:4
	buffer_load_dword v3, v4, s[0:3], 0 offen offset:8
	;; [unrolled: 1-line block ×3, first 2 shown]
	s_waitcnt vmcnt(0)
	ds_write_b128 v114, v[1:4]
	s_waitcnt lgkmcnt(0)
	s_waitcnt_vscnt null, 0x0
	s_barrier
	buffer_gl0_inv
	v_cmpx_gt_u32_e32 46, v0
	s_cbranch_execz .LBB117_791
; %bb.784:
	ds_read_b128 v[1:4], v114
	v_cmp_ne_u32_e32 vcc_lo, 1, v115
	s_cbranch_vccnz .LBB117_786
; %bb.785:
	s_clause 0x3
	buffer_load_dword v116, v113, s[0:3], 0 offen offset:8
	buffer_load_dword v117, v113, s[0:3], 0 offen offset:12
	buffer_load_dword v120, v113, s[0:3], 0 offen
	buffer_load_dword v121, v113, s[0:3], 0 offen offset:4
	s_waitcnt vmcnt(2) lgkmcnt(0)
	v_mul_f64 v[122:123], v[3:4], v[116:117]
	v_mul_f64 v[116:117], v[1:2], v[116:117]
	s_waitcnt vmcnt(0)
	v_fma_f64 v[1:2], v[1:2], v[120:121], -v[122:123]
	v_fma_f64 v[3:4], v[3:4], v[120:121], v[116:117]
.LBB117_786:
	s_mov_b32 s6, exec_lo
	v_cmpx_ne_u32_e32 45, v0
	s_cbranch_execz .LBB117_790
; %bb.787:
	v_add_nc_u32_e32 v116, 0x370, v119
	v_add3_u32 v117, 0, v119, 16
	v_mov_b32_e32 v118, v0
	s_mov_b32 s8, 0
	.p2align	6
.LBB117_788:                            ; =>This Inner Loop Header: Depth=1
	s_clause 0x3
	buffer_load_dword v124, v117, s[0:3], 0 offen offset:8
	buffer_load_dword v125, v117, s[0:3], 0 offen offset:12
	buffer_load_dword v126, v117, s[0:3], 0 offen
	buffer_load_dword v127, v117, s[0:3], 0 offen offset:4
	ds_read_b128 v[120:123], v116
	v_add_nc_u32_e32 v118, 1, v118
	v_add_nc_u32_e32 v116, 16, v116
	;; [unrolled: 1-line block ×3, first 2 shown]
	v_cmp_lt_u32_e32 vcc_lo, 44, v118
	s_or_b32 s8, vcc_lo, s8
	s_waitcnt vmcnt(2) lgkmcnt(0)
	v_mul_f64 v[128:129], v[122:123], v[124:125]
	v_mul_f64 v[124:125], v[120:121], v[124:125]
	s_waitcnt vmcnt(0)
	v_fma_f64 v[120:121], v[120:121], v[126:127], -v[128:129]
	v_fma_f64 v[122:123], v[122:123], v[126:127], v[124:125]
	v_add_f64 v[1:2], v[1:2], v[120:121]
	v_add_f64 v[3:4], v[3:4], v[122:123]
	s_andn2_b32 exec_lo, exec_lo, s8
	s_cbranch_execnz .LBB117_788
; %bb.789:
	s_or_b32 exec_lo, exec_lo, s8
.LBB117_790:
	s_or_b32 exec_lo, exec_lo, s6
	v_mov_b32_e32 v116, 0
	ds_read_b128 v[120:123], v116 offset:736
	s_waitcnt lgkmcnt(0)
	v_mul_f64 v[116:117], v[3:4], v[122:123]
	v_mul_f64 v[122:123], v[1:2], v[122:123]
	v_fma_f64 v[1:2], v[1:2], v[120:121], -v[116:117]
	v_fma_f64 v[3:4], v[3:4], v[120:121], v[122:123]
	buffer_store_dword v2, off, s[0:3], 0 offset:740
	buffer_store_dword v1, off, s[0:3], 0 offset:736
	;; [unrolled: 1-line block ×4, first 2 shown]
.LBB117_791:
	s_or_b32 exec_lo, exec_lo, s4
	v_mov_b32_e32 v4, s14
	s_mov_b32 s4, exec_lo
	s_clause 0x3
	buffer_load_dword v1, v4, s[0:3], 0 offen
	buffer_load_dword v2, v4, s[0:3], 0 offen offset:4
	buffer_load_dword v3, v4, s[0:3], 0 offen offset:8
	;; [unrolled: 1-line block ×3, first 2 shown]
	s_waitcnt vmcnt(0)
	ds_write_b128 v114, v[1:4]
	s_waitcnt lgkmcnt(0)
	s_waitcnt_vscnt null, 0x0
	s_barrier
	buffer_gl0_inv
	v_cmpx_gt_u32_e32 47, v0
	s_cbranch_execz .LBB117_799
; %bb.792:
	ds_read_b128 v[1:4], v114
	v_cmp_ne_u32_e32 vcc_lo, 1, v115
	s_cbranch_vccnz .LBB117_794
; %bb.793:
	s_clause 0x3
	buffer_load_dword v116, v113, s[0:3], 0 offen offset:8
	buffer_load_dword v117, v113, s[0:3], 0 offen offset:12
	buffer_load_dword v120, v113, s[0:3], 0 offen
	buffer_load_dword v121, v113, s[0:3], 0 offen offset:4
	s_waitcnt vmcnt(2) lgkmcnt(0)
	v_mul_f64 v[122:123], v[3:4], v[116:117]
	v_mul_f64 v[116:117], v[1:2], v[116:117]
	s_waitcnt vmcnt(0)
	v_fma_f64 v[1:2], v[1:2], v[120:121], -v[122:123]
	v_fma_f64 v[3:4], v[3:4], v[120:121], v[116:117]
.LBB117_794:
	s_mov_b32 s6, exec_lo
	v_cmpx_ne_u32_e32 46, v0
	s_cbranch_execz .LBB117_798
; %bb.795:
	v_add_nc_u32_e32 v116, 0x370, v119
	v_add3_u32 v117, 0, v119, 16
	v_mov_b32_e32 v118, v0
	s_mov_b32 s8, 0
	.p2align	6
.LBB117_796:                            ; =>This Inner Loop Header: Depth=1
	s_clause 0x3
	buffer_load_dword v124, v117, s[0:3], 0 offen offset:8
	buffer_load_dword v125, v117, s[0:3], 0 offen offset:12
	buffer_load_dword v126, v117, s[0:3], 0 offen
	buffer_load_dword v127, v117, s[0:3], 0 offen offset:4
	ds_read_b128 v[120:123], v116
	v_add_nc_u32_e32 v118, 1, v118
	v_add_nc_u32_e32 v116, 16, v116
	;; [unrolled: 1-line block ×3, first 2 shown]
	v_cmp_lt_u32_e32 vcc_lo, 45, v118
	s_or_b32 s8, vcc_lo, s8
	s_waitcnt vmcnt(2) lgkmcnt(0)
	v_mul_f64 v[128:129], v[122:123], v[124:125]
	v_mul_f64 v[124:125], v[120:121], v[124:125]
	s_waitcnt vmcnt(0)
	v_fma_f64 v[120:121], v[120:121], v[126:127], -v[128:129]
	v_fma_f64 v[122:123], v[122:123], v[126:127], v[124:125]
	v_add_f64 v[1:2], v[1:2], v[120:121]
	v_add_f64 v[3:4], v[3:4], v[122:123]
	s_andn2_b32 exec_lo, exec_lo, s8
	s_cbranch_execnz .LBB117_796
; %bb.797:
	s_or_b32 exec_lo, exec_lo, s8
.LBB117_798:
	s_or_b32 exec_lo, exec_lo, s6
	v_mov_b32_e32 v116, 0
	ds_read_b128 v[120:123], v116 offset:752
	s_waitcnt lgkmcnt(0)
	v_mul_f64 v[116:117], v[3:4], v[122:123]
	v_mul_f64 v[122:123], v[1:2], v[122:123]
	v_fma_f64 v[1:2], v[1:2], v[120:121], -v[116:117]
	v_fma_f64 v[3:4], v[3:4], v[120:121], v[122:123]
	buffer_store_dword v2, off, s[0:3], 0 offset:756
	buffer_store_dword v1, off, s[0:3], 0 offset:752
	;; [unrolled: 1-line block ×4, first 2 shown]
.LBB117_799:
	s_or_b32 exec_lo, exec_lo, s4
	v_mov_b32_e32 v4, s13
	s_mov_b32 s4, exec_lo
	s_clause 0x3
	buffer_load_dword v1, v4, s[0:3], 0 offen
	buffer_load_dword v2, v4, s[0:3], 0 offen offset:4
	buffer_load_dword v3, v4, s[0:3], 0 offen offset:8
	;; [unrolled: 1-line block ×3, first 2 shown]
	s_waitcnt vmcnt(0)
	ds_write_b128 v114, v[1:4]
	s_waitcnt lgkmcnt(0)
	s_waitcnt_vscnt null, 0x0
	s_barrier
	buffer_gl0_inv
	v_cmpx_gt_u32_e32 48, v0
	s_cbranch_execz .LBB117_807
; %bb.800:
	ds_read_b128 v[1:4], v114
	v_cmp_ne_u32_e32 vcc_lo, 1, v115
	s_cbranch_vccnz .LBB117_802
; %bb.801:
	s_clause 0x3
	buffer_load_dword v116, v113, s[0:3], 0 offen offset:8
	buffer_load_dword v117, v113, s[0:3], 0 offen offset:12
	buffer_load_dword v120, v113, s[0:3], 0 offen
	buffer_load_dword v121, v113, s[0:3], 0 offen offset:4
	s_waitcnt vmcnt(2) lgkmcnt(0)
	v_mul_f64 v[122:123], v[3:4], v[116:117]
	v_mul_f64 v[116:117], v[1:2], v[116:117]
	s_waitcnt vmcnt(0)
	v_fma_f64 v[1:2], v[1:2], v[120:121], -v[122:123]
	v_fma_f64 v[3:4], v[3:4], v[120:121], v[116:117]
.LBB117_802:
	s_mov_b32 s6, exec_lo
	v_cmpx_ne_u32_e32 47, v0
	s_cbranch_execz .LBB117_806
; %bb.803:
	v_add_nc_u32_e32 v116, 0x370, v119
	v_add3_u32 v117, 0, v119, 16
	v_mov_b32_e32 v118, v0
	s_mov_b32 s8, 0
	.p2align	6
.LBB117_804:                            ; =>This Inner Loop Header: Depth=1
	s_clause 0x3
	buffer_load_dword v124, v117, s[0:3], 0 offen offset:8
	buffer_load_dword v125, v117, s[0:3], 0 offen offset:12
	buffer_load_dword v126, v117, s[0:3], 0 offen
	buffer_load_dword v127, v117, s[0:3], 0 offen offset:4
	ds_read_b128 v[120:123], v116
	v_add_nc_u32_e32 v118, 1, v118
	v_add_nc_u32_e32 v116, 16, v116
	;; [unrolled: 1-line block ×3, first 2 shown]
	v_cmp_lt_u32_e32 vcc_lo, 46, v118
	s_or_b32 s8, vcc_lo, s8
	s_waitcnt vmcnt(2) lgkmcnt(0)
	v_mul_f64 v[128:129], v[122:123], v[124:125]
	v_mul_f64 v[124:125], v[120:121], v[124:125]
	s_waitcnt vmcnt(0)
	v_fma_f64 v[120:121], v[120:121], v[126:127], -v[128:129]
	v_fma_f64 v[122:123], v[122:123], v[126:127], v[124:125]
	v_add_f64 v[1:2], v[1:2], v[120:121]
	v_add_f64 v[3:4], v[3:4], v[122:123]
	s_andn2_b32 exec_lo, exec_lo, s8
	s_cbranch_execnz .LBB117_804
; %bb.805:
	s_or_b32 exec_lo, exec_lo, s8
.LBB117_806:
	s_or_b32 exec_lo, exec_lo, s6
	v_mov_b32_e32 v116, 0
	ds_read_b128 v[120:123], v116 offset:768
	s_waitcnt lgkmcnt(0)
	v_mul_f64 v[116:117], v[3:4], v[122:123]
	v_mul_f64 v[122:123], v[1:2], v[122:123]
	v_fma_f64 v[1:2], v[1:2], v[120:121], -v[116:117]
	v_fma_f64 v[3:4], v[3:4], v[120:121], v[122:123]
	buffer_store_dword v2, off, s[0:3], 0 offset:772
	buffer_store_dword v1, off, s[0:3], 0 offset:768
	;; [unrolled: 1-line block ×4, first 2 shown]
.LBB117_807:
	s_or_b32 exec_lo, exec_lo, s4
	v_mov_b32_e32 v4, s12
	s_mov_b32 s4, exec_lo
	s_clause 0x3
	buffer_load_dword v1, v4, s[0:3], 0 offen
	buffer_load_dword v2, v4, s[0:3], 0 offen offset:4
	buffer_load_dword v3, v4, s[0:3], 0 offen offset:8
	buffer_load_dword v4, v4, s[0:3], 0 offen offset:12
	s_waitcnt vmcnt(0)
	ds_write_b128 v114, v[1:4]
	s_waitcnt lgkmcnt(0)
	s_waitcnt_vscnt null, 0x0
	s_barrier
	buffer_gl0_inv
	v_cmpx_gt_u32_e32 49, v0
	s_cbranch_execz .LBB117_815
; %bb.808:
	ds_read_b128 v[1:4], v114
	v_cmp_ne_u32_e32 vcc_lo, 1, v115
	s_cbranch_vccnz .LBB117_810
; %bb.809:
	s_clause 0x3
	buffer_load_dword v116, v113, s[0:3], 0 offen offset:8
	buffer_load_dword v117, v113, s[0:3], 0 offen offset:12
	buffer_load_dword v120, v113, s[0:3], 0 offen
	buffer_load_dword v121, v113, s[0:3], 0 offen offset:4
	s_waitcnt vmcnt(2) lgkmcnt(0)
	v_mul_f64 v[122:123], v[3:4], v[116:117]
	v_mul_f64 v[116:117], v[1:2], v[116:117]
	s_waitcnt vmcnt(0)
	v_fma_f64 v[1:2], v[1:2], v[120:121], -v[122:123]
	v_fma_f64 v[3:4], v[3:4], v[120:121], v[116:117]
.LBB117_810:
	s_mov_b32 s6, exec_lo
	v_cmpx_ne_u32_e32 48, v0
	s_cbranch_execz .LBB117_814
; %bb.811:
	v_add_nc_u32_e32 v116, 0x370, v119
	v_add3_u32 v117, 0, v119, 16
	v_mov_b32_e32 v118, v0
	s_mov_b32 s8, 0
	.p2align	6
.LBB117_812:                            ; =>This Inner Loop Header: Depth=1
	s_clause 0x3
	buffer_load_dword v124, v117, s[0:3], 0 offen offset:8
	buffer_load_dword v125, v117, s[0:3], 0 offen offset:12
	buffer_load_dword v126, v117, s[0:3], 0 offen
	buffer_load_dword v127, v117, s[0:3], 0 offen offset:4
	ds_read_b128 v[120:123], v116
	v_add_nc_u32_e32 v118, 1, v118
	v_add_nc_u32_e32 v116, 16, v116
	;; [unrolled: 1-line block ×3, first 2 shown]
	v_cmp_lt_u32_e32 vcc_lo, 47, v118
	s_or_b32 s8, vcc_lo, s8
	s_waitcnt vmcnt(2) lgkmcnt(0)
	v_mul_f64 v[128:129], v[122:123], v[124:125]
	v_mul_f64 v[124:125], v[120:121], v[124:125]
	s_waitcnt vmcnt(0)
	v_fma_f64 v[120:121], v[120:121], v[126:127], -v[128:129]
	v_fma_f64 v[122:123], v[122:123], v[126:127], v[124:125]
	v_add_f64 v[1:2], v[1:2], v[120:121]
	v_add_f64 v[3:4], v[3:4], v[122:123]
	s_andn2_b32 exec_lo, exec_lo, s8
	s_cbranch_execnz .LBB117_812
; %bb.813:
	s_or_b32 exec_lo, exec_lo, s8
.LBB117_814:
	s_or_b32 exec_lo, exec_lo, s6
	v_mov_b32_e32 v116, 0
	ds_read_b128 v[120:123], v116 offset:784
	s_waitcnt lgkmcnt(0)
	v_mul_f64 v[116:117], v[3:4], v[122:123]
	v_mul_f64 v[122:123], v[1:2], v[122:123]
	v_fma_f64 v[1:2], v[1:2], v[120:121], -v[116:117]
	v_fma_f64 v[3:4], v[3:4], v[120:121], v[122:123]
	buffer_store_dword v2, off, s[0:3], 0 offset:788
	buffer_store_dword v1, off, s[0:3], 0 offset:784
	;; [unrolled: 1-line block ×4, first 2 shown]
.LBB117_815:
	s_or_b32 exec_lo, exec_lo, s4
	v_mov_b32_e32 v4, s11
	s_mov_b32 s4, exec_lo
	s_clause 0x3
	buffer_load_dword v1, v4, s[0:3], 0 offen
	buffer_load_dword v2, v4, s[0:3], 0 offen offset:4
	buffer_load_dword v3, v4, s[0:3], 0 offen offset:8
	;; [unrolled: 1-line block ×3, first 2 shown]
	s_waitcnt vmcnt(0)
	ds_write_b128 v114, v[1:4]
	s_waitcnt lgkmcnt(0)
	s_waitcnt_vscnt null, 0x0
	s_barrier
	buffer_gl0_inv
	v_cmpx_gt_u32_e32 50, v0
	s_cbranch_execz .LBB117_823
; %bb.816:
	ds_read_b128 v[1:4], v114
	v_cmp_ne_u32_e32 vcc_lo, 1, v115
	s_cbranch_vccnz .LBB117_818
; %bb.817:
	s_clause 0x3
	buffer_load_dword v116, v113, s[0:3], 0 offen offset:8
	buffer_load_dword v117, v113, s[0:3], 0 offen offset:12
	buffer_load_dword v120, v113, s[0:3], 0 offen
	buffer_load_dword v121, v113, s[0:3], 0 offen offset:4
	s_waitcnt vmcnt(2) lgkmcnt(0)
	v_mul_f64 v[122:123], v[3:4], v[116:117]
	v_mul_f64 v[116:117], v[1:2], v[116:117]
	s_waitcnt vmcnt(0)
	v_fma_f64 v[1:2], v[1:2], v[120:121], -v[122:123]
	v_fma_f64 v[3:4], v[3:4], v[120:121], v[116:117]
.LBB117_818:
	s_mov_b32 s6, exec_lo
	v_cmpx_ne_u32_e32 49, v0
	s_cbranch_execz .LBB117_822
; %bb.819:
	v_add_nc_u32_e32 v116, 0x370, v119
	v_add3_u32 v117, 0, v119, 16
	v_mov_b32_e32 v118, v0
	s_mov_b32 s8, 0
	.p2align	6
.LBB117_820:                            ; =>This Inner Loop Header: Depth=1
	s_clause 0x3
	buffer_load_dword v124, v117, s[0:3], 0 offen offset:8
	buffer_load_dword v125, v117, s[0:3], 0 offen offset:12
	buffer_load_dword v126, v117, s[0:3], 0 offen
	buffer_load_dword v127, v117, s[0:3], 0 offen offset:4
	ds_read_b128 v[120:123], v116
	v_add_nc_u32_e32 v118, 1, v118
	v_add_nc_u32_e32 v116, 16, v116
	;; [unrolled: 1-line block ×3, first 2 shown]
	v_cmp_lt_u32_e32 vcc_lo, 48, v118
	s_or_b32 s8, vcc_lo, s8
	s_waitcnt vmcnt(2) lgkmcnt(0)
	v_mul_f64 v[128:129], v[122:123], v[124:125]
	v_mul_f64 v[124:125], v[120:121], v[124:125]
	s_waitcnt vmcnt(0)
	v_fma_f64 v[120:121], v[120:121], v[126:127], -v[128:129]
	v_fma_f64 v[122:123], v[122:123], v[126:127], v[124:125]
	v_add_f64 v[1:2], v[1:2], v[120:121]
	v_add_f64 v[3:4], v[3:4], v[122:123]
	s_andn2_b32 exec_lo, exec_lo, s8
	s_cbranch_execnz .LBB117_820
; %bb.821:
	s_or_b32 exec_lo, exec_lo, s8
.LBB117_822:
	s_or_b32 exec_lo, exec_lo, s6
	v_mov_b32_e32 v116, 0
	ds_read_b128 v[120:123], v116 offset:800
	s_waitcnt lgkmcnt(0)
	v_mul_f64 v[116:117], v[3:4], v[122:123]
	v_mul_f64 v[122:123], v[1:2], v[122:123]
	v_fma_f64 v[1:2], v[1:2], v[120:121], -v[116:117]
	v_fma_f64 v[3:4], v[3:4], v[120:121], v[122:123]
	buffer_store_dword v2, off, s[0:3], 0 offset:804
	buffer_store_dword v1, off, s[0:3], 0 offset:800
	;; [unrolled: 1-line block ×4, first 2 shown]
.LBB117_823:
	s_or_b32 exec_lo, exec_lo, s4
	v_mov_b32_e32 v4, s10
	s_mov_b32 s4, exec_lo
	s_clause 0x3
	buffer_load_dword v1, v4, s[0:3], 0 offen
	buffer_load_dword v2, v4, s[0:3], 0 offen offset:4
	buffer_load_dword v3, v4, s[0:3], 0 offen offset:8
	;; [unrolled: 1-line block ×3, first 2 shown]
	s_waitcnt vmcnt(0)
	ds_write_b128 v114, v[1:4]
	s_waitcnt lgkmcnt(0)
	s_waitcnt_vscnt null, 0x0
	s_barrier
	buffer_gl0_inv
	v_cmpx_gt_u32_e32 51, v0
	s_cbranch_execz .LBB117_831
; %bb.824:
	ds_read_b128 v[1:4], v114
	v_cmp_ne_u32_e32 vcc_lo, 1, v115
	s_cbranch_vccnz .LBB117_826
; %bb.825:
	s_clause 0x3
	buffer_load_dword v116, v113, s[0:3], 0 offen offset:8
	buffer_load_dword v117, v113, s[0:3], 0 offen offset:12
	buffer_load_dword v120, v113, s[0:3], 0 offen
	buffer_load_dword v121, v113, s[0:3], 0 offen offset:4
	s_waitcnt vmcnt(2) lgkmcnt(0)
	v_mul_f64 v[122:123], v[3:4], v[116:117]
	v_mul_f64 v[116:117], v[1:2], v[116:117]
	s_waitcnt vmcnt(0)
	v_fma_f64 v[1:2], v[1:2], v[120:121], -v[122:123]
	v_fma_f64 v[3:4], v[3:4], v[120:121], v[116:117]
.LBB117_826:
	s_mov_b32 s6, exec_lo
	v_cmpx_ne_u32_e32 50, v0
	s_cbranch_execz .LBB117_830
; %bb.827:
	v_add_nc_u32_e32 v116, 0x370, v119
	v_add3_u32 v117, 0, v119, 16
	v_mov_b32_e32 v118, v0
	s_mov_b32 s8, 0
	.p2align	6
.LBB117_828:                            ; =>This Inner Loop Header: Depth=1
	s_clause 0x3
	buffer_load_dword v124, v117, s[0:3], 0 offen offset:8
	buffer_load_dword v125, v117, s[0:3], 0 offen offset:12
	buffer_load_dword v126, v117, s[0:3], 0 offen
	buffer_load_dword v127, v117, s[0:3], 0 offen offset:4
	ds_read_b128 v[120:123], v116
	v_add_nc_u32_e32 v118, 1, v118
	v_add_nc_u32_e32 v116, 16, v116
	;; [unrolled: 1-line block ×3, first 2 shown]
	v_cmp_lt_u32_e32 vcc_lo, 49, v118
	s_or_b32 s8, vcc_lo, s8
	s_waitcnt vmcnt(2) lgkmcnt(0)
	v_mul_f64 v[128:129], v[122:123], v[124:125]
	v_mul_f64 v[124:125], v[120:121], v[124:125]
	s_waitcnt vmcnt(0)
	v_fma_f64 v[120:121], v[120:121], v[126:127], -v[128:129]
	v_fma_f64 v[122:123], v[122:123], v[126:127], v[124:125]
	v_add_f64 v[1:2], v[1:2], v[120:121]
	v_add_f64 v[3:4], v[3:4], v[122:123]
	s_andn2_b32 exec_lo, exec_lo, s8
	s_cbranch_execnz .LBB117_828
; %bb.829:
	s_or_b32 exec_lo, exec_lo, s8
.LBB117_830:
	s_or_b32 exec_lo, exec_lo, s6
	v_mov_b32_e32 v116, 0
	ds_read_b128 v[120:123], v116 offset:816
	s_waitcnt lgkmcnt(0)
	v_mul_f64 v[116:117], v[3:4], v[122:123]
	v_mul_f64 v[122:123], v[1:2], v[122:123]
	v_fma_f64 v[1:2], v[1:2], v[120:121], -v[116:117]
	v_fma_f64 v[3:4], v[3:4], v[120:121], v[122:123]
	buffer_store_dword v2, off, s[0:3], 0 offset:820
	buffer_store_dword v1, off, s[0:3], 0 offset:816
	;; [unrolled: 1-line block ×4, first 2 shown]
.LBB117_831:
	s_or_b32 exec_lo, exec_lo, s4
	v_mov_b32_e32 v4, s9
	v_cmp_gt_u32_e64 s4, 52, v0
	s_clause 0x3
	buffer_load_dword v1, v4, s[0:3], 0 offen
	buffer_load_dword v2, v4, s[0:3], 0 offen offset:4
	buffer_load_dword v3, v4, s[0:3], 0 offen offset:8
	;; [unrolled: 1-line block ×3, first 2 shown]
	s_waitcnt vmcnt(0)
	ds_write_b128 v114, v[1:4]
	s_waitcnt lgkmcnt(0)
	s_waitcnt_vscnt null, 0x0
	s_barrier
	buffer_gl0_inv
	s_and_saveexec_b32 s6, s4
	s_cbranch_execz .LBB117_839
; %bb.832:
	ds_read_b128 v[1:4], v114
	v_cmp_ne_u32_e32 vcc_lo, 1, v115
	s_cbranch_vccnz .LBB117_834
; %bb.833:
	s_clause 0x3
	buffer_load_dword v116, v113, s[0:3], 0 offen offset:8
	buffer_load_dword v117, v113, s[0:3], 0 offen offset:12
	buffer_load_dword v120, v113, s[0:3], 0 offen
	buffer_load_dword v121, v113, s[0:3], 0 offen offset:4
	s_waitcnt vmcnt(2) lgkmcnt(0)
	v_mul_f64 v[122:123], v[3:4], v[116:117]
	v_mul_f64 v[116:117], v[1:2], v[116:117]
	s_waitcnt vmcnt(0)
	v_fma_f64 v[1:2], v[1:2], v[120:121], -v[122:123]
	v_fma_f64 v[3:4], v[3:4], v[120:121], v[116:117]
.LBB117_834:
	s_mov_b32 s8, exec_lo
	v_cmpx_ne_u32_e32 51, v0
	s_cbranch_execz .LBB117_838
; %bb.835:
	v_add_nc_u32_e32 v116, 0x370, v119
	v_add3_u32 v117, 0, v119, 16
	v_mov_b32_e32 v118, v0
	s_mov_b32 s62, 0
	.p2align	6
.LBB117_836:                            ; =>This Inner Loop Header: Depth=1
	s_clause 0x3
	buffer_load_dword v124, v117, s[0:3], 0 offen offset:8
	buffer_load_dword v125, v117, s[0:3], 0 offen offset:12
	buffer_load_dword v126, v117, s[0:3], 0 offen
	buffer_load_dword v127, v117, s[0:3], 0 offen offset:4
	ds_read_b128 v[120:123], v116
	v_add_nc_u32_e32 v118, 1, v118
	v_add_nc_u32_e32 v116, 16, v116
	;; [unrolled: 1-line block ×3, first 2 shown]
	v_cmp_lt_u32_e32 vcc_lo, 50, v118
	s_or_b32 s62, vcc_lo, s62
	s_waitcnt vmcnt(2) lgkmcnt(0)
	v_mul_f64 v[128:129], v[122:123], v[124:125]
	v_mul_f64 v[124:125], v[120:121], v[124:125]
	s_waitcnt vmcnt(0)
	v_fma_f64 v[120:121], v[120:121], v[126:127], -v[128:129]
	v_fma_f64 v[122:123], v[122:123], v[126:127], v[124:125]
	v_add_f64 v[1:2], v[1:2], v[120:121]
	v_add_f64 v[3:4], v[3:4], v[122:123]
	s_andn2_b32 exec_lo, exec_lo, s62
	s_cbranch_execnz .LBB117_836
; %bb.837:
	s_or_b32 exec_lo, exec_lo, s62
.LBB117_838:
	s_or_b32 exec_lo, exec_lo, s8
	v_mov_b32_e32 v116, 0
	ds_read_b128 v[120:123], v116 offset:832
	s_waitcnt lgkmcnt(0)
	v_mul_f64 v[116:117], v[3:4], v[122:123]
	v_mul_f64 v[122:123], v[1:2], v[122:123]
	v_fma_f64 v[1:2], v[1:2], v[120:121], -v[116:117]
	v_fma_f64 v[3:4], v[3:4], v[120:121], v[122:123]
	buffer_store_dword v2, off, s[0:3], 0 offset:836
	buffer_store_dword v1, off, s[0:3], 0 offset:832
	;; [unrolled: 1-line block ×4, first 2 shown]
.LBB117_839:
	s_or_b32 exec_lo, exec_lo, s6
	v_mov_b32_e32 v4, s7
	s_mov_b32 s6, exec_lo
                                        ; implicit-def: $sgpr63
	s_clause 0x3
	buffer_load_dword v1, v4, s[0:3], 0 offen
	buffer_load_dword v2, v4, s[0:3], 0 offen offset:4
	buffer_load_dword v3, v4, s[0:3], 0 offen offset:8
	;; [unrolled: 1-line block ×3, first 2 shown]
	s_waitcnt vmcnt(0)
	ds_write_b128 v114, v[1:4]
	s_waitcnt lgkmcnt(0)
	s_waitcnt_vscnt null, 0x0
	s_barrier
	buffer_gl0_inv
                                        ; implicit-def: $vgpr1_vgpr2
	v_cmpx_ne_u32_e32 53, v0
	s_cbranch_execz .LBB117_847
; %bb.840:
	ds_read_b128 v[1:4], v114
	v_cmp_ne_u32_e32 vcc_lo, 1, v115
	s_cbranch_vccnz .LBB117_842
; %bb.841:
	s_clause 0x3
	buffer_load_dword v114, v113, s[0:3], 0 offen offset:8
	buffer_load_dword v115, v113, s[0:3], 0 offen offset:12
	buffer_load_dword v116, v113, s[0:3], 0 offen
	buffer_load_dword v117, v113, s[0:3], 0 offen offset:4
	s_waitcnt vmcnt(2) lgkmcnt(0)
	v_mul_f64 v[120:121], v[3:4], v[114:115]
	v_mul_f64 v[113:114], v[1:2], v[114:115]
	s_waitcnt vmcnt(0)
	v_fma_f64 v[1:2], v[1:2], v[116:117], -v[120:121]
	v_fma_f64 v[3:4], v[3:4], v[116:117], v[113:114]
.LBB117_842:
	s_and_saveexec_b32 s8, s4
	s_cbranch_execz .LBB117_846
; %bb.843:
	v_add_nc_u32_e32 v113, 0x370, v119
	v_add3_u32 v114, 0, v119, 16
	s_mov_b32 s4, 0
	.p2align	6
.LBB117_844:                            ; =>This Inner Loop Header: Depth=1
	s_clause 0x3
	buffer_load_dword v119, v114, s[0:3], 0 offen offset:8
	buffer_load_dword v120, v114, s[0:3], 0 offen offset:12
	buffer_load_dword v121, v114, s[0:3], 0 offen
	buffer_load_dword v122, v114, s[0:3], 0 offen offset:4
	ds_read_b128 v[115:118], v113
	v_add_nc_u32_e32 v0, 1, v0
	v_add_nc_u32_e32 v113, 16, v113
	v_add_nc_u32_e32 v114, 16, v114
	v_cmp_lt_u32_e32 vcc_lo, 51, v0
	s_or_b32 s4, vcc_lo, s4
	s_waitcnt vmcnt(2) lgkmcnt(0)
	v_mul_f64 v[123:124], v[117:118], v[119:120]
	v_mul_f64 v[119:120], v[115:116], v[119:120]
	s_waitcnt vmcnt(0)
	v_fma_f64 v[115:116], v[115:116], v[121:122], -v[123:124]
	v_fma_f64 v[117:118], v[117:118], v[121:122], v[119:120]
	v_add_f64 v[1:2], v[1:2], v[115:116]
	v_add_f64 v[3:4], v[3:4], v[117:118]
	s_andn2_b32 exec_lo, exec_lo, s4
	s_cbranch_execnz .LBB117_844
; %bb.845:
	s_or_b32 exec_lo, exec_lo, s4
.LBB117_846:
	s_or_b32 exec_lo, exec_lo, s8
	v_mov_b32_e32 v0, 0
	s_movk_i32 s63, 0x358
	s_or_b32 s5, s5, exec_lo
	ds_read_b128 v[113:116], v0 offset:848
	s_waitcnt lgkmcnt(0)
	v_mul_f64 v[117:118], v[3:4], v[115:116]
	v_mul_f64 v[115:116], v[1:2], v[115:116]
	v_fma_f64 v[117:118], v[1:2], v[113:114], -v[117:118]
	v_fma_f64 v[1:2], v[3:4], v[113:114], v[115:116]
	buffer_store_dword v118, off, s[0:3], 0 offset:852
	buffer_store_dword v117, off, s[0:3], 0 offset:848
.LBB117_847:
	s_or_b32 exec_lo, exec_lo, s6
.LBB117_848:
	s_and_saveexec_b32 s4, s5
	s_cbranch_execz .LBB117_850
; %bb.849:
	v_mov_b32_e32 v0, s63
	buffer_store_dword v2, v0, s[0:3], 0 offen offset:4
	buffer_store_dword v1, v0, s[0:3], 0 offen
.LBB117_850:
	s_or_b32 exec_lo, exec_lo, s4
	s_clause 0x3
	buffer_load_dword v0, off, s[0:3], 0
	buffer_load_dword v1, off, s[0:3], 0 offset:4
	buffer_load_dword v2, off, s[0:3], 0 offset:8
	;; [unrolled: 1-line block ×3, first 2 shown]
	v_mov_b32_e32 v4, s61
	s_waitcnt vmcnt(0)
	flat_store_dwordx4 v[5:6], v[0:3]
	s_clause 0x3
	buffer_load_dword v0, v4, s[0:3], 0 offen
	buffer_load_dword v1, v4, s[0:3], 0 offen offset:4
	buffer_load_dword v2, v4, s[0:3], 0 offen offset:8
	buffer_load_dword v3, v4, s[0:3], 0 offen offset:12
	v_mov_b32_e32 v4, s60
	s_waitcnt vmcnt(0)
	flat_store_dwordx4 v[59:60], v[0:3]
	s_clause 0x3
	buffer_load_dword v0, v4, s[0:3], 0 offen
	buffer_load_dword v1, v4, s[0:3], 0 offen offset:4
	buffer_load_dword v2, v4, s[0:3], 0 offen offset:8
	buffer_load_dword v3, v4, s[0:3], 0 offen offset:12
	;; [unrolled: 8-line block ×53, first 2 shown]
	s_waitcnt vmcnt(0)
	flat_store_dwordx4 v[111:112], v[0:3]
.LBB117_851:
	s_endpgm
	.section	.rodata,"a",@progbits
	.p2align	6, 0x0
	.amdhsa_kernel _ZN9rocsolver6v33100L18trti2_kernel_smallILi54E19rocblas_complex_numIdEPKPS3_EEv13rocblas_fill_17rocblas_diagonal_T1_iil
		.amdhsa_group_segment_fixed_size 1728
		.amdhsa_private_segment_fixed_size 880
		.amdhsa_kernarg_size 32
		.amdhsa_user_sgpr_count 6
		.amdhsa_user_sgpr_private_segment_buffer 1
		.amdhsa_user_sgpr_dispatch_ptr 0
		.amdhsa_user_sgpr_queue_ptr 0
		.amdhsa_user_sgpr_kernarg_segment_ptr 1
		.amdhsa_user_sgpr_dispatch_id 0
		.amdhsa_user_sgpr_flat_scratch_init 0
		.amdhsa_user_sgpr_private_segment_size 0
		.amdhsa_wavefront_size32 1
		.amdhsa_uses_dynamic_stack 0
		.amdhsa_system_sgpr_private_segment_wavefront_offset 1
		.amdhsa_system_sgpr_workgroup_id_x 1
		.amdhsa_system_sgpr_workgroup_id_y 0
		.amdhsa_system_sgpr_workgroup_id_z 0
		.amdhsa_system_sgpr_workgroup_info 0
		.amdhsa_system_vgpr_workitem_id 0
		.amdhsa_next_free_vgpr 130
		.amdhsa_next_free_sgpr 86
		.amdhsa_reserve_vcc 1
		.amdhsa_reserve_flat_scratch 0
		.amdhsa_float_round_mode_32 0
		.amdhsa_float_round_mode_16_64 0
		.amdhsa_float_denorm_mode_32 3
		.amdhsa_float_denorm_mode_16_64 3
		.amdhsa_dx10_clamp 1
		.amdhsa_ieee_mode 1
		.amdhsa_fp16_overflow 0
		.amdhsa_workgroup_processor_mode 1
		.amdhsa_memory_ordered 1
		.amdhsa_forward_progress 1
		.amdhsa_shared_vgpr_count 0
		.amdhsa_exception_fp_ieee_invalid_op 0
		.amdhsa_exception_fp_denorm_src 0
		.amdhsa_exception_fp_ieee_div_zero 0
		.amdhsa_exception_fp_ieee_overflow 0
		.amdhsa_exception_fp_ieee_underflow 0
		.amdhsa_exception_fp_ieee_inexact 0
		.amdhsa_exception_int_div_zero 0
	.end_amdhsa_kernel
	.section	.text._ZN9rocsolver6v33100L18trti2_kernel_smallILi54E19rocblas_complex_numIdEPKPS3_EEv13rocblas_fill_17rocblas_diagonal_T1_iil,"axG",@progbits,_ZN9rocsolver6v33100L18trti2_kernel_smallILi54E19rocblas_complex_numIdEPKPS3_EEv13rocblas_fill_17rocblas_diagonal_T1_iil,comdat
.Lfunc_end117:
	.size	_ZN9rocsolver6v33100L18trti2_kernel_smallILi54E19rocblas_complex_numIdEPKPS3_EEv13rocblas_fill_17rocblas_diagonal_T1_iil, .Lfunc_end117-_ZN9rocsolver6v33100L18trti2_kernel_smallILi54E19rocblas_complex_numIdEPKPS3_EEv13rocblas_fill_17rocblas_diagonal_T1_iil
                                        ; -- End function
	.set _ZN9rocsolver6v33100L18trti2_kernel_smallILi54E19rocblas_complex_numIdEPKPS3_EEv13rocblas_fill_17rocblas_diagonal_T1_iil.num_vgpr, 130
	.set _ZN9rocsolver6v33100L18trti2_kernel_smallILi54E19rocblas_complex_numIdEPKPS3_EEv13rocblas_fill_17rocblas_diagonal_T1_iil.num_agpr, 0
	.set _ZN9rocsolver6v33100L18trti2_kernel_smallILi54E19rocblas_complex_numIdEPKPS3_EEv13rocblas_fill_17rocblas_diagonal_T1_iil.numbered_sgpr, 86
	.set _ZN9rocsolver6v33100L18trti2_kernel_smallILi54E19rocblas_complex_numIdEPKPS3_EEv13rocblas_fill_17rocblas_diagonal_T1_iil.num_named_barrier, 0
	.set _ZN9rocsolver6v33100L18trti2_kernel_smallILi54E19rocblas_complex_numIdEPKPS3_EEv13rocblas_fill_17rocblas_diagonal_T1_iil.private_seg_size, 880
	.set _ZN9rocsolver6v33100L18trti2_kernel_smallILi54E19rocblas_complex_numIdEPKPS3_EEv13rocblas_fill_17rocblas_diagonal_T1_iil.uses_vcc, 1
	.set _ZN9rocsolver6v33100L18trti2_kernel_smallILi54E19rocblas_complex_numIdEPKPS3_EEv13rocblas_fill_17rocblas_diagonal_T1_iil.uses_flat_scratch, 0
	.set _ZN9rocsolver6v33100L18trti2_kernel_smallILi54E19rocblas_complex_numIdEPKPS3_EEv13rocblas_fill_17rocblas_diagonal_T1_iil.has_dyn_sized_stack, 0
	.set _ZN9rocsolver6v33100L18trti2_kernel_smallILi54E19rocblas_complex_numIdEPKPS3_EEv13rocblas_fill_17rocblas_diagonal_T1_iil.has_recursion, 0
	.set _ZN9rocsolver6v33100L18trti2_kernel_smallILi54E19rocblas_complex_numIdEPKPS3_EEv13rocblas_fill_17rocblas_diagonal_T1_iil.has_indirect_call, 0
	.section	.AMDGPU.csdata,"",@progbits
; Kernel info:
; codeLenInByte = 55084
; TotalNumSgprs: 88
; NumVgprs: 130
; ScratchSize: 880
; MemoryBound: 0
; FloatMode: 240
; IeeeMode: 1
; LDSByteSize: 1728 bytes/workgroup (compile time only)
; SGPRBlocks: 0
; VGPRBlocks: 16
; NumSGPRsForWavesPerEU: 88
; NumVGPRsForWavesPerEU: 130
; Occupancy: 7
; WaveLimiterHint : 1
; COMPUTE_PGM_RSRC2:SCRATCH_EN: 1
; COMPUTE_PGM_RSRC2:USER_SGPR: 6
; COMPUTE_PGM_RSRC2:TRAP_HANDLER: 0
; COMPUTE_PGM_RSRC2:TGID_X_EN: 1
; COMPUTE_PGM_RSRC2:TGID_Y_EN: 0
; COMPUTE_PGM_RSRC2:TGID_Z_EN: 0
; COMPUTE_PGM_RSRC2:TIDIG_COMP_CNT: 0
	.section	.text._ZN9rocsolver6v33100L18trti2_kernel_smallILi55E19rocblas_complex_numIdEPKPS3_EEv13rocblas_fill_17rocblas_diagonal_T1_iil,"axG",@progbits,_ZN9rocsolver6v33100L18trti2_kernel_smallILi55E19rocblas_complex_numIdEPKPS3_EEv13rocblas_fill_17rocblas_diagonal_T1_iil,comdat
	.globl	_ZN9rocsolver6v33100L18trti2_kernel_smallILi55E19rocblas_complex_numIdEPKPS3_EEv13rocblas_fill_17rocblas_diagonal_T1_iil ; -- Begin function _ZN9rocsolver6v33100L18trti2_kernel_smallILi55E19rocblas_complex_numIdEPKPS3_EEv13rocblas_fill_17rocblas_diagonal_T1_iil
	.p2align	8
	.type	_ZN9rocsolver6v33100L18trti2_kernel_smallILi55E19rocblas_complex_numIdEPKPS3_EEv13rocblas_fill_17rocblas_diagonal_T1_iil,@function
_ZN9rocsolver6v33100L18trti2_kernel_smallILi55E19rocblas_complex_numIdEPKPS3_EEv13rocblas_fill_17rocblas_diagonal_T1_iil: ; @_ZN9rocsolver6v33100L18trti2_kernel_smallILi55E19rocblas_complex_numIdEPKPS3_EEv13rocblas_fill_17rocblas_diagonal_T1_iil
; %bb.0:
	s_add_u32 s0, s0, s7
	s_addc_u32 s1, s1, 0
	s_mov_b32 s7, exec_lo
	v_cmpx_gt_u32_e32 55, v0
	s_cbranch_execz .LBB118_867
; %bb.1:
	s_clause 0x1
	s_load_dwordx2 s[12:13], s[4:5], 0x10
	s_load_dwordx4 s[8:11], s[4:5], 0x0
	s_ashr_i32 s7, s6, 31
	v_lshlrev_b32_e32 v121, 4, v0
	s_lshl_b64 s[4:5], s[6:7], 3
	s_movk_i32 s14, 0xd0
	s_movk_i32 s15, 0xe0
	;; [unrolled: 1-line block ×15, first 2 shown]
	s_waitcnt lgkmcnt(0)
	s_ashr_i32 s7, s12, 31
	s_add_u32 s4, s10, s4
	s_addc_u32 s5, s11, s5
	s_mov_b32 s6, s12
	s_load_dwordx2 s[4:5], s[4:5], 0x0
	s_lshl_b64 s[6:7], s[6:7], 4
	v_add3_u32 v7, s13, s13, v0
	s_movk_i32 s10, 0x90
	s_movk_i32 s11, 0xa0
	;; [unrolled: 1-line block ×4, first 2 shown]
	v_ashrrev_i32_e32 v8, 31, v7
	s_movk_i32 s30, 0x1d0
	s_movk_i32 s31, 0x1e0
	;; [unrolled: 1-line block ×4, first 2 shown]
	v_lshlrev_b64 v[8:9], 4, v[7:8]
	v_add_nc_u32_e32 v7, s13, v7
	s_movk_i32 s65, 0x210
	s_movk_i32 s66, 0x220
	;; [unrolled: 1-line block ×6, first 2 shown]
	s_waitcnt lgkmcnt(0)
	s_add_u32 s6, s4, s6
	s_addc_u32 s7, s5, s7
	v_add_co_u32 v5, s4, s6, v121
	v_add_co_ci_u32_e64 v6, null, s7, 0, s4
	s_mov_b32 s4, s13
	s_ashr_i32 s5, s13, 31
	s_movk_i32 s71, 0x270
	flat_load_dwordx4 v[1:4], v[5:6]
	s_lshl_b64 s[4:5], s[4:5], 4
	s_cmpk_lg_i32 s9, 0x84
	v_add_co_u32 v59, vcc_lo, v5, s4
	v_add_co_ci_u32_e64 v60, null, s5, v6, vcc_lo
	v_add_co_u32 v57, vcc_lo, s6, v8
	v_add_co_ci_u32_e64 v58, null, s7, v9, vcc_lo
	v_ashrrev_i32_e32 v8, 31, v7
	s_movk_i32 s4, 0x50
	s_movk_i32 s5, 0x60
	s_movk_i32 s72, 0x280
	s_movk_i32 s73, 0x290
	v_lshlrev_b64 v[8:9], 4, v[7:8]
	v_add_nc_u32_e32 v7, s13, v7
	s_movk_i32 s74, 0x2a0
	s_movk_i32 s75, 0x2b0
	;; [unrolled: 1-line block ×4, first 2 shown]
	v_add_co_u32 v55, vcc_lo, s6, v8
	v_add_co_ci_u32_e64 v56, null, s7, v9, vcc_lo
	v_ashrrev_i32_e32 v8, 31, v7
	s_movk_i32 s78, 0x2e0
	s_movk_i32 s79, 0x2f0
	;; [unrolled: 1-line block ×4, first 2 shown]
	v_lshlrev_b64 v[8:9], 4, v[7:8]
	v_add_nc_u32_e32 v7, s13, v7
	s_movk_i32 s82, 0x320
	s_movk_i32 s83, 0x330
	;; [unrolled: 1-line block ×4, first 2 shown]
	v_add_co_u32 v53, vcc_lo, s6, v8
	v_add_co_ci_u32_e64 v54, null, s7, v9, vcc_lo
	v_ashrrev_i32_e32 v8, 31, v7
	s_movk_i32 s86, 0x360
	s_cselect_b32 s62, -1, 0
	s_cmpk_eq_i32 s9, 0x84
	s_waitcnt vmcnt(0) lgkmcnt(0)
	buffer_store_dword v4, off, s[0:3], 0 offset:12
	buffer_store_dword v3, off, s[0:3], 0 offset:8
	;; [unrolled: 1-line block ×3, first 2 shown]
	buffer_store_dword v1, off, s[0:3], 0
	flat_load_dwordx4 v[1:4], v[59:60]
	v_lshlrev_b64 v[8:9], 4, v[7:8]
	v_add_nc_u32_e32 v7, s13, v7
	s_waitcnt vmcnt(0) lgkmcnt(0)
	buffer_store_dword v4, off, s[0:3], 0 offset:28
	buffer_store_dword v3, off, s[0:3], 0 offset:24
	buffer_store_dword v2, off, s[0:3], 0 offset:20
	buffer_store_dword v1, off, s[0:3], 0 offset:16
	flat_load_dwordx4 v[1:4], v[57:58]
	v_add_co_u32 v49, vcc_lo, s6, v8
	v_add_co_ci_u32_e64 v50, null, s7, v9, vcc_lo
	v_ashrrev_i32_e32 v8, 31, v7
	s_waitcnt vmcnt(0) lgkmcnt(0)
	buffer_store_dword v4, off, s[0:3], 0 offset:44
	buffer_store_dword v3, off, s[0:3], 0 offset:40
	buffer_store_dword v2, off, s[0:3], 0 offset:36
	buffer_store_dword v1, off, s[0:3], 0 offset:32
	flat_load_dwordx4 v[1:4], v[55:56]
	v_lshlrev_b64 v[8:9], 4, v[7:8]
	v_add_nc_u32_e32 v7, s13, v7
	s_waitcnt vmcnt(0) lgkmcnt(0)
	buffer_store_dword v4, off, s[0:3], 0 offset:60
	buffer_store_dword v3, off, s[0:3], 0 offset:56
	buffer_store_dword v2, off, s[0:3], 0 offset:52
	buffer_store_dword v1, off, s[0:3], 0 offset:48
	flat_load_dwordx4 v[1:4], v[53:54]
	v_add_co_u32 v47, vcc_lo, s6, v8
	v_add_co_ci_u32_e64 v48, null, s7, v9, vcc_lo
	v_ashrrev_i32_e32 v8, 31, v7
	s_waitcnt vmcnt(0) lgkmcnt(0)
	buffer_store_dword v4, off, s[0:3], 0 offset:76
	buffer_store_dword v3, off, s[0:3], 0 offset:72
	buffer_store_dword v2, off, s[0:3], 0 offset:68
	buffer_store_dword v1, off, s[0:3], 0 offset:64
	flat_load_dwordx4 v[1:4], v[49:50]
	v_lshlrev_b64 v[8:9], 4, v[7:8]
	v_add_nc_u32_e32 v7, s13, v7
	s_waitcnt vmcnt(0) lgkmcnt(0)
	buffer_store_dword v4, off, s[0:3], 0 offset:92
	buffer_store_dword v3, off, s[0:3], 0 offset:88
	buffer_store_dword v2, off, s[0:3], 0 offset:84
	buffer_store_dword v1, off, s[0:3], 0 offset:80
	flat_load_dwordx4 v[1:4], v[47:48]
	v_add_co_u32 v45, vcc_lo, s6, v8
	v_add_co_ci_u32_e64 v46, null, s7, v9, vcc_lo
	v_ashrrev_i32_e32 v8, 31, v7
	s_waitcnt vmcnt(0) lgkmcnt(0)
	buffer_store_dword v4, off, s[0:3], 0 offset:108
	buffer_store_dword v3, off, s[0:3], 0 offset:104
	buffer_store_dword v2, off, s[0:3], 0 offset:100
	buffer_store_dword v1, off, s[0:3], 0 offset:96
	flat_load_dwordx4 v[1:4], v[45:46]
	v_lshlrev_b64 v[8:9], 4, v[7:8]
	v_add_nc_u32_e32 v7, s13, v7
	s_waitcnt vmcnt(0) lgkmcnt(0)
	buffer_store_dword v4, off, s[0:3], 0 offset:124
	buffer_store_dword v3, off, s[0:3], 0 offset:120
	;; [unrolled: 1-line block ×4, first 2 shown]
	v_add_co_u32 v43, vcc_lo, s6, v8
	v_add_co_ci_u32_e64 v44, null, s7, v9, vcc_lo
	v_ashrrev_i32_e32 v8, 31, v7
	flat_load_dwordx4 v[1:4], v[43:44]
	s_waitcnt vmcnt(0) lgkmcnt(0)
	buffer_store_dword v4, off, s[0:3], 0 offset:140
	buffer_store_dword v3, off, s[0:3], 0 offset:136
	buffer_store_dword v2, off, s[0:3], 0 offset:132
	buffer_store_dword v1, off, s[0:3], 0 offset:128
	v_lshlrev_b64 v[8:9], 4, v[7:8]
	v_add_nc_u32_e32 v7, s13, v7
	v_add_co_u32 v41, vcc_lo, s6, v8
	v_add_co_ci_u32_e64 v42, null, s7, v9, vcc_lo
	v_ashrrev_i32_e32 v8, 31, v7
	flat_load_dwordx4 v[1:4], v[41:42]
	s_waitcnt vmcnt(0) lgkmcnt(0)
	buffer_store_dword v4, off, s[0:3], 0 offset:156
	buffer_store_dword v3, off, s[0:3], 0 offset:152
	buffer_store_dword v2, off, s[0:3], 0 offset:148
	buffer_store_dword v1, off, s[0:3], 0 offset:144
	v_lshlrev_b64 v[8:9], 4, v[7:8]
	v_add_nc_u32_e32 v7, s13, v7
	;; [unrolled: 11-line block ×15, first 2 shown]
	v_add_co_u32 v11, vcc_lo, s6, v8
	v_add_co_ci_u32_e64 v12, null, s7, v9, vcc_lo
	v_ashrrev_i32_e32 v8, 31, v7
	v_add_nc_u32_e32 v33, s13, v7
	flat_load_dwordx4 v[1:4], v[11:12]
	s_waitcnt vmcnt(0) lgkmcnt(0)
	buffer_store_dword v4, off, s[0:3], 0 offset:380
	buffer_store_dword v3, off, s[0:3], 0 offset:376
	;; [unrolled: 1-line block ×4, first 2 shown]
	v_lshlrev_b64 v[9:10], 4, v[7:8]
	v_ashrrev_i32_e32 v34, 31, v33
	v_add_nc_u32_e32 v51, s13, v33
	v_add_co_u32 v9, vcc_lo, s6, v9
	v_add_co_ci_u32_e64 v10, null, s7, v10, vcc_lo
	v_lshlrev_b64 v[7:8], 4, v[33:34]
	v_ashrrev_i32_e32 v52, 31, v51
	v_add_nc_u32_e32 v61, s13, v51
	flat_load_dwordx4 v[1:4], v[9:10]
	s_waitcnt vmcnt(0) lgkmcnt(0)
	buffer_store_dword v4, off, s[0:3], 0 offset:396
	buffer_store_dword v3, off, s[0:3], 0 offset:392
	buffer_store_dword v2, off, s[0:3], 0 offset:388
	buffer_store_dword v1, off, s[0:3], 0 offset:384
	v_add_co_u32 v7, vcc_lo, s6, v7
	v_add_co_ci_u32_e64 v8, null, s7, v8, vcc_lo
	v_lshlrev_b64 v[33:34], 4, v[51:52]
	v_ashrrev_i32_e32 v62, 31, v61
	v_add_nc_u32_e32 v63, s13, v61
	flat_load_dwordx4 v[1:4], v[7:8]
	s_waitcnt vmcnt(0) lgkmcnt(0)
	buffer_store_dword v4, off, s[0:3], 0 offset:412
	buffer_store_dword v3, off, s[0:3], 0 offset:408
	buffer_store_dword v2, off, s[0:3], 0 offset:404
	buffer_store_dword v1, off, s[0:3], 0 offset:400
	;; [unrolled: 11-line block ×27, first 2 shown]
	v_add_co_u32 v107, vcc_lo, s6, v107
	v_add_co_ci_u32_e64 v108, null, s7, v108, vcc_lo
	v_lshlrev_b64 v[109:110], 4, v[111:112]
	v_ashrrev_i32_e32 v114, 31, v113
	flat_load_dwordx4 v[1:4], v[107:108]
	s_waitcnt vmcnt(0) lgkmcnt(0)
	buffer_store_dword v4, off, s[0:3], 0 offset:828
	buffer_store_dword v3, off, s[0:3], 0 offset:824
	;; [unrolled: 1-line block ×4, first 2 shown]
	v_add_co_u32 v109, vcc_lo, s6, v109
	v_add_co_ci_u32_e64 v110, null, s7, v110, vcc_lo
	v_lshlrev_b64 v[111:112], 4, v[113:114]
	v_add_nc_u32_e32 v113, s13, v113
	s_movk_i32 s13, 0xc0
	flat_load_dwordx4 v[1:4], v[109:110]
	s_waitcnt vmcnt(0) lgkmcnt(0)
	buffer_store_dword v4, off, s[0:3], 0 offset:844
	buffer_store_dword v3, off, s[0:3], 0 offset:840
	;; [unrolled: 1-line block ×4, first 2 shown]
	v_add_co_u32 v111, vcc_lo, s6, v111
	v_add_co_ci_u32_e64 v112, null, s7, v112, vcc_lo
	v_ashrrev_i32_e32 v114, 31, v113
	flat_load_dwordx4 v[1:4], v[111:112]
	s_waitcnt vmcnt(0) lgkmcnt(0)
	buffer_store_dword v4, off, s[0:3], 0 offset:860
	buffer_store_dword v3, off, s[0:3], 0 offset:856
	buffer_store_dword v2, off, s[0:3], 0 offset:852
	buffer_store_dword v1, off, s[0:3], 0 offset:848
	v_lshlrev_b64 v[113:114], 4, v[113:114]
	v_add_co_u32 v113, vcc_lo, s6, v113
	v_add_co_ci_u32_e64 v114, null, s7, v114, vcc_lo
	s_movk_i32 s6, 0x70
	s_movk_i32 s7, 0x80
	flat_load_dwordx4 v[1:4], v[113:114]
	s_waitcnt vmcnt(0) lgkmcnt(0)
	buffer_store_dword v4, off, s[0:3], 0 offset:876
	buffer_store_dword v3, off, s[0:3], 0 offset:872
	;; [unrolled: 1-line block ×4, first 2 shown]
	s_cbranch_scc1 .LBB118_7
; %bb.2:
	v_lshl_add_u32 v122, v0, 4, 0
                                        ; implicit-def: $vgpr117_vgpr118
                                        ; implicit-def: $vgpr3_vgpr4
	s_clause 0x3
	buffer_load_dword v115, v122, s[0:3], 0 offen
	buffer_load_dword v116, v122, s[0:3], 0 offen offset:4
	buffer_load_dword v119, v122, s[0:3], 0 offen offset:8
	;; [unrolled: 1-line block ×3, first 2 shown]
	s_waitcnt vmcnt(0)
	v_cmp_ngt_f64_e64 s9, |v[115:116]|, |v[119:120]|
	s_and_saveexec_b32 s33, s9
	s_xor_b32 s9, exec_lo, s33
	s_cbranch_execz .LBB118_4
; %bb.3:
	v_div_scale_f64 v[1:2], null, v[119:120], v[119:120], v[115:116]
	v_div_scale_f64 v[123:124], vcc_lo, v[115:116], v[119:120], v[115:116]
	v_rcp_f64_e32 v[3:4], v[1:2]
	v_fma_f64 v[117:118], -v[1:2], v[3:4], 1.0
	v_fma_f64 v[3:4], v[3:4], v[117:118], v[3:4]
	v_fma_f64 v[117:118], -v[1:2], v[3:4], 1.0
	v_fma_f64 v[3:4], v[3:4], v[117:118], v[3:4]
	v_mul_f64 v[117:118], v[123:124], v[3:4]
	v_fma_f64 v[1:2], -v[1:2], v[117:118], v[123:124]
	v_div_fmas_f64 v[1:2], v[1:2], v[3:4], v[117:118]
	v_div_fixup_f64 v[1:2], v[1:2], v[119:120], v[115:116]
	v_fma_f64 v[3:4], v[115:116], v[1:2], v[119:120]
	v_div_scale_f64 v[115:116], null, v[3:4], v[3:4], 1.0
	v_div_scale_f64 v[123:124], vcc_lo, 1.0, v[3:4], 1.0
	v_rcp_f64_e32 v[117:118], v[115:116]
	v_fma_f64 v[119:120], -v[115:116], v[117:118], 1.0
	v_fma_f64 v[117:118], v[117:118], v[119:120], v[117:118]
	v_fma_f64 v[119:120], -v[115:116], v[117:118], 1.0
	v_fma_f64 v[117:118], v[117:118], v[119:120], v[117:118]
	v_mul_f64 v[119:120], v[123:124], v[117:118]
	v_fma_f64 v[115:116], -v[115:116], v[119:120], v[123:124]
	v_div_fmas_f64 v[115:116], v[115:116], v[117:118], v[119:120]
                                        ; implicit-def: $vgpr119_vgpr120
	v_div_fixup_f64 v[3:4], v[115:116], v[3:4], 1.0
                                        ; implicit-def: $vgpr115_vgpr116
	v_mul_f64 v[117:118], v[1:2], v[3:4]
	v_xor_b32_e32 v4, 0x80000000, v4
	v_xor_b32_e32 v2, 0x80000000, v118
	v_mov_b32_e32 v1, v117
.LBB118_4:
	s_andn2_saveexec_b32 s9, s9
	s_cbranch_execz .LBB118_6
; %bb.5:
	v_div_scale_f64 v[1:2], null, v[115:116], v[115:116], v[119:120]
	v_div_scale_f64 v[123:124], vcc_lo, v[119:120], v[115:116], v[119:120]
	v_rcp_f64_e32 v[3:4], v[1:2]
	v_fma_f64 v[117:118], -v[1:2], v[3:4], 1.0
	v_fma_f64 v[3:4], v[3:4], v[117:118], v[3:4]
	v_fma_f64 v[117:118], -v[1:2], v[3:4], 1.0
	v_fma_f64 v[3:4], v[3:4], v[117:118], v[3:4]
	v_mul_f64 v[117:118], v[123:124], v[3:4]
	v_fma_f64 v[1:2], -v[1:2], v[117:118], v[123:124]
	v_div_fmas_f64 v[1:2], v[1:2], v[3:4], v[117:118]
	v_div_fixup_f64 v[1:2], v[1:2], v[115:116], v[119:120]
	v_fma_f64 v[3:4], v[119:120], v[1:2], v[115:116]
	v_div_scale_f64 v[115:116], null, v[3:4], v[3:4], 1.0
	v_rcp_f64_e32 v[117:118], v[115:116]
	v_fma_f64 v[119:120], -v[115:116], v[117:118], 1.0
	v_fma_f64 v[117:118], v[117:118], v[119:120], v[117:118]
	v_fma_f64 v[119:120], -v[115:116], v[117:118], 1.0
	v_fma_f64 v[117:118], v[117:118], v[119:120], v[117:118]
	v_div_scale_f64 v[119:120], vcc_lo, 1.0, v[3:4], 1.0
	v_mul_f64 v[123:124], v[119:120], v[117:118]
	v_fma_f64 v[115:116], -v[115:116], v[123:124], v[119:120]
	v_div_fmas_f64 v[115:116], v[115:116], v[117:118], v[123:124]
	v_div_fixup_f64 v[117:118], v[115:116], v[3:4], 1.0
	v_mul_f64 v[3:4], v[1:2], -v[117:118]
	v_xor_b32_e32 v2, 0x80000000, v118
	v_mov_b32_e32 v1, v117
.LBB118_6:
	s_or_b32 exec_lo, exec_lo, s9
	buffer_store_dword v4, v122, s[0:3], 0 offen offset:12
	v_xor_b32_e32 v4, 0x80000000, v4
	buffer_store_dword v118, v122, s[0:3], 0 offen offset:4
	buffer_store_dword v117, v122, s[0:3], 0 offen
	buffer_store_dword v3, v122, s[0:3], 0 offen offset:8
	s_branch .LBB118_8
.LBB118_7:
	v_mov_b32_e32 v1, 0
	v_mov_b32_e32 v3, 0
	;; [unrolled: 1-line block ×4, first 2 shown]
.LBB118_8:
	v_add_nc_u32_e32 v116, 0x370, v121
	v_mov_b32_e32 v115, v121
	s_mov_b32 s61, 16
	s_mov_b32 s60, 32
	;; [unrolled: 1-line block ×53, first 2 shown]
	s_cmpk_eq_i32 s8, 0x79
	ds_write_b128 v121, v[1:4]
	s_cbranch_scc1 .LBB118_436
; %bb.9:
	v_mov_b32_e32 v4, s7
	v_cmp_eq_u32_e64 s4, 54, v0
	s_clause 0x3
	buffer_load_dword v1, v4, s[0:3], 0 offen
	buffer_load_dword v2, v4, s[0:3], 0 offen offset:4
	buffer_load_dword v3, v4, s[0:3], 0 offen offset:8
	;; [unrolled: 1-line block ×3, first 2 shown]
	s_waitcnt vmcnt(0)
	ds_write_b128 v116, v[1:4]
	s_waitcnt lgkmcnt(0)
	s_waitcnt_vscnt null, 0x0
	s_barrier
	buffer_gl0_inv
	s_and_saveexec_b32 s5, s4
	s_cbranch_execz .LBB118_13
; %bb.10:
	ds_read_b128 v[1:4], v116
	s_andn2_b32 vcc_lo, exec_lo, s62
	s_cbranch_vccnz .LBB118_12
; %bb.11:
	s_clause 0x3
	buffer_load_dword v117, v115, s[0:3], 0 offen offset:8
	buffer_load_dword v118, v115, s[0:3], 0 offen offset:12
	buffer_load_dword v119, v115, s[0:3], 0 offen
	buffer_load_dword v120, v115, s[0:3], 0 offen offset:4
	s_waitcnt vmcnt(2) lgkmcnt(0)
	v_mul_f64 v[122:123], v[3:4], v[117:118]
	v_mul_f64 v[117:118], v[1:2], v[117:118]
	s_waitcnt vmcnt(0)
	v_fma_f64 v[1:2], v[1:2], v[119:120], -v[122:123]
	v_fma_f64 v[3:4], v[3:4], v[119:120], v[117:118]
.LBB118_12:
	v_mov_b32_e32 v117, 0
	ds_read_b128 v[117:120], v117 offset:848
	s_waitcnt lgkmcnt(0)
	v_mul_f64 v[122:123], v[3:4], v[119:120]
	v_mul_f64 v[119:120], v[1:2], v[119:120]
	v_fma_f64 v[1:2], v[1:2], v[117:118], -v[122:123]
	v_fma_f64 v[3:4], v[3:4], v[117:118], v[119:120]
	buffer_store_dword v2, off, s[0:3], 0 offset:852
	buffer_store_dword v1, off, s[0:3], 0 offset:848
	;; [unrolled: 1-line block ×4, first 2 shown]
.LBB118_13:
	s_or_b32 exec_lo, exec_lo, s5
	v_mov_b32_e32 v4, s9
	v_cmp_lt_u32_e64 s5, 52, v0
	s_clause 0x3
	buffer_load_dword v1, v4, s[0:3], 0 offen
	buffer_load_dword v2, v4, s[0:3], 0 offen offset:4
	buffer_load_dword v3, v4, s[0:3], 0 offen offset:8
	;; [unrolled: 1-line block ×3, first 2 shown]
	s_waitcnt vmcnt(0)
	ds_write_b128 v116, v[1:4]
	s_waitcnt lgkmcnt(0)
	s_waitcnt_vscnt null, 0x0
	s_barrier
	buffer_gl0_inv
	s_and_saveexec_b32 s8, s5
	s_cbranch_execz .LBB118_19
; %bb.14:
	ds_read_b128 v[1:4], v116
	s_andn2_b32 vcc_lo, exec_lo, s62
	s_cbranch_vccnz .LBB118_16
; %bb.15:
	s_clause 0x3
	buffer_load_dword v117, v115, s[0:3], 0 offen offset:8
	buffer_load_dword v118, v115, s[0:3], 0 offen offset:12
	buffer_load_dword v119, v115, s[0:3], 0 offen
	buffer_load_dword v120, v115, s[0:3], 0 offen offset:4
	s_waitcnt vmcnt(2) lgkmcnt(0)
	v_mul_f64 v[122:123], v[3:4], v[117:118]
	v_mul_f64 v[117:118], v[1:2], v[117:118]
	s_waitcnt vmcnt(0)
	v_fma_f64 v[1:2], v[1:2], v[119:120], -v[122:123]
	v_fma_f64 v[3:4], v[3:4], v[119:120], v[117:118]
.LBB118_16:
	s_and_saveexec_b32 s63, s4
	s_cbranch_execz .LBB118_18
; %bb.17:
	s_clause 0x3
	buffer_load_dword v122, off, s[0:3], 0 offset:856
	buffer_load_dword v123, off, s[0:3], 0 offset:860
	;; [unrolled: 1-line block ×4, first 2 shown]
	v_mov_b32_e32 v117, 0
	ds_read_b128 v[117:120], v117 offset:1728
	s_waitcnt vmcnt(2) lgkmcnt(0)
	v_mul_f64 v[126:127], v[117:118], v[122:123]
	v_mul_f64 v[122:123], v[119:120], v[122:123]
	s_waitcnt vmcnt(0)
	v_fma_f64 v[119:120], v[119:120], v[124:125], v[126:127]
	v_fma_f64 v[117:118], v[117:118], v[124:125], -v[122:123]
	v_add_f64 v[3:4], v[3:4], v[119:120]
	v_add_f64 v[1:2], v[1:2], v[117:118]
.LBB118_18:
	s_or_b32 exec_lo, exec_lo, s63
	v_mov_b32_e32 v117, 0
	ds_read_b128 v[117:120], v117 offset:832
	s_waitcnt lgkmcnt(0)
	v_mul_f64 v[122:123], v[3:4], v[119:120]
	v_mul_f64 v[119:120], v[1:2], v[119:120]
	v_fma_f64 v[1:2], v[1:2], v[117:118], -v[122:123]
	v_fma_f64 v[3:4], v[3:4], v[117:118], v[119:120]
	buffer_store_dword v2, off, s[0:3], 0 offset:836
	buffer_store_dword v1, off, s[0:3], 0 offset:832
	buffer_store_dword v4, off, s[0:3], 0 offset:844
	buffer_store_dword v3, off, s[0:3], 0 offset:840
.LBB118_19:
	s_or_b32 exec_lo, exec_lo, s8
	v_mov_b32_e32 v4, s10
	v_cmp_lt_u32_e64 s4, 51, v0
	s_clause 0x3
	buffer_load_dword v1, v4, s[0:3], 0 offen
	buffer_load_dword v2, v4, s[0:3], 0 offen offset:4
	buffer_load_dword v3, v4, s[0:3], 0 offen offset:8
	buffer_load_dword v4, v4, s[0:3], 0 offen offset:12
	s_waitcnt vmcnt(0)
	ds_write_b128 v116, v[1:4]
	s_waitcnt lgkmcnt(0)
	s_waitcnt_vscnt null, 0x0
	s_barrier
	buffer_gl0_inv
	s_and_saveexec_b32 s8, s4
	s_cbranch_execz .LBB118_27
; %bb.20:
	ds_read_b128 v[1:4], v116
	s_andn2_b32 vcc_lo, exec_lo, s62
	s_cbranch_vccnz .LBB118_22
; %bb.21:
	s_clause 0x3
	buffer_load_dword v117, v115, s[0:3], 0 offen offset:8
	buffer_load_dword v118, v115, s[0:3], 0 offen offset:12
	buffer_load_dword v119, v115, s[0:3], 0 offen
	buffer_load_dword v120, v115, s[0:3], 0 offen offset:4
	s_waitcnt vmcnt(2) lgkmcnt(0)
	v_mul_f64 v[122:123], v[3:4], v[117:118]
	v_mul_f64 v[117:118], v[1:2], v[117:118]
	s_waitcnt vmcnt(0)
	v_fma_f64 v[1:2], v[1:2], v[119:120], -v[122:123]
	v_fma_f64 v[3:4], v[3:4], v[119:120], v[117:118]
.LBB118_22:
	s_and_saveexec_b32 s63, s5
	s_cbranch_execz .LBB118_26
; %bb.23:
	v_subrev_nc_u32_e32 v117, 52, v0
	s_movk_i32 s64, 0x6b0
	s_mov_b32 s5, 0
	s_mov_b32 s65, s9
	.p2align	6
.LBB118_24:                             ; =>This Inner Loop Header: Depth=1
	v_mov_b32_e32 v120, s65
	v_add_nc_u32_e32 v117, -1, v117
	s_add_i32 s65, s65, 16
	s_clause 0x3
	buffer_load_dword v118, v120, s[0:3], 0 offen offset:8
	buffer_load_dword v119, v120, s[0:3], 0 offen offset:12
	buffer_load_dword v126, v120, s[0:3], 0 offen
	buffer_load_dword v127, v120, s[0:3], 0 offen offset:4
	v_mov_b32_e32 v120, s64
	v_cmp_eq_u32_e32 vcc_lo, 0, v117
	s_add_i32 s64, s64, 16
	ds_read_b128 v[122:125], v120
	s_or_b32 s5, vcc_lo, s5
	s_waitcnt vmcnt(2) lgkmcnt(0)
	v_mul_f64 v[128:129], v[124:125], v[118:119]
	v_mul_f64 v[118:119], v[122:123], v[118:119]
	s_waitcnt vmcnt(0)
	v_fma_f64 v[122:123], v[122:123], v[126:127], -v[128:129]
	v_fma_f64 v[118:119], v[124:125], v[126:127], v[118:119]
	v_add_f64 v[1:2], v[1:2], v[122:123]
	v_add_f64 v[3:4], v[3:4], v[118:119]
	s_andn2_b32 exec_lo, exec_lo, s5
	s_cbranch_execnz .LBB118_24
; %bb.25:
	s_or_b32 exec_lo, exec_lo, s5
.LBB118_26:
	s_or_b32 exec_lo, exec_lo, s63
	v_mov_b32_e32 v117, 0
	ds_read_b128 v[117:120], v117 offset:816
	s_waitcnt lgkmcnt(0)
	v_mul_f64 v[122:123], v[3:4], v[119:120]
	v_mul_f64 v[119:120], v[1:2], v[119:120]
	v_fma_f64 v[1:2], v[1:2], v[117:118], -v[122:123]
	v_fma_f64 v[3:4], v[3:4], v[117:118], v[119:120]
	buffer_store_dword v2, off, s[0:3], 0 offset:820
	buffer_store_dword v1, off, s[0:3], 0 offset:816
	;; [unrolled: 1-line block ×4, first 2 shown]
.LBB118_27:
	s_or_b32 exec_lo, exec_lo, s8
	v_mov_b32_e32 v4, s11
	v_cmp_lt_u32_e64 s5, 50, v0
	s_clause 0x3
	buffer_load_dword v1, v4, s[0:3], 0 offen
	buffer_load_dword v2, v4, s[0:3], 0 offen offset:4
	buffer_load_dword v3, v4, s[0:3], 0 offen offset:8
	;; [unrolled: 1-line block ×3, first 2 shown]
	s_waitcnt vmcnt(0)
	ds_write_b128 v116, v[1:4]
	s_waitcnt lgkmcnt(0)
	s_waitcnt_vscnt null, 0x0
	s_barrier
	buffer_gl0_inv
	s_and_saveexec_b32 s8, s5
	s_cbranch_execz .LBB118_35
; %bb.28:
	ds_read_b128 v[1:4], v116
	s_andn2_b32 vcc_lo, exec_lo, s62
	s_cbranch_vccnz .LBB118_30
; %bb.29:
	s_clause 0x3
	buffer_load_dword v117, v115, s[0:3], 0 offen offset:8
	buffer_load_dword v118, v115, s[0:3], 0 offen offset:12
	buffer_load_dword v119, v115, s[0:3], 0 offen
	buffer_load_dword v120, v115, s[0:3], 0 offen offset:4
	s_waitcnt vmcnt(2) lgkmcnt(0)
	v_mul_f64 v[122:123], v[3:4], v[117:118]
	v_mul_f64 v[117:118], v[1:2], v[117:118]
	s_waitcnt vmcnt(0)
	v_fma_f64 v[1:2], v[1:2], v[119:120], -v[122:123]
	v_fma_f64 v[3:4], v[3:4], v[119:120], v[117:118]
.LBB118_30:
	s_and_saveexec_b32 s63, s4
	s_cbranch_execz .LBB118_34
; %bb.31:
	v_subrev_nc_u32_e32 v117, 51, v0
	s_movk_i32 s64, 0x6a0
	s_mov_b32 s4, 0
	s_mov_b32 s65, s10
	.p2align	6
.LBB118_32:                             ; =>This Inner Loop Header: Depth=1
	v_mov_b32_e32 v120, s65
	v_add_nc_u32_e32 v117, -1, v117
	s_add_i32 s65, s65, 16
	s_clause 0x3
	buffer_load_dword v118, v120, s[0:3], 0 offen offset:8
	buffer_load_dword v119, v120, s[0:3], 0 offen offset:12
	buffer_load_dword v126, v120, s[0:3], 0 offen
	buffer_load_dword v127, v120, s[0:3], 0 offen offset:4
	v_mov_b32_e32 v120, s64
	v_cmp_eq_u32_e32 vcc_lo, 0, v117
	s_add_i32 s64, s64, 16
	ds_read_b128 v[122:125], v120
	s_or_b32 s4, vcc_lo, s4
	s_waitcnt vmcnt(2) lgkmcnt(0)
	v_mul_f64 v[128:129], v[124:125], v[118:119]
	v_mul_f64 v[118:119], v[122:123], v[118:119]
	s_waitcnt vmcnt(0)
	v_fma_f64 v[122:123], v[122:123], v[126:127], -v[128:129]
	v_fma_f64 v[118:119], v[124:125], v[126:127], v[118:119]
	v_add_f64 v[1:2], v[1:2], v[122:123]
	v_add_f64 v[3:4], v[3:4], v[118:119]
	s_andn2_b32 exec_lo, exec_lo, s4
	s_cbranch_execnz .LBB118_32
; %bb.33:
	s_or_b32 exec_lo, exec_lo, s4
.LBB118_34:
	s_or_b32 exec_lo, exec_lo, s63
	v_mov_b32_e32 v117, 0
	ds_read_b128 v[117:120], v117 offset:800
	s_waitcnt lgkmcnt(0)
	v_mul_f64 v[122:123], v[3:4], v[119:120]
	v_mul_f64 v[119:120], v[1:2], v[119:120]
	v_fma_f64 v[1:2], v[1:2], v[117:118], -v[122:123]
	v_fma_f64 v[3:4], v[3:4], v[117:118], v[119:120]
	buffer_store_dword v2, off, s[0:3], 0 offset:804
	buffer_store_dword v1, off, s[0:3], 0 offset:800
	;; [unrolled: 1-line block ×4, first 2 shown]
.LBB118_35:
	s_or_b32 exec_lo, exec_lo, s8
	v_mov_b32_e32 v4, s12
	v_cmp_lt_u32_e64 s4, 49, v0
	s_clause 0x3
	buffer_load_dword v1, v4, s[0:3], 0 offen
	buffer_load_dword v2, v4, s[0:3], 0 offen offset:4
	buffer_load_dword v3, v4, s[0:3], 0 offen offset:8
	;; [unrolled: 1-line block ×3, first 2 shown]
	s_waitcnt vmcnt(0)
	ds_write_b128 v116, v[1:4]
	s_waitcnt lgkmcnt(0)
	s_waitcnt_vscnt null, 0x0
	s_barrier
	buffer_gl0_inv
	s_and_saveexec_b32 s8, s4
	s_cbranch_execz .LBB118_43
; %bb.36:
	ds_read_b128 v[1:4], v116
	s_andn2_b32 vcc_lo, exec_lo, s62
	s_cbranch_vccnz .LBB118_38
; %bb.37:
	s_clause 0x3
	buffer_load_dword v117, v115, s[0:3], 0 offen offset:8
	buffer_load_dword v118, v115, s[0:3], 0 offen offset:12
	buffer_load_dword v119, v115, s[0:3], 0 offen
	buffer_load_dword v120, v115, s[0:3], 0 offen offset:4
	s_waitcnt vmcnt(2) lgkmcnt(0)
	v_mul_f64 v[122:123], v[3:4], v[117:118]
	v_mul_f64 v[117:118], v[1:2], v[117:118]
	s_waitcnt vmcnt(0)
	v_fma_f64 v[1:2], v[1:2], v[119:120], -v[122:123]
	v_fma_f64 v[3:4], v[3:4], v[119:120], v[117:118]
.LBB118_38:
	s_and_saveexec_b32 s63, s5
	s_cbranch_execz .LBB118_42
; %bb.39:
	v_subrev_nc_u32_e32 v117, 50, v0
	s_movk_i32 s64, 0x690
	s_mov_b32 s5, 0
	s_mov_b32 s65, s11
	.p2align	6
.LBB118_40:                             ; =>This Inner Loop Header: Depth=1
	v_mov_b32_e32 v120, s65
	v_add_nc_u32_e32 v117, -1, v117
	s_add_i32 s65, s65, 16
	s_clause 0x3
	buffer_load_dword v118, v120, s[0:3], 0 offen offset:8
	buffer_load_dword v119, v120, s[0:3], 0 offen offset:12
	buffer_load_dword v126, v120, s[0:3], 0 offen
	buffer_load_dword v127, v120, s[0:3], 0 offen offset:4
	v_mov_b32_e32 v120, s64
	v_cmp_eq_u32_e32 vcc_lo, 0, v117
	s_add_i32 s64, s64, 16
	ds_read_b128 v[122:125], v120
	s_or_b32 s5, vcc_lo, s5
	s_waitcnt vmcnt(2) lgkmcnt(0)
	v_mul_f64 v[128:129], v[124:125], v[118:119]
	v_mul_f64 v[118:119], v[122:123], v[118:119]
	s_waitcnt vmcnt(0)
	v_fma_f64 v[122:123], v[122:123], v[126:127], -v[128:129]
	v_fma_f64 v[118:119], v[124:125], v[126:127], v[118:119]
	v_add_f64 v[1:2], v[1:2], v[122:123]
	v_add_f64 v[3:4], v[3:4], v[118:119]
	s_andn2_b32 exec_lo, exec_lo, s5
	s_cbranch_execnz .LBB118_40
; %bb.41:
	s_or_b32 exec_lo, exec_lo, s5
.LBB118_42:
	s_or_b32 exec_lo, exec_lo, s63
	v_mov_b32_e32 v117, 0
	ds_read_b128 v[117:120], v117 offset:784
	s_waitcnt lgkmcnt(0)
	v_mul_f64 v[122:123], v[3:4], v[119:120]
	v_mul_f64 v[119:120], v[1:2], v[119:120]
	v_fma_f64 v[1:2], v[1:2], v[117:118], -v[122:123]
	v_fma_f64 v[3:4], v[3:4], v[117:118], v[119:120]
	buffer_store_dword v2, off, s[0:3], 0 offset:788
	buffer_store_dword v1, off, s[0:3], 0 offset:784
	;; [unrolled: 1-line block ×4, first 2 shown]
.LBB118_43:
	s_or_b32 exec_lo, exec_lo, s8
	v_mov_b32_e32 v4, s13
	v_cmp_lt_u32_e64 s5, 48, v0
	s_clause 0x3
	buffer_load_dword v1, v4, s[0:3], 0 offen
	buffer_load_dword v2, v4, s[0:3], 0 offen offset:4
	buffer_load_dword v3, v4, s[0:3], 0 offen offset:8
	;; [unrolled: 1-line block ×3, first 2 shown]
	s_waitcnt vmcnt(0)
	ds_write_b128 v116, v[1:4]
	s_waitcnt lgkmcnt(0)
	s_waitcnt_vscnt null, 0x0
	s_barrier
	buffer_gl0_inv
	s_and_saveexec_b32 s8, s5
	s_cbranch_execz .LBB118_51
; %bb.44:
	ds_read_b128 v[1:4], v116
	s_andn2_b32 vcc_lo, exec_lo, s62
	s_cbranch_vccnz .LBB118_46
; %bb.45:
	s_clause 0x3
	buffer_load_dword v117, v115, s[0:3], 0 offen offset:8
	buffer_load_dword v118, v115, s[0:3], 0 offen offset:12
	buffer_load_dword v119, v115, s[0:3], 0 offen
	buffer_load_dword v120, v115, s[0:3], 0 offen offset:4
	s_waitcnt vmcnt(2) lgkmcnt(0)
	v_mul_f64 v[122:123], v[3:4], v[117:118]
	v_mul_f64 v[117:118], v[1:2], v[117:118]
	s_waitcnt vmcnt(0)
	v_fma_f64 v[1:2], v[1:2], v[119:120], -v[122:123]
	v_fma_f64 v[3:4], v[3:4], v[119:120], v[117:118]
.LBB118_46:
	s_and_saveexec_b32 s63, s4
	s_cbranch_execz .LBB118_50
; %bb.47:
	v_subrev_nc_u32_e32 v117, 49, v0
	s_movk_i32 s64, 0x680
	s_mov_b32 s4, 0
	s_mov_b32 s65, s12
	.p2align	6
.LBB118_48:                             ; =>This Inner Loop Header: Depth=1
	v_mov_b32_e32 v120, s65
	v_add_nc_u32_e32 v117, -1, v117
	s_add_i32 s65, s65, 16
	s_clause 0x3
	buffer_load_dword v118, v120, s[0:3], 0 offen offset:8
	buffer_load_dword v119, v120, s[0:3], 0 offen offset:12
	buffer_load_dword v126, v120, s[0:3], 0 offen
	buffer_load_dword v127, v120, s[0:3], 0 offen offset:4
	v_mov_b32_e32 v120, s64
	v_cmp_eq_u32_e32 vcc_lo, 0, v117
	s_add_i32 s64, s64, 16
	ds_read_b128 v[122:125], v120
	s_or_b32 s4, vcc_lo, s4
	s_waitcnt vmcnt(2) lgkmcnt(0)
	v_mul_f64 v[128:129], v[124:125], v[118:119]
	v_mul_f64 v[118:119], v[122:123], v[118:119]
	s_waitcnt vmcnt(0)
	v_fma_f64 v[122:123], v[122:123], v[126:127], -v[128:129]
	v_fma_f64 v[118:119], v[124:125], v[126:127], v[118:119]
	v_add_f64 v[1:2], v[1:2], v[122:123]
	v_add_f64 v[3:4], v[3:4], v[118:119]
	s_andn2_b32 exec_lo, exec_lo, s4
	s_cbranch_execnz .LBB118_48
; %bb.49:
	s_or_b32 exec_lo, exec_lo, s4
.LBB118_50:
	s_or_b32 exec_lo, exec_lo, s63
	v_mov_b32_e32 v117, 0
	ds_read_b128 v[117:120], v117 offset:768
	s_waitcnt lgkmcnt(0)
	v_mul_f64 v[122:123], v[3:4], v[119:120]
	v_mul_f64 v[119:120], v[1:2], v[119:120]
	v_fma_f64 v[1:2], v[1:2], v[117:118], -v[122:123]
	v_fma_f64 v[3:4], v[3:4], v[117:118], v[119:120]
	buffer_store_dword v2, off, s[0:3], 0 offset:772
	buffer_store_dword v1, off, s[0:3], 0 offset:768
	;; [unrolled: 1-line block ×4, first 2 shown]
.LBB118_51:
	s_or_b32 exec_lo, exec_lo, s8
	v_mov_b32_e32 v4, s14
	v_cmp_lt_u32_e64 s4, 47, v0
	s_clause 0x3
	buffer_load_dword v1, v4, s[0:3], 0 offen
	buffer_load_dword v2, v4, s[0:3], 0 offen offset:4
	buffer_load_dword v3, v4, s[0:3], 0 offen offset:8
	;; [unrolled: 1-line block ×3, first 2 shown]
	s_waitcnt vmcnt(0)
	ds_write_b128 v116, v[1:4]
	s_waitcnt lgkmcnt(0)
	s_waitcnt_vscnt null, 0x0
	s_barrier
	buffer_gl0_inv
	s_and_saveexec_b32 s8, s4
	s_cbranch_execz .LBB118_59
; %bb.52:
	ds_read_b128 v[1:4], v116
	s_andn2_b32 vcc_lo, exec_lo, s62
	s_cbranch_vccnz .LBB118_54
; %bb.53:
	s_clause 0x3
	buffer_load_dword v117, v115, s[0:3], 0 offen offset:8
	buffer_load_dword v118, v115, s[0:3], 0 offen offset:12
	buffer_load_dword v119, v115, s[0:3], 0 offen
	buffer_load_dword v120, v115, s[0:3], 0 offen offset:4
	s_waitcnt vmcnt(2) lgkmcnt(0)
	v_mul_f64 v[122:123], v[3:4], v[117:118]
	v_mul_f64 v[117:118], v[1:2], v[117:118]
	s_waitcnt vmcnt(0)
	v_fma_f64 v[1:2], v[1:2], v[119:120], -v[122:123]
	v_fma_f64 v[3:4], v[3:4], v[119:120], v[117:118]
.LBB118_54:
	s_and_saveexec_b32 s63, s5
	s_cbranch_execz .LBB118_58
; %bb.55:
	v_subrev_nc_u32_e32 v117, 48, v0
	s_movk_i32 s64, 0x670
	s_mov_b32 s5, 0
	s_mov_b32 s65, s13
	.p2align	6
.LBB118_56:                             ; =>This Inner Loop Header: Depth=1
	v_mov_b32_e32 v120, s65
	v_add_nc_u32_e32 v117, -1, v117
	s_add_i32 s65, s65, 16
	s_clause 0x3
	buffer_load_dword v118, v120, s[0:3], 0 offen offset:8
	buffer_load_dword v119, v120, s[0:3], 0 offen offset:12
	buffer_load_dword v126, v120, s[0:3], 0 offen
	buffer_load_dword v127, v120, s[0:3], 0 offen offset:4
	v_mov_b32_e32 v120, s64
	v_cmp_eq_u32_e32 vcc_lo, 0, v117
	s_add_i32 s64, s64, 16
	ds_read_b128 v[122:125], v120
	s_or_b32 s5, vcc_lo, s5
	s_waitcnt vmcnt(2) lgkmcnt(0)
	v_mul_f64 v[128:129], v[124:125], v[118:119]
	v_mul_f64 v[118:119], v[122:123], v[118:119]
	s_waitcnt vmcnt(0)
	v_fma_f64 v[122:123], v[122:123], v[126:127], -v[128:129]
	v_fma_f64 v[118:119], v[124:125], v[126:127], v[118:119]
	v_add_f64 v[1:2], v[1:2], v[122:123]
	v_add_f64 v[3:4], v[3:4], v[118:119]
	s_andn2_b32 exec_lo, exec_lo, s5
	s_cbranch_execnz .LBB118_56
; %bb.57:
	s_or_b32 exec_lo, exec_lo, s5
.LBB118_58:
	s_or_b32 exec_lo, exec_lo, s63
	v_mov_b32_e32 v117, 0
	ds_read_b128 v[117:120], v117 offset:752
	s_waitcnt lgkmcnt(0)
	v_mul_f64 v[122:123], v[3:4], v[119:120]
	v_mul_f64 v[119:120], v[1:2], v[119:120]
	v_fma_f64 v[1:2], v[1:2], v[117:118], -v[122:123]
	v_fma_f64 v[3:4], v[3:4], v[117:118], v[119:120]
	buffer_store_dword v2, off, s[0:3], 0 offset:756
	buffer_store_dword v1, off, s[0:3], 0 offset:752
	;; [unrolled: 1-line block ×4, first 2 shown]
.LBB118_59:
	s_or_b32 exec_lo, exec_lo, s8
	v_mov_b32_e32 v4, s15
	v_cmp_lt_u32_e64 s5, 46, v0
	s_clause 0x3
	buffer_load_dword v1, v4, s[0:3], 0 offen
	buffer_load_dword v2, v4, s[0:3], 0 offen offset:4
	buffer_load_dword v3, v4, s[0:3], 0 offen offset:8
	;; [unrolled: 1-line block ×3, first 2 shown]
	s_waitcnt vmcnt(0)
	ds_write_b128 v116, v[1:4]
	s_waitcnt lgkmcnt(0)
	s_waitcnt_vscnt null, 0x0
	s_barrier
	buffer_gl0_inv
	s_and_saveexec_b32 s8, s5
	s_cbranch_execz .LBB118_67
; %bb.60:
	ds_read_b128 v[1:4], v116
	s_andn2_b32 vcc_lo, exec_lo, s62
	s_cbranch_vccnz .LBB118_62
; %bb.61:
	s_clause 0x3
	buffer_load_dword v117, v115, s[0:3], 0 offen offset:8
	buffer_load_dword v118, v115, s[0:3], 0 offen offset:12
	buffer_load_dword v119, v115, s[0:3], 0 offen
	buffer_load_dword v120, v115, s[0:3], 0 offen offset:4
	s_waitcnt vmcnt(2) lgkmcnt(0)
	v_mul_f64 v[122:123], v[3:4], v[117:118]
	v_mul_f64 v[117:118], v[1:2], v[117:118]
	s_waitcnt vmcnt(0)
	v_fma_f64 v[1:2], v[1:2], v[119:120], -v[122:123]
	v_fma_f64 v[3:4], v[3:4], v[119:120], v[117:118]
.LBB118_62:
	s_and_saveexec_b32 s63, s4
	s_cbranch_execz .LBB118_66
; %bb.63:
	v_subrev_nc_u32_e32 v117, 47, v0
	s_movk_i32 s64, 0x660
	s_mov_b32 s4, 0
	s_mov_b32 s65, s14
	.p2align	6
.LBB118_64:                             ; =>This Inner Loop Header: Depth=1
	v_mov_b32_e32 v120, s65
	v_add_nc_u32_e32 v117, -1, v117
	s_add_i32 s65, s65, 16
	s_clause 0x3
	buffer_load_dword v118, v120, s[0:3], 0 offen offset:8
	buffer_load_dword v119, v120, s[0:3], 0 offen offset:12
	buffer_load_dword v126, v120, s[0:3], 0 offen
	buffer_load_dword v127, v120, s[0:3], 0 offen offset:4
	v_mov_b32_e32 v120, s64
	v_cmp_eq_u32_e32 vcc_lo, 0, v117
	s_add_i32 s64, s64, 16
	ds_read_b128 v[122:125], v120
	s_or_b32 s4, vcc_lo, s4
	s_waitcnt vmcnt(2) lgkmcnt(0)
	v_mul_f64 v[128:129], v[124:125], v[118:119]
	v_mul_f64 v[118:119], v[122:123], v[118:119]
	s_waitcnt vmcnt(0)
	v_fma_f64 v[122:123], v[122:123], v[126:127], -v[128:129]
	v_fma_f64 v[118:119], v[124:125], v[126:127], v[118:119]
	v_add_f64 v[1:2], v[1:2], v[122:123]
	v_add_f64 v[3:4], v[3:4], v[118:119]
	s_andn2_b32 exec_lo, exec_lo, s4
	s_cbranch_execnz .LBB118_64
; %bb.65:
	s_or_b32 exec_lo, exec_lo, s4
.LBB118_66:
	s_or_b32 exec_lo, exec_lo, s63
	v_mov_b32_e32 v117, 0
	ds_read_b128 v[117:120], v117 offset:736
	s_waitcnt lgkmcnt(0)
	v_mul_f64 v[122:123], v[3:4], v[119:120]
	v_mul_f64 v[119:120], v[1:2], v[119:120]
	v_fma_f64 v[1:2], v[1:2], v[117:118], -v[122:123]
	v_fma_f64 v[3:4], v[3:4], v[117:118], v[119:120]
	buffer_store_dword v2, off, s[0:3], 0 offset:740
	buffer_store_dword v1, off, s[0:3], 0 offset:736
	;; [unrolled: 1-line block ×4, first 2 shown]
.LBB118_67:
	s_or_b32 exec_lo, exec_lo, s8
	v_mov_b32_e32 v4, s16
	v_cmp_lt_u32_e64 s4, 45, v0
	s_clause 0x3
	buffer_load_dword v1, v4, s[0:3], 0 offen
	buffer_load_dword v2, v4, s[0:3], 0 offen offset:4
	buffer_load_dword v3, v4, s[0:3], 0 offen offset:8
	;; [unrolled: 1-line block ×3, first 2 shown]
	s_waitcnt vmcnt(0)
	ds_write_b128 v116, v[1:4]
	s_waitcnt lgkmcnt(0)
	s_waitcnt_vscnt null, 0x0
	s_barrier
	buffer_gl0_inv
	s_and_saveexec_b32 s8, s4
	s_cbranch_execz .LBB118_75
; %bb.68:
	ds_read_b128 v[1:4], v116
	s_andn2_b32 vcc_lo, exec_lo, s62
	s_cbranch_vccnz .LBB118_70
; %bb.69:
	s_clause 0x3
	buffer_load_dword v117, v115, s[0:3], 0 offen offset:8
	buffer_load_dword v118, v115, s[0:3], 0 offen offset:12
	buffer_load_dword v119, v115, s[0:3], 0 offen
	buffer_load_dword v120, v115, s[0:3], 0 offen offset:4
	s_waitcnt vmcnt(2) lgkmcnt(0)
	v_mul_f64 v[122:123], v[3:4], v[117:118]
	v_mul_f64 v[117:118], v[1:2], v[117:118]
	s_waitcnt vmcnt(0)
	v_fma_f64 v[1:2], v[1:2], v[119:120], -v[122:123]
	v_fma_f64 v[3:4], v[3:4], v[119:120], v[117:118]
.LBB118_70:
	s_and_saveexec_b32 s63, s5
	s_cbranch_execz .LBB118_74
; %bb.71:
	v_subrev_nc_u32_e32 v117, 46, v0
	s_movk_i32 s64, 0x650
	s_mov_b32 s5, 0
	s_mov_b32 s65, s15
	.p2align	6
.LBB118_72:                             ; =>This Inner Loop Header: Depth=1
	v_mov_b32_e32 v120, s65
	v_add_nc_u32_e32 v117, -1, v117
	s_add_i32 s65, s65, 16
	s_clause 0x3
	buffer_load_dword v118, v120, s[0:3], 0 offen offset:8
	buffer_load_dword v119, v120, s[0:3], 0 offen offset:12
	buffer_load_dword v126, v120, s[0:3], 0 offen
	buffer_load_dword v127, v120, s[0:3], 0 offen offset:4
	v_mov_b32_e32 v120, s64
	v_cmp_eq_u32_e32 vcc_lo, 0, v117
	s_add_i32 s64, s64, 16
	ds_read_b128 v[122:125], v120
	s_or_b32 s5, vcc_lo, s5
	s_waitcnt vmcnt(2) lgkmcnt(0)
	v_mul_f64 v[128:129], v[124:125], v[118:119]
	v_mul_f64 v[118:119], v[122:123], v[118:119]
	s_waitcnt vmcnt(0)
	v_fma_f64 v[122:123], v[122:123], v[126:127], -v[128:129]
	v_fma_f64 v[118:119], v[124:125], v[126:127], v[118:119]
	v_add_f64 v[1:2], v[1:2], v[122:123]
	v_add_f64 v[3:4], v[3:4], v[118:119]
	s_andn2_b32 exec_lo, exec_lo, s5
	s_cbranch_execnz .LBB118_72
; %bb.73:
	s_or_b32 exec_lo, exec_lo, s5
.LBB118_74:
	s_or_b32 exec_lo, exec_lo, s63
	v_mov_b32_e32 v117, 0
	ds_read_b128 v[117:120], v117 offset:720
	s_waitcnt lgkmcnt(0)
	v_mul_f64 v[122:123], v[3:4], v[119:120]
	v_mul_f64 v[119:120], v[1:2], v[119:120]
	v_fma_f64 v[1:2], v[1:2], v[117:118], -v[122:123]
	v_fma_f64 v[3:4], v[3:4], v[117:118], v[119:120]
	buffer_store_dword v2, off, s[0:3], 0 offset:724
	buffer_store_dword v1, off, s[0:3], 0 offset:720
	;; [unrolled: 1-line block ×4, first 2 shown]
.LBB118_75:
	s_or_b32 exec_lo, exec_lo, s8
	v_mov_b32_e32 v4, s17
	v_cmp_lt_u32_e64 s5, 44, v0
	s_clause 0x3
	buffer_load_dword v1, v4, s[0:3], 0 offen
	buffer_load_dword v2, v4, s[0:3], 0 offen offset:4
	buffer_load_dword v3, v4, s[0:3], 0 offen offset:8
	;; [unrolled: 1-line block ×3, first 2 shown]
	s_waitcnt vmcnt(0)
	ds_write_b128 v116, v[1:4]
	s_waitcnt lgkmcnt(0)
	s_waitcnt_vscnt null, 0x0
	s_barrier
	buffer_gl0_inv
	s_and_saveexec_b32 s8, s5
	s_cbranch_execz .LBB118_83
; %bb.76:
	ds_read_b128 v[1:4], v116
	s_andn2_b32 vcc_lo, exec_lo, s62
	s_cbranch_vccnz .LBB118_78
; %bb.77:
	s_clause 0x3
	buffer_load_dword v117, v115, s[0:3], 0 offen offset:8
	buffer_load_dword v118, v115, s[0:3], 0 offen offset:12
	buffer_load_dword v119, v115, s[0:3], 0 offen
	buffer_load_dword v120, v115, s[0:3], 0 offen offset:4
	s_waitcnt vmcnt(2) lgkmcnt(0)
	v_mul_f64 v[122:123], v[3:4], v[117:118]
	v_mul_f64 v[117:118], v[1:2], v[117:118]
	s_waitcnt vmcnt(0)
	v_fma_f64 v[1:2], v[1:2], v[119:120], -v[122:123]
	v_fma_f64 v[3:4], v[3:4], v[119:120], v[117:118]
.LBB118_78:
	s_and_saveexec_b32 s63, s4
	s_cbranch_execz .LBB118_82
; %bb.79:
	v_subrev_nc_u32_e32 v117, 45, v0
	s_movk_i32 s64, 0x640
	s_mov_b32 s4, 0
	s_mov_b32 s65, s16
	.p2align	6
.LBB118_80:                             ; =>This Inner Loop Header: Depth=1
	v_mov_b32_e32 v120, s65
	v_add_nc_u32_e32 v117, -1, v117
	s_add_i32 s65, s65, 16
	s_clause 0x3
	buffer_load_dword v118, v120, s[0:3], 0 offen offset:8
	buffer_load_dword v119, v120, s[0:3], 0 offen offset:12
	buffer_load_dword v126, v120, s[0:3], 0 offen
	buffer_load_dword v127, v120, s[0:3], 0 offen offset:4
	v_mov_b32_e32 v120, s64
	v_cmp_eq_u32_e32 vcc_lo, 0, v117
	s_add_i32 s64, s64, 16
	ds_read_b128 v[122:125], v120
	s_or_b32 s4, vcc_lo, s4
	s_waitcnt vmcnt(2) lgkmcnt(0)
	v_mul_f64 v[128:129], v[124:125], v[118:119]
	v_mul_f64 v[118:119], v[122:123], v[118:119]
	s_waitcnt vmcnt(0)
	v_fma_f64 v[122:123], v[122:123], v[126:127], -v[128:129]
	v_fma_f64 v[118:119], v[124:125], v[126:127], v[118:119]
	v_add_f64 v[1:2], v[1:2], v[122:123]
	v_add_f64 v[3:4], v[3:4], v[118:119]
	s_andn2_b32 exec_lo, exec_lo, s4
	s_cbranch_execnz .LBB118_80
; %bb.81:
	s_or_b32 exec_lo, exec_lo, s4
.LBB118_82:
	s_or_b32 exec_lo, exec_lo, s63
	v_mov_b32_e32 v117, 0
	ds_read_b128 v[117:120], v117 offset:704
	s_waitcnt lgkmcnt(0)
	v_mul_f64 v[122:123], v[3:4], v[119:120]
	v_mul_f64 v[119:120], v[1:2], v[119:120]
	v_fma_f64 v[1:2], v[1:2], v[117:118], -v[122:123]
	v_fma_f64 v[3:4], v[3:4], v[117:118], v[119:120]
	buffer_store_dword v2, off, s[0:3], 0 offset:708
	buffer_store_dword v1, off, s[0:3], 0 offset:704
	;; [unrolled: 1-line block ×4, first 2 shown]
.LBB118_83:
	s_or_b32 exec_lo, exec_lo, s8
	v_mov_b32_e32 v4, s18
	v_cmp_lt_u32_e64 s4, 43, v0
	s_clause 0x3
	buffer_load_dword v1, v4, s[0:3], 0 offen
	buffer_load_dword v2, v4, s[0:3], 0 offen offset:4
	buffer_load_dword v3, v4, s[0:3], 0 offen offset:8
	;; [unrolled: 1-line block ×3, first 2 shown]
	s_waitcnt vmcnt(0)
	ds_write_b128 v116, v[1:4]
	s_waitcnt lgkmcnt(0)
	s_waitcnt_vscnt null, 0x0
	s_barrier
	buffer_gl0_inv
	s_and_saveexec_b32 s8, s4
	s_cbranch_execz .LBB118_91
; %bb.84:
	ds_read_b128 v[1:4], v116
	s_andn2_b32 vcc_lo, exec_lo, s62
	s_cbranch_vccnz .LBB118_86
; %bb.85:
	s_clause 0x3
	buffer_load_dword v117, v115, s[0:3], 0 offen offset:8
	buffer_load_dword v118, v115, s[0:3], 0 offen offset:12
	buffer_load_dword v119, v115, s[0:3], 0 offen
	buffer_load_dword v120, v115, s[0:3], 0 offen offset:4
	s_waitcnt vmcnt(2) lgkmcnt(0)
	v_mul_f64 v[122:123], v[3:4], v[117:118]
	v_mul_f64 v[117:118], v[1:2], v[117:118]
	s_waitcnt vmcnt(0)
	v_fma_f64 v[1:2], v[1:2], v[119:120], -v[122:123]
	v_fma_f64 v[3:4], v[3:4], v[119:120], v[117:118]
.LBB118_86:
	s_and_saveexec_b32 s63, s5
	s_cbranch_execz .LBB118_90
; %bb.87:
	v_subrev_nc_u32_e32 v117, 44, v0
	s_movk_i32 s64, 0x630
	s_mov_b32 s5, 0
	s_mov_b32 s65, s17
	.p2align	6
.LBB118_88:                             ; =>This Inner Loop Header: Depth=1
	v_mov_b32_e32 v120, s65
	v_add_nc_u32_e32 v117, -1, v117
	s_add_i32 s65, s65, 16
	s_clause 0x3
	buffer_load_dword v118, v120, s[0:3], 0 offen offset:8
	buffer_load_dword v119, v120, s[0:3], 0 offen offset:12
	buffer_load_dword v126, v120, s[0:3], 0 offen
	buffer_load_dword v127, v120, s[0:3], 0 offen offset:4
	v_mov_b32_e32 v120, s64
	v_cmp_eq_u32_e32 vcc_lo, 0, v117
	s_add_i32 s64, s64, 16
	ds_read_b128 v[122:125], v120
	s_or_b32 s5, vcc_lo, s5
	s_waitcnt vmcnt(2) lgkmcnt(0)
	v_mul_f64 v[128:129], v[124:125], v[118:119]
	v_mul_f64 v[118:119], v[122:123], v[118:119]
	s_waitcnt vmcnt(0)
	v_fma_f64 v[122:123], v[122:123], v[126:127], -v[128:129]
	v_fma_f64 v[118:119], v[124:125], v[126:127], v[118:119]
	v_add_f64 v[1:2], v[1:2], v[122:123]
	v_add_f64 v[3:4], v[3:4], v[118:119]
	s_andn2_b32 exec_lo, exec_lo, s5
	s_cbranch_execnz .LBB118_88
; %bb.89:
	s_or_b32 exec_lo, exec_lo, s5
.LBB118_90:
	s_or_b32 exec_lo, exec_lo, s63
	v_mov_b32_e32 v117, 0
	ds_read_b128 v[117:120], v117 offset:688
	s_waitcnt lgkmcnt(0)
	v_mul_f64 v[122:123], v[3:4], v[119:120]
	v_mul_f64 v[119:120], v[1:2], v[119:120]
	v_fma_f64 v[1:2], v[1:2], v[117:118], -v[122:123]
	v_fma_f64 v[3:4], v[3:4], v[117:118], v[119:120]
	buffer_store_dword v2, off, s[0:3], 0 offset:692
	buffer_store_dword v1, off, s[0:3], 0 offset:688
	buffer_store_dword v4, off, s[0:3], 0 offset:700
	buffer_store_dword v3, off, s[0:3], 0 offset:696
.LBB118_91:
	s_or_b32 exec_lo, exec_lo, s8
	v_mov_b32_e32 v4, s19
	v_cmp_lt_u32_e64 s5, 42, v0
	s_clause 0x3
	buffer_load_dword v1, v4, s[0:3], 0 offen
	buffer_load_dword v2, v4, s[0:3], 0 offen offset:4
	buffer_load_dword v3, v4, s[0:3], 0 offen offset:8
	;; [unrolled: 1-line block ×3, first 2 shown]
	s_waitcnt vmcnt(0)
	ds_write_b128 v116, v[1:4]
	s_waitcnt lgkmcnt(0)
	s_waitcnt_vscnt null, 0x0
	s_barrier
	buffer_gl0_inv
	s_and_saveexec_b32 s8, s5
	s_cbranch_execz .LBB118_99
; %bb.92:
	ds_read_b128 v[1:4], v116
	s_andn2_b32 vcc_lo, exec_lo, s62
	s_cbranch_vccnz .LBB118_94
; %bb.93:
	s_clause 0x3
	buffer_load_dword v117, v115, s[0:3], 0 offen offset:8
	buffer_load_dword v118, v115, s[0:3], 0 offen offset:12
	buffer_load_dword v119, v115, s[0:3], 0 offen
	buffer_load_dword v120, v115, s[0:3], 0 offen offset:4
	s_waitcnt vmcnt(2) lgkmcnt(0)
	v_mul_f64 v[122:123], v[3:4], v[117:118]
	v_mul_f64 v[117:118], v[1:2], v[117:118]
	s_waitcnt vmcnt(0)
	v_fma_f64 v[1:2], v[1:2], v[119:120], -v[122:123]
	v_fma_f64 v[3:4], v[3:4], v[119:120], v[117:118]
.LBB118_94:
	s_and_saveexec_b32 s63, s4
	s_cbranch_execz .LBB118_98
; %bb.95:
	v_subrev_nc_u32_e32 v117, 43, v0
	s_movk_i32 s64, 0x620
	s_mov_b32 s4, 0
	s_mov_b32 s65, s18
	.p2align	6
.LBB118_96:                             ; =>This Inner Loop Header: Depth=1
	v_mov_b32_e32 v120, s65
	v_add_nc_u32_e32 v117, -1, v117
	s_add_i32 s65, s65, 16
	s_clause 0x3
	buffer_load_dword v118, v120, s[0:3], 0 offen offset:8
	buffer_load_dword v119, v120, s[0:3], 0 offen offset:12
	buffer_load_dword v126, v120, s[0:3], 0 offen
	buffer_load_dword v127, v120, s[0:3], 0 offen offset:4
	v_mov_b32_e32 v120, s64
	v_cmp_eq_u32_e32 vcc_lo, 0, v117
	s_add_i32 s64, s64, 16
	ds_read_b128 v[122:125], v120
	s_or_b32 s4, vcc_lo, s4
	s_waitcnt vmcnt(2) lgkmcnt(0)
	v_mul_f64 v[128:129], v[124:125], v[118:119]
	v_mul_f64 v[118:119], v[122:123], v[118:119]
	s_waitcnt vmcnt(0)
	v_fma_f64 v[122:123], v[122:123], v[126:127], -v[128:129]
	v_fma_f64 v[118:119], v[124:125], v[126:127], v[118:119]
	v_add_f64 v[1:2], v[1:2], v[122:123]
	v_add_f64 v[3:4], v[3:4], v[118:119]
	s_andn2_b32 exec_lo, exec_lo, s4
	s_cbranch_execnz .LBB118_96
; %bb.97:
	s_or_b32 exec_lo, exec_lo, s4
.LBB118_98:
	s_or_b32 exec_lo, exec_lo, s63
	v_mov_b32_e32 v117, 0
	ds_read_b128 v[117:120], v117 offset:672
	s_waitcnt lgkmcnt(0)
	v_mul_f64 v[122:123], v[3:4], v[119:120]
	v_mul_f64 v[119:120], v[1:2], v[119:120]
	v_fma_f64 v[1:2], v[1:2], v[117:118], -v[122:123]
	v_fma_f64 v[3:4], v[3:4], v[117:118], v[119:120]
	buffer_store_dword v2, off, s[0:3], 0 offset:676
	buffer_store_dword v1, off, s[0:3], 0 offset:672
	;; [unrolled: 1-line block ×4, first 2 shown]
.LBB118_99:
	s_or_b32 exec_lo, exec_lo, s8
	v_mov_b32_e32 v4, s20
	v_cmp_lt_u32_e64 s4, 41, v0
	s_clause 0x3
	buffer_load_dword v1, v4, s[0:3], 0 offen
	buffer_load_dword v2, v4, s[0:3], 0 offen offset:4
	buffer_load_dword v3, v4, s[0:3], 0 offen offset:8
	;; [unrolled: 1-line block ×3, first 2 shown]
	s_waitcnt vmcnt(0)
	ds_write_b128 v116, v[1:4]
	s_waitcnt lgkmcnt(0)
	s_waitcnt_vscnt null, 0x0
	s_barrier
	buffer_gl0_inv
	s_and_saveexec_b32 s8, s4
	s_cbranch_execz .LBB118_107
; %bb.100:
	ds_read_b128 v[1:4], v116
	s_andn2_b32 vcc_lo, exec_lo, s62
	s_cbranch_vccnz .LBB118_102
; %bb.101:
	s_clause 0x3
	buffer_load_dword v117, v115, s[0:3], 0 offen offset:8
	buffer_load_dword v118, v115, s[0:3], 0 offen offset:12
	buffer_load_dword v119, v115, s[0:3], 0 offen
	buffer_load_dword v120, v115, s[0:3], 0 offen offset:4
	s_waitcnt vmcnt(2) lgkmcnt(0)
	v_mul_f64 v[122:123], v[3:4], v[117:118]
	v_mul_f64 v[117:118], v[1:2], v[117:118]
	s_waitcnt vmcnt(0)
	v_fma_f64 v[1:2], v[1:2], v[119:120], -v[122:123]
	v_fma_f64 v[3:4], v[3:4], v[119:120], v[117:118]
.LBB118_102:
	s_and_saveexec_b32 s63, s5
	s_cbranch_execz .LBB118_106
; %bb.103:
	v_subrev_nc_u32_e32 v117, 42, v0
	s_movk_i32 s64, 0x610
	s_mov_b32 s5, 0
	s_mov_b32 s65, s19
	.p2align	6
.LBB118_104:                            ; =>This Inner Loop Header: Depth=1
	v_mov_b32_e32 v120, s65
	v_add_nc_u32_e32 v117, -1, v117
	s_add_i32 s65, s65, 16
	s_clause 0x3
	buffer_load_dword v118, v120, s[0:3], 0 offen offset:8
	buffer_load_dword v119, v120, s[0:3], 0 offen offset:12
	buffer_load_dword v126, v120, s[0:3], 0 offen
	buffer_load_dword v127, v120, s[0:3], 0 offen offset:4
	v_mov_b32_e32 v120, s64
	v_cmp_eq_u32_e32 vcc_lo, 0, v117
	s_add_i32 s64, s64, 16
	ds_read_b128 v[122:125], v120
	s_or_b32 s5, vcc_lo, s5
	s_waitcnt vmcnt(2) lgkmcnt(0)
	v_mul_f64 v[128:129], v[124:125], v[118:119]
	v_mul_f64 v[118:119], v[122:123], v[118:119]
	s_waitcnt vmcnt(0)
	v_fma_f64 v[122:123], v[122:123], v[126:127], -v[128:129]
	v_fma_f64 v[118:119], v[124:125], v[126:127], v[118:119]
	v_add_f64 v[1:2], v[1:2], v[122:123]
	v_add_f64 v[3:4], v[3:4], v[118:119]
	s_andn2_b32 exec_lo, exec_lo, s5
	s_cbranch_execnz .LBB118_104
; %bb.105:
	s_or_b32 exec_lo, exec_lo, s5
.LBB118_106:
	s_or_b32 exec_lo, exec_lo, s63
	v_mov_b32_e32 v117, 0
	ds_read_b128 v[117:120], v117 offset:656
	s_waitcnt lgkmcnt(0)
	v_mul_f64 v[122:123], v[3:4], v[119:120]
	v_mul_f64 v[119:120], v[1:2], v[119:120]
	v_fma_f64 v[1:2], v[1:2], v[117:118], -v[122:123]
	v_fma_f64 v[3:4], v[3:4], v[117:118], v[119:120]
	buffer_store_dword v2, off, s[0:3], 0 offset:660
	buffer_store_dword v1, off, s[0:3], 0 offset:656
	buffer_store_dword v4, off, s[0:3], 0 offset:668
	buffer_store_dword v3, off, s[0:3], 0 offset:664
.LBB118_107:
	s_or_b32 exec_lo, exec_lo, s8
	v_mov_b32_e32 v4, s21
	v_cmp_lt_u32_e64 s5, 40, v0
	s_clause 0x3
	buffer_load_dword v1, v4, s[0:3], 0 offen
	buffer_load_dword v2, v4, s[0:3], 0 offen offset:4
	buffer_load_dword v3, v4, s[0:3], 0 offen offset:8
	;; [unrolled: 1-line block ×3, first 2 shown]
	s_waitcnt vmcnt(0)
	ds_write_b128 v116, v[1:4]
	s_waitcnt lgkmcnt(0)
	s_waitcnt_vscnt null, 0x0
	s_barrier
	buffer_gl0_inv
	s_and_saveexec_b32 s8, s5
	s_cbranch_execz .LBB118_115
; %bb.108:
	ds_read_b128 v[1:4], v116
	s_andn2_b32 vcc_lo, exec_lo, s62
	s_cbranch_vccnz .LBB118_110
; %bb.109:
	s_clause 0x3
	buffer_load_dword v117, v115, s[0:3], 0 offen offset:8
	buffer_load_dword v118, v115, s[0:3], 0 offen offset:12
	buffer_load_dword v119, v115, s[0:3], 0 offen
	buffer_load_dword v120, v115, s[0:3], 0 offen offset:4
	s_waitcnt vmcnt(2) lgkmcnt(0)
	v_mul_f64 v[122:123], v[3:4], v[117:118]
	v_mul_f64 v[117:118], v[1:2], v[117:118]
	s_waitcnt vmcnt(0)
	v_fma_f64 v[1:2], v[1:2], v[119:120], -v[122:123]
	v_fma_f64 v[3:4], v[3:4], v[119:120], v[117:118]
.LBB118_110:
	s_and_saveexec_b32 s63, s4
	s_cbranch_execz .LBB118_114
; %bb.111:
	v_subrev_nc_u32_e32 v117, 41, v0
	s_movk_i32 s64, 0x600
	s_mov_b32 s4, 0
	s_mov_b32 s65, s20
	.p2align	6
.LBB118_112:                            ; =>This Inner Loop Header: Depth=1
	v_mov_b32_e32 v120, s65
	v_add_nc_u32_e32 v117, -1, v117
	s_add_i32 s65, s65, 16
	s_clause 0x3
	buffer_load_dword v118, v120, s[0:3], 0 offen offset:8
	buffer_load_dword v119, v120, s[0:3], 0 offen offset:12
	buffer_load_dword v126, v120, s[0:3], 0 offen
	buffer_load_dword v127, v120, s[0:3], 0 offen offset:4
	v_mov_b32_e32 v120, s64
	v_cmp_eq_u32_e32 vcc_lo, 0, v117
	s_add_i32 s64, s64, 16
	ds_read_b128 v[122:125], v120
	s_or_b32 s4, vcc_lo, s4
	s_waitcnt vmcnt(2) lgkmcnt(0)
	v_mul_f64 v[128:129], v[124:125], v[118:119]
	v_mul_f64 v[118:119], v[122:123], v[118:119]
	s_waitcnt vmcnt(0)
	v_fma_f64 v[122:123], v[122:123], v[126:127], -v[128:129]
	v_fma_f64 v[118:119], v[124:125], v[126:127], v[118:119]
	v_add_f64 v[1:2], v[1:2], v[122:123]
	v_add_f64 v[3:4], v[3:4], v[118:119]
	s_andn2_b32 exec_lo, exec_lo, s4
	s_cbranch_execnz .LBB118_112
; %bb.113:
	s_or_b32 exec_lo, exec_lo, s4
.LBB118_114:
	s_or_b32 exec_lo, exec_lo, s63
	v_mov_b32_e32 v117, 0
	ds_read_b128 v[117:120], v117 offset:640
	s_waitcnt lgkmcnt(0)
	v_mul_f64 v[122:123], v[3:4], v[119:120]
	v_mul_f64 v[119:120], v[1:2], v[119:120]
	v_fma_f64 v[1:2], v[1:2], v[117:118], -v[122:123]
	v_fma_f64 v[3:4], v[3:4], v[117:118], v[119:120]
	buffer_store_dword v2, off, s[0:3], 0 offset:644
	buffer_store_dword v1, off, s[0:3], 0 offset:640
	;; [unrolled: 1-line block ×4, first 2 shown]
.LBB118_115:
	s_or_b32 exec_lo, exec_lo, s8
	v_mov_b32_e32 v4, s22
	v_cmp_lt_u32_e64 s4, 39, v0
	s_clause 0x3
	buffer_load_dword v1, v4, s[0:3], 0 offen
	buffer_load_dword v2, v4, s[0:3], 0 offen offset:4
	buffer_load_dword v3, v4, s[0:3], 0 offen offset:8
	;; [unrolled: 1-line block ×3, first 2 shown]
	s_waitcnt vmcnt(0)
	ds_write_b128 v116, v[1:4]
	s_waitcnt lgkmcnt(0)
	s_waitcnt_vscnt null, 0x0
	s_barrier
	buffer_gl0_inv
	s_and_saveexec_b32 s8, s4
	s_cbranch_execz .LBB118_123
; %bb.116:
	ds_read_b128 v[1:4], v116
	s_andn2_b32 vcc_lo, exec_lo, s62
	s_cbranch_vccnz .LBB118_118
; %bb.117:
	s_clause 0x3
	buffer_load_dword v117, v115, s[0:3], 0 offen offset:8
	buffer_load_dword v118, v115, s[0:3], 0 offen offset:12
	buffer_load_dword v119, v115, s[0:3], 0 offen
	buffer_load_dword v120, v115, s[0:3], 0 offen offset:4
	s_waitcnt vmcnt(2) lgkmcnt(0)
	v_mul_f64 v[122:123], v[3:4], v[117:118]
	v_mul_f64 v[117:118], v[1:2], v[117:118]
	s_waitcnt vmcnt(0)
	v_fma_f64 v[1:2], v[1:2], v[119:120], -v[122:123]
	v_fma_f64 v[3:4], v[3:4], v[119:120], v[117:118]
.LBB118_118:
	s_and_saveexec_b32 s63, s5
	s_cbranch_execz .LBB118_122
; %bb.119:
	v_subrev_nc_u32_e32 v117, 40, v0
	s_movk_i32 s64, 0x5f0
	s_mov_b32 s5, 0
	s_mov_b32 s65, s21
	.p2align	6
.LBB118_120:                            ; =>This Inner Loop Header: Depth=1
	v_mov_b32_e32 v120, s65
	v_add_nc_u32_e32 v117, -1, v117
	s_add_i32 s65, s65, 16
	s_clause 0x3
	buffer_load_dword v118, v120, s[0:3], 0 offen offset:8
	buffer_load_dword v119, v120, s[0:3], 0 offen offset:12
	buffer_load_dword v126, v120, s[0:3], 0 offen
	buffer_load_dword v127, v120, s[0:3], 0 offen offset:4
	v_mov_b32_e32 v120, s64
	v_cmp_eq_u32_e32 vcc_lo, 0, v117
	s_add_i32 s64, s64, 16
	ds_read_b128 v[122:125], v120
	s_or_b32 s5, vcc_lo, s5
	s_waitcnt vmcnt(2) lgkmcnt(0)
	v_mul_f64 v[128:129], v[124:125], v[118:119]
	v_mul_f64 v[118:119], v[122:123], v[118:119]
	s_waitcnt vmcnt(0)
	v_fma_f64 v[122:123], v[122:123], v[126:127], -v[128:129]
	v_fma_f64 v[118:119], v[124:125], v[126:127], v[118:119]
	v_add_f64 v[1:2], v[1:2], v[122:123]
	v_add_f64 v[3:4], v[3:4], v[118:119]
	s_andn2_b32 exec_lo, exec_lo, s5
	s_cbranch_execnz .LBB118_120
; %bb.121:
	s_or_b32 exec_lo, exec_lo, s5
.LBB118_122:
	s_or_b32 exec_lo, exec_lo, s63
	v_mov_b32_e32 v117, 0
	ds_read_b128 v[117:120], v117 offset:624
	s_waitcnt lgkmcnt(0)
	v_mul_f64 v[122:123], v[3:4], v[119:120]
	v_mul_f64 v[119:120], v[1:2], v[119:120]
	v_fma_f64 v[1:2], v[1:2], v[117:118], -v[122:123]
	v_fma_f64 v[3:4], v[3:4], v[117:118], v[119:120]
	buffer_store_dword v2, off, s[0:3], 0 offset:628
	buffer_store_dword v1, off, s[0:3], 0 offset:624
	;; [unrolled: 1-line block ×4, first 2 shown]
.LBB118_123:
	s_or_b32 exec_lo, exec_lo, s8
	v_mov_b32_e32 v4, s23
	v_cmp_lt_u32_e64 s5, 38, v0
	s_clause 0x3
	buffer_load_dword v1, v4, s[0:3], 0 offen
	buffer_load_dword v2, v4, s[0:3], 0 offen offset:4
	buffer_load_dword v3, v4, s[0:3], 0 offen offset:8
	;; [unrolled: 1-line block ×3, first 2 shown]
	s_waitcnt vmcnt(0)
	ds_write_b128 v116, v[1:4]
	s_waitcnt lgkmcnt(0)
	s_waitcnt_vscnt null, 0x0
	s_barrier
	buffer_gl0_inv
	s_and_saveexec_b32 s8, s5
	s_cbranch_execz .LBB118_131
; %bb.124:
	ds_read_b128 v[1:4], v116
	s_andn2_b32 vcc_lo, exec_lo, s62
	s_cbranch_vccnz .LBB118_126
; %bb.125:
	s_clause 0x3
	buffer_load_dword v117, v115, s[0:3], 0 offen offset:8
	buffer_load_dword v118, v115, s[0:3], 0 offen offset:12
	buffer_load_dword v119, v115, s[0:3], 0 offen
	buffer_load_dword v120, v115, s[0:3], 0 offen offset:4
	s_waitcnt vmcnt(2) lgkmcnt(0)
	v_mul_f64 v[122:123], v[3:4], v[117:118]
	v_mul_f64 v[117:118], v[1:2], v[117:118]
	s_waitcnt vmcnt(0)
	v_fma_f64 v[1:2], v[1:2], v[119:120], -v[122:123]
	v_fma_f64 v[3:4], v[3:4], v[119:120], v[117:118]
.LBB118_126:
	s_and_saveexec_b32 s63, s4
	s_cbranch_execz .LBB118_130
; %bb.127:
	v_subrev_nc_u32_e32 v117, 39, v0
	s_movk_i32 s64, 0x5e0
	s_mov_b32 s4, 0
	s_mov_b32 s65, s22
	.p2align	6
.LBB118_128:                            ; =>This Inner Loop Header: Depth=1
	v_mov_b32_e32 v120, s65
	v_add_nc_u32_e32 v117, -1, v117
	s_add_i32 s65, s65, 16
	s_clause 0x3
	buffer_load_dword v118, v120, s[0:3], 0 offen offset:8
	buffer_load_dword v119, v120, s[0:3], 0 offen offset:12
	buffer_load_dword v126, v120, s[0:3], 0 offen
	buffer_load_dword v127, v120, s[0:3], 0 offen offset:4
	v_mov_b32_e32 v120, s64
	v_cmp_eq_u32_e32 vcc_lo, 0, v117
	s_add_i32 s64, s64, 16
	ds_read_b128 v[122:125], v120
	s_or_b32 s4, vcc_lo, s4
	s_waitcnt vmcnt(2) lgkmcnt(0)
	v_mul_f64 v[128:129], v[124:125], v[118:119]
	v_mul_f64 v[118:119], v[122:123], v[118:119]
	s_waitcnt vmcnt(0)
	v_fma_f64 v[122:123], v[122:123], v[126:127], -v[128:129]
	v_fma_f64 v[118:119], v[124:125], v[126:127], v[118:119]
	v_add_f64 v[1:2], v[1:2], v[122:123]
	v_add_f64 v[3:4], v[3:4], v[118:119]
	s_andn2_b32 exec_lo, exec_lo, s4
	s_cbranch_execnz .LBB118_128
; %bb.129:
	s_or_b32 exec_lo, exec_lo, s4
.LBB118_130:
	s_or_b32 exec_lo, exec_lo, s63
	v_mov_b32_e32 v117, 0
	ds_read_b128 v[117:120], v117 offset:608
	s_waitcnt lgkmcnt(0)
	v_mul_f64 v[122:123], v[3:4], v[119:120]
	v_mul_f64 v[119:120], v[1:2], v[119:120]
	v_fma_f64 v[1:2], v[1:2], v[117:118], -v[122:123]
	v_fma_f64 v[3:4], v[3:4], v[117:118], v[119:120]
	buffer_store_dword v2, off, s[0:3], 0 offset:612
	buffer_store_dword v1, off, s[0:3], 0 offset:608
	;; [unrolled: 1-line block ×4, first 2 shown]
.LBB118_131:
	s_or_b32 exec_lo, exec_lo, s8
	v_mov_b32_e32 v4, s24
	v_cmp_lt_u32_e64 s4, 37, v0
	s_clause 0x3
	buffer_load_dword v1, v4, s[0:3], 0 offen
	buffer_load_dword v2, v4, s[0:3], 0 offen offset:4
	buffer_load_dword v3, v4, s[0:3], 0 offen offset:8
	;; [unrolled: 1-line block ×3, first 2 shown]
	s_waitcnt vmcnt(0)
	ds_write_b128 v116, v[1:4]
	s_waitcnt lgkmcnt(0)
	s_waitcnt_vscnt null, 0x0
	s_barrier
	buffer_gl0_inv
	s_and_saveexec_b32 s8, s4
	s_cbranch_execz .LBB118_139
; %bb.132:
	ds_read_b128 v[1:4], v116
	s_andn2_b32 vcc_lo, exec_lo, s62
	s_cbranch_vccnz .LBB118_134
; %bb.133:
	s_clause 0x3
	buffer_load_dword v117, v115, s[0:3], 0 offen offset:8
	buffer_load_dword v118, v115, s[0:3], 0 offen offset:12
	buffer_load_dword v119, v115, s[0:3], 0 offen
	buffer_load_dword v120, v115, s[0:3], 0 offen offset:4
	s_waitcnt vmcnt(2) lgkmcnt(0)
	v_mul_f64 v[122:123], v[3:4], v[117:118]
	v_mul_f64 v[117:118], v[1:2], v[117:118]
	s_waitcnt vmcnt(0)
	v_fma_f64 v[1:2], v[1:2], v[119:120], -v[122:123]
	v_fma_f64 v[3:4], v[3:4], v[119:120], v[117:118]
.LBB118_134:
	s_and_saveexec_b32 s63, s5
	s_cbranch_execz .LBB118_138
; %bb.135:
	v_subrev_nc_u32_e32 v117, 38, v0
	s_movk_i32 s64, 0x5d0
	s_mov_b32 s5, 0
	s_mov_b32 s65, s23
	.p2align	6
.LBB118_136:                            ; =>This Inner Loop Header: Depth=1
	v_mov_b32_e32 v120, s65
	v_add_nc_u32_e32 v117, -1, v117
	s_add_i32 s65, s65, 16
	s_clause 0x3
	buffer_load_dword v118, v120, s[0:3], 0 offen offset:8
	buffer_load_dword v119, v120, s[0:3], 0 offen offset:12
	buffer_load_dword v126, v120, s[0:3], 0 offen
	buffer_load_dword v127, v120, s[0:3], 0 offen offset:4
	v_mov_b32_e32 v120, s64
	v_cmp_eq_u32_e32 vcc_lo, 0, v117
	s_add_i32 s64, s64, 16
	ds_read_b128 v[122:125], v120
	s_or_b32 s5, vcc_lo, s5
	s_waitcnt vmcnt(2) lgkmcnt(0)
	v_mul_f64 v[128:129], v[124:125], v[118:119]
	v_mul_f64 v[118:119], v[122:123], v[118:119]
	s_waitcnt vmcnt(0)
	v_fma_f64 v[122:123], v[122:123], v[126:127], -v[128:129]
	v_fma_f64 v[118:119], v[124:125], v[126:127], v[118:119]
	v_add_f64 v[1:2], v[1:2], v[122:123]
	v_add_f64 v[3:4], v[3:4], v[118:119]
	s_andn2_b32 exec_lo, exec_lo, s5
	s_cbranch_execnz .LBB118_136
; %bb.137:
	s_or_b32 exec_lo, exec_lo, s5
.LBB118_138:
	s_or_b32 exec_lo, exec_lo, s63
	v_mov_b32_e32 v117, 0
	ds_read_b128 v[117:120], v117 offset:592
	s_waitcnt lgkmcnt(0)
	v_mul_f64 v[122:123], v[3:4], v[119:120]
	v_mul_f64 v[119:120], v[1:2], v[119:120]
	v_fma_f64 v[1:2], v[1:2], v[117:118], -v[122:123]
	v_fma_f64 v[3:4], v[3:4], v[117:118], v[119:120]
	buffer_store_dword v2, off, s[0:3], 0 offset:596
	buffer_store_dword v1, off, s[0:3], 0 offset:592
	;; [unrolled: 1-line block ×4, first 2 shown]
.LBB118_139:
	s_or_b32 exec_lo, exec_lo, s8
	v_mov_b32_e32 v4, s25
	v_cmp_lt_u32_e64 s5, 36, v0
	s_clause 0x3
	buffer_load_dword v1, v4, s[0:3], 0 offen
	buffer_load_dword v2, v4, s[0:3], 0 offen offset:4
	buffer_load_dword v3, v4, s[0:3], 0 offen offset:8
	;; [unrolled: 1-line block ×3, first 2 shown]
	s_waitcnt vmcnt(0)
	ds_write_b128 v116, v[1:4]
	s_waitcnt lgkmcnt(0)
	s_waitcnt_vscnt null, 0x0
	s_barrier
	buffer_gl0_inv
	s_and_saveexec_b32 s8, s5
	s_cbranch_execz .LBB118_147
; %bb.140:
	ds_read_b128 v[1:4], v116
	s_andn2_b32 vcc_lo, exec_lo, s62
	s_cbranch_vccnz .LBB118_142
; %bb.141:
	s_clause 0x3
	buffer_load_dword v117, v115, s[0:3], 0 offen offset:8
	buffer_load_dword v118, v115, s[0:3], 0 offen offset:12
	buffer_load_dword v119, v115, s[0:3], 0 offen
	buffer_load_dword v120, v115, s[0:3], 0 offen offset:4
	s_waitcnt vmcnt(2) lgkmcnt(0)
	v_mul_f64 v[122:123], v[3:4], v[117:118]
	v_mul_f64 v[117:118], v[1:2], v[117:118]
	s_waitcnt vmcnt(0)
	v_fma_f64 v[1:2], v[1:2], v[119:120], -v[122:123]
	v_fma_f64 v[3:4], v[3:4], v[119:120], v[117:118]
.LBB118_142:
	s_and_saveexec_b32 s63, s4
	s_cbranch_execz .LBB118_146
; %bb.143:
	v_subrev_nc_u32_e32 v117, 37, v0
	s_movk_i32 s64, 0x5c0
	s_mov_b32 s4, 0
	s_mov_b32 s65, s24
	.p2align	6
.LBB118_144:                            ; =>This Inner Loop Header: Depth=1
	v_mov_b32_e32 v120, s65
	v_add_nc_u32_e32 v117, -1, v117
	s_add_i32 s65, s65, 16
	s_clause 0x3
	buffer_load_dword v118, v120, s[0:3], 0 offen offset:8
	buffer_load_dword v119, v120, s[0:3], 0 offen offset:12
	buffer_load_dword v126, v120, s[0:3], 0 offen
	buffer_load_dword v127, v120, s[0:3], 0 offen offset:4
	v_mov_b32_e32 v120, s64
	v_cmp_eq_u32_e32 vcc_lo, 0, v117
	s_add_i32 s64, s64, 16
	ds_read_b128 v[122:125], v120
	s_or_b32 s4, vcc_lo, s4
	s_waitcnt vmcnt(2) lgkmcnt(0)
	v_mul_f64 v[128:129], v[124:125], v[118:119]
	v_mul_f64 v[118:119], v[122:123], v[118:119]
	s_waitcnt vmcnt(0)
	v_fma_f64 v[122:123], v[122:123], v[126:127], -v[128:129]
	v_fma_f64 v[118:119], v[124:125], v[126:127], v[118:119]
	v_add_f64 v[1:2], v[1:2], v[122:123]
	v_add_f64 v[3:4], v[3:4], v[118:119]
	s_andn2_b32 exec_lo, exec_lo, s4
	s_cbranch_execnz .LBB118_144
; %bb.145:
	s_or_b32 exec_lo, exec_lo, s4
.LBB118_146:
	s_or_b32 exec_lo, exec_lo, s63
	v_mov_b32_e32 v117, 0
	ds_read_b128 v[117:120], v117 offset:576
	s_waitcnt lgkmcnt(0)
	v_mul_f64 v[122:123], v[3:4], v[119:120]
	v_mul_f64 v[119:120], v[1:2], v[119:120]
	v_fma_f64 v[1:2], v[1:2], v[117:118], -v[122:123]
	v_fma_f64 v[3:4], v[3:4], v[117:118], v[119:120]
	buffer_store_dword v2, off, s[0:3], 0 offset:580
	buffer_store_dword v1, off, s[0:3], 0 offset:576
	;; [unrolled: 1-line block ×4, first 2 shown]
.LBB118_147:
	s_or_b32 exec_lo, exec_lo, s8
	v_mov_b32_e32 v4, s26
	v_cmp_lt_u32_e64 s4, 35, v0
	s_clause 0x3
	buffer_load_dword v1, v4, s[0:3], 0 offen
	buffer_load_dword v2, v4, s[0:3], 0 offen offset:4
	buffer_load_dword v3, v4, s[0:3], 0 offen offset:8
	buffer_load_dword v4, v4, s[0:3], 0 offen offset:12
	s_waitcnt vmcnt(0)
	ds_write_b128 v116, v[1:4]
	s_waitcnt lgkmcnt(0)
	s_waitcnt_vscnt null, 0x0
	s_barrier
	buffer_gl0_inv
	s_and_saveexec_b32 s8, s4
	s_cbranch_execz .LBB118_155
; %bb.148:
	ds_read_b128 v[1:4], v116
	s_andn2_b32 vcc_lo, exec_lo, s62
	s_cbranch_vccnz .LBB118_150
; %bb.149:
	s_clause 0x3
	buffer_load_dword v117, v115, s[0:3], 0 offen offset:8
	buffer_load_dword v118, v115, s[0:3], 0 offen offset:12
	buffer_load_dword v119, v115, s[0:3], 0 offen
	buffer_load_dword v120, v115, s[0:3], 0 offen offset:4
	s_waitcnt vmcnt(2) lgkmcnt(0)
	v_mul_f64 v[122:123], v[3:4], v[117:118]
	v_mul_f64 v[117:118], v[1:2], v[117:118]
	s_waitcnt vmcnt(0)
	v_fma_f64 v[1:2], v[1:2], v[119:120], -v[122:123]
	v_fma_f64 v[3:4], v[3:4], v[119:120], v[117:118]
.LBB118_150:
	s_and_saveexec_b32 s63, s5
	s_cbranch_execz .LBB118_154
; %bb.151:
	v_subrev_nc_u32_e32 v117, 36, v0
	s_movk_i32 s64, 0x5b0
	s_mov_b32 s5, 0
	s_mov_b32 s65, s25
	.p2align	6
.LBB118_152:                            ; =>This Inner Loop Header: Depth=1
	v_mov_b32_e32 v120, s65
	v_add_nc_u32_e32 v117, -1, v117
	s_add_i32 s65, s65, 16
	s_clause 0x3
	buffer_load_dword v118, v120, s[0:3], 0 offen offset:8
	buffer_load_dword v119, v120, s[0:3], 0 offen offset:12
	buffer_load_dword v126, v120, s[0:3], 0 offen
	buffer_load_dword v127, v120, s[0:3], 0 offen offset:4
	v_mov_b32_e32 v120, s64
	v_cmp_eq_u32_e32 vcc_lo, 0, v117
	s_add_i32 s64, s64, 16
	ds_read_b128 v[122:125], v120
	s_or_b32 s5, vcc_lo, s5
	s_waitcnt vmcnt(2) lgkmcnt(0)
	v_mul_f64 v[128:129], v[124:125], v[118:119]
	v_mul_f64 v[118:119], v[122:123], v[118:119]
	s_waitcnt vmcnt(0)
	v_fma_f64 v[122:123], v[122:123], v[126:127], -v[128:129]
	v_fma_f64 v[118:119], v[124:125], v[126:127], v[118:119]
	v_add_f64 v[1:2], v[1:2], v[122:123]
	v_add_f64 v[3:4], v[3:4], v[118:119]
	s_andn2_b32 exec_lo, exec_lo, s5
	s_cbranch_execnz .LBB118_152
; %bb.153:
	s_or_b32 exec_lo, exec_lo, s5
.LBB118_154:
	s_or_b32 exec_lo, exec_lo, s63
	v_mov_b32_e32 v117, 0
	ds_read_b128 v[117:120], v117 offset:560
	s_waitcnt lgkmcnt(0)
	v_mul_f64 v[122:123], v[3:4], v[119:120]
	v_mul_f64 v[119:120], v[1:2], v[119:120]
	v_fma_f64 v[1:2], v[1:2], v[117:118], -v[122:123]
	v_fma_f64 v[3:4], v[3:4], v[117:118], v[119:120]
	buffer_store_dword v2, off, s[0:3], 0 offset:564
	buffer_store_dword v1, off, s[0:3], 0 offset:560
	;; [unrolled: 1-line block ×4, first 2 shown]
.LBB118_155:
	s_or_b32 exec_lo, exec_lo, s8
	v_mov_b32_e32 v4, s27
	v_cmp_lt_u32_e64 s5, 34, v0
	s_clause 0x3
	buffer_load_dword v1, v4, s[0:3], 0 offen
	buffer_load_dword v2, v4, s[0:3], 0 offen offset:4
	buffer_load_dword v3, v4, s[0:3], 0 offen offset:8
	;; [unrolled: 1-line block ×3, first 2 shown]
	s_waitcnt vmcnt(0)
	ds_write_b128 v116, v[1:4]
	s_waitcnt lgkmcnt(0)
	s_waitcnt_vscnt null, 0x0
	s_barrier
	buffer_gl0_inv
	s_and_saveexec_b32 s8, s5
	s_cbranch_execz .LBB118_163
; %bb.156:
	ds_read_b128 v[1:4], v116
	s_andn2_b32 vcc_lo, exec_lo, s62
	s_cbranch_vccnz .LBB118_158
; %bb.157:
	s_clause 0x3
	buffer_load_dword v117, v115, s[0:3], 0 offen offset:8
	buffer_load_dword v118, v115, s[0:3], 0 offen offset:12
	buffer_load_dword v119, v115, s[0:3], 0 offen
	buffer_load_dword v120, v115, s[0:3], 0 offen offset:4
	s_waitcnt vmcnt(2) lgkmcnt(0)
	v_mul_f64 v[122:123], v[3:4], v[117:118]
	v_mul_f64 v[117:118], v[1:2], v[117:118]
	s_waitcnt vmcnt(0)
	v_fma_f64 v[1:2], v[1:2], v[119:120], -v[122:123]
	v_fma_f64 v[3:4], v[3:4], v[119:120], v[117:118]
.LBB118_158:
	s_and_saveexec_b32 s63, s4
	s_cbranch_execz .LBB118_162
; %bb.159:
	v_subrev_nc_u32_e32 v117, 35, v0
	s_movk_i32 s64, 0x5a0
	s_mov_b32 s4, 0
	s_mov_b32 s65, s26
	.p2align	6
.LBB118_160:                            ; =>This Inner Loop Header: Depth=1
	v_mov_b32_e32 v120, s65
	v_add_nc_u32_e32 v117, -1, v117
	s_add_i32 s65, s65, 16
	s_clause 0x3
	buffer_load_dword v118, v120, s[0:3], 0 offen offset:8
	buffer_load_dword v119, v120, s[0:3], 0 offen offset:12
	buffer_load_dword v126, v120, s[0:3], 0 offen
	buffer_load_dword v127, v120, s[0:3], 0 offen offset:4
	v_mov_b32_e32 v120, s64
	v_cmp_eq_u32_e32 vcc_lo, 0, v117
	s_add_i32 s64, s64, 16
	ds_read_b128 v[122:125], v120
	s_or_b32 s4, vcc_lo, s4
	s_waitcnt vmcnt(2) lgkmcnt(0)
	v_mul_f64 v[128:129], v[124:125], v[118:119]
	v_mul_f64 v[118:119], v[122:123], v[118:119]
	s_waitcnt vmcnt(0)
	v_fma_f64 v[122:123], v[122:123], v[126:127], -v[128:129]
	v_fma_f64 v[118:119], v[124:125], v[126:127], v[118:119]
	v_add_f64 v[1:2], v[1:2], v[122:123]
	v_add_f64 v[3:4], v[3:4], v[118:119]
	s_andn2_b32 exec_lo, exec_lo, s4
	s_cbranch_execnz .LBB118_160
; %bb.161:
	s_or_b32 exec_lo, exec_lo, s4
.LBB118_162:
	s_or_b32 exec_lo, exec_lo, s63
	v_mov_b32_e32 v117, 0
	ds_read_b128 v[117:120], v117 offset:544
	s_waitcnt lgkmcnt(0)
	v_mul_f64 v[122:123], v[3:4], v[119:120]
	v_mul_f64 v[119:120], v[1:2], v[119:120]
	v_fma_f64 v[1:2], v[1:2], v[117:118], -v[122:123]
	v_fma_f64 v[3:4], v[3:4], v[117:118], v[119:120]
	buffer_store_dword v2, off, s[0:3], 0 offset:548
	buffer_store_dword v1, off, s[0:3], 0 offset:544
	;; [unrolled: 1-line block ×4, first 2 shown]
.LBB118_163:
	s_or_b32 exec_lo, exec_lo, s8
	v_mov_b32_e32 v4, s28
	v_cmp_lt_u32_e64 s4, 33, v0
	s_clause 0x3
	buffer_load_dword v1, v4, s[0:3], 0 offen
	buffer_load_dword v2, v4, s[0:3], 0 offen offset:4
	buffer_load_dword v3, v4, s[0:3], 0 offen offset:8
	buffer_load_dword v4, v4, s[0:3], 0 offen offset:12
	s_waitcnt vmcnt(0)
	ds_write_b128 v116, v[1:4]
	s_waitcnt lgkmcnt(0)
	s_waitcnt_vscnt null, 0x0
	s_barrier
	buffer_gl0_inv
	s_and_saveexec_b32 s8, s4
	s_cbranch_execz .LBB118_171
; %bb.164:
	ds_read_b128 v[1:4], v116
	s_andn2_b32 vcc_lo, exec_lo, s62
	s_cbranch_vccnz .LBB118_166
; %bb.165:
	s_clause 0x3
	buffer_load_dword v117, v115, s[0:3], 0 offen offset:8
	buffer_load_dword v118, v115, s[0:3], 0 offen offset:12
	buffer_load_dword v119, v115, s[0:3], 0 offen
	buffer_load_dword v120, v115, s[0:3], 0 offen offset:4
	s_waitcnt vmcnt(2) lgkmcnt(0)
	v_mul_f64 v[122:123], v[3:4], v[117:118]
	v_mul_f64 v[117:118], v[1:2], v[117:118]
	s_waitcnt vmcnt(0)
	v_fma_f64 v[1:2], v[1:2], v[119:120], -v[122:123]
	v_fma_f64 v[3:4], v[3:4], v[119:120], v[117:118]
.LBB118_166:
	s_and_saveexec_b32 s63, s5
	s_cbranch_execz .LBB118_170
; %bb.167:
	v_subrev_nc_u32_e32 v117, 34, v0
	s_movk_i32 s64, 0x590
	s_mov_b32 s5, 0
	s_mov_b32 s65, s27
	.p2align	6
.LBB118_168:                            ; =>This Inner Loop Header: Depth=1
	v_mov_b32_e32 v120, s65
	v_add_nc_u32_e32 v117, -1, v117
	s_add_i32 s65, s65, 16
	s_clause 0x3
	buffer_load_dword v118, v120, s[0:3], 0 offen offset:8
	buffer_load_dword v119, v120, s[0:3], 0 offen offset:12
	buffer_load_dword v126, v120, s[0:3], 0 offen
	buffer_load_dword v127, v120, s[0:3], 0 offen offset:4
	v_mov_b32_e32 v120, s64
	v_cmp_eq_u32_e32 vcc_lo, 0, v117
	s_add_i32 s64, s64, 16
	ds_read_b128 v[122:125], v120
	s_or_b32 s5, vcc_lo, s5
	s_waitcnt vmcnt(2) lgkmcnt(0)
	v_mul_f64 v[128:129], v[124:125], v[118:119]
	v_mul_f64 v[118:119], v[122:123], v[118:119]
	s_waitcnt vmcnt(0)
	v_fma_f64 v[122:123], v[122:123], v[126:127], -v[128:129]
	v_fma_f64 v[118:119], v[124:125], v[126:127], v[118:119]
	v_add_f64 v[1:2], v[1:2], v[122:123]
	v_add_f64 v[3:4], v[3:4], v[118:119]
	s_andn2_b32 exec_lo, exec_lo, s5
	s_cbranch_execnz .LBB118_168
; %bb.169:
	s_or_b32 exec_lo, exec_lo, s5
.LBB118_170:
	s_or_b32 exec_lo, exec_lo, s63
	v_mov_b32_e32 v117, 0
	ds_read_b128 v[117:120], v117 offset:528
	s_waitcnt lgkmcnt(0)
	v_mul_f64 v[122:123], v[3:4], v[119:120]
	v_mul_f64 v[119:120], v[1:2], v[119:120]
	v_fma_f64 v[1:2], v[1:2], v[117:118], -v[122:123]
	v_fma_f64 v[3:4], v[3:4], v[117:118], v[119:120]
	buffer_store_dword v2, off, s[0:3], 0 offset:532
	buffer_store_dword v1, off, s[0:3], 0 offset:528
	;; [unrolled: 1-line block ×4, first 2 shown]
.LBB118_171:
	s_or_b32 exec_lo, exec_lo, s8
	v_mov_b32_e32 v4, s29
	v_cmp_lt_u32_e64 s5, 32, v0
	s_clause 0x3
	buffer_load_dword v1, v4, s[0:3], 0 offen
	buffer_load_dword v2, v4, s[0:3], 0 offen offset:4
	buffer_load_dword v3, v4, s[0:3], 0 offen offset:8
	buffer_load_dword v4, v4, s[0:3], 0 offen offset:12
	s_waitcnt vmcnt(0)
	ds_write_b128 v116, v[1:4]
	s_waitcnt lgkmcnt(0)
	s_waitcnt_vscnt null, 0x0
	s_barrier
	buffer_gl0_inv
	s_and_saveexec_b32 s8, s5
	s_cbranch_execz .LBB118_179
; %bb.172:
	ds_read_b128 v[1:4], v116
	s_andn2_b32 vcc_lo, exec_lo, s62
	s_cbranch_vccnz .LBB118_174
; %bb.173:
	s_clause 0x3
	buffer_load_dword v117, v115, s[0:3], 0 offen offset:8
	buffer_load_dword v118, v115, s[0:3], 0 offen offset:12
	buffer_load_dword v119, v115, s[0:3], 0 offen
	buffer_load_dword v120, v115, s[0:3], 0 offen offset:4
	s_waitcnt vmcnt(2) lgkmcnt(0)
	v_mul_f64 v[122:123], v[3:4], v[117:118]
	v_mul_f64 v[117:118], v[1:2], v[117:118]
	s_waitcnt vmcnt(0)
	v_fma_f64 v[1:2], v[1:2], v[119:120], -v[122:123]
	v_fma_f64 v[3:4], v[3:4], v[119:120], v[117:118]
.LBB118_174:
	s_and_saveexec_b32 s63, s4
	s_cbranch_execz .LBB118_178
; %bb.175:
	v_subrev_nc_u32_e32 v117, 33, v0
	s_movk_i32 s64, 0x580
	s_mov_b32 s4, 0
	s_mov_b32 s65, s28
	.p2align	6
.LBB118_176:                            ; =>This Inner Loop Header: Depth=1
	v_mov_b32_e32 v120, s65
	v_add_nc_u32_e32 v117, -1, v117
	s_add_i32 s65, s65, 16
	s_clause 0x3
	buffer_load_dword v118, v120, s[0:3], 0 offen offset:8
	buffer_load_dword v119, v120, s[0:3], 0 offen offset:12
	buffer_load_dword v126, v120, s[0:3], 0 offen
	buffer_load_dword v127, v120, s[0:3], 0 offen offset:4
	v_mov_b32_e32 v120, s64
	v_cmp_eq_u32_e32 vcc_lo, 0, v117
	s_add_i32 s64, s64, 16
	ds_read_b128 v[122:125], v120
	s_or_b32 s4, vcc_lo, s4
	s_waitcnt vmcnt(2) lgkmcnt(0)
	v_mul_f64 v[128:129], v[124:125], v[118:119]
	v_mul_f64 v[118:119], v[122:123], v[118:119]
	s_waitcnt vmcnt(0)
	v_fma_f64 v[122:123], v[122:123], v[126:127], -v[128:129]
	v_fma_f64 v[118:119], v[124:125], v[126:127], v[118:119]
	v_add_f64 v[1:2], v[1:2], v[122:123]
	v_add_f64 v[3:4], v[3:4], v[118:119]
	s_andn2_b32 exec_lo, exec_lo, s4
	s_cbranch_execnz .LBB118_176
; %bb.177:
	s_or_b32 exec_lo, exec_lo, s4
.LBB118_178:
	s_or_b32 exec_lo, exec_lo, s63
	v_mov_b32_e32 v117, 0
	ds_read_b128 v[117:120], v117 offset:512
	s_waitcnt lgkmcnt(0)
	v_mul_f64 v[122:123], v[3:4], v[119:120]
	v_mul_f64 v[119:120], v[1:2], v[119:120]
	v_fma_f64 v[1:2], v[1:2], v[117:118], -v[122:123]
	v_fma_f64 v[3:4], v[3:4], v[117:118], v[119:120]
	buffer_store_dword v2, off, s[0:3], 0 offset:516
	buffer_store_dword v1, off, s[0:3], 0 offset:512
	;; [unrolled: 1-line block ×4, first 2 shown]
.LBB118_179:
	s_or_b32 exec_lo, exec_lo, s8
	v_mov_b32_e32 v4, s30
	v_cmp_lt_u32_e64 s4, 31, v0
	s_clause 0x3
	buffer_load_dword v1, v4, s[0:3], 0 offen
	buffer_load_dword v2, v4, s[0:3], 0 offen offset:4
	buffer_load_dword v3, v4, s[0:3], 0 offen offset:8
	;; [unrolled: 1-line block ×3, first 2 shown]
	s_waitcnt vmcnt(0)
	ds_write_b128 v116, v[1:4]
	s_waitcnt lgkmcnt(0)
	s_waitcnt_vscnt null, 0x0
	s_barrier
	buffer_gl0_inv
	s_and_saveexec_b32 s8, s4
	s_cbranch_execz .LBB118_187
; %bb.180:
	ds_read_b128 v[1:4], v116
	s_andn2_b32 vcc_lo, exec_lo, s62
	s_cbranch_vccnz .LBB118_182
; %bb.181:
	s_clause 0x3
	buffer_load_dword v117, v115, s[0:3], 0 offen offset:8
	buffer_load_dword v118, v115, s[0:3], 0 offen offset:12
	buffer_load_dword v119, v115, s[0:3], 0 offen
	buffer_load_dword v120, v115, s[0:3], 0 offen offset:4
	s_waitcnt vmcnt(2) lgkmcnt(0)
	v_mul_f64 v[122:123], v[3:4], v[117:118]
	v_mul_f64 v[117:118], v[1:2], v[117:118]
	s_waitcnt vmcnt(0)
	v_fma_f64 v[1:2], v[1:2], v[119:120], -v[122:123]
	v_fma_f64 v[3:4], v[3:4], v[119:120], v[117:118]
.LBB118_182:
	s_and_saveexec_b32 s63, s5
	s_cbranch_execz .LBB118_186
; %bb.183:
	v_subrev_nc_u32_e32 v117, 32, v0
	s_movk_i32 s64, 0x570
	s_mov_b32 s5, 0
	s_mov_b32 s65, s29
	.p2align	6
.LBB118_184:                            ; =>This Inner Loop Header: Depth=1
	v_mov_b32_e32 v120, s65
	v_add_nc_u32_e32 v117, -1, v117
	s_add_i32 s65, s65, 16
	s_clause 0x3
	buffer_load_dword v118, v120, s[0:3], 0 offen offset:8
	buffer_load_dword v119, v120, s[0:3], 0 offen offset:12
	buffer_load_dword v126, v120, s[0:3], 0 offen
	buffer_load_dword v127, v120, s[0:3], 0 offen offset:4
	v_mov_b32_e32 v120, s64
	v_cmp_eq_u32_e32 vcc_lo, 0, v117
	s_add_i32 s64, s64, 16
	ds_read_b128 v[122:125], v120
	s_or_b32 s5, vcc_lo, s5
	s_waitcnt vmcnt(2) lgkmcnt(0)
	v_mul_f64 v[128:129], v[124:125], v[118:119]
	v_mul_f64 v[118:119], v[122:123], v[118:119]
	s_waitcnt vmcnt(0)
	v_fma_f64 v[122:123], v[122:123], v[126:127], -v[128:129]
	v_fma_f64 v[118:119], v[124:125], v[126:127], v[118:119]
	v_add_f64 v[1:2], v[1:2], v[122:123]
	v_add_f64 v[3:4], v[3:4], v[118:119]
	s_andn2_b32 exec_lo, exec_lo, s5
	s_cbranch_execnz .LBB118_184
; %bb.185:
	s_or_b32 exec_lo, exec_lo, s5
.LBB118_186:
	s_or_b32 exec_lo, exec_lo, s63
	v_mov_b32_e32 v117, 0
	ds_read_b128 v[117:120], v117 offset:496
	s_waitcnt lgkmcnt(0)
	v_mul_f64 v[122:123], v[3:4], v[119:120]
	v_mul_f64 v[119:120], v[1:2], v[119:120]
	v_fma_f64 v[1:2], v[1:2], v[117:118], -v[122:123]
	v_fma_f64 v[3:4], v[3:4], v[117:118], v[119:120]
	buffer_store_dword v2, off, s[0:3], 0 offset:500
	buffer_store_dword v1, off, s[0:3], 0 offset:496
	;; [unrolled: 1-line block ×4, first 2 shown]
.LBB118_187:
	s_or_b32 exec_lo, exec_lo, s8
	v_mov_b32_e32 v4, s31
	v_cmp_lt_u32_e64 s5, 30, v0
	s_clause 0x3
	buffer_load_dword v1, v4, s[0:3], 0 offen
	buffer_load_dword v2, v4, s[0:3], 0 offen offset:4
	buffer_load_dword v3, v4, s[0:3], 0 offen offset:8
	;; [unrolled: 1-line block ×3, first 2 shown]
	s_waitcnt vmcnt(0)
	ds_write_b128 v116, v[1:4]
	s_waitcnt lgkmcnt(0)
	s_waitcnt_vscnt null, 0x0
	s_barrier
	buffer_gl0_inv
	s_and_saveexec_b32 s8, s5
	s_cbranch_execz .LBB118_195
; %bb.188:
	ds_read_b128 v[1:4], v116
	s_andn2_b32 vcc_lo, exec_lo, s62
	s_cbranch_vccnz .LBB118_190
; %bb.189:
	s_clause 0x3
	buffer_load_dword v117, v115, s[0:3], 0 offen offset:8
	buffer_load_dword v118, v115, s[0:3], 0 offen offset:12
	buffer_load_dword v119, v115, s[0:3], 0 offen
	buffer_load_dword v120, v115, s[0:3], 0 offen offset:4
	s_waitcnt vmcnt(2) lgkmcnt(0)
	v_mul_f64 v[122:123], v[3:4], v[117:118]
	v_mul_f64 v[117:118], v[1:2], v[117:118]
	s_waitcnt vmcnt(0)
	v_fma_f64 v[1:2], v[1:2], v[119:120], -v[122:123]
	v_fma_f64 v[3:4], v[3:4], v[119:120], v[117:118]
.LBB118_190:
	s_and_saveexec_b32 s63, s4
	s_cbranch_execz .LBB118_194
; %bb.191:
	v_subrev_nc_u32_e32 v117, 31, v0
	s_movk_i32 s64, 0x560
	s_mov_b32 s4, 0
	s_mov_b32 s65, s30
	.p2align	6
.LBB118_192:                            ; =>This Inner Loop Header: Depth=1
	v_mov_b32_e32 v120, s65
	v_add_nc_u32_e32 v117, -1, v117
	s_add_i32 s65, s65, 16
	s_clause 0x3
	buffer_load_dword v118, v120, s[0:3], 0 offen offset:8
	buffer_load_dword v119, v120, s[0:3], 0 offen offset:12
	buffer_load_dword v126, v120, s[0:3], 0 offen
	buffer_load_dword v127, v120, s[0:3], 0 offen offset:4
	v_mov_b32_e32 v120, s64
	v_cmp_eq_u32_e32 vcc_lo, 0, v117
	s_add_i32 s64, s64, 16
	ds_read_b128 v[122:125], v120
	s_or_b32 s4, vcc_lo, s4
	s_waitcnt vmcnt(2) lgkmcnt(0)
	v_mul_f64 v[128:129], v[124:125], v[118:119]
	v_mul_f64 v[118:119], v[122:123], v[118:119]
	s_waitcnt vmcnt(0)
	v_fma_f64 v[122:123], v[122:123], v[126:127], -v[128:129]
	v_fma_f64 v[118:119], v[124:125], v[126:127], v[118:119]
	v_add_f64 v[1:2], v[1:2], v[122:123]
	v_add_f64 v[3:4], v[3:4], v[118:119]
	s_andn2_b32 exec_lo, exec_lo, s4
	s_cbranch_execnz .LBB118_192
; %bb.193:
	s_or_b32 exec_lo, exec_lo, s4
.LBB118_194:
	s_or_b32 exec_lo, exec_lo, s63
	v_mov_b32_e32 v117, 0
	ds_read_b128 v[117:120], v117 offset:480
	s_waitcnt lgkmcnt(0)
	v_mul_f64 v[122:123], v[3:4], v[119:120]
	v_mul_f64 v[119:120], v[1:2], v[119:120]
	v_fma_f64 v[1:2], v[1:2], v[117:118], -v[122:123]
	v_fma_f64 v[3:4], v[3:4], v[117:118], v[119:120]
	buffer_store_dword v2, off, s[0:3], 0 offset:484
	buffer_store_dword v1, off, s[0:3], 0 offset:480
	;; [unrolled: 1-line block ×4, first 2 shown]
.LBB118_195:
	s_or_b32 exec_lo, exec_lo, s8
	v_mov_b32_e32 v4, s33
	v_cmp_lt_u32_e64 s4, 29, v0
	s_clause 0x3
	buffer_load_dword v1, v4, s[0:3], 0 offen
	buffer_load_dword v2, v4, s[0:3], 0 offen offset:4
	buffer_load_dword v3, v4, s[0:3], 0 offen offset:8
	;; [unrolled: 1-line block ×3, first 2 shown]
	s_waitcnt vmcnt(0)
	ds_write_b128 v116, v[1:4]
	s_waitcnt lgkmcnt(0)
	s_waitcnt_vscnt null, 0x0
	s_barrier
	buffer_gl0_inv
	s_and_saveexec_b32 s8, s4
	s_cbranch_execz .LBB118_203
; %bb.196:
	ds_read_b128 v[1:4], v116
	s_andn2_b32 vcc_lo, exec_lo, s62
	s_cbranch_vccnz .LBB118_198
; %bb.197:
	s_clause 0x3
	buffer_load_dword v117, v115, s[0:3], 0 offen offset:8
	buffer_load_dword v118, v115, s[0:3], 0 offen offset:12
	buffer_load_dword v119, v115, s[0:3], 0 offen
	buffer_load_dword v120, v115, s[0:3], 0 offen offset:4
	s_waitcnt vmcnt(2) lgkmcnt(0)
	v_mul_f64 v[122:123], v[3:4], v[117:118]
	v_mul_f64 v[117:118], v[1:2], v[117:118]
	s_waitcnt vmcnt(0)
	v_fma_f64 v[1:2], v[1:2], v[119:120], -v[122:123]
	v_fma_f64 v[3:4], v[3:4], v[119:120], v[117:118]
.LBB118_198:
	s_and_saveexec_b32 s63, s5
	s_cbranch_execz .LBB118_202
; %bb.199:
	v_subrev_nc_u32_e32 v117, 30, v0
	s_movk_i32 s64, 0x550
	s_mov_b32 s5, 0
	s_mov_b32 s65, s31
	.p2align	6
.LBB118_200:                            ; =>This Inner Loop Header: Depth=1
	v_mov_b32_e32 v120, s65
	v_add_nc_u32_e32 v117, -1, v117
	s_add_i32 s65, s65, 16
	s_clause 0x3
	buffer_load_dword v118, v120, s[0:3], 0 offen offset:8
	buffer_load_dword v119, v120, s[0:3], 0 offen offset:12
	buffer_load_dword v126, v120, s[0:3], 0 offen
	buffer_load_dword v127, v120, s[0:3], 0 offen offset:4
	v_mov_b32_e32 v120, s64
	v_cmp_eq_u32_e32 vcc_lo, 0, v117
	s_add_i32 s64, s64, 16
	ds_read_b128 v[122:125], v120
	s_or_b32 s5, vcc_lo, s5
	s_waitcnt vmcnt(2) lgkmcnt(0)
	v_mul_f64 v[128:129], v[124:125], v[118:119]
	v_mul_f64 v[118:119], v[122:123], v[118:119]
	s_waitcnt vmcnt(0)
	v_fma_f64 v[122:123], v[122:123], v[126:127], -v[128:129]
	v_fma_f64 v[118:119], v[124:125], v[126:127], v[118:119]
	v_add_f64 v[1:2], v[1:2], v[122:123]
	v_add_f64 v[3:4], v[3:4], v[118:119]
	s_andn2_b32 exec_lo, exec_lo, s5
	s_cbranch_execnz .LBB118_200
; %bb.201:
	s_or_b32 exec_lo, exec_lo, s5
.LBB118_202:
	s_or_b32 exec_lo, exec_lo, s63
	v_mov_b32_e32 v117, 0
	ds_read_b128 v[117:120], v117 offset:464
	s_waitcnt lgkmcnt(0)
	v_mul_f64 v[122:123], v[3:4], v[119:120]
	v_mul_f64 v[119:120], v[1:2], v[119:120]
	v_fma_f64 v[1:2], v[1:2], v[117:118], -v[122:123]
	v_fma_f64 v[3:4], v[3:4], v[117:118], v[119:120]
	buffer_store_dword v2, off, s[0:3], 0 offset:468
	buffer_store_dword v1, off, s[0:3], 0 offset:464
	buffer_store_dword v4, off, s[0:3], 0 offset:476
	buffer_store_dword v3, off, s[0:3], 0 offset:472
.LBB118_203:
	s_or_b32 exec_lo, exec_lo, s8
	v_mov_b32_e32 v4, s34
	v_cmp_lt_u32_e64 s5, 28, v0
	s_clause 0x3
	buffer_load_dword v1, v4, s[0:3], 0 offen
	buffer_load_dword v2, v4, s[0:3], 0 offen offset:4
	buffer_load_dword v3, v4, s[0:3], 0 offen offset:8
	;; [unrolled: 1-line block ×3, first 2 shown]
	s_waitcnt vmcnt(0)
	ds_write_b128 v116, v[1:4]
	s_waitcnt lgkmcnt(0)
	s_waitcnt_vscnt null, 0x0
	s_barrier
	buffer_gl0_inv
	s_and_saveexec_b32 s8, s5
	s_cbranch_execz .LBB118_211
; %bb.204:
	ds_read_b128 v[1:4], v116
	s_andn2_b32 vcc_lo, exec_lo, s62
	s_cbranch_vccnz .LBB118_206
; %bb.205:
	s_clause 0x3
	buffer_load_dword v117, v115, s[0:3], 0 offen offset:8
	buffer_load_dword v118, v115, s[0:3], 0 offen offset:12
	buffer_load_dword v119, v115, s[0:3], 0 offen
	buffer_load_dword v120, v115, s[0:3], 0 offen offset:4
	s_waitcnt vmcnt(2) lgkmcnt(0)
	v_mul_f64 v[122:123], v[3:4], v[117:118]
	v_mul_f64 v[117:118], v[1:2], v[117:118]
	s_waitcnt vmcnt(0)
	v_fma_f64 v[1:2], v[1:2], v[119:120], -v[122:123]
	v_fma_f64 v[3:4], v[3:4], v[119:120], v[117:118]
.LBB118_206:
	s_and_saveexec_b32 s63, s4
	s_cbranch_execz .LBB118_210
; %bb.207:
	v_subrev_nc_u32_e32 v117, 29, v0
	s_movk_i32 s64, 0x540
	s_mov_b32 s4, 0
	s_mov_b32 s65, s33
	.p2align	6
.LBB118_208:                            ; =>This Inner Loop Header: Depth=1
	v_mov_b32_e32 v120, s65
	v_add_nc_u32_e32 v117, -1, v117
	s_add_i32 s65, s65, 16
	s_clause 0x3
	buffer_load_dword v118, v120, s[0:3], 0 offen offset:8
	buffer_load_dword v119, v120, s[0:3], 0 offen offset:12
	buffer_load_dword v126, v120, s[0:3], 0 offen
	buffer_load_dword v127, v120, s[0:3], 0 offen offset:4
	v_mov_b32_e32 v120, s64
	v_cmp_eq_u32_e32 vcc_lo, 0, v117
	s_add_i32 s64, s64, 16
	ds_read_b128 v[122:125], v120
	s_or_b32 s4, vcc_lo, s4
	s_waitcnt vmcnt(2) lgkmcnt(0)
	v_mul_f64 v[128:129], v[124:125], v[118:119]
	v_mul_f64 v[118:119], v[122:123], v[118:119]
	s_waitcnt vmcnt(0)
	v_fma_f64 v[122:123], v[122:123], v[126:127], -v[128:129]
	v_fma_f64 v[118:119], v[124:125], v[126:127], v[118:119]
	v_add_f64 v[1:2], v[1:2], v[122:123]
	v_add_f64 v[3:4], v[3:4], v[118:119]
	s_andn2_b32 exec_lo, exec_lo, s4
	s_cbranch_execnz .LBB118_208
; %bb.209:
	s_or_b32 exec_lo, exec_lo, s4
.LBB118_210:
	s_or_b32 exec_lo, exec_lo, s63
	v_mov_b32_e32 v117, 0
	ds_read_b128 v[117:120], v117 offset:448
	s_waitcnt lgkmcnt(0)
	v_mul_f64 v[122:123], v[3:4], v[119:120]
	v_mul_f64 v[119:120], v[1:2], v[119:120]
	v_fma_f64 v[1:2], v[1:2], v[117:118], -v[122:123]
	v_fma_f64 v[3:4], v[3:4], v[117:118], v[119:120]
	buffer_store_dword v2, off, s[0:3], 0 offset:452
	buffer_store_dword v1, off, s[0:3], 0 offset:448
	;; [unrolled: 1-line block ×4, first 2 shown]
.LBB118_211:
	s_or_b32 exec_lo, exec_lo, s8
	v_mov_b32_e32 v4, s35
	v_cmp_lt_u32_e64 s4, 27, v0
	s_clause 0x3
	buffer_load_dword v1, v4, s[0:3], 0 offen
	buffer_load_dword v2, v4, s[0:3], 0 offen offset:4
	buffer_load_dword v3, v4, s[0:3], 0 offen offset:8
	;; [unrolled: 1-line block ×3, first 2 shown]
	s_waitcnt vmcnt(0)
	ds_write_b128 v116, v[1:4]
	s_waitcnt lgkmcnt(0)
	s_waitcnt_vscnt null, 0x0
	s_barrier
	buffer_gl0_inv
	s_and_saveexec_b32 s8, s4
	s_cbranch_execz .LBB118_219
; %bb.212:
	ds_read_b128 v[1:4], v116
	s_andn2_b32 vcc_lo, exec_lo, s62
	s_cbranch_vccnz .LBB118_214
; %bb.213:
	s_clause 0x3
	buffer_load_dword v117, v115, s[0:3], 0 offen offset:8
	buffer_load_dword v118, v115, s[0:3], 0 offen offset:12
	buffer_load_dword v119, v115, s[0:3], 0 offen
	buffer_load_dword v120, v115, s[0:3], 0 offen offset:4
	s_waitcnt vmcnt(2) lgkmcnt(0)
	v_mul_f64 v[122:123], v[3:4], v[117:118]
	v_mul_f64 v[117:118], v[1:2], v[117:118]
	s_waitcnt vmcnt(0)
	v_fma_f64 v[1:2], v[1:2], v[119:120], -v[122:123]
	v_fma_f64 v[3:4], v[3:4], v[119:120], v[117:118]
.LBB118_214:
	s_and_saveexec_b32 s63, s5
	s_cbranch_execz .LBB118_218
; %bb.215:
	v_subrev_nc_u32_e32 v117, 28, v0
	s_movk_i32 s64, 0x530
	s_mov_b32 s5, 0
	s_mov_b32 s65, s34
	.p2align	6
.LBB118_216:                            ; =>This Inner Loop Header: Depth=1
	v_mov_b32_e32 v120, s65
	v_add_nc_u32_e32 v117, -1, v117
	s_add_i32 s65, s65, 16
	s_clause 0x3
	buffer_load_dword v118, v120, s[0:3], 0 offen offset:8
	buffer_load_dword v119, v120, s[0:3], 0 offen offset:12
	buffer_load_dword v126, v120, s[0:3], 0 offen
	buffer_load_dword v127, v120, s[0:3], 0 offen offset:4
	v_mov_b32_e32 v120, s64
	v_cmp_eq_u32_e32 vcc_lo, 0, v117
	s_add_i32 s64, s64, 16
	ds_read_b128 v[122:125], v120
	s_or_b32 s5, vcc_lo, s5
	s_waitcnt vmcnt(2) lgkmcnt(0)
	v_mul_f64 v[128:129], v[124:125], v[118:119]
	v_mul_f64 v[118:119], v[122:123], v[118:119]
	s_waitcnt vmcnt(0)
	v_fma_f64 v[122:123], v[122:123], v[126:127], -v[128:129]
	v_fma_f64 v[118:119], v[124:125], v[126:127], v[118:119]
	v_add_f64 v[1:2], v[1:2], v[122:123]
	v_add_f64 v[3:4], v[3:4], v[118:119]
	s_andn2_b32 exec_lo, exec_lo, s5
	s_cbranch_execnz .LBB118_216
; %bb.217:
	s_or_b32 exec_lo, exec_lo, s5
.LBB118_218:
	s_or_b32 exec_lo, exec_lo, s63
	v_mov_b32_e32 v117, 0
	ds_read_b128 v[117:120], v117 offset:432
	s_waitcnt lgkmcnt(0)
	v_mul_f64 v[122:123], v[3:4], v[119:120]
	v_mul_f64 v[119:120], v[1:2], v[119:120]
	v_fma_f64 v[1:2], v[1:2], v[117:118], -v[122:123]
	v_fma_f64 v[3:4], v[3:4], v[117:118], v[119:120]
	buffer_store_dword v2, off, s[0:3], 0 offset:436
	buffer_store_dword v1, off, s[0:3], 0 offset:432
	;; [unrolled: 1-line block ×4, first 2 shown]
.LBB118_219:
	s_or_b32 exec_lo, exec_lo, s8
	v_mov_b32_e32 v4, s36
	v_cmp_lt_u32_e64 s5, 26, v0
	s_clause 0x3
	buffer_load_dword v1, v4, s[0:3], 0 offen
	buffer_load_dword v2, v4, s[0:3], 0 offen offset:4
	buffer_load_dword v3, v4, s[0:3], 0 offen offset:8
	;; [unrolled: 1-line block ×3, first 2 shown]
	s_waitcnt vmcnt(0)
	ds_write_b128 v116, v[1:4]
	s_waitcnt lgkmcnt(0)
	s_waitcnt_vscnt null, 0x0
	s_barrier
	buffer_gl0_inv
	s_and_saveexec_b32 s8, s5
	s_cbranch_execz .LBB118_227
; %bb.220:
	ds_read_b128 v[1:4], v116
	s_andn2_b32 vcc_lo, exec_lo, s62
	s_cbranch_vccnz .LBB118_222
; %bb.221:
	s_clause 0x3
	buffer_load_dword v117, v115, s[0:3], 0 offen offset:8
	buffer_load_dword v118, v115, s[0:3], 0 offen offset:12
	buffer_load_dword v119, v115, s[0:3], 0 offen
	buffer_load_dword v120, v115, s[0:3], 0 offen offset:4
	s_waitcnt vmcnt(2) lgkmcnt(0)
	v_mul_f64 v[122:123], v[3:4], v[117:118]
	v_mul_f64 v[117:118], v[1:2], v[117:118]
	s_waitcnt vmcnt(0)
	v_fma_f64 v[1:2], v[1:2], v[119:120], -v[122:123]
	v_fma_f64 v[3:4], v[3:4], v[119:120], v[117:118]
.LBB118_222:
	s_and_saveexec_b32 s63, s4
	s_cbranch_execz .LBB118_226
; %bb.223:
	v_subrev_nc_u32_e32 v117, 27, v0
	s_movk_i32 s64, 0x520
	s_mov_b32 s4, 0
	s_mov_b32 s65, s35
	.p2align	6
.LBB118_224:                            ; =>This Inner Loop Header: Depth=1
	v_mov_b32_e32 v120, s65
	v_add_nc_u32_e32 v117, -1, v117
	s_add_i32 s65, s65, 16
	s_clause 0x3
	buffer_load_dword v118, v120, s[0:3], 0 offen offset:8
	buffer_load_dword v119, v120, s[0:3], 0 offen offset:12
	buffer_load_dword v126, v120, s[0:3], 0 offen
	buffer_load_dword v127, v120, s[0:3], 0 offen offset:4
	v_mov_b32_e32 v120, s64
	v_cmp_eq_u32_e32 vcc_lo, 0, v117
	s_add_i32 s64, s64, 16
	ds_read_b128 v[122:125], v120
	s_or_b32 s4, vcc_lo, s4
	s_waitcnt vmcnt(2) lgkmcnt(0)
	v_mul_f64 v[128:129], v[124:125], v[118:119]
	v_mul_f64 v[118:119], v[122:123], v[118:119]
	s_waitcnt vmcnt(0)
	v_fma_f64 v[122:123], v[122:123], v[126:127], -v[128:129]
	v_fma_f64 v[118:119], v[124:125], v[126:127], v[118:119]
	v_add_f64 v[1:2], v[1:2], v[122:123]
	v_add_f64 v[3:4], v[3:4], v[118:119]
	s_andn2_b32 exec_lo, exec_lo, s4
	s_cbranch_execnz .LBB118_224
; %bb.225:
	s_or_b32 exec_lo, exec_lo, s4
.LBB118_226:
	s_or_b32 exec_lo, exec_lo, s63
	v_mov_b32_e32 v117, 0
	ds_read_b128 v[117:120], v117 offset:416
	s_waitcnt lgkmcnt(0)
	v_mul_f64 v[122:123], v[3:4], v[119:120]
	v_mul_f64 v[119:120], v[1:2], v[119:120]
	v_fma_f64 v[1:2], v[1:2], v[117:118], -v[122:123]
	v_fma_f64 v[3:4], v[3:4], v[117:118], v[119:120]
	buffer_store_dword v2, off, s[0:3], 0 offset:420
	buffer_store_dword v1, off, s[0:3], 0 offset:416
	;; [unrolled: 1-line block ×4, first 2 shown]
.LBB118_227:
	s_or_b32 exec_lo, exec_lo, s8
	v_mov_b32_e32 v4, s37
	v_cmp_lt_u32_e64 s4, 25, v0
	s_clause 0x3
	buffer_load_dword v1, v4, s[0:3], 0 offen
	buffer_load_dword v2, v4, s[0:3], 0 offen offset:4
	buffer_load_dword v3, v4, s[0:3], 0 offen offset:8
	;; [unrolled: 1-line block ×3, first 2 shown]
	s_waitcnt vmcnt(0)
	ds_write_b128 v116, v[1:4]
	s_waitcnt lgkmcnt(0)
	s_waitcnt_vscnt null, 0x0
	s_barrier
	buffer_gl0_inv
	s_and_saveexec_b32 s8, s4
	s_cbranch_execz .LBB118_235
; %bb.228:
	ds_read_b128 v[1:4], v116
	s_andn2_b32 vcc_lo, exec_lo, s62
	s_cbranch_vccnz .LBB118_230
; %bb.229:
	s_clause 0x3
	buffer_load_dword v117, v115, s[0:3], 0 offen offset:8
	buffer_load_dword v118, v115, s[0:3], 0 offen offset:12
	buffer_load_dword v119, v115, s[0:3], 0 offen
	buffer_load_dword v120, v115, s[0:3], 0 offen offset:4
	s_waitcnt vmcnt(2) lgkmcnt(0)
	v_mul_f64 v[122:123], v[3:4], v[117:118]
	v_mul_f64 v[117:118], v[1:2], v[117:118]
	s_waitcnt vmcnt(0)
	v_fma_f64 v[1:2], v[1:2], v[119:120], -v[122:123]
	v_fma_f64 v[3:4], v[3:4], v[119:120], v[117:118]
.LBB118_230:
	s_and_saveexec_b32 s63, s5
	s_cbranch_execz .LBB118_234
; %bb.231:
	v_subrev_nc_u32_e32 v117, 26, v0
	s_movk_i32 s64, 0x510
	s_mov_b32 s5, 0
	s_mov_b32 s65, s36
	.p2align	6
.LBB118_232:                            ; =>This Inner Loop Header: Depth=1
	v_mov_b32_e32 v120, s65
	v_add_nc_u32_e32 v117, -1, v117
	s_add_i32 s65, s65, 16
	s_clause 0x3
	buffer_load_dword v118, v120, s[0:3], 0 offen offset:8
	buffer_load_dword v119, v120, s[0:3], 0 offen offset:12
	buffer_load_dword v126, v120, s[0:3], 0 offen
	buffer_load_dword v127, v120, s[0:3], 0 offen offset:4
	v_mov_b32_e32 v120, s64
	v_cmp_eq_u32_e32 vcc_lo, 0, v117
	s_add_i32 s64, s64, 16
	ds_read_b128 v[122:125], v120
	s_or_b32 s5, vcc_lo, s5
	s_waitcnt vmcnt(2) lgkmcnt(0)
	v_mul_f64 v[128:129], v[124:125], v[118:119]
	v_mul_f64 v[118:119], v[122:123], v[118:119]
	s_waitcnt vmcnt(0)
	v_fma_f64 v[122:123], v[122:123], v[126:127], -v[128:129]
	v_fma_f64 v[118:119], v[124:125], v[126:127], v[118:119]
	v_add_f64 v[1:2], v[1:2], v[122:123]
	v_add_f64 v[3:4], v[3:4], v[118:119]
	s_andn2_b32 exec_lo, exec_lo, s5
	s_cbranch_execnz .LBB118_232
; %bb.233:
	s_or_b32 exec_lo, exec_lo, s5
.LBB118_234:
	s_or_b32 exec_lo, exec_lo, s63
	v_mov_b32_e32 v117, 0
	ds_read_b128 v[117:120], v117 offset:400
	s_waitcnt lgkmcnt(0)
	v_mul_f64 v[122:123], v[3:4], v[119:120]
	v_mul_f64 v[119:120], v[1:2], v[119:120]
	v_fma_f64 v[1:2], v[1:2], v[117:118], -v[122:123]
	v_fma_f64 v[3:4], v[3:4], v[117:118], v[119:120]
	buffer_store_dword v2, off, s[0:3], 0 offset:404
	buffer_store_dword v1, off, s[0:3], 0 offset:400
	;; [unrolled: 1-line block ×4, first 2 shown]
.LBB118_235:
	s_or_b32 exec_lo, exec_lo, s8
	v_mov_b32_e32 v4, s38
	v_cmp_lt_u32_e64 s5, 24, v0
	s_clause 0x3
	buffer_load_dword v1, v4, s[0:3], 0 offen
	buffer_load_dword v2, v4, s[0:3], 0 offen offset:4
	buffer_load_dword v3, v4, s[0:3], 0 offen offset:8
	;; [unrolled: 1-line block ×3, first 2 shown]
	s_waitcnt vmcnt(0)
	ds_write_b128 v116, v[1:4]
	s_waitcnt lgkmcnt(0)
	s_waitcnt_vscnt null, 0x0
	s_barrier
	buffer_gl0_inv
	s_and_saveexec_b32 s8, s5
	s_cbranch_execz .LBB118_243
; %bb.236:
	ds_read_b128 v[1:4], v116
	s_andn2_b32 vcc_lo, exec_lo, s62
	s_cbranch_vccnz .LBB118_238
; %bb.237:
	s_clause 0x3
	buffer_load_dword v117, v115, s[0:3], 0 offen offset:8
	buffer_load_dword v118, v115, s[0:3], 0 offen offset:12
	buffer_load_dword v119, v115, s[0:3], 0 offen
	buffer_load_dword v120, v115, s[0:3], 0 offen offset:4
	s_waitcnt vmcnt(2) lgkmcnt(0)
	v_mul_f64 v[122:123], v[3:4], v[117:118]
	v_mul_f64 v[117:118], v[1:2], v[117:118]
	s_waitcnt vmcnt(0)
	v_fma_f64 v[1:2], v[1:2], v[119:120], -v[122:123]
	v_fma_f64 v[3:4], v[3:4], v[119:120], v[117:118]
.LBB118_238:
	s_and_saveexec_b32 s63, s4
	s_cbranch_execz .LBB118_242
; %bb.239:
	v_subrev_nc_u32_e32 v117, 25, v0
	s_movk_i32 s64, 0x500
	s_mov_b32 s4, 0
	s_mov_b32 s65, s37
	.p2align	6
.LBB118_240:                            ; =>This Inner Loop Header: Depth=1
	v_mov_b32_e32 v120, s65
	v_add_nc_u32_e32 v117, -1, v117
	s_add_i32 s65, s65, 16
	s_clause 0x3
	buffer_load_dword v118, v120, s[0:3], 0 offen offset:8
	buffer_load_dword v119, v120, s[0:3], 0 offen offset:12
	buffer_load_dword v126, v120, s[0:3], 0 offen
	buffer_load_dword v127, v120, s[0:3], 0 offen offset:4
	v_mov_b32_e32 v120, s64
	v_cmp_eq_u32_e32 vcc_lo, 0, v117
	s_add_i32 s64, s64, 16
	ds_read_b128 v[122:125], v120
	s_or_b32 s4, vcc_lo, s4
	s_waitcnt vmcnt(2) lgkmcnt(0)
	v_mul_f64 v[128:129], v[124:125], v[118:119]
	v_mul_f64 v[118:119], v[122:123], v[118:119]
	s_waitcnt vmcnt(0)
	v_fma_f64 v[122:123], v[122:123], v[126:127], -v[128:129]
	v_fma_f64 v[118:119], v[124:125], v[126:127], v[118:119]
	v_add_f64 v[1:2], v[1:2], v[122:123]
	v_add_f64 v[3:4], v[3:4], v[118:119]
	s_andn2_b32 exec_lo, exec_lo, s4
	s_cbranch_execnz .LBB118_240
; %bb.241:
	s_or_b32 exec_lo, exec_lo, s4
.LBB118_242:
	s_or_b32 exec_lo, exec_lo, s63
	v_mov_b32_e32 v117, 0
	ds_read_b128 v[117:120], v117 offset:384
	s_waitcnt lgkmcnt(0)
	v_mul_f64 v[122:123], v[3:4], v[119:120]
	v_mul_f64 v[119:120], v[1:2], v[119:120]
	v_fma_f64 v[1:2], v[1:2], v[117:118], -v[122:123]
	v_fma_f64 v[3:4], v[3:4], v[117:118], v[119:120]
	buffer_store_dword v2, off, s[0:3], 0 offset:388
	buffer_store_dword v1, off, s[0:3], 0 offset:384
	;; [unrolled: 1-line block ×4, first 2 shown]
.LBB118_243:
	s_or_b32 exec_lo, exec_lo, s8
	v_mov_b32_e32 v4, s39
	v_cmp_lt_u32_e64 s4, 23, v0
	s_clause 0x3
	buffer_load_dword v1, v4, s[0:3], 0 offen
	buffer_load_dword v2, v4, s[0:3], 0 offen offset:4
	buffer_load_dword v3, v4, s[0:3], 0 offen offset:8
	;; [unrolled: 1-line block ×3, first 2 shown]
	s_waitcnt vmcnt(0)
	ds_write_b128 v116, v[1:4]
	s_waitcnt lgkmcnt(0)
	s_waitcnt_vscnt null, 0x0
	s_barrier
	buffer_gl0_inv
	s_and_saveexec_b32 s8, s4
	s_cbranch_execz .LBB118_251
; %bb.244:
	ds_read_b128 v[1:4], v116
	s_andn2_b32 vcc_lo, exec_lo, s62
	s_cbranch_vccnz .LBB118_246
; %bb.245:
	s_clause 0x3
	buffer_load_dword v117, v115, s[0:3], 0 offen offset:8
	buffer_load_dword v118, v115, s[0:3], 0 offen offset:12
	buffer_load_dword v119, v115, s[0:3], 0 offen
	buffer_load_dword v120, v115, s[0:3], 0 offen offset:4
	s_waitcnt vmcnt(2) lgkmcnt(0)
	v_mul_f64 v[122:123], v[3:4], v[117:118]
	v_mul_f64 v[117:118], v[1:2], v[117:118]
	s_waitcnt vmcnt(0)
	v_fma_f64 v[1:2], v[1:2], v[119:120], -v[122:123]
	v_fma_f64 v[3:4], v[3:4], v[119:120], v[117:118]
.LBB118_246:
	s_and_saveexec_b32 s63, s5
	s_cbranch_execz .LBB118_250
; %bb.247:
	v_subrev_nc_u32_e32 v117, 24, v0
	s_movk_i32 s64, 0x4f0
	s_mov_b32 s5, 0
	s_mov_b32 s65, s38
	.p2align	6
.LBB118_248:                            ; =>This Inner Loop Header: Depth=1
	v_mov_b32_e32 v120, s65
	v_add_nc_u32_e32 v117, -1, v117
	s_add_i32 s65, s65, 16
	s_clause 0x3
	buffer_load_dword v118, v120, s[0:3], 0 offen offset:8
	buffer_load_dword v119, v120, s[0:3], 0 offen offset:12
	buffer_load_dword v126, v120, s[0:3], 0 offen
	buffer_load_dword v127, v120, s[0:3], 0 offen offset:4
	v_mov_b32_e32 v120, s64
	v_cmp_eq_u32_e32 vcc_lo, 0, v117
	s_add_i32 s64, s64, 16
	ds_read_b128 v[122:125], v120
	s_or_b32 s5, vcc_lo, s5
	s_waitcnt vmcnt(2) lgkmcnt(0)
	v_mul_f64 v[128:129], v[124:125], v[118:119]
	v_mul_f64 v[118:119], v[122:123], v[118:119]
	s_waitcnt vmcnt(0)
	v_fma_f64 v[122:123], v[122:123], v[126:127], -v[128:129]
	v_fma_f64 v[118:119], v[124:125], v[126:127], v[118:119]
	v_add_f64 v[1:2], v[1:2], v[122:123]
	v_add_f64 v[3:4], v[3:4], v[118:119]
	s_andn2_b32 exec_lo, exec_lo, s5
	s_cbranch_execnz .LBB118_248
; %bb.249:
	s_or_b32 exec_lo, exec_lo, s5
.LBB118_250:
	s_or_b32 exec_lo, exec_lo, s63
	v_mov_b32_e32 v117, 0
	ds_read_b128 v[117:120], v117 offset:368
	s_waitcnt lgkmcnt(0)
	v_mul_f64 v[122:123], v[3:4], v[119:120]
	v_mul_f64 v[119:120], v[1:2], v[119:120]
	v_fma_f64 v[1:2], v[1:2], v[117:118], -v[122:123]
	v_fma_f64 v[3:4], v[3:4], v[117:118], v[119:120]
	buffer_store_dword v2, off, s[0:3], 0 offset:372
	buffer_store_dword v1, off, s[0:3], 0 offset:368
	;; [unrolled: 1-line block ×4, first 2 shown]
.LBB118_251:
	s_or_b32 exec_lo, exec_lo, s8
	v_mov_b32_e32 v4, s40
	v_cmp_lt_u32_e64 s5, 22, v0
	s_clause 0x3
	buffer_load_dword v1, v4, s[0:3], 0 offen
	buffer_load_dword v2, v4, s[0:3], 0 offen offset:4
	buffer_load_dword v3, v4, s[0:3], 0 offen offset:8
	;; [unrolled: 1-line block ×3, first 2 shown]
	s_waitcnt vmcnt(0)
	ds_write_b128 v116, v[1:4]
	s_waitcnt lgkmcnt(0)
	s_waitcnt_vscnt null, 0x0
	s_barrier
	buffer_gl0_inv
	s_and_saveexec_b32 s8, s5
	s_cbranch_execz .LBB118_259
; %bb.252:
	ds_read_b128 v[1:4], v116
	s_andn2_b32 vcc_lo, exec_lo, s62
	s_cbranch_vccnz .LBB118_254
; %bb.253:
	s_clause 0x3
	buffer_load_dword v117, v115, s[0:3], 0 offen offset:8
	buffer_load_dword v118, v115, s[0:3], 0 offen offset:12
	buffer_load_dword v119, v115, s[0:3], 0 offen
	buffer_load_dword v120, v115, s[0:3], 0 offen offset:4
	s_waitcnt vmcnt(2) lgkmcnt(0)
	v_mul_f64 v[122:123], v[3:4], v[117:118]
	v_mul_f64 v[117:118], v[1:2], v[117:118]
	s_waitcnt vmcnt(0)
	v_fma_f64 v[1:2], v[1:2], v[119:120], -v[122:123]
	v_fma_f64 v[3:4], v[3:4], v[119:120], v[117:118]
.LBB118_254:
	s_and_saveexec_b32 s63, s4
	s_cbranch_execz .LBB118_258
; %bb.255:
	v_subrev_nc_u32_e32 v117, 23, v0
	s_movk_i32 s64, 0x4e0
	s_mov_b32 s4, 0
	s_mov_b32 s65, s39
	.p2align	6
.LBB118_256:                            ; =>This Inner Loop Header: Depth=1
	v_mov_b32_e32 v120, s65
	v_add_nc_u32_e32 v117, -1, v117
	s_add_i32 s65, s65, 16
	s_clause 0x3
	buffer_load_dword v118, v120, s[0:3], 0 offen offset:8
	buffer_load_dword v119, v120, s[0:3], 0 offen offset:12
	buffer_load_dword v126, v120, s[0:3], 0 offen
	buffer_load_dword v127, v120, s[0:3], 0 offen offset:4
	v_mov_b32_e32 v120, s64
	v_cmp_eq_u32_e32 vcc_lo, 0, v117
	s_add_i32 s64, s64, 16
	ds_read_b128 v[122:125], v120
	s_or_b32 s4, vcc_lo, s4
	s_waitcnt vmcnt(2) lgkmcnt(0)
	v_mul_f64 v[128:129], v[124:125], v[118:119]
	v_mul_f64 v[118:119], v[122:123], v[118:119]
	s_waitcnt vmcnt(0)
	v_fma_f64 v[122:123], v[122:123], v[126:127], -v[128:129]
	v_fma_f64 v[118:119], v[124:125], v[126:127], v[118:119]
	v_add_f64 v[1:2], v[1:2], v[122:123]
	v_add_f64 v[3:4], v[3:4], v[118:119]
	s_andn2_b32 exec_lo, exec_lo, s4
	s_cbranch_execnz .LBB118_256
; %bb.257:
	s_or_b32 exec_lo, exec_lo, s4
.LBB118_258:
	s_or_b32 exec_lo, exec_lo, s63
	v_mov_b32_e32 v117, 0
	ds_read_b128 v[117:120], v117 offset:352
	s_waitcnt lgkmcnt(0)
	v_mul_f64 v[122:123], v[3:4], v[119:120]
	v_mul_f64 v[119:120], v[1:2], v[119:120]
	v_fma_f64 v[1:2], v[1:2], v[117:118], -v[122:123]
	v_fma_f64 v[3:4], v[3:4], v[117:118], v[119:120]
	buffer_store_dword v2, off, s[0:3], 0 offset:356
	buffer_store_dword v1, off, s[0:3], 0 offset:352
	;; [unrolled: 1-line block ×4, first 2 shown]
.LBB118_259:
	s_or_b32 exec_lo, exec_lo, s8
	v_mov_b32_e32 v4, s41
	v_cmp_lt_u32_e64 s4, 21, v0
	s_clause 0x3
	buffer_load_dword v1, v4, s[0:3], 0 offen
	buffer_load_dword v2, v4, s[0:3], 0 offen offset:4
	buffer_load_dword v3, v4, s[0:3], 0 offen offset:8
	;; [unrolled: 1-line block ×3, first 2 shown]
	s_waitcnt vmcnt(0)
	ds_write_b128 v116, v[1:4]
	s_waitcnt lgkmcnt(0)
	s_waitcnt_vscnt null, 0x0
	s_barrier
	buffer_gl0_inv
	s_and_saveexec_b32 s8, s4
	s_cbranch_execz .LBB118_267
; %bb.260:
	ds_read_b128 v[1:4], v116
	s_andn2_b32 vcc_lo, exec_lo, s62
	s_cbranch_vccnz .LBB118_262
; %bb.261:
	s_clause 0x3
	buffer_load_dword v117, v115, s[0:3], 0 offen offset:8
	buffer_load_dword v118, v115, s[0:3], 0 offen offset:12
	buffer_load_dword v119, v115, s[0:3], 0 offen
	buffer_load_dword v120, v115, s[0:3], 0 offen offset:4
	s_waitcnt vmcnt(2) lgkmcnt(0)
	v_mul_f64 v[122:123], v[3:4], v[117:118]
	v_mul_f64 v[117:118], v[1:2], v[117:118]
	s_waitcnt vmcnt(0)
	v_fma_f64 v[1:2], v[1:2], v[119:120], -v[122:123]
	v_fma_f64 v[3:4], v[3:4], v[119:120], v[117:118]
.LBB118_262:
	s_and_saveexec_b32 s63, s5
	s_cbranch_execz .LBB118_266
; %bb.263:
	v_subrev_nc_u32_e32 v117, 22, v0
	s_movk_i32 s64, 0x4d0
	s_mov_b32 s5, 0
	s_mov_b32 s65, s40
	.p2align	6
.LBB118_264:                            ; =>This Inner Loop Header: Depth=1
	v_mov_b32_e32 v120, s65
	v_add_nc_u32_e32 v117, -1, v117
	s_add_i32 s65, s65, 16
	s_clause 0x3
	buffer_load_dword v118, v120, s[0:3], 0 offen offset:8
	buffer_load_dword v119, v120, s[0:3], 0 offen offset:12
	buffer_load_dword v126, v120, s[0:3], 0 offen
	buffer_load_dword v127, v120, s[0:3], 0 offen offset:4
	v_mov_b32_e32 v120, s64
	v_cmp_eq_u32_e32 vcc_lo, 0, v117
	s_add_i32 s64, s64, 16
	ds_read_b128 v[122:125], v120
	s_or_b32 s5, vcc_lo, s5
	s_waitcnt vmcnt(2) lgkmcnt(0)
	v_mul_f64 v[128:129], v[124:125], v[118:119]
	v_mul_f64 v[118:119], v[122:123], v[118:119]
	s_waitcnt vmcnt(0)
	v_fma_f64 v[122:123], v[122:123], v[126:127], -v[128:129]
	v_fma_f64 v[118:119], v[124:125], v[126:127], v[118:119]
	v_add_f64 v[1:2], v[1:2], v[122:123]
	v_add_f64 v[3:4], v[3:4], v[118:119]
	s_andn2_b32 exec_lo, exec_lo, s5
	s_cbranch_execnz .LBB118_264
; %bb.265:
	s_or_b32 exec_lo, exec_lo, s5
.LBB118_266:
	s_or_b32 exec_lo, exec_lo, s63
	v_mov_b32_e32 v117, 0
	ds_read_b128 v[117:120], v117 offset:336
	s_waitcnt lgkmcnt(0)
	v_mul_f64 v[122:123], v[3:4], v[119:120]
	v_mul_f64 v[119:120], v[1:2], v[119:120]
	v_fma_f64 v[1:2], v[1:2], v[117:118], -v[122:123]
	v_fma_f64 v[3:4], v[3:4], v[117:118], v[119:120]
	buffer_store_dword v2, off, s[0:3], 0 offset:340
	buffer_store_dword v1, off, s[0:3], 0 offset:336
	;; [unrolled: 1-line block ×4, first 2 shown]
.LBB118_267:
	s_or_b32 exec_lo, exec_lo, s8
	v_mov_b32_e32 v4, s42
	v_cmp_lt_u32_e64 s5, 20, v0
	s_clause 0x3
	buffer_load_dword v1, v4, s[0:3], 0 offen
	buffer_load_dword v2, v4, s[0:3], 0 offen offset:4
	buffer_load_dword v3, v4, s[0:3], 0 offen offset:8
	;; [unrolled: 1-line block ×3, first 2 shown]
	s_waitcnt vmcnt(0)
	ds_write_b128 v116, v[1:4]
	s_waitcnt lgkmcnt(0)
	s_waitcnt_vscnt null, 0x0
	s_barrier
	buffer_gl0_inv
	s_and_saveexec_b32 s8, s5
	s_cbranch_execz .LBB118_275
; %bb.268:
	ds_read_b128 v[1:4], v116
	s_andn2_b32 vcc_lo, exec_lo, s62
	s_cbranch_vccnz .LBB118_270
; %bb.269:
	s_clause 0x3
	buffer_load_dword v117, v115, s[0:3], 0 offen offset:8
	buffer_load_dword v118, v115, s[0:3], 0 offen offset:12
	buffer_load_dword v119, v115, s[0:3], 0 offen
	buffer_load_dword v120, v115, s[0:3], 0 offen offset:4
	s_waitcnt vmcnt(2) lgkmcnt(0)
	v_mul_f64 v[122:123], v[3:4], v[117:118]
	v_mul_f64 v[117:118], v[1:2], v[117:118]
	s_waitcnt vmcnt(0)
	v_fma_f64 v[1:2], v[1:2], v[119:120], -v[122:123]
	v_fma_f64 v[3:4], v[3:4], v[119:120], v[117:118]
.LBB118_270:
	s_and_saveexec_b32 s63, s4
	s_cbranch_execz .LBB118_274
; %bb.271:
	v_subrev_nc_u32_e32 v117, 21, v0
	s_movk_i32 s64, 0x4c0
	s_mov_b32 s4, 0
	s_mov_b32 s65, s41
	.p2align	6
.LBB118_272:                            ; =>This Inner Loop Header: Depth=1
	v_mov_b32_e32 v120, s65
	v_add_nc_u32_e32 v117, -1, v117
	s_add_i32 s65, s65, 16
	s_clause 0x3
	buffer_load_dword v118, v120, s[0:3], 0 offen offset:8
	buffer_load_dword v119, v120, s[0:3], 0 offen offset:12
	buffer_load_dword v126, v120, s[0:3], 0 offen
	buffer_load_dword v127, v120, s[0:3], 0 offen offset:4
	v_mov_b32_e32 v120, s64
	v_cmp_eq_u32_e32 vcc_lo, 0, v117
	s_add_i32 s64, s64, 16
	ds_read_b128 v[122:125], v120
	s_or_b32 s4, vcc_lo, s4
	s_waitcnt vmcnt(2) lgkmcnt(0)
	v_mul_f64 v[128:129], v[124:125], v[118:119]
	v_mul_f64 v[118:119], v[122:123], v[118:119]
	s_waitcnt vmcnt(0)
	v_fma_f64 v[122:123], v[122:123], v[126:127], -v[128:129]
	v_fma_f64 v[118:119], v[124:125], v[126:127], v[118:119]
	v_add_f64 v[1:2], v[1:2], v[122:123]
	v_add_f64 v[3:4], v[3:4], v[118:119]
	s_andn2_b32 exec_lo, exec_lo, s4
	s_cbranch_execnz .LBB118_272
; %bb.273:
	s_or_b32 exec_lo, exec_lo, s4
.LBB118_274:
	s_or_b32 exec_lo, exec_lo, s63
	v_mov_b32_e32 v117, 0
	ds_read_b128 v[117:120], v117 offset:320
	s_waitcnt lgkmcnt(0)
	v_mul_f64 v[122:123], v[3:4], v[119:120]
	v_mul_f64 v[119:120], v[1:2], v[119:120]
	v_fma_f64 v[1:2], v[1:2], v[117:118], -v[122:123]
	v_fma_f64 v[3:4], v[3:4], v[117:118], v[119:120]
	buffer_store_dword v2, off, s[0:3], 0 offset:324
	buffer_store_dword v1, off, s[0:3], 0 offset:320
	;; [unrolled: 1-line block ×4, first 2 shown]
.LBB118_275:
	s_or_b32 exec_lo, exec_lo, s8
	v_mov_b32_e32 v4, s43
	v_cmp_lt_u32_e64 s4, 19, v0
	s_clause 0x3
	buffer_load_dword v1, v4, s[0:3], 0 offen
	buffer_load_dword v2, v4, s[0:3], 0 offen offset:4
	buffer_load_dword v3, v4, s[0:3], 0 offen offset:8
	;; [unrolled: 1-line block ×3, first 2 shown]
	s_waitcnt vmcnt(0)
	ds_write_b128 v116, v[1:4]
	s_waitcnt lgkmcnt(0)
	s_waitcnt_vscnt null, 0x0
	s_barrier
	buffer_gl0_inv
	s_and_saveexec_b32 s8, s4
	s_cbranch_execz .LBB118_283
; %bb.276:
	ds_read_b128 v[1:4], v116
	s_andn2_b32 vcc_lo, exec_lo, s62
	s_cbranch_vccnz .LBB118_278
; %bb.277:
	s_clause 0x3
	buffer_load_dword v117, v115, s[0:3], 0 offen offset:8
	buffer_load_dword v118, v115, s[0:3], 0 offen offset:12
	buffer_load_dword v119, v115, s[0:3], 0 offen
	buffer_load_dword v120, v115, s[0:3], 0 offen offset:4
	s_waitcnt vmcnt(2) lgkmcnt(0)
	v_mul_f64 v[122:123], v[3:4], v[117:118]
	v_mul_f64 v[117:118], v[1:2], v[117:118]
	s_waitcnt vmcnt(0)
	v_fma_f64 v[1:2], v[1:2], v[119:120], -v[122:123]
	v_fma_f64 v[3:4], v[3:4], v[119:120], v[117:118]
.LBB118_278:
	s_and_saveexec_b32 s63, s5
	s_cbranch_execz .LBB118_282
; %bb.279:
	v_subrev_nc_u32_e32 v117, 20, v0
	s_movk_i32 s64, 0x4b0
	s_mov_b32 s5, 0
	s_mov_b32 s65, s42
	.p2align	6
.LBB118_280:                            ; =>This Inner Loop Header: Depth=1
	v_mov_b32_e32 v120, s65
	v_add_nc_u32_e32 v117, -1, v117
	s_add_i32 s65, s65, 16
	s_clause 0x3
	buffer_load_dword v118, v120, s[0:3], 0 offen offset:8
	buffer_load_dword v119, v120, s[0:3], 0 offen offset:12
	buffer_load_dword v126, v120, s[0:3], 0 offen
	buffer_load_dword v127, v120, s[0:3], 0 offen offset:4
	v_mov_b32_e32 v120, s64
	v_cmp_eq_u32_e32 vcc_lo, 0, v117
	s_add_i32 s64, s64, 16
	ds_read_b128 v[122:125], v120
	s_or_b32 s5, vcc_lo, s5
	s_waitcnt vmcnt(2) lgkmcnt(0)
	v_mul_f64 v[128:129], v[124:125], v[118:119]
	v_mul_f64 v[118:119], v[122:123], v[118:119]
	s_waitcnt vmcnt(0)
	v_fma_f64 v[122:123], v[122:123], v[126:127], -v[128:129]
	v_fma_f64 v[118:119], v[124:125], v[126:127], v[118:119]
	v_add_f64 v[1:2], v[1:2], v[122:123]
	v_add_f64 v[3:4], v[3:4], v[118:119]
	s_andn2_b32 exec_lo, exec_lo, s5
	s_cbranch_execnz .LBB118_280
; %bb.281:
	s_or_b32 exec_lo, exec_lo, s5
.LBB118_282:
	s_or_b32 exec_lo, exec_lo, s63
	v_mov_b32_e32 v117, 0
	ds_read_b128 v[117:120], v117 offset:304
	s_waitcnt lgkmcnt(0)
	v_mul_f64 v[122:123], v[3:4], v[119:120]
	v_mul_f64 v[119:120], v[1:2], v[119:120]
	v_fma_f64 v[1:2], v[1:2], v[117:118], -v[122:123]
	v_fma_f64 v[3:4], v[3:4], v[117:118], v[119:120]
	buffer_store_dword v2, off, s[0:3], 0 offset:308
	buffer_store_dword v1, off, s[0:3], 0 offset:304
	;; [unrolled: 1-line block ×4, first 2 shown]
.LBB118_283:
	s_or_b32 exec_lo, exec_lo, s8
	v_mov_b32_e32 v4, s44
	v_cmp_lt_u32_e64 s5, 18, v0
	s_clause 0x3
	buffer_load_dword v1, v4, s[0:3], 0 offen
	buffer_load_dword v2, v4, s[0:3], 0 offen offset:4
	buffer_load_dword v3, v4, s[0:3], 0 offen offset:8
	buffer_load_dword v4, v4, s[0:3], 0 offen offset:12
	s_waitcnt vmcnt(0)
	ds_write_b128 v116, v[1:4]
	s_waitcnt lgkmcnt(0)
	s_waitcnt_vscnt null, 0x0
	s_barrier
	buffer_gl0_inv
	s_and_saveexec_b32 s8, s5
	s_cbranch_execz .LBB118_291
; %bb.284:
	ds_read_b128 v[1:4], v116
	s_andn2_b32 vcc_lo, exec_lo, s62
	s_cbranch_vccnz .LBB118_286
; %bb.285:
	s_clause 0x3
	buffer_load_dword v117, v115, s[0:3], 0 offen offset:8
	buffer_load_dword v118, v115, s[0:3], 0 offen offset:12
	buffer_load_dword v119, v115, s[0:3], 0 offen
	buffer_load_dword v120, v115, s[0:3], 0 offen offset:4
	s_waitcnt vmcnt(2) lgkmcnt(0)
	v_mul_f64 v[122:123], v[3:4], v[117:118]
	v_mul_f64 v[117:118], v[1:2], v[117:118]
	s_waitcnt vmcnt(0)
	v_fma_f64 v[1:2], v[1:2], v[119:120], -v[122:123]
	v_fma_f64 v[3:4], v[3:4], v[119:120], v[117:118]
.LBB118_286:
	s_and_saveexec_b32 s63, s4
	s_cbranch_execz .LBB118_290
; %bb.287:
	v_subrev_nc_u32_e32 v117, 19, v0
	s_movk_i32 s64, 0x4a0
	s_mov_b32 s4, 0
	s_mov_b32 s65, s43
	.p2align	6
.LBB118_288:                            ; =>This Inner Loop Header: Depth=1
	v_mov_b32_e32 v120, s65
	v_add_nc_u32_e32 v117, -1, v117
	s_add_i32 s65, s65, 16
	s_clause 0x3
	buffer_load_dword v118, v120, s[0:3], 0 offen offset:8
	buffer_load_dword v119, v120, s[0:3], 0 offen offset:12
	buffer_load_dword v126, v120, s[0:3], 0 offen
	buffer_load_dword v127, v120, s[0:3], 0 offen offset:4
	v_mov_b32_e32 v120, s64
	v_cmp_eq_u32_e32 vcc_lo, 0, v117
	s_add_i32 s64, s64, 16
	ds_read_b128 v[122:125], v120
	s_or_b32 s4, vcc_lo, s4
	s_waitcnt vmcnt(2) lgkmcnt(0)
	v_mul_f64 v[128:129], v[124:125], v[118:119]
	v_mul_f64 v[118:119], v[122:123], v[118:119]
	s_waitcnt vmcnt(0)
	v_fma_f64 v[122:123], v[122:123], v[126:127], -v[128:129]
	v_fma_f64 v[118:119], v[124:125], v[126:127], v[118:119]
	v_add_f64 v[1:2], v[1:2], v[122:123]
	v_add_f64 v[3:4], v[3:4], v[118:119]
	s_andn2_b32 exec_lo, exec_lo, s4
	s_cbranch_execnz .LBB118_288
; %bb.289:
	s_or_b32 exec_lo, exec_lo, s4
.LBB118_290:
	s_or_b32 exec_lo, exec_lo, s63
	v_mov_b32_e32 v117, 0
	ds_read_b128 v[117:120], v117 offset:288
	s_waitcnt lgkmcnt(0)
	v_mul_f64 v[122:123], v[3:4], v[119:120]
	v_mul_f64 v[119:120], v[1:2], v[119:120]
	v_fma_f64 v[1:2], v[1:2], v[117:118], -v[122:123]
	v_fma_f64 v[3:4], v[3:4], v[117:118], v[119:120]
	buffer_store_dword v2, off, s[0:3], 0 offset:292
	buffer_store_dword v1, off, s[0:3], 0 offset:288
	;; [unrolled: 1-line block ×4, first 2 shown]
.LBB118_291:
	s_or_b32 exec_lo, exec_lo, s8
	v_mov_b32_e32 v4, s45
	v_cmp_lt_u32_e64 s4, 17, v0
	s_clause 0x3
	buffer_load_dword v1, v4, s[0:3], 0 offen
	buffer_load_dword v2, v4, s[0:3], 0 offen offset:4
	buffer_load_dword v3, v4, s[0:3], 0 offen offset:8
	;; [unrolled: 1-line block ×3, first 2 shown]
	s_waitcnt vmcnt(0)
	ds_write_b128 v116, v[1:4]
	s_waitcnt lgkmcnt(0)
	s_waitcnt_vscnt null, 0x0
	s_barrier
	buffer_gl0_inv
	s_and_saveexec_b32 s8, s4
	s_cbranch_execz .LBB118_299
; %bb.292:
	ds_read_b128 v[1:4], v116
	s_andn2_b32 vcc_lo, exec_lo, s62
	s_cbranch_vccnz .LBB118_294
; %bb.293:
	s_clause 0x3
	buffer_load_dword v117, v115, s[0:3], 0 offen offset:8
	buffer_load_dword v118, v115, s[0:3], 0 offen offset:12
	buffer_load_dword v119, v115, s[0:3], 0 offen
	buffer_load_dword v120, v115, s[0:3], 0 offen offset:4
	s_waitcnt vmcnt(2) lgkmcnt(0)
	v_mul_f64 v[122:123], v[3:4], v[117:118]
	v_mul_f64 v[117:118], v[1:2], v[117:118]
	s_waitcnt vmcnt(0)
	v_fma_f64 v[1:2], v[1:2], v[119:120], -v[122:123]
	v_fma_f64 v[3:4], v[3:4], v[119:120], v[117:118]
.LBB118_294:
	s_and_saveexec_b32 s63, s5
	s_cbranch_execz .LBB118_298
; %bb.295:
	v_subrev_nc_u32_e32 v117, 18, v0
	s_movk_i32 s64, 0x490
	s_mov_b32 s5, 0
	s_mov_b32 s65, s44
	.p2align	6
.LBB118_296:                            ; =>This Inner Loop Header: Depth=1
	v_mov_b32_e32 v120, s65
	v_add_nc_u32_e32 v117, -1, v117
	s_add_i32 s65, s65, 16
	s_clause 0x3
	buffer_load_dword v118, v120, s[0:3], 0 offen offset:8
	buffer_load_dword v119, v120, s[0:3], 0 offen offset:12
	buffer_load_dword v126, v120, s[0:3], 0 offen
	buffer_load_dword v127, v120, s[0:3], 0 offen offset:4
	v_mov_b32_e32 v120, s64
	v_cmp_eq_u32_e32 vcc_lo, 0, v117
	s_add_i32 s64, s64, 16
	ds_read_b128 v[122:125], v120
	s_or_b32 s5, vcc_lo, s5
	s_waitcnt vmcnt(2) lgkmcnt(0)
	v_mul_f64 v[128:129], v[124:125], v[118:119]
	v_mul_f64 v[118:119], v[122:123], v[118:119]
	s_waitcnt vmcnt(0)
	v_fma_f64 v[122:123], v[122:123], v[126:127], -v[128:129]
	v_fma_f64 v[118:119], v[124:125], v[126:127], v[118:119]
	v_add_f64 v[1:2], v[1:2], v[122:123]
	v_add_f64 v[3:4], v[3:4], v[118:119]
	s_andn2_b32 exec_lo, exec_lo, s5
	s_cbranch_execnz .LBB118_296
; %bb.297:
	s_or_b32 exec_lo, exec_lo, s5
.LBB118_298:
	s_or_b32 exec_lo, exec_lo, s63
	v_mov_b32_e32 v117, 0
	ds_read_b128 v[117:120], v117 offset:272
	s_waitcnt lgkmcnt(0)
	v_mul_f64 v[122:123], v[3:4], v[119:120]
	v_mul_f64 v[119:120], v[1:2], v[119:120]
	v_fma_f64 v[1:2], v[1:2], v[117:118], -v[122:123]
	v_fma_f64 v[3:4], v[3:4], v[117:118], v[119:120]
	buffer_store_dword v2, off, s[0:3], 0 offset:276
	buffer_store_dword v1, off, s[0:3], 0 offset:272
	;; [unrolled: 1-line block ×4, first 2 shown]
.LBB118_299:
	s_or_b32 exec_lo, exec_lo, s8
	v_mov_b32_e32 v4, s46
	v_cmp_lt_u32_e64 s5, 16, v0
	s_clause 0x3
	buffer_load_dword v1, v4, s[0:3], 0 offen
	buffer_load_dword v2, v4, s[0:3], 0 offen offset:4
	buffer_load_dword v3, v4, s[0:3], 0 offen offset:8
	;; [unrolled: 1-line block ×3, first 2 shown]
	s_waitcnt vmcnt(0)
	ds_write_b128 v116, v[1:4]
	s_waitcnt lgkmcnt(0)
	s_waitcnt_vscnt null, 0x0
	s_barrier
	buffer_gl0_inv
	s_and_saveexec_b32 s8, s5
	s_cbranch_execz .LBB118_307
; %bb.300:
	ds_read_b128 v[1:4], v116
	s_andn2_b32 vcc_lo, exec_lo, s62
	s_cbranch_vccnz .LBB118_302
; %bb.301:
	s_clause 0x3
	buffer_load_dword v117, v115, s[0:3], 0 offen offset:8
	buffer_load_dword v118, v115, s[0:3], 0 offen offset:12
	buffer_load_dword v119, v115, s[0:3], 0 offen
	buffer_load_dword v120, v115, s[0:3], 0 offen offset:4
	s_waitcnt vmcnt(2) lgkmcnt(0)
	v_mul_f64 v[122:123], v[3:4], v[117:118]
	v_mul_f64 v[117:118], v[1:2], v[117:118]
	s_waitcnt vmcnt(0)
	v_fma_f64 v[1:2], v[1:2], v[119:120], -v[122:123]
	v_fma_f64 v[3:4], v[3:4], v[119:120], v[117:118]
.LBB118_302:
	s_and_saveexec_b32 s63, s4
	s_cbranch_execz .LBB118_306
; %bb.303:
	v_subrev_nc_u32_e32 v117, 17, v0
	s_movk_i32 s64, 0x480
	s_mov_b32 s4, 0
	s_mov_b32 s65, s45
	.p2align	6
.LBB118_304:                            ; =>This Inner Loop Header: Depth=1
	v_mov_b32_e32 v120, s65
	v_add_nc_u32_e32 v117, -1, v117
	s_add_i32 s65, s65, 16
	s_clause 0x3
	buffer_load_dword v118, v120, s[0:3], 0 offen offset:8
	buffer_load_dword v119, v120, s[0:3], 0 offen offset:12
	buffer_load_dword v126, v120, s[0:3], 0 offen
	buffer_load_dword v127, v120, s[0:3], 0 offen offset:4
	v_mov_b32_e32 v120, s64
	v_cmp_eq_u32_e32 vcc_lo, 0, v117
	s_add_i32 s64, s64, 16
	ds_read_b128 v[122:125], v120
	s_or_b32 s4, vcc_lo, s4
	s_waitcnt vmcnt(2) lgkmcnt(0)
	v_mul_f64 v[128:129], v[124:125], v[118:119]
	v_mul_f64 v[118:119], v[122:123], v[118:119]
	s_waitcnt vmcnt(0)
	v_fma_f64 v[122:123], v[122:123], v[126:127], -v[128:129]
	v_fma_f64 v[118:119], v[124:125], v[126:127], v[118:119]
	v_add_f64 v[1:2], v[1:2], v[122:123]
	v_add_f64 v[3:4], v[3:4], v[118:119]
	s_andn2_b32 exec_lo, exec_lo, s4
	s_cbranch_execnz .LBB118_304
; %bb.305:
	s_or_b32 exec_lo, exec_lo, s4
.LBB118_306:
	s_or_b32 exec_lo, exec_lo, s63
	v_mov_b32_e32 v117, 0
	ds_read_b128 v[117:120], v117 offset:256
	s_waitcnt lgkmcnt(0)
	v_mul_f64 v[122:123], v[3:4], v[119:120]
	v_mul_f64 v[119:120], v[1:2], v[119:120]
	v_fma_f64 v[1:2], v[1:2], v[117:118], -v[122:123]
	v_fma_f64 v[3:4], v[3:4], v[117:118], v[119:120]
	buffer_store_dword v2, off, s[0:3], 0 offset:260
	buffer_store_dword v1, off, s[0:3], 0 offset:256
	;; [unrolled: 1-line block ×4, first 2 shown]
.LBB118_307:
	s_or_b32 exec_lo, exec_lo, s8
	v_mov_b32_e32 v4, s47
	v_cmp_lt_u32_e64 s4, 15, v0
	s_clause 0x3
	buffer_load_dword v1, v4, s[0:3], 0 offen
	buffer_load_dword v2, v4, s[0:3], 0 offen offset:4
	buffer_load_dword v3, v4, s[0:3], 0 offen offset:8
	;; [unrolled: 1-line block ×3, first 2 shown]
	s_waitcnt vmcnt(0)
	ds_write_b128 v116, v[1:4]
	s_waitcnt lgkmcnt(0)
	s_waitcnt_vscnt null, 0x0
	s_barrier
	buffer_gl0_inv
	s_and_saveexec_b32 s8, s4
	s_cbranch_execz .LBB118_315
; %bb.308:
	ds_read_b128 v[1:4], v116
	s_andn2_b32 vcc_lo, exec_lo, s62
	s_cbranch_vccnz .LBB118_310
; %bb.309:
	s_clause 0x3
	buffer_load_dword v117, v115, s[0:3], 0 offen offset:8
	buffer_load_dword v118, v115, s[0:3], 0 offen offset:12
	buffer_load_dword v119, v115, s[0:3], 0 offen
	buffer_load_dword v120, v115, s[0:3], 0 offen offset:4
	s_waitcnt vmcnt(2) lgkmcnt(0)
	v_mul_f64 v[122:123], v[3:4], v[117:118]
	v_mul_f64 v[117:118], v[1:2], v[117:118]
	s_waitcnt vmcnt(0)
	v_fma_f64 v[1:2], v[1:2], v[119:120], -v[122:123]
	v_fma_f64 v[3:4], v[3:4], v[119:120], v[117:118]
.LBB118_310:
	s_and_saveexec_b32 s63, s5
	s_cbranch_execz .LBB118_314
; %bb.311:
	v_add_nc_u32_e32 v117, -16, v0
	s_movk_i32 s64, 0x470
	s_mov_b32 s5, 0
	s_mov_b32 s65, s46
	.p2align	6
.LBB118_312:                            ; =>This Inner Loop Header: Depth=1
	v_mov_b32_e32 v120, s65
	v_add_nc_u32_e32 v117, -1, v117
	s_add_i32 s65, s65, 16
	s_clause 0x3
	buffer_load_dword v118, v120, s[0:3], 0 offen offset:8
	buffer_load_dword v119, v120, s[0:3], 0 offen offset:12
	buffer_load_dword v126, v120, s[0:3], 0 offen
	buffer_load_dword v127, v120, s[0:3], 0 offen offset:4
	v_mov_b32_e32 v120, s64
	v_cmp_eq_u32_e32 vcc_lo, 0, v117
	s_add_i32 s64, s64, 16
	ds_read_b128 v[122:125], v120
	s_or_b32 s5, vcc_lo, s5
	s_waitcnt vmcnt(2) lgkmcnt(0)
	v_mul_f64 v[128:129], v[124:125], v[118:119]
	v_mul_f64 v[118:119], v[122:123], v[118:119]
	s_waitcnt vmcnt(0)
	v_fma_f64 v[122:123], v[122:123], v[126:127], -v[128:129]
	v_fma_f64 v[118:119], v[124:125], v[126:127], v[118:119]
	v_add_f64 v[1:2], v[1:2], v[122:123]
	v_add_f64 v[3:4], v[3:4], v[118:119]
	s_andn2_b32 exec_lo, exec_lo, s5
	s_cbranch_execnz .LBB118_312
; %bb.313:
	s_or_b32 exec_lo, exec_lo, s5
.LBB118_314:
	s_or_b32 exec_lo, exec_lo, s63
	v_mov_b32_e32 v117, 0
	ds_read_b128 v[117:120], v117 offset:240
	s_waitcnt lgkmcnt(0)
	v_mul_f64 v[122:123], v[3:4], v[119:120]
	v_mul_f64 v[119:120], v[1:2], v[119:120]
	v_fma_f64 v[1:2], v[1:2], v[117:118], -v[122:123]
	v_fma_f64 v[3:4], v[3:4], v[117:118], v[119:120]
	buffer_store_dword v2, off, s[0:3], 0 offset:244
	buffer_store_dword v1, off, s[0:3], 0 offset:240
	;; [unrolled: 1-line block ×4, first 2 shown]
.LBB118_315:
	s_or_b32 exec_lo, exec_lo, s8
	v_mov_b32_e32 v4, s48
	v_cmp_lt_u32_e64 s5, 14, v0
	s_clause 0x3
	buffer_load_dword v1, v4, s[0:3], 0 offen
	buffer_load_dword v2, v4, s[0:3], 0 offen offset:4
	buffer_load_dword v3, v4, s[0:3], 0 offen offset:8
	;; [unrolled: 1-line block ×3, first 2 shown]
	s_waitcnt vmcnt(0)
	ds_write_b128 v116, v[1:4]
	s_waitcnt lgkmcnt(0)
	s_waitcnt_vscnt null, 0x0
	s_barrier
	buffer_gl0_inv
	s_and_saveexec_b32 s8, s5
	s_cbranch_execz .LBB118_323
; %bb.316:
	ds_read_b128 v[1:4], v116
	s_andn2_b32 vcc_lo, exec_lo, s62
	s_cbranch_vccnz .LBB118_318
; %bb.317:
	s_clause 0x3
	buffer_load_dword v117, v115, s[0:3], 0 offen offset:8
	buffer_load_dword v118, v115, s[0:3], 0 offen offset:12
	buffer_load_dword v119, v115, s[0:3], 0 offen
	buffer_load_dword v120, v115, s[0:3], 0 offen offset:4
	s_waitcnt vmcnt(2) lgkmcnt(0)
	v_mul_f64 v[122:123], v[3:4], v[117:118]
	v_mul_f64 v[117:118], v[1:2], v[117:118]
	s_waitcnt vmcnt(0)
	v_fma_f64 v[1:2], v[1:2], v[119:120], -v[122:123]
	v_fma_f64 v[3:4], v[3:4], v[119:120], v[117:118]
.LBB118_318:
	s_and_saveexec_b32 s63, s4
	s_cbranch_execz .LBB118_322
; %bb.319:
	v_add_nc_u32_e32 v117, -15, v0
	s_movk_i32 s64, 0x460
	s_mov_b32 s4, 0
	s_mov_b32 s65, s47
	.p2align	6
.LBB118_320:                            ; =>This Inner Loop Header: Depth=1
	v_mov_b32_e32 v120, s65
	v_add_nc_u32_e32 v117, -1, v117
	s_add_i32 s65, s65, 16
	s_clause 0x3
	buffer_load_dword v118, v120, s[0:3], 0 offen offset:8
	buffer_load_dword v119, v120, s[0:3], 0 offen offset:12
	buffer_load_dword v126, v120, s[0:3], 0 offen
	buffer_load_dword v127, v120, s[0:3], 0 offen offset:4
	v_mov_b32_e32 v120, s64
	v_cmp_eq_u32_e32 vcc_lo, 0, v117
	s_add_i32 s64, s64, 16
	ds_read_b128 v[122:125], v120
	s_or_b32 s4, vcc_lo, s4
	s_waitcnt vmcnt(2) lgkmcnt(0)
	v_mul_f64 v[128:129], v[124:125], v[118:119]
	v_mul_f64 v[118:119], v[122:123], v[118:119]
	s_waitcnt vmcnt(0)
	v_fma_f64 v[122:123], v[122:123], v[126:127], -v[128:129]
	v_fma_f64 v[118:119], v[124:125], v[126:127], v[118:119]
	v_add_f64 v[1:2], v[1:2], v[122:123]
	v_add_f64 v[3:4], v[3:4], v[118:119]
	s_andn2_b32 exec_lo, exec_lo, s4
	s_cbranch_execnz .LBB118_320
; %bb.321:
	s_or_b32 exec_lo, exec_lo, s4
.LBB118_322:
	s_or_b32 exec_lo, exec_lo, s63
	v_mov_b32_e32 v117, 0
	ds_read_b128 v[117:120], v117 offset:224
	s_waitcnt lgkmcnt(0)
	v_mul_f64 v[122:123], v[3:4], v[119:120]
	v_mul_f64 v[119:120], v[1:2], v[119:120]
	v_fma_f64 v[1:2], v[1:2], v[117:118], -v[122:123]
	v_fma_f64 v[3:4], v[3:4], v[117:118], v[119:120]
	buffer_store_dword v2, off, s[0:3], 0 offset:228
	buffer_store_dword v1, off, s[0:3], 0 offset:224
	;; [unrolled: 1-line block ×4, first 2 shown]
.LBB118_323:
	s_or_b32 exec_lo, exec_lo, s8
	v_mov_b32_e32 v4, s49
	v_cmp_lt_u32_e64 s4, 13, v0
	s_clause 0x3
	buffer_load_dword v1, v4, s[0:3], 0 offen
	buffer_load_dword v2, v4, s[0:3], 0 offen offset:4
	buffer_load_dword v3, v4, s[0:3], 0 offen offset:8
	;; [unrolled: 1-line block ×3, first 2 shown]
	s_waitcnt vmcnt(0)
	ds_write_b128 v116, v[1:4]
	s_waitcnt lgkmcnt(0)
	s_waitcnt_vscnt null, 0x0
	s_barrier
	buffer_gl0_inv
	s_and_saveexec_b32 s8, s4
	s_cbranch_execz .LBB118_331
; %bb.324:
	ds_read_b128 v[1:4], v116
	s_andn2_b32 vcc_lo, exec_lo, s62
	s_cbranch_vccnz .LBB118_326
; %bb.325:
	s_clause 0x3
	buffer_load_dword v117, v115, s[0:3], 0 offen offset:8
	buffer_load_dword v118, v115, s[0:3], 0 offen offset:12
	buffer_load_dword v119, v115, s[0:3], 0 offen
	buffer_load_dword v120, v115, s[0:3], 0 offen offset:4
	s_waitcnt vmcnt(2) lgkmcnt(0)
	v_mul_f64 v[122:123], v[3:4], v[117:118]
	v_mul_f64 v[117:118], v[1:2], v[117:118]
	s_waitcnt vmcnt(0)
	v_fma_f64 v[1:2], v[1:2], v[119:120], -v[122:123]
	v_fma_f64 v[3:4], v[3:4], v[119:120], v[117:118]
.LBB118_326:
	s_and_saveexec_b32 s63, s5
	s_cbranch_execz .LBB118_330
; %bb.327:
	v_add_nc_u32_e32 v117, -14, v0
	s_movk_i32 s64, 0x450
	s_mov_b32 s5, 0
	s_mov_b32 s65, s48
	.p2align	6
.LBB118_328:                            ; =>This Inner Loop Header: Depth=1
	v_mov_b32_e32 v120, s65
	v_add_nc_u32_e32 v117, -1, v117
	s_add_i32 s65, s65, 16
	s_clause 0x3
	buffer_load_dword v118, v120, s[0:3], 0 offen offset:8
	buffer_load_dword v119, v120, s[0:3], 0 offen offset:12
	buffer_load_dword v126, v120, s[0:3], 0 offen
	buffer_load_dword v127, v120, s[0:3], 0 offen offset:4
	v_mov_b32_e32 v120, s64
	v_cmp_eq_u32_e32 vcc_lo, 0, v117
	s_add_i32 s64, s64, 16
	ds_read_b128 v[122:125], v120
	s_or_b32 s5, vcc_lo, s5
	s_waitcnt vmcnt(2) lgkmcnt(0)
	v_mul_f64 v[128:129], v[124:125], v[118:119]
	v_mul_f64 v[118:119], v[122:123], v[118:119]
	s_waitcnt vmcnt(0)
	v_fma_f64 v[122:123], v[122:123], v[126:127], -v[128:129]
	v_fma_f64 v[118:119], v[124:125], v[126:127], v[118:119]
	v_add_f64 v[1:2], v[1:2], v[122:123]
	v_add_f64 v[3:4], v[3:4], v[118:119]
	s_andn2_b32 exec_lo, exec_lo, s5
	s_cbranch_execnz .LBB118_328
; %bb.329:
	s_or_b32 exec_lo, exec_lo, s5
.LBB118_330:
	s_or_b32 exec_lo, exec_lo, s63
	v_mov_b32_e32 v117, 0
	ds_read_b128 v[117:120], v117 offset:208
	s_waitcnt lgkmcnt(0)
	v_mul_f64 v[122:123], v[3:4], v[119:120]
	v_mul_f64 v[119:120], v[1:2], v[119:120]
	v_fma_f64 v[1:2], v[1:2], v[117:118], -v[122:123]
	v_fma_f64 v[3:4], v[3:4], v[117:118], v[119:120]
	buffer_store_dword v2, off, s[0:3], 0 offset:212
	buffer_store_dword v1, off, s[0:3], 0 offset:208
	;; [unrolled: 1-line block ×4, first 2 shown]
.LBB118_331:
	s_or_b32 exec_lo, exec_lo, s8
	v_mov_b32_e32 v4, s50
	v_cmp_lt_u32_e64 s5, 12, v0
	s_clause 0x3
	buffer_load_dword v1, v4, s[0:3], 0 offen
	buffer_load_dword v2, v4, s[0:3], 0 offen offset:4
	buffer_load_dword v3, v4, s[0:3], 0 offen offset:8
	buffer_load_dword v4, v4, s[0:3], 0 offen offset:12
	s_waitcnt vmcnt(0)
	ds_write_b128 v116, v[1:4]
	s_waitcnt lgkmcnt(0)
	s_waitcnt_vscnt null, 0x0
	s_barrier
	buffer_gl0_inv
	s_and_saveexec_b32 s8, s5
	s_cbranch_execz .LBB118_339
; %bb.332:
	ds_read_b128 v[1:4], v116
	s_andn2_b32 vcc_lo, exec_lo, s62
	s_cbranch_vccnz .LBB118_334
; %bb.333:
	s_clause 0x3
	buffer_load_dword v117, v115, s[0:3], 0 offen offset:8
	buffer_load_dword v118, v115, s[0:3], 0 offen offset:12
	buffer_load_dword v119, v115, s[0:3], 0 offen
	buffer_load_dword v120, v115, s[0:3], 0 offen offset:4
	s_waitcnt vmcnt(2) lgkmcnt(0)
	v_mul_f64 v[122:123], v[3:4], v[117:118]
	v_mul_f64 v[117:118], v[1:2], v[117:118]
	s_waitcnt vmcnt(0)
	v_fma_f64 v[1:2], v[1:2], v[119:120], -v[122:123]
	v_fma_f64 v[3:4], v[3:4], v[119:120], v[117:118]
.LBB118_334:
	s_and_saveexec_b32 s63, s4
	s_cbranch_execz .LBB118_338
; %bb.335:
	v_add_nc_u32_e32 v117, -13, v0
	s_movk_i32 s64, 0x440
	s_mov_b32 s4, 0
	s_mov_b32 s65, s49
	.p2align	6
.LBB118_336:                            ; =>This Inner Loop Header: Depth=1
	v_mov_b32_e32 v120, s65
	v_add_nc_u32_e32 v117, -1, v117
	s_add_i32 s65, s65, 16
	s_clause 0x3
	buffer_load_dword v118, v120, s[0:3], 0 offen offset:8
	buffer_load_dword v119, v120, s[0:3], 0 offen offset:12
	buffer_load_dword v126, v120, s[0:3], 0 offen
	buffer_load_dword v127, v120, s[0:3], 0 offen offset:4
	v_mov_b32_e32 v120, s64
	v_cmp_eq_u32_e32 vcc_lo, 0, v117
	s_add_i32 s64, s64, 16
	ds_read_b128 v[122:125], v120
	s_or_b32 s4, vcc_lo, s4
	s_waitcnt vmcnt(2) lgkmcnt(0)
	v_mul_f64 v[128:129], v[124:125], v[118:119]
	v_mul_f64 v[118:119], v[122:123], v[118:119]
	s_waitcnt vmcnt(0)
	v_fma_f64 v[122:123], v[122:123], v[126:127], -v[128:129]
	v_fma_f64 v[118:119], v[124:125], v[126:127], v[118:119]
	v_add_f64 v[1:2], v[1:2], v[122:123]
	v_add_f64 v[3:4], v[3:4], v[118:119]
	s_andn2_b32 exec_lo, exec_lo, s4
	s_cbranch_execnz .LBB118_336
; %bb.337:
	s_or_b32 exec_lo, exec_lo, s4
.LBB118_338:
	s_or_b32 exec_lo, exec_lo, s63
	v_mov_b32_e32 v117, 0
	ds_read_b128 v[117:120], v117 offset:192
	s_waitcnt lgkmcnt(0)
	v_mul_f64 v[122:123], v[3:4], v[119:120]
	v_mul_f64 v[119:120], v[1:2], v[119:120]
	v_fma_f64 v[1:2], v[1:2], v[117:118], -v[122:123]
	v_fma_f64 v[3:4], v[3:4], v[117:118], v[119:120]
	buffer_store_dword v2, off, s[0:3], 0 offset:196
	buffer_store_dword v1, off, s[0:3], 0 offset:192
	;; [unrolled: 1-line block ×4, first 2 shown]
.LBB118_339:
	s_or_b32 exec_lo, exec_lo, s8
	v_mov_b32_e32 v4, s51
	v_cmp_lt_u32_e64 s4, 11, v0
	s_clause 0x3
	buffer_load_dword v1, v4, s[0:3], 0 offen
	buffer_load_dword v2, v4, s[0:3], 0 offen offset:4
	buffer_load_dword v3, v4, s[0:3], 0 offen offset:8
	;; [unrolled: 1-line block ×3, first 2 shown]
	s_waitcnt vmcnt(0)
	ds_write_b128 v116, v[1:4]
	s_waitcnt lgkmcnt(0)
	s_waitcnt_vscnt null, 0x0
	s_barrier
	buffer_gl0_inv
	s_and_saveexec_b32 s8, s4
	s_cbranch_execz .LBB118_347
; %bb.340:
	ds_read_b128 v[1:4], v116
	s_andn2_b32 vcc_lo, exec_lo, s62
	s_cbranch_vccnz .LBB118_342
; %bb.341:
	s_clause 0x3
	buffer_load_dword v117, v115, s[0:3], 0 offen offset:8
	buffer_load_dword v118, v115, s[0:3], 0 offen offset:12
	buffer_load_dword v119, v115, s[0:3], 0 offen
	buffer_load_dword v120, v115, s[0:3], 0 offen offset:4
	s_waitcnt vmcnt(2) lgkmcnt(0)
	v_mul_f64 v[122:123], v[3:4], v[117:118]
	v_mul_f64 v[117:118], v[1:2], v[117:118]
	s_waitcnt vmcnt(0)
	v_fma_f64 v[1:2], v[1:2], v[119:120], -v[122:123]
	v_fma_f64 v[3:4], v[3:4], v[119:120], v[117:118]
.LBB118_342:
	s_and_saveexec_b32 s63, s5
	s_cbranch_execz .LBB118_346
; %bb.343:
	v_add_nc_u32_e32 v117, -12, v0
	s_movk_i32 s64, 0x430
	s_mov_b32 s5, 0
	s_mov_b32 s65, s50
	.p2align	6
.LBB118_344:                            ; =>This Inner Loop Header: Depth=1
	v_mov_b32_e32 v120, s65
	v_add_nc_u32_e32 v117, -1, v117
	s_add_i32 s65, s65, 16
	s_clause 0x3
	buffer_load_dword v118, v120, s[0:3], 0 offen offset:8
	buffer_load_dword v119, v120, s[0:3], 0 offen offset:12
	buffer_load_dword v126, v120, s[0:3], 0 offen
	buffer_load_dword v127, v120, s[0:3], 0 offen offset:4
	v_mov_b32_e32 v120, s64
	v_cmp_eq_u32_e32 vcc_lo, 0, v117
	s_add_i32 s64, s64, 16
	ds_read_b128 v[122:125], v120
	s_or_b32 s5, vcc_lo, s5
	s_waitcnt vmcnt(2) lgkmcnt(0)
	v_mul_f64 v[128:129], v[124:125], v[118:119]
	v_mul_f64 v[118:119], v[122:123], v[118:119]
	s_waitcnt vmcnt(0)
	v_fma_f64 v[122:123], v[122:123], v[126:127], -v[128:129]
	v_fma_f64 v[118:119], v[124:125], v[126:127], v[118:119]
	v_add_f64 v[1:2], v[1:2], v[122:123]
	v_add_f64 v[3:4], v[3:4], v[118:119]
	s_andn2_b32 exec_lo, exec_lo, s5
	s_cbranch_execnz .LBB118_344
; %bb.345:
	s_or_b32 exec_lo, exec_lo, s5
.LBB118_346:
	s_or_b32 exec_lo, exec_lo, s63
	v_mov_b32_e32 v117, 0
	ds_read_b128 v[117:120], v117 offset:176
	s_waitcnt lgkmcnt(0)
	v_mul_f64 v[122:123], v[3:4], v[119:120]
	v_mul_f64 v[119:120], v[1:2], v[119:120]
	v_fma_f64 v[1:2], v[1:2], v[117:118], -v[122:123]
	v_fma_f64 v[3:4], v[3:4], v[117:118], v[119:120]
	buffer_store_dword v2, off, s[0:3], 0 offset:180
	buffer_store_dword v1, off, s[0:3], 0 offset:176
	;; [unrolled: 1-line block ×4, first 2 shown]
.LBB118_347:
	s_or_b32 exec_lo, exec_lo, s8
	v_mov_b32_e32 v4, s52
	v_cmp_lt_u32_e64 s5, 10, v0
	s_clause 0x3
	buffer_load_dword v1, v4, s[0:3], 0 offen
	buffer_load_dword v2, v4, s[0:3], 0 offen offset:4
	buffer_load_dword v3, v4, s[0:3], 0 offen offset:8
	;; [unrolled: 1-line block ×3, first 2 shown]
	s_waitcnt vmcnt(0)
	ds_write_b128 v116, v[1:4]
	s_waitcnt lgkmcnt(0)
	s_waitcnt_vscnt null, 0x0
	s_barrier
	buffer_gl0_inv
	s_and_saveexec_b32 s8, s5
	s_cbranch_execz .LBB118_355
; %bb.348:
	ds_read_b128 v[1:4], v116
	s_andn2_b32 vcc_lo, exec_lo, s62
	s_cbranch_vccnz .LBB118_350
; %bb.349:
	s_clause 0x3
	buffer_load_dword v117, v115, s[0:3], 0 offen offset:8
	buffer_load_dword v118, v115, s[0:3], 0 offen offset:12
	buffer_load_dword v119, v115, s[0:3], 0 offen
	buffer_load_dword v120, v115, s[0:3], 0 offen offset:4
	s_waitcnt vmcnt(2) lgkmcnt(0)
	v_mul_f64 v[122:123], v[3:4], v[117:118]
	v_mul_f64 v[117:118], v[1:2], v[117:118]
	s_waitcnt vmcnt(0)
	v_fma_f64 v[1:2], v[1:2], v[119:120], -v[122:123]
	v_fma_f64 v[3:4], v[3:4], v[119:120], v[117:118]
.LBB118_350:
	s_and_saveexec_b32 s63, s4
	s_cbranch_execz .LBB118_354
; %bb.351:
	v_add_nc_u32_e32 v117, -11, v0
	s_movk_i32 s64, 0x420
	s_mov_b32 s4, 0
	s_mov_b32 s65, s51
	.p2align	6
.LBB118_352:                            ; =>This Inner Loop Header: Depth=1
	v_mov_b32_e32 v120, s65
	v_add_nc_u32_e32 v117, -1, v117
	s_add_i32 s65, s65, 16
	s_clause 0x3
	buffer_load_dword v118, v120, s[0:3], 0 offen offset:8
	buffer_load_dword v119, v120, s[0:3], 0 offen offset:12
	buffer_load_dword v126, v120, s[0:3], 0 offen
	buffer_load_dword v127, v120, s[0:3], 0 offen offset:4
	v_mov_b32_e32 v120, s64
	v_cmp_eq_u32_e32 vcc_lo, 0, v117
	s_add_i32 s64, s64, 16
	ds_read_b128 v[122:125], v120
	s_or_b32 s4, vcc_lo, s4
	s_waitcnt vmcnt(2) lgkmcnt(0)
	v_mul_f64 v[128:129], v[124:125], v[118:119]
	v_mul_f64 v[118:119], v[122:123], v[118:119]
	s_waitcnt vmcnt(0)
	v_fma_f64 v[122:123], v[122:123], v[126:127], -v[128:129]
	v_fma_f64 v[118:119], v[124:125], v[126:127], v[118:119]
	v_add_f64 v[1:2], v[1:2], v[122:123]
	v_add_f64 v[3:4], v[3:4], v[118:119]
	s_andn2_b32 exec_lo, exec_lo, s4
	s_cbranch_execnz .LBB118_352
; %bb.353:
	s_or_b32 exec_lo, exec_lo, s4
.LBB118_354:
	s_or_b32 exec_lo, exec_lo, s63
	v_mov_b32_e32 v117, 0
	ds_read_b128 v[117:120], v117 offset:160
	s_waitcnt lgkmcnt(0)
	v_mul_f64 v[122:123], v[3:4], v[119:120]
	v_mul_f64 v[119:120], v[1:2], v[119:120]
	v_fma_f64 v[1:2], v[1:2], v[117:118], -v[122:123]
	v_fma_f64 v[3:4], v[3:4], v[117:118], v[119:120]
	buffer_store_dword v2, off, s[0:3], 0 offset:164
	buffer_store_dword v1, off, s[0:3], 0 offset:160
	;; [unrolled: 1-line block ×4, first 2 shown]
.LBB118_355:
	s_or_b32 exec_lo, exec_lo, s8
	v_mov_b32_e32 v4, s53
	v_cmp_lt_u32_e64 s4, 9, v0
	s_clause 0x3
	buffer_load_dword v1, v4, s[0:3], 0 offen
	buffer_load_dword v2, v4, s[0:3], 0 offen offset:4
	buffer_load_dword v3, v4, s[0:3], 0 offen offset:8
	;; [unrolled: 1-line block ×3, first 2 shown]
	s_waitcnt vmcnt(0)
	ds_write_b128 v116, v[1:4]
	s_waitcnt lgkmcnt(0)
	s_waitcnt_vscnt null, 0x0
	s_barrier
	buffer_gl0_inv
	s_and_saveexec_b32 s8, s4
	s_cbranch_execz .LBB118_363
; %bb.356:
	ds_read_b128 v[1:4], v116
	s_andn2_b32 vcc_lo, exec_lo, s62
	s_cbranch_vccnz .LBB118_358
; %bb.357:
	s_clause 0x3
	buffer_load_dword v117, v115, s[0:3], 0 offen offset:8
	buffer_load_dword v118, v115, s[0:3], 0 offen offset:12
	buffer_load_dword v119, v115, s[0:3], 0 offen
	buffer_load_dword v120, v115, s[0:3], 0 offen offset:4
	s_waitcnt vmcnt(2) lgkmcnt(0)
	v_mul_f64 v[122:123], v[3:4], v[117:118]
	v_mul_f64 v[117:118], v[1:2], v[117:118]
	s_waitcnt vmcnt(0)
	v_fma_f64 v[1:2], v[1:2], v[119:120], -v[122:123]
	v_fma_f64 v[3:4], v[3:4], v[119:120], v[117:118]
.LBB118_358:
	s_and_saveexec_b32 s63, s5
	s_cbranch_execz .LBB118_362
; %bb.359:
	v_add_nc_u32_e32 v117, -10, v0
	s_movk_i32 s64, 0x410
	s_mov_b32 s5, 0
	s_mov_b32 s65, s52
	.p2align	6
.LBB118_360:                            ; =>This Inner Loop Header: Depth=1
	v_mov_b32_e32 v120, s65
	v_add_nc_u32_e32 v117, -1, v117
	s_add_i32 s65, s65, 16
	s_clause 0x3
	buffer_load_dword v118, v120, s[0:3], 0 offen offset:8
	buffer_load_dword v119, v120, s[0:3], 0 offen offset:12
	buffer_load_dword v126, v120, s[0:3], 0 offen
	buffer_load_dword v127, v120, s[0:3], 0 offen offset:4
	v_mov_b32_e32 v120, s64
	v_cmp_eq_u32_e32 vcc_lo, 0, v117
	s_add_i32 s64, s64, 16
	ds_read_b128 v[122:125], v120
	s_or_b32 s5, vcc_lo, s5
	s_waitcnt vmcnt(2) lgkmcnt(0)
	v_mul_f64 v[128:129], v[124:125], v[118:119]
	v_mul_f64 v[118:119], v[122:123], v[118:119]
	s_waitcnt vmcnt(0)
	v_fma_f64 v[122:123], v[122:123], v[126:127], -v[128:129]
	v_fma_f64 v[118:119], v[124:125], v[126:127], v[118:119]
	v_add_f64 v[1:2], v[1:2], v[122:123]
	v_add_f64 v[3:4], v[3:4], v[118:119]
	s_andn2_b32 exec_lo, exec_lo, s5
	s_cbranch_execnz .LBB118_360
; %bb.361:
	s_or_b32 exec_lo, exec_lo, s5
.LBB118_362:
	s_or_b32 exec_lo, exec_lo, s63
	v_mov_b32_e32 v117, 0
	ds_read_b128 v[117:120], v117 offset:144
	s_waitcnt lgkmcnt(0)
	v_mul_f64 v[122:123], v[3:4], v[119:120]
	v_mul_f64 v[119:120], v[1:2], v[119:120]
	v_fma_f64 v[1:2], v[1:2], v[117:118], -v[122:123]
	v_fma_f64 v[3:4], v[3:4], v[117:118], v[119:120]
	buffer_store_dword v2, off, s[0:3], 0 offset:148
	buffer_store_dword v1, off, s[0:3], 0 offset:144
	;; [unrolled: 1-line block ×4, first 2 shown]
.LBB118_363:
	s_or_b32 exec_lo, exec_lo, s8
	v_mov_b32_e32 v4, s54
	v_cmp_lt_u32_e64 s5, 8, v0
	s_clause 0x3
	buffer_load_dword v1, v4, s[0:3], 0 offen
	buffer_load_dword v2, v4, s[0:3], 0 offen offset:4
	buffer_load_dword v3, v4, s[0:3], 0 offen offset:8
	buffer_load_dword v4, v4, s[0:3], 0 offen offset:12
	s_waitcnt vmcnt(0)
	ds_write_b128 v116, v[1:4]
	s_waitcnt lgkmcnt(0)
	s_waitcnt_vscnt null, 0x0
	s_barrier
	buffer_gl0_inv
	s_and_saveexec_b32 s8, s5
	s_cbranch_execz .LBB118_371
; %bb.364:
	ds_read_b128 v[1:4], v116
	s_andn2_b32 vcc_lo, exec_lo, s62
	s_cbranch_vccnz .LBB118_366
; %bb.365:
	s_clause 0x3
	buffer_load_dword v117, v115, s[0:3], 0 offen offset:8
	buffer_load_dword v118, v115, s[0:3], 0 offen offset:12
	buffer_load_dword v119, v115, s[0:3], 0 offen
	buffer_load_dword v120, v115, s[0:3], 0 offen offset:4
	s_waitcnt vmcnt(2) lgkmcnt(0)
	v_mul_f64 v[122:123], v[3:4], v[117:118]
	v_mul_f64 v[117:118], v[1:2], v[117:118]
	s_waitcnt vmcnt(0)
	v_fma_f64 v[1:2], v[1:2], v[119:120], -v[122:123]
	v_fma_f64 v[3:4], v[3:4], v[119:120], v[117:118]
.LBB118_366:
	s_and_saveexec_b32 s63, s4
	s_cbranch_execz .LBB118_370
; %bb.367:
	v_add_nc_u32_e32 v117, -9, v0
	s_movk_i32 s64, 0x400
	s_mov_b32 s4, 0
	s_mov_b32 s65, s53
	.p2align	6
.LBB118_368:                            ; =>This Inner Loop Header: Depth=1
	v_mov_b32_e32 v120, s65
	v_add_nc_u32_e32 v117, -1, v117
	s_add_i32 s65, s65, 16
	s_clause 0x3
	buffer_load_dword v118, v120, s[0:3], 0 offen offset:8
	buffer_load_dword v119, v120, s[0:3], 0 offen offset:12
	buffer_load_dword v126, v120, s[0:3], 0 offen
	buffer_load_dword v127, v120, s[0:3], 0 offen offset:4
	v_mov_b32_e32 v120, s64
	v_cmp_eq_u32_e32 vcc_lo, 0, v117
	s_add_i32 s64, s64, 16
	ds_read_b128 v[122:125], v120
	s_or_b32 s4, vcc_lo, s4
	s_waitcnt vmcnt(2) lgkmcnt(0)
	v_mul_f64 v[128:129], v[124:125], v[118:119]
	v_mul_f64 v[118:119], v[122:123], v[118:119]
	s_waitcnt vmcnt(0)
	v_fma_f64 v[122:123], v[122:123], v[126:127], -v[128:129]
	v_fma_f64 v[118:119], v[124:125], v[126:127], v[118:119]
	v_add_f64 v[1:2], v[1:2], v[122:123]
	v_add_f64 v[3:4], v[3:4], v[118:119]
	s_andn2_b32 exec_lo, exec_lo, s4
	s_cbranch_execnz .LBB118_368
; %bb.369:
	s_or_b32 exec_lo, exec_lo, s4
.LBB118_370:
	s_or_b32 exec_lo, exec_lo, s63
	v_mov_b32_e32 v117, 0
	ds_read_b128 v[117:120], v117 offset:128
	s_waitcnt lgkmcnt(0)
	v_mul_f64 v[122:123], v[3:4], v[119:120]
	v_mul_f64 v[119:120], v[1:2], v[119:120]
	v_fma_f64 v[1:2], v[1:2], v[117:118], -v[122:123]
	v_fma_f64 v[3:4], v[3:4], v[117:118], v[119:120]
	buffer_store_dword v2, off, s[0:3], 0 offset:132
	buffer_store_dword v1, off, s[0:3], 0 offset:128
	;; [unrolled: 1-line block ×4, first 2 shown]
.LBB118_371:
	s_or_b32 exec_lo, exec_lo, s8
	v_mov_b32_e32 v4, s55
	v_cmp_lt_u32_e64 s4, 7, v0
	s_clause 0x3
	buffer_load_dword v1, v4, s[0:3], 0 offen
	buffer_load_dword v2, v4, s[0:3], 0 offen offset:4
	buffer_load_dword v3, v4, s[0:3], 0 offen offset:8
	;; [unrolled: 1-line block ×3, first 2 shown]
	s_waitcnt vmcnt(0)
	ds_write_b128 v116, v[1:4]
	s_waitcnt lgkmcnt(0)
	s_waitcnt_vscnt null, 0x0
	s_barrier
	buffer_gl0_inv
	s_and_saveexec_b32 s8, s4
	s_cbranch_execz .LBB118_379
; %bb.372:
	ds_read_b128 v[1:4], v116
	s_andn2_b32 vcc_lo, exec_lo, s62
	s_cbranch_vccnz .LBB118_374
; %bb.373:
	s_clause 0x3
	buffer_load_dword v117, v115, s[0:3], 0 offen offset:8
	buffer_load_dword v118, v115, s[0:3], 0 offen offset:12
	buffer_load_dword v119, v115, s[0:3], 0 offen
	buffer_load_dword v120, v115, s[0:3], 0 offen offset:4
	s_waitcnt vmcnt(2) lgkmcnt(0)
	v_mul_f64 v[122:123], v[3:4], v[117:118]
	v_mul_f64 v[117:118], v[1:2], v[117:118]
	s_waitcnt vmcnt(0)
	v_fma_f64 v[1:2], v[1:2], v[119:120], -v[122:123]
	v_fma_f64 v[3:4], v[3:4], v[119:120], v[117:118]
.LBB118_374:
	s_and_saveexec_b32 s63, s5
	s_cbranch_execz .LBB118_378
; %bb.375:
	v_add_nc_u32_e32 v117, -8, v0
	s_movk_i32 s64, 0x3f0
	s_mov_b32 s5, 0
	s_mov_b32 s65, s54
	.p2align	6
.LBB118_376:                            ; =>This Inner Loop Header: Depth=1
	v_mov_b32_e32 v120, s65
	v_add_nc_u32_e32 v117, -1, v117
	s_add_i32 s65, s65, 16
	s_clause 0x3
	buffer_load_dword v118, v120, s[0:3], 0 offen offset:8
	buffer_load_dword v119, v120, s[0:3], 0 offen offset:12
	buffer_load_dword v126, v120, s[0:3], 0 offen
	buffer_load_dword v127, v120, s[0:3], 0 offen offset:4
	v_mov_b32_e32 v120, s64
	v_cmp_eq_u32_e32 vcc_lo, 0, v117
	s_add_i32 s64, s64, 16
	ds_read_b128 v[122:125], v120
	s_or_b32 s5, vcc_lo, s5
	s_waitcnt vmcnt(2) lgkmcnt(0)
	v_mul_f64 v[128:129], v[124:125], v[118:119]
	v_mul_f64 v[118:119], v[122:123], v[118:119]
	s_waitcnt vmcnt(0)
	v_fma_f64 v[122:123], v[122:123], v[126:127], -v[128:129]
	v_fma_f64 v[118:119], v[124:125], v[126:127], v[118:119]
	v_add_f64 v[1:2], v[1:2], v[122:123]
	v_add_f64 v[3:4], v[3:4], v[118:119]
	s_andn2_b32 exec_lo, exec_lo, s5
	s_cbranch_execnz .LBB118_376
; %bb.377:
	s_or_b32 exec_lo, exec_lo, s5
.LBB118_378:
	s_or_b32 exec_lo, exec_lo, s63
	v_mov_b32_e32 v117, 0
	ds_read_b128 v[117:120], v117 offset:112
	s_waitcnt lgkmcnt(0)
	v_mul_f64 v[122:123], v[3:4], v[119:120]
	v_mul_f64 v[119:120], v[1:2], v[119:120]
	v_fma_f64 v[1:2], v[1:2], v[117:118], -v[122:123]
	v_fma_f64 v[3:4], v[3:4], v[117:118], v[119:120]
	buffer_store_dword v2, off, s[0:3], 0 offset:116
	buffer_store_dword v1, off, s[0:3], 0 offset:112
	;; [unrolled: 1-line block ×4, first 2 shown]
.LBB118_379:
	s_or_b32 exec_lo, exec_lo, s8
	v_mov_b32_e32 v4, s56
	v_cmp_lt_u32_e64 s5, 6, v0
	s_clause 0x3
	buffer_load_dword v1, v4, s[0:3], 0 offen
	buffer_load_dword v2, v4, s[0:3], 0 offen offset:4
	buffer_load_dword v3, v4, s[0:3], 0 offen offset:8
	;; [unrolled: 1-line block ×3, first 2 shown]
	s_waitcnt vmcnt(0)
	ds_write_b128 v116, v[1:4]
	s_waitcnt lgkmcnt(0)
	s_waitcnt_vscnt null, 0x0
	s_barrier
	buffer_gl0_inv
	s_and_saveexec_b32 s8, s5
	s_cbranch_execz .LBB118_387
; %bb.380:
	ds_read_b128 v[1:4], v116
	s_andn2_b32 vcc_lo, exec_lo, s62
	s_cbranch_vccnz .LBB118_382
; %bb.381:
	s_clause 0x3
	buffer_load_dword v117, v115, s[0:3], 0 offen offset:8
	buffer_load_dword v118, v115, s[0:3], 0 offen offset:12
	buffer_load_dword v119, v115, s[0:3], 0 offen
	buffer_load_dword v120, v115, s[0:3], 0 offen offset:4
	s_waitcnt vmcnt(2) lgkmcnt(0)
	v_mul_f64 v[122:123], v[3:4], v[117:118]
	v_mul_f64 v[117:118], v[1:2], v[117:118]
	s_waitcnt vmcnt(0)
	v_fma_f64 v[1:2], v[1:2], v[119:120], -v[122:123]
	v_fma_f64 v[3:4], v[3:4], v[119:120], v[117:118]
.LBB118_382:
	s_and_saveexec_b32 s63, s4
	s_cbranch_execz .LBB118_386
; %bb.383:
	v_add_nc_u32_e32 v117, -7, v0
	s_movk_i32 s64, 0x3e0
	s_mov_b32 s4, 0
	s_mov_b32 s65, s55
	.p2align	6
.LBB118_384:                            ; =>This Inner Loop Header: Depth=1
	v_mov_b32_e32 v120, s65
	v_add_nc_u32_e32 v117, -1, v117
	s_add_i32 s65, s65, 16
	s_clause 0x3
	buffer_load_dword v118, v120, s[0:3], 0 offen offset:8
	buffer_load_dword v119, v120, s[0:3], 0 offen offset:12
	buffer_load_dword v126, v120, s[0:3], 0 offen
	buffer_load_dword v127, v120, s[0:3], 0 offen offset:4
	v_mov_b32_e32 v120, s64
	v_cmp_eq_u32_e32 vcc_lo, 0, v117
	s_add_i32 s64, s64, 16
	ds_read_b128 v[122:125], v120
	s_or_b32 s4, vcc_lo, s4
	s_waitcnt vmcnt(2) lgkmcnt(0)
	v_mul_f64 v[128:129], v[124:125], v[118:119]
	v_mul_f64 v[118:119], v[122:123], v[118:119]
	s_waitcnt vmcnt(0)
	v_fma_f64 v[122:123], v[122:123], v[126:127], -v[128:129]
	v_fma_f64 v[118:119], v[124:125], v[126:127], v[118:119]
	v_add_f64 v[1:2], v[1:2], v[122:123]
	v_add_f64 v[3:4], v[3:4], v[118:119]
	s_andn2_b32 exec_lo, exec_lo, s4
	s_cbranch_execnz .LBB118_384
; %bb.385:
	s_or_b32 exec_lo, exec_lo, s4
.LBB118_386:
	s_or_b32 exec_lo, exec_lo, s63
	v_mov_b32_e32 v117, 0
	ds_read_b128 v[117:120], v117 offset:96
	s_waitcnt lgkmcnt(0)
	v_mul_f64 v[122:123], v[3:4], v[119:120]
	v_mul_f64 v[119:120], v[1:2], v[119:120]
	v_fma_f64 v[1:2], v[1:2], v[117:118], -v[122:123]
	v_fma_f64 v[3:4], v[3:4], v[117:118], v[119:120]
	buffer_store_dword v2, off, s[0:3], 0 offset:100
	buffer_store_dword v1, off, s[0:3], 0 offset:96
	;; [unrolled: 1-line block ×4, first 2 shown]
.LBB118_387:
	s_or_b32 exec_lo, exec_lo, s8
	v_mov_b32_e32 v4, s57
	v_cmp_lt_u32_e64 s4, 5, v0
	s_clause 0x3
	buffer_load_dword v1, v4, s[0:3], 0 offen
	buffer_load_dword v2, v4, s[0:3], 0 offen offset:4
	buffer_load_dword v3, v4, s[0:3], 0 offen offset:8
	;; [unrolled: 1-line block ×3, first 2 shown]
	s_waitcnt vmcnt(0)
	ds_write_b128 v116, v[1:4]
	s_waitcnt lgkmcnt(0)
	s_waitcnt_vscnt null, 0x0
	s_barrier
	buffer_gl0_inv
	s_and_saveexec_b32 s8, s4
	s_cbranch_execz .LBB118_395
; %bb.388:
	ds_read_b128 v[1:4], v116
	s_andn2_b32 vcc_lo, exec_lo, s62
	s_cbranch_vccnz .LBB118_390
; %bb.389:
	s_clause 0x3
	buffer_load_dword v117, v115, s[0:3], 0 offen offset:8
	buffer_load_dword v118, v115, s[0:3], 0 offen offset:12
	buffer_load_dword v119, v115, s[0:3], 0 offen
	buffer_load_dword v120, v115, s[0:3], 0 offen offset:4
	s_waitcnt vmcnt(2) lgkmcnt(0)
	v_mul_f64 v[122:123], v[3:4], v[117:118]
	v_mul_f64 v[117:118], v[1:2], v[117:118]
	s_waitcnt vmcnt(0)
	v_fma_f64 v[1:2], v[1:2], v[119:120], -v[122:123]
	v_fma_f64 v[3:4], v[3:4], v[119:120], v[117:118]
.LBB118_390:
	s_and_saveexec_b32 s63, s5
	s_cbranch_execz .LBB118_394
; %bb.391:
	v_add_nc_u32_e32 v117, -6, v0
	s_movk_i32 s64, 0x3d0
	s_mov_b32 s5, 0
	s_mov_b32 s65, s56
	.p2align	6
.LBB118_392:                            ; =>This Inner Loop Header: Depth=1
	v_mov_b32_e32 v120, s65
	v_add_nc_u32_e32 v117, -1, v117
	s_add_i32 s65, s65, 16
	s_clause 0x3
	buffer_load_dword v118, v120, s[0:3], 0 offen offset:8
	buffer_load_dword v119, v120, s[0:3], 0 offen offset:12
	buffer_load_dword v126, v120, s[0:3], 0 offen
	buffer_load_dword v127, v120, s[0:3], 0 offen offset:4
	v_mov_b32_e32 v120, s64
	v_cmp_eq_u32_e32 vcc_lo, 0, v117
	s_add_i32 s64, s64, 16
	ds_read_b128 v[122:125], v120
	s_or_b32 s5, vcc_lo, s5
	s_waitcnt vmcnt(2) lgkmcnt(0)
	v_mul_f64 v[128:129], v[124:125], v[118:119]
	v_mul_f64 v[118:119], v[122:123], v[118:119]
	s_waitcnt vmcnt(0)
	v_fma_f64 v[122:123], v[122:123], v[126:127], -v[128:129]
	v_fma_f64 v[118:119], v[124:125], v[126:127], v[118:119]
	v_add_f64 v[1:2], v[1:2], v[122:123]
	v_add_f64 v[3:4], v[3:4], v[118:119]
	s_andn2_b32 exec_lo, exec_lo, s5
	s_cbranch_execnz .LBB118_392
; %bb.393:
	s_or_b32 exec_lo, exec_lo, s5
.LBB118_394:
	s_or_b32 exec_lo, exec_lo, s63
	v_mov_b32_e32 v117, 0
	ds_read_b128 v[117:120], v117 offset:80
	s_waitcnt lgkmcnt(0)
	v_mul_f64 v[122:123], v[3:4], v[119:120]
	v_mul_f64 v[119:120], v[1:2], v[119:120]
	v_fma_f64 v[1:2], v[1:2], v[117:118], -v[122:123]
	v_fma_f64 v[3:4], v[3:4], v[117:118], v[119:120]
	buffer_store_dword v2, off, s[0:3], 0 offset:84
	buffer_store_dword v1, off, s[0:3], 0 offset:80
	;; [unrolled: 1-line block ×4, first 2 shown]
.LBB118_395:
	s_or_b32 exec_lo, exec_lo, s8
	v_mov_b32_e32 v4, s58
	v_cmp_lt_u32_e64 s5, 4, v0
	s_clause 0x3
	buffer_load_dword v1, v4, s[0:3], 0 offen
	buffer_load_dword v2, v4, s[0:3], 0 offen offset:4
	buffer_load_dword v3, v4, s[0:3], 0 offen offset:8
	;; [unrolled: 1-line block ×3, first 2 shown]
	s_waitcnt vmcnt(0)
	ds_write_b128 v116, v[1:4]
	s_waitcnt lgkmcnt(0)
	s_waitcnt_vscnt null, 0x0
	s_barrier
	buffer_gl0_inv
	s_and_saveexec_b32 s8, s5
	s_cbranch_execz .LBB118_403
; %bb.396:
	ds_read_b128 v[1:4], v116
	s_andn2_b32 vcc_lo, exec_lo, s62
	s_cbranch_vccnz .LBB118_398
; %bb.397:
	s_clause 0x3
	buffer_load_dword v117, v115, s[0:3], 0 offen offset:8
	buffer_load_dword v118, v115, s[0:3], 0 offen offset:12
	buffer_load_dword v119, v115, s[0:3], 0 offen
	buffer_load_dword v120, v115, s[0:3], 0 offen offset:4
	s_waitcnt vmcnt(2) lgkmcnt(0)
	v_mul_f64 v[122:123], v[3:4], v[117:118]
	v_mul_f64 v[117:118], v[1:2], v[117:118]
	s_waitcnt vmcnt(0)
	v_fma_f64 v[1:2], v[1:2], v[119:120], -v[122:123]
	v_fma_f64 v[3:4], v[3:4], v[119:120], v[117:118]
.LBB118_398:
	s_and_saveexec_b32 s63, s4
	s_cbranch_execz .LBB118_402
; %bb.399:
	v_add_nc_u32_e32 v117, -5, v0
	s_movk_i32 s64, 0x3c0
	s_mov_b32 s4, 0
	s_mov_b32 s65, s57
	.p2align	6
.LBB118_400:                            ; =>This Inner Loop Header: Depth=1
	v_mov_b32_e32 v120, s65
	v_add_nc_u32_e32 v117, -1, v117
	s_add_i32 s65, s65, 16
	s_clause 0x3
	buffer_load_dword v118, v120, s[0:3], 0 offen offset:8
	buffer_load_dword v119, v120, s[0:3], 0 offen offset:12
	buffer_load_dword v126, v120, s[0:3], 0 offen
	buffer_load_dword v127, v120, s[0:3], 0 offen offset:4
	v_mov_b32_e32 v120, s64
	v_cmp_eq_u32_e32 vcc_lo, 0, v117
	s_add_i32 s64, s64, 16
	ds_read_b128 v[122:125], v120
	s_or_b32 s4, vcc_lo, s4
	s_waitcnt vmcnt(2) lgkmcnt(0)
	v_mul_f64 v[128:129], v[124:125], v[118:119]
	v_mul_f64 v[118:119], v[122:123], v[118:119]
	s_waitcnt vmcnt(0)
	v_fma_f64 v[122:123], v[122:123], v[126:127], -v[128:129]
	v_fma_f64 v[118:119], v[124:125], v[126:127], v[118:119]
	v_add_f64 v[1:2], v[1:2], v[122:123]
	v_add_f64 v[3:4], v[3:4], v[118:119]
	s_andn2_b32 exec_lo, exec_lo, s4
	s_cbranch_execnz .LBB118_400
; %bb.401:
	s_or_b32 exec_lo, exec_lo, s4
.LBB118_402:
	s_or_b32 exec_lo, exec_lo, s63
	v_mov_b32_e32 v117, 0
	ds_read_b128 v[117:120], v117 offset:64
	s_waitcnt lgkmcnt(0)
	v_mul_f64 v[122:123], v[3:4], v[119:120]
	v_mul_f64 v[119:120], v[1:2], v[119:120]
	v_fma_f64 v[1:2], v[1:2], v[117:118], -v[122:123]
	v_fma_f64 v[3:4], v[3:4], v[117:118], v[119:120]
	buffer_store_dword v2, off, s[0:3], 0 offset:68
	buffer_store_dword v1, off, s[0:3], 0 offset:64
	;; [unrolled: 1-line block ×4, first 2 shown]
.LBB118_403:
	s_or_b32 exec_lo, exec_lo, s8
	v_mov_b32_e32 v4, s59
	v_cmp_lt_u32_e64 s4, 3, v0
	s_clause 0x3
	buffer_load_dword v1, v4, s[0:3], 0 offen
	buffer_load_dword v2, v4, s[0:3], 0 offen offset:4
	buffer_load_dword v3, v4, s[0:3], 0 offen offset:8
	;; [unrolled: 1-line block ×3, first 2 shown]
	s_waitcnt vmcnt(0)
	ds_write_b128 v116, v[1:4]
	s_waitcnt lgkmcnt(0)
	s_waitcnt_vscnt null, 0x0
	s_barrier
	buffer_gl0_inv
	s_and_saveexec_b32 s8, s4
	s_cbranch_execz .LBB118_411
; %bb.404:
	ds_read_b128 v[1:4], v116
	s_andn2_b32 vcc_lo, exec_lo, s62
	s_cbranch_vccnz .LBB118_406
; %bb.405:
	s_clause 0x3
	buffer_load_dword v117, v115, s[0:3], 0 offen offset:8
	buffer_load_dword v118, v115, s[0:3], 0 offen offset:12
	buffer_load_dword v119, v115, s[0:3], 0 offen
	buffer_load_dword v120, v115, s[0:3], 0 offen offset:4
	s_waitcnt vmcnt(2) lgkmcnt(0)
	v_mul_f64 v[122:123], v[3:4], v[117:118]
	v_mul_f64 v[117:118], v[1:2], v[117:118]
	s_waitcnt vmcnt(0)
	v_fma_f64 v[1:2], v[1:2], v[119:120], -v[122:123]
	v_fma_f64 v[3:4], v[3:4], v[119:120], v[117:118]
.LBB118_406:
	s_and_saveexec_b32 s63, s5
	s_cbranch_execz .LBB118_410
; %bb.407:
	v_add_nc_u32_e32 v117, -4, v0
	s_movk_i32 s64, 0x3b0
	s_mov_b32 s5, 0
	s_mov_b32 s65, s58
	.p2align	6
.LBB118_408:                            ; =>This Inner Loop Header: Depth=1
	v_mov_b32_e32 v120, s65
	v_add_nc_u32_e32 v117, -1, v117
	s_add_i32 s65, s65, 16
	s_clause 0x3
	buffer_load_dword v118, v120, s[0:3], 0 offen offset:8
	buffer_load_dword v119, v120, s[0:3], 0 offen offset:12
	buffer_load_dword v126, v120, s[0:3], 0 offen
	buffer_load_dword v127, v120, s[0:3], 0 offen offset:4
	v_mov_b32_e32 v120, s64
	v_cmp_eq_u32_e32 vcc_lo, 0, v117
	s_add_i32 s64, s64, 16
	ds_read_b128 v[122:125], v120
	s_or_b32 s5, vcc_lo, s5
	s_waitcnt vmcnt(2) lgkmcnt(0)
	v_mul_f64 v[128:129], v[124:125], v[118:119]
	v_mul_f64 v[118:119], v[122:123], v[118:119]
	s_waitcnt vmcnt(0)
	v_fma_f64 v[122:123], v[122:123], v[126:127], -v[128:129]
	v_fma_f64 v[118:119], v[124:125], v[126:127], v[118:119]
	v_add_f64 v[1:2], v[1:2], v[122:123]
	v_add_f64 v[3:4], v[3:4], v[118:119]
	s_andn2_b32 exec_lo, exec_lo, s5
	s_cbranch_execnz .LBB118_408
; %bb.409:
	s_or_b32 exec_lo, exec_lo, s5
.LBB118_410:
	s_or_b32 exec_lo, exec_lo, s63
	v_mov_b32_e32 v117, 0
	ds_read_b128 v[117:120], v117 offset:48
	s_waitcnt lgkmcnt(0)
	v_mul_f64 v[122:123], v[3:4], v[119:120]
	v_mul_f64 v[119:120], v[1:2], v[119:120]
	v_fma_f64 v[1:2], v[1:2], v[117:118], -v[122:123]
	v_fma_f64 v[3:4], v[3:4], v[117:118], v[119:120]
	buffer_store_dword v2, off, s[0:3], 0 offset:52
	buffer_store_dword v1, off, s[0:3], 0 offset:48
	;; [unrolled: 1-line block ×4, first 2 shown]
.LBB118_411:
	s_or_b32 exec_lo, exec_lo, s8
	v_mov_b32_e32 v4, s60
	v_cmp_lt_u32_e64 s5, 2, v0
	s_clause 0x3
	buffer_load_dword v1, v4, s[0:3], 0 offen
	buffer_load_dword v2, v4, s[0:3], 0 offen offset:4
	buffer_load_dword v3, v4, s[0:3], 0 offen offset:8
	;; [unrolled: 1-line block ×3, first 2 shown]
	s_waitcnt vmcnt(0)
	ds_write_b128 v116, v[1:4]
	s_waitcnt lgkmcnt(0)
	s_waitcnt_vscnt null, 0x0
	s_barrier
	buffer_gl0_inv
	s_and_saveexec_b32 s8, s5
	s_cbranch_execz .LBB118_419
; %bb.412:
	ds_read_b128 v[1:4], v116
	s_andn2_b32 vcc_lo, exec_lo, s62
	s_cbranch_vccnz .LBB118_414
; %bb.413:
	s_clause 0x3
	buffer_load_dword v117, v115, s[0:3], 0 offen offset:8
	buffer_load_dword v118, v115, s[0:3], 0 offen offset:12
	buffer_load_dword v119, v115, s[0:3], 0 offen
	buffer_load_dword v120, v115, s[0:3], 0 offen offset:4
	s_waitcnt vmcnt(2) lgkmcnt(0)
	v_mul_f64 v[122:123], v[3:4], v[117:118]
	v_mul_f64 v[117:118], v[1:2], v[117:118]
	s_waitcnt vmcnt(0)
	v_fma_f64 v[1:2], v[1:2], v[119:120], -v[122:123]
	v_fma_f64 v[3:4], v[3:4], v[119:120], v[117:118]
.LBB118_414:
	s_and_saveexec_b32 s63, s4
	s_cbranch_execz .LBB118_418
; %bb.415:
	v_add_nc_u32_e32 v117, -3, v0
	s_movk_i32 s64, 0x3a0
	s_mov_b32 s4, 0
	s_mov_b32 s65, s59
	.p2align	6
.LBB118_416:                            ; =>This Inner Loop Header: Depth=1
	v_mov_b32_e32 v120, s65
	v_add_nc_u32_e32 v117, -1, v117
	s_add_i32 s65, s65, 16
	s_clause 0x3
	buffer_load_dword v118, v120, s[0:3], 0 offen offset:8
	buffer_load_dword v119, v120, s[0:3], 0 offen offset:12
	buffer_load_dword v126, v120, s[0:3], 0 offen
	buffer_load_dword v127, v120, s[0:3], 0 offen offset:4
	v_mov_b32_e32 v120, s64
	v_cmp_eq_u32_e32 vcc_lo, 0, v117
	s_add_i32 s64, s64, 16
	ds_read_b128 v[122:125], v120
	s_or_b32 s4, vcc_lo, s4
	s_waitcnt vmcnt(2) lgkmcnt(0)
	v_mul_f64 v[128:129], v[124:125], v[118:119]
	v_mul_f64 v[118:119], v[122:123], v[118:119]
	s_waitcnt vmcnt(0)
	v_fma_f64 v[122:123], v[122:123], v[126:127], -v[128:129]
	v_fma_f64 v[118:119], v[124:125], v[126:127], v[118:119]
	v_add_f64 v[1:2], v[1:2], v[122:123]
	v_add_f64 v[3:4], v[3:4], v[118:119]
	s_andn2_b32 exec_lo, exec_lo, s4
	s_cbranch_execnz .LBB118_416
; %bb.417:
	s_or_b32 exec_lo, exec_lo, s4
.LBB118_418:
	s_or_b32 exec_lo, exec_lo, s63
	v_mov_b32_e32 v117, 0
	ds_read_b128 v[117:120], v117 offset:32
	s_waitcnt lgkmcnt(0)
	v_mul_f64 v[122:123], v[3:4], v[119:120]
	v_mul_f64 v[119:120], v[1:2], v[119:120]
	v_fma_f64 v[1:2], v[1:2], v[117:118], -v[122:123]
	v_fma_f64 v[3:4], v[3:4], v[117:118], v[119:120]
	buffer_store_dword v2, off, s[0:3], 0 offset:36
	buffer_store_dword v1, off, s[0:3], 0 offset:32
	;; [unrolled: 1-line block ×4, first 2 shown]
.LBB118_419:
	s_or_b32 exec_lo, exec_lo, s8
	v_mov_b32_e32 v4, s61
	v_cmp_lt_u32_e64 s4, 1, v0
	s_clause 0x3
	buffer_load_dword v1, v4, s[0:3], 0 offen
	buffer_load_dword v2, v4, s[0:3], 0 offen offset:4
	buffer_load_dword v3, v4, s[0:3], 0 offen offset:8
	;; [unrolled: 1-line block ×3, first 2 shown]
	s_waitcnt vmcnt(0)
	ds_write_b128 v116, v[1:4]
	s_waitcnt lgkmcnt(0)
	s_waitcnt_vscnt null, 0x0
	s_barrier
	buffer_gl0_inv
	s_and_saveexec_b32 s8, s4
	s_cbranch_execz .LBB118_427
; %bb.420:
	ds_read_b128 v[1:4], v116
	s_andn2_b32 vcc_lo, exec_lo, s62
	s_cbranch_vccnz .LBB118_422
; %bb.421:
	s_clause 0x3
	buffer_load_dword v117, v115, s[0:3], 0 offen offset:8
	buffer_load_dword v118, v115, s[0:3], 0 offen offset:12
	buffer_load_dword v119, v115, s[0:3], 0 offen
	buffer_load_dword v120, v115, s[0:3], 0 offen offset:4
	s_waitcnt vmcnt(2) lgkmcnt(0)
	v_mul_f64 v[122:123], v[3:4], v[117:118]
	v_mul_f64 v[117:118], v[1:2], v[117:118]
	s_waitcnt vmcnt(0)
	v_fma_f64 v[1:2], v[1:2], v[119:120], -v[122:123]
	v_fma_f64 v[3:4], v[3:4], v[119:120], v[117:118]
.LBB118_422:
	s_and_saveexec_b32 s63, s5
	s_cbranch_execz .LBB118_426
; %bb.423:
	v_add_nc_u32_e32 v117, -2, v0
	s_movk_i32 s64, 0x390
	s_mov_b32 s5, 0
	s_mov_b32 s65, s60
	.p2align	6
.LBB118_424:                            ; =>This Inner Loop Header: Depth=1
	v_mov_b32_e32 v120, s65
	v_add_nc_u32_e32 v117, -1, v117
	s_add_i32 s65, s65, 16
	s_clause 0x3
	buffer_load_dword v118, v120, s[0:3], 0 offen offset:8
	buffer_load_dword v119, v120, s[0:3], 0 offen offset:12
	buffer_load_dword v126, v120, s[0:3], 0 offen
	buffer_load_dword v127, v120, s[0:3], 0 offen offset:4
	v_mov_b32_e32 v120, s64
	v_cmp_eq_u32_e32 vcc_lo, 0, v117
	s_add_i32 s64, s64, 16
	ds_read_b128 v[122:125], v120
	s_or_b32 s5, vcc_lo, s5
	s_waitcnt vmcnt(2) lgkmcnt(0)
	v_mul_f64 v[128:129], v[124:125], v[118:119]
	v_mul_f64 v[118:119], v[122:123], v[118:119]
	s_waitcnt vmcnt(0)
	v_fma_f64 v[122:123], v[122:123], v[126:127], -v[128:129]
	v_fma_f64 v[118:119], v[124:125], v[126:127], v[118:119]
	v_add_f64 v[1:2], v[1:2], v[122:123]
	v_add_f64 v[3:4], v[3:4], v[118:119]
	s_andn2_b32 exec_lo, exec_lo, s5
	s_cbranch_execnz .LBB118_424
; %bb.425:
	s_or_b32 exec_lo, exec_lo, s5
.LBB118_426:
	s_or_b32 exec_lo, exec_lo, s63
	v_mov_b32_e32 v117, 0
	ds_read_b128 v[117:120], v117 offset:16
	s_waitcnt lgkmcnt(0)
	v_mul_f64 v[122:123], v[3:4], v[119:120]
	v_mul_f64 v[119:120], v[1:2], v[119:120]
	v_fma_f64 v[1:2], v[1:2], v[117:118], -v[122:123]
	v_fma_f64 v[3:4], v[3:4], v[117:118], v[119:120]
	buffer_store_dword v2, off, s[0:3], 0 offset:20
	buffer_store_dword v1, off, s[0:3], 0 offset:16
	;; [unrolled: 1-line block ×4, first 2 shown]
.LBB118_427:
	s_or_b32 exec_lo, exec_lo, s8
	s_clause 0x3
	buffer_load_dword v1, off, s[0:3], 0
	buffer_load_dword v2, off, s[0:3], 0 offset:4
	buffer_load_dword v3, off, s[0:3], 0 offset:8
	;; [unrolled: 1-line block ×3, first 2 shown]
	s_mov_b32 s8, 0
	s_mov_b32 s5, 0
	s_mov_b32 s63, exec_lo
                                        ; implicit-def: $sgpr64
	s_waitcnt vmcnt(0)
	ds_write_b128 v116, v[1:4]
	s_waitcnt lgkmcnt(0)
	s_waitcnt_vscnt null, 0x0
	s_barrier
	buffer_gl0_inv
                                        ; implicit-def: $vgpr1_vgpr2
	v_cmpx_ne_u32_e32 0, v0
	s_cbranch_execz .LBB118_435
; %bb.428:
	ds_read_b128 v[1:4], v116
	s_andn2_b32 vcc_lo, exec_lo, s62
	s_cbranch_vccnz .LBB118_430
; %bb.429:
	s_clause 0x3
	buffer_load_dword v117, v115, s[0:3], 0 offen offset:8
	buffer_load_dword v118, v115, s[0:3], 0 offen offset:12
	buffer_load_dword v119, v115, s[0:3], 0 offen
	buffer_load_dword v120, v115, s[0:3], 0 offen offset:4
	s_waitcnt vmcnt(2) lgkmcnt(0)
	v_mul_f64 v[122:123], v[3:4], v[117:118]
	v_mul_f64 v[117:118], v[1:2], v[117:118]
	s_waitcnt vmcnt(0)
	v_fma_f64 v[1:2], v[1:2], v[119:120], -v[122:123]
	v_fma_f64 v[3:4], v[3:4], v[119:120], v[117:118]
.LBB118_430:
	s_and_saveexec_b32 s5, s4
	s_cbranch_execz .LBB118_434
; %bb.431:
	v_add_nc_u32_e32 v117, -1, v0
	s_movk_i32 s64, 0x380
	s_mov_b32 s4, 0
	s_mov_b32 s65, s61
	.p2align	6
.LBB118_432:                            ; =>This Inner Loop Header: Depth=1
	v_mov_b32_e32 v120, s65
	v_add_nc_u32_e32 v117, -1, v117
	s_add_i32 s65, s65, 16
	s_clause 0x3
	buffer_load_dword v118, v120, s[0:3], 0 offen offset:8
	buffer_load_dword v119, v120, s[0:3], 0 offen offset:12
	buffer_load_dword v126, v120, s[0:3], 0 offen
	buffer_load_dword v127, v120, s[0:3], 0 offen offset:4
	v_mov_b32_e32 v120, s64
	v_cmp_eq_u32_e32 vcc_lo, 0, v117
	s_add_i32 s64, s64, 16
	ds_read_b128 v[122:125], v120
	s_or_b32 s4, vcc_lo, s4
	s_waitcnt vmcnt(2) lgkmcnt(0)
	v_mul_f64 v[128:129], v[124:125], v[118:119]
	v_mul_f64 v[118:119], v[122:123], v[118:119]
	s_waitcnt vmcnt(0)
	v_fma_f64 v[122:123], v[122:123], v[126:127], -v[128:129]
	v_fma_f64 v[118:119], v[124:125], v[126:127], v[118:119]
	v_add_f64 v[1:2], v[1:2], v[122:123]
	v_add_f64 v[3:4], v[3:4], v[118:119]
	s_andn2_b32 exec_lo, exec_lo, s4
	s_cbranch_execnz .LBB118_432
; %bb.433:
	s_or_b32 exec_lo, exec_lo, s4
.LBB118_434:
	s_or_b32 exec_lo, exec_lo, s5
	v_mov_b32_e32 v117, 0
	s_mov_b32 s5, exec_lo
	s_or_b32 s64, 0, 8
	ds_read_b128 v[117:120], v117
	s_waitcnt lgkmcnt(0)
	v_mul_f64 v[122:123], v[3:4], v[119:120]
	v_mul_f64 v[119:120], v[1:2], v[119:120]
	v_fma_f64 v[122:123], v[1:2], v[117:118], -v[122:123]
	v_fma_f64 v[1:2], v[3:4], v[117:118], v[119:120]
	buffer_store_dword v123, off, s[0:3], 0 offset:4
	buffer_store_dword v122, off, s[0:3], 0
.LBB118_435:
	s_or_b32 exec_lo, exec_lo, s63
	s_and_b32 vcc_lo, exec_lo, s8
	s_cbranch_vccnz .LBB118_437
	s_branch .LBB118_864
.LBB118_436:
	s_mov_b32 s5, 0
                                        ; implicit-def: $vgpr1_vgpr2
                                        ; implicit-def: $sgpr64
	s_cbranch_execz .LBB118_864
.LBB118_437:
	v_mov_b32_e32 v4, s61
	v_cmp_eq_u32_e64 s4, 0, v0
	v_cndmask_b32_e64 v117, 0, 1, s62
	s_clause 0x3
	buffer_load_dword v1, v4, s[0:3], 0 offen
	buffer_load_dword v2, v4, s[0:3], 0 offen offset:4
	buffer_load_dword v3, v4, s[0:3], 0 offen offset:8
	;; [unrolled: 1-line block ×3, first 2 shown]
	s_waitcnt vmcnt(0)
	ds_write_b128 v116, v[1:4]
	s_waitcnt lgkmcnt(0)
	s_waitcnt_vscnt null, 0x0
	s_barrier
	buffer_gl0_inv
	s_and_saveexec_b32 s8, s4
	s_cbranch_execz .LBB118_441
; %bb.438:
	ds_read_b128 v[1:4], v116
	s_andn2_b32 vcc_lo, exec_lo, s62
	s_cbranch_vccnz .LBB118_440
; %bb.439:
	s_clause 0x3
	buffer_load_dword v118, v115, s[0:3], 0 offen offset:8
	buffer_load_dword v119, v115, s[0:3], 0 offen offset:12
	buffer_load_dword v122, v115, s[0:3], 0 offen
	buffer_load_dword v123, v115, s[0:3], 0 offen offset:4
	s_waitcnt vmcnt(2) lgkmcnt(0)
	v_mul_f64 v[124:125], v[3:4], v[118:119]
	v_mul_f64 v[118:119], v[1:2], v[118:119]
	s_waitcnt vmcnt(0)
	v_fma_f64 v[1:2], v[1:2], v[122:123], -v[124:125]
	v_fma_f64 v[3:4], v[3:4], v[122:123], v[118:119]
.LBB118_440:
	v_mov_b32_e32 v118, 0
	ds_read_b128 v[122:125], v118 offset:16
	s_waitcnt lgkmcnt(0)
	v_mul_f64 v[118:119], v[3:4], v[124:125]
	v_mul_f64 v[124:125], v[1:2], v[124:125]
	v_fma_f64 v[1:2], v[1:2], v[122:123], -v[118:119]
	v_fma_f64 v[3:4], v[3:4], v[122:123], v[124:125]
	buffer_store_dword v2, off, s[0:3], 0 offset:20
	buffer_store_dword v1, off, s[0:3], 0 offset:16
	;; [unrolled: 1-line block ×4, first 2 shown]
.LBB118_441:
	s_or_b32 exec_lo, exec_lo, s8
	v_mov_b32_e32 v4, s60
	s_mov_b32 s8, exec_lo
	s_clause 0x3
	buffer_load_dword v1, v4, s[0:3], 0 offen
	buffer_load_dword v2, v4, s[0:3], 0 offen offset:4
	buffer_load_dword v3, v4, s[0:3], 0 offen offset:8
	;; [unrolled: 1-line block ×3, first 2 shown]
	s_waitcnt vmcnt(0)
	ds_write_b128 v116, v[1:4]
	s_waitcnt lgkmcnt(0)
	s_waitcnt_vscnt null, 0x0
	s_barrier
	buffer_gl0_inv
	v_cmpx_gt_u32_e32 2, v0
	s_cbranch_execz .LBB118_447
; %bb.442:
	ds_read_b128 v[1:4], v116
	v_cmp_ne_u32_e32 vcc_lo, 1, v117
	s_cbranch_vccnz .LBB118_444
; %bb.443:
	s_clause 0x3
	buffer_load_dword v118, v115, s[0:3], 0 offen offset:8
	buffer_load_dword v119, v115, s[0:3], 0 offen offset:12
	buffer_load_dword v122, v115, s[0:3], 0 offen
	buffer_load_dword v123, v115, s[0:3], 0 offen offset:4
	s_waitcnt vmcnt(2) lgkmcnt(0)
	v_mul_f64 v[124:125], v[3:4], v[118:119]
	v_mul_f64 v[118:119], v[1:2], v[118:119]
	s_waitcnt vmcnt(0)
	v_fma_f64 v[1:2], v[1:2], v[122:123], -v[124:125]
	v_fma_f64 v[3:4], v[3:4], v[122:123], v[118:119]
.LBB118_444:
	s_and_saveexec_b32 s62, s4
	s_cbranch_execz .LBB118_446
; %bb.445:
	s_clause 0x3
	buffer_load_dword v118, off, s[0:3], 0 offset:24
	buffer_load_dword v119, off, s[0:3], 0 offset:28
	;; [unrolled: 1-line block ×4, first 2 shown]
	v_mov_b32_e32 v120, 0
	ds_read_b128 v[122:125], v120 offset:896
	s_waitcnt vmcnt(2) lgkmcnt(0)
	v_mul_f64 v[128:129], v[124:125], v[118:119]
	v_mul_f64 v[118:119], v[122:123], v[118:119]
	s_waitcnt vmcnt(0)
	v_fma_f64 v[122:123], v[122:123], v[126:127], -v[128:129]
	v_fma_f64 v[118:119], v[124:125], v[126:127], v[118:119]
	v_add_f64 v[1:2], v[1:2], v[122:123]
	v_add_f64 v[3:4], v[3:4], v[118:119]
.LBB118_446:
	s_or_b32 exec_lo, exec_lo, s62
	v_mov_b32_e32 v118, 0
	ds_read_b128 v[122:125], v118 offset:32
	s_waitcnt lgkmcnt(0)
	v_mul_f64 v[118:119], v[3:4], v[124:125]
	v_mul_f64 v[124:125], v[1:2], v[124:125]
	v_fma_f64 v[1:2], v[1:2], v[122:123], -v[118:119]
	v_fma_f64 v[3:4], v[3:4], v[122:123], v[124:125]
	buffer_store_dword v2, off, s[0:3], 0 offset:36
	buffer_store_dword v1, off, s[0:3], 0 offset:32
	;; [unrolled: 1-line block ×4, first 2 shown]
.LBB118_447:
	s_or_b32 exec_lo, exec_lo, s8
	v_mov_b32_e32 v4, s59
	s_mov_b32 s8, exec_lo
	s_clause 0x3
	buffer_load_dword v1, v4, s[0:3], 0 offen
	buffer_load_dword v2, v4, s[0:3], 0 offen offset:4
	buffer_load_dword v3, v4, s[0:3], 0 offen offset:8
	;; [unrolled: 1-line block ×3, first 2 shown]
	s_waitcnt vmcnt(0)
	ds_write_b128 v116, v[1:4]
	s_waitcnt lgkmcnt(0)
	s_waitcnt_vscnt null, 0x0
	s_barrier
	buffer_gl0_inv
	v_cmpx_gt_u32_e32 3, v0
	s_cbranch_execz .LBB118_455
; %bb.448:
	ds_read_b128 v[1:4], v116
	v_cmp_ne_u32_e32 vcc_lo, 1, v117
	s_cbranch_vccnz .LBB118_450
; %bb.449:
	s_clause 0x3
	buffer_load_dword v118, v115, s[0:3], 0 offen offset:8
	buffer_load_dword v119, v115, s[0:3], 0 offen offset:12
	buffer_load_dword v122, v115, s[0:3], 0 offen
	buffer_load_dword v123, v115, s[0:3], 0 offen offset:4
	s_waitcnt vmcnt(2) lgkmcnt(0)
	v_mul_f64 v[124:125], v[3:4], v[118:119]
	v_mul_f64 v[118:119], v[1:2], v[118:119]
	s_waitcnt vmcnt(0)
	v_fma_f64 v[1:2], v[1:2], v[122:123], -v[124:125]
	v_fma_f64 v[3:4], v[3:4], v[122:123], v[118:119]
.LBB118_450:
	s_mov_b32 s62, exec_lo
	v_cmpx_ne_u32_e32 2, v0
	s_cbranch_execz .LBB118_454
; %bb.451:
	s_clause 0x3
	buffer_load_dword v118, v115, s[0:3], 0 offen offset:24
	buffer_load_dword v119, v115, s[0:3], 0 offen offset:28
	;; [unrolled: 1-line block ×4, first 2 shown]
	ds_read_b128 v[122:125], v116 offset:16
	s_waitcnt vmcnt(2) lgkmcnt(0)
	v_mul_f64 v[128:129], v[124:125], v[118:119]
	v_mul_f64 v[118:119], v[122:123], v[118:119]
	s_waitcnt vmcnt(0)
	v_fma_f64 v[122:123], v[122:123], v[126:127], -v[128:129]
	v_fma_f64 v[118:119], v[124:125], v[126:127], v[118:119]
	v_add_f64 v[1:2], v[1:2], v[122:123]
	v_add_f64 v[3:4], v[3:4], v[118:119]
	s_and_saveexec_b32 s63, s4
	s_cbranch_execz .LBB118_453
; %bb.452:
	s_clause 0x3
	buffer_load_dword v118, off, s[0:3], 0 offset:40
	buffer_load_dword v119, off, s[0:3], 0 offset:44
	;; [unrolled: 1-line block ×4, first 2 shown]
	v_mov_b32_e32 v120, 0
	ds_read_b128 v[122:125], v120 offset:912
	s_waitcnt vmcnt(2) lgkmcnt(0)
	v_mul_f64 v[128:129], v[122:123], v[118:119]
	v_mul_f64 v[118:119], v[124:125], v[118:119]
	s_waitcnt vmcnt(0)
	v_fma_f64 v[124:125], v[124:125], v[126:127], v[128:129]
	v_fma_f64 v[118:119], v[122:123], v[126:127], -v[118:119]
	v_add_f64 v[3:4], v[3:4], v[124:125]
	v_add_f64 v[1:2], v[1:2], v[118:119]
.LBB118_453:
	s_or_b32 exec_lo, exec_lo, s63
.LBB118_454:
	s_or_b32 exec_lo, exec_lo, s62
	v_mov_b32_e32 v118, 0
	ds_read_b128 v[122:125], v118 offset:48
	s_waitcnt lgkmcnt(0)
	v_mul_f64 v[118:119], v[3:4], v[124:125]
	v_mul_f64 v[124:125], v[1:2], v[124:125]
	v_fma_f64 v[1:2], v[1:2], v[122:123], -v[118:119]
	v_fma_f64 v[3:4], v[3:4], v[122:123], v[124:125]
	buffer_store_dword v2, off, s[0:3], 0 offset:52
	buffer_store_dword v1, off, s[0:3], 0 offset:48
	;; [unrolled: 1-line block ×4, first 2 shown]
.LBB118_455:
	s_or_b32 exec_lo, exec_lo, s8
	v_mov_b32_e32 v4, s58
	s_mov_b32 s4, exec_lo
	s_clause 0x3
	buffer_load_dword v1, v4, s[0:3], 0 offen
	buffer_load_dword v2, v4, s[0:3], 0 offen offset:4
	buffer_load_dword v3, v4, s[0:3], 0 offen offset:8
	;; [unrolled: 1-line block ×3, first 2 shown]
	s_waitcnt vmcnt(0)
	ds_write_b128 v116, v[1:4]
	s_waitcnt lgkmcnt(0)
	s_waitcnt_vscnt null, 0x0
	s_barrier
	buffer_gl0_inv
	v_cmpx_gt_u32_e32 4, v0
	s_cbranch_execz .LBB118_463
; %bb.456:
	ds_read_b128 v[1:4], v116
	v_cmp_ne_u32_e32 vcc_lo, 1, v117
	s_cbranch_vccnz .LBB118_458
; %bb.457:
	s_clause 0x3
	buffer_load_dword v118, v115, s[0:3], 0 offen offset:8
	buffer_load_dword v119, v115, s[0:3], 0 offen offset:12
	buffer_load_dword v122, v115, s[0:3], 0 offen
	buffer_load_dword v123, v115, s[0:3], 0 offen offset:4
	s_waitcnt vmcnt(2) lgkmcnt(0)
	v_mul_f64 v[124:125], v[3:4], v[118:119]
	v_mul_f64 v[118:119], v[1:2], v[118:119]
	s_waitcnt vmcnt(0)
	v_fma_f64 v[1:2], v[1:2], v[122:123], -v[124:125]
	v_fma_f64 v[3:4], v[3:4], v[122:123], v[118:119]
.LBB118_458:
	s_mov_b32 s8, exec_lo
	v_cmpx_ne_u32_e32 3, v0
	s_cbranch_execz .LBB118_462
; %bb.459:
	v_add_nc_u32_e32 v118, 0x380, v121
	v_add3_u32 v119, 0, v121, 16
	v_mov_b32_e32 v120, v0
	s_mov_b32 s62, 0
	.p2align	6
.LBB118_460:                            ; =>This Inner Loop Header: Depth=1
	s_clause 0x3
	buffer_load_dword v126, v119, s[0:3], 0 offen offset:8
	buffer_load_dword v127, v119, s[0:3], 0 offen offset:12
	buffer_load_dword v128, v119, s[0:3], 0 offen
	buffer_load_dword v129, v119, s[0:3], 0 offen offset:4
	ds_read_b128 v[122:125], v118
	v_add_nc_u32_e32 v120, 1, v120
	v_add_nc_u32_e32 v118, 16, v118
	;; [unrolled: 1-line block ×3, first 2 shown]
	v_cmp_lt_u32_e32 vcc_lo, 2, v120
	s_or_b32 s62, vcc_lo, s62
	s_waitcnt vmcnt(2) lgkmcnt(0)
	v_mul_f64 v[130:131], v[124:125], v[126:127]
	v_mul_f64 v[126:127], v[122:123], v[126:127]
	s_waitcnt vmcnt(0)
	v_fma_f64 v[122:123], v[122:123], v[128:129], -v[130:131]
	v_fma_f64 v[124:125], v[124:125], v[128:129], v[126:127]
	v_add_f64 v[1:2], v[1:2], v[122:123]
	v_add_f64 v[3:4], v[3:4], v[124:125]
	s_andn2_b32 exec_lo, exec_lo, s62
	s_cbranch_execnz .LBB118_460
; %bb.461:
	s_or_b32 exec_lo, exec_lo, s62
.LBB118_462:
	s_or_b32 exec_lo, exec_lo, s8
	v_mov_b32_e32 v118, 0
	ds_read_b128 v[122:125], v118 offset:64
	s_waitcnt lgkmcnt(0)
	v_mul_f64 v[118:119], v[3:4], v[124:125]
	v_mul_f64 v[124:125], v[1:2], v[124:125]
	v_fma_f64 v[1:2], v[1:2], v[122:123], -v[118:119]
	v_fma_f64 v[3:4], v[3:4], v[122:123], v[124:125]
	buffer_store_dword v2, off, s[0:3], 0 offset:68
	buffer_store_dword v1, off, s[0:3], 0 offset:64
	;; [unrolled: 1-line block ×4, first 2 shown]
.LBB118_463:
	s_or_b32 exec_lo, exec_lo, s4
	v_mov_b32_e32 v4, s57
	s_mov_b32 s4, exec_lo
	s_clause 0x3
	buffer_load_dword v1, v4, s[0:3], 0 offen
	buffer_load_dword v2, v4, s[0:3], 0 offen offset:4
	buffer_load_dword v3, v4, s[0:3], 0 offen offset:8
	;; [unrolled: 1-line block ×3, first 2 shown]
	s_waitcnt vmcnt(0)
	ds_write_b128 v116, v[1:4]
	s_waitcnt lgkmcnt(0)
	s_waitcnt_vscnt null, 0x0
	s_barrier
	buffer_gl0_inv
	v_cmpx_gt_u32_e32 5, v0
	s_cbranch_execz .LBB118_471
; %bb.464:
	ds_read_b128 v[1:4], v116
	v_cmp_ne_u32_e32 vcc_lo, 1, v117
	s_cbranch_vccnz .LBB118_466
; %bb.465:
	s_clause 0x3
	buffer_load_dword v118, v115, s[0:3], 0 offen offset:8
	buffer_load_dword v119, v115, s[0:3], 0 offen offset:12
	buffer_load_dword v122, v115, s[0:3], 0 offen
	buffer_load_dword v123, v115, s[0:3], 0 offen offset:4
	s_waitcnt vmcnt(2) lgkmcnt(0)
	v_mul_f64 v[124:125], v[3:4], v[118:119]
	v_mul_f64 v[118:119], v[1:2], v[118:119]
	s_waitcnt vmcnt(0)
	v_fma_f64 v[1:2], v[1:2], v[122:123], -v[124:125]
	v_fma_f64 v[3:4], v[3:4], v[122:123], v[118:119]
.LBB118_466:
	s_mov_b32 s8, exec_lo
	v_cmpx_ne_u32_e32 4, v0
	s_cbranch_execz .LBB118_470
; %bb.467:
	v_add_nc_u32_e32 v118, 0x380, v121
	v_add3_u32 v119, 0, v121, 16
	v_mov_b32_e32 v120, v0
	s_mov_b32 s62, 0
	.p2align	6
.LBB118_468:                            ; =>This Inner Loop Header: Depth=1
	s_clause 0x3
	buffer_load_dword v126, v119, s[0:3], 0 offen offset:8
	buffer_load_dword v127, v119, s[0:3], 0 offen offset:12
	buffer_load_dword v128, v119, s[0:3], 0 offen
	buffer_load_dword v129, v119, s[0:3], 0 offen offset:4
	ds_read_b128 v[122:125], v118
	v_add_nc_u32_e32 v120, 1, v120
	v_add_nc_u32_e32 v118, 16, v118
	;; [unrolled: 1-line block ×3, first 2 shown]
	v_cmp_lt_u32_e32 vcc_lo, 3, v120
	s_or_b32 s62, vcc_lo, s62
	s_waitcnt vmcnt(2) lgkmcnt(0)
	v_mul_f64 v[130:131], v[124:125], v[126:127]
	v_mul_f64 v[126:127], v[122:123], v[126:127]
	s_waitcnt vmcnt(0)
	v_fma_f64 v[122:123], v[122:123], v[128:129], -v[130:131]
	v_fma_f64 v[124:125], v[124:125], v[128:129], v[126:127]
	v_add_f64 v[1:2], v[1:2], v[122:123]
	v_add_f64 v[3:4], v[3:4], v[124:125]
	s_andn2_b32 exec_lo, exec_lo, s62
	s_cbranch_execnz .LBB118_468
; %bb.469:
	s_or_b32 exec_lo, exec_lo, s62
.LBB118_470:
	s_or_b32 exec_lo, exec_lo, s8
	v_mov_b32_e32 v118, 0
	ds_read_b128 v[122:125], v118 offset:80
	s_waitcnt lgkmcnt(0)
	v_mul_f64 v[118:119], v[3:4], v[124:125]
	v_mul_f64 v[124:125], v[1:2], v[124:125]
	v_fma_f64 v[1:2], v[1:2], v[122:123], -v[118:119]
	v_fma_f64 v[3:4], v[3:4], v[122:123], v[124:125]
	buffer_store_dword v2, off, s[0:3], 0 offset:84
	buffer_store_dword v1, off, s[0:3], 0 offset:80
	;; [unrolled: 1-line block ×4, first 2 shown]
.LBB118_471:
	s_or_b32 exec_lo, exec_lo, s4
	v_mov_b32_e32 v4, s56
	s_mov_b32 s4, exec_lo
	s_clause 0x3
	buffer_load_dword v1, v4, s[0:3], 0 offen
	buffer_load_dword v2, v4, s[0:3], 0 offen offset:4
	buffer_load_dword v3, v4, s[0:3], 0 offen offset:8
	;; [unrolled: 1-line block ×3, first 2 shown]
	s_waitcnt vmcnt(0)
	ds_write_b128 v116, v[1:4]
	s_waitcnt lgkmcnt(0)
	s_waitcnt_vscnt null, 0x0
	s_barrier
	buffer_gl0_inv
	v_cmpx_gt_u32_e32 6, v0
	s_cbranch_execz .LBB118_479
; %bb.472:
	ds_read_b128 v[1:4], v116
	v_cmp_ne_u32_e32 vcc_lo, 1, v117
	s_cbranch_vccnz .LBB118_474
; %bb.473:
	s_clause 0x3
	buffer_load_dword v118, v115, s[0:3], 0 offen offset:8
	buffer_load_dword v119, v115, s[0:3], 0 offen offset:12
	buffer_load_dword v122, v115, s[0:3], 0 offen
	buffer_load_dword v123, v115, s[0:3], 0 offen offset:4
	s_waitcnt vmcnt(2) lgkmcnt(0)
	v_mul_f64 v[124:125], v[3:4], v[118:119]
	v_mul_f64 v[118:119], v[1:2], v[118:119]
	s_waitcnt vmcnt(0)
	v_fma_f64 v[1:2], v[1:2], v[122:123], -v[124:125]
	v_fma_f64 v[3:4], v[3:4], v[122:123], v[118:119]
.LBB118_474:
	s_mov_b32 s8, exec_lo
	v_cmpx_ne_u32_e32 5, v0
	s_cbranch_execz .LBB118_478
; %bb.475:
	v_add_nc_u32_e32 v118, 0x380, v121
	v_add3_u32 v119, 0, v121, 16
	v_mov_b32_e32 v120, v0
	s_mov_b32 s62, 0
	.p2align	6
.LBB118_476:                            ; =>This Inner Loop Header: Depth=1
	s_clause 0x3
	buffer_load_dword v126, v119, s[0:3], 0 offen offset:8
	buffer_load_dword v127, v119, s[0:3], 0 offen offset:12
	buffer_load_dword v128, v119, s[0:3], 0 offen
	buffer_load_dword v129, v119, s[0:3], 0 offen offset:4
	ds_read_b128 v[122:125], v118
	v_add_nc_u32_e32 v120, 1, v120
	v_add_nc_u32_e32 v118, 16, v118
	;; [unrolled: 1-line block ×3, first 2 shown]
	v_cmp_lt_u32_e32 vcc_lo, 4, v120
	s_or_b32 s62, vcc_lo, s62
	s_waitcnt vmcnt(2) lgkmcnt(0)
	v_mul_f64 v[130:131], v[124:125], v[126:127]
	v_mul_f64 v[126:127], v[122:123], v[126:127]
	s_waitcnt vmcnt(0)
	v_fma_f64 v[122:123], v[122:123], v[128:129], -v[130:131]
	v_fma_f64 v[124:125], v[124:125], v[128:129], v[126:127]
	v_add_f64 v[1:2], v[1:2], v[122:123]
	v_add_f64 v[3:4], v[3:4], v[124:125]
	s_andn2_b32 exec_lo, exec_lo, s62
	s_cbranch_execnz .LBB118_476
; %bb.477:
	s_or_b32 exec_lo, exec_lo, s62
.LBB118_478:
	s_or_b32 exec_lo, exec_lo, s8
	v_mov_b32_e32 v118, 0
	ds_read_b128 v[122:125], v118 offset:96
	s_waitcnt lgkmcnt(0)
	v_mul_f64 v[118:119], v[3:4], v[124:125]
	v_mul_f64 v[124:125], v[1:2], v[124:125]
	v_fma_f64 v[1:2], v[1:2], v[122:123], -v[118:119]
	v_fma_f64 v[3:4], v[3:4], v[122:123], v[124:125]
	buffer_store_dword v2, off, s[0:3], 0 offset:100
	buffer_store_dword v1, off, s[0:3], 0 offset:96
	;; [unrolled: 1-line block ×4, first 2 shown]
.LBB118_479:
	s_or_b32 exec_lo, exec_lo, s4
	v_mov_b32_e32 v4, s55
	s_mov_b32 s4, exec_lo
	s_clause 0x3
	buffer_load_dword v1, v4, s[0:3], 0 offen
	buffer_load_dword v2, v4, s[0:3], 0 offen offset:4
	buffer_load_dword v3, v4, s[0:3], 0 offen offset:8
	;; [unrolled: 1-line block ×3, first 2 shown]
	s_waitcnt vmcnt(0)
	ds_write_b128 v116, v[1:4]
	s_waitcnt lgkmcnt(0)
	s_waitcnt_vscnt null, 0x0
	s_barrier
	buffer_gl0_inv
	v_cmpx_gt_u32_e32 7, v0
	s_cbranch_execz .LBB118_487
; %bb.480:
	ds_read_b128 v[1:4], v116
	v_cmp_ne_u32_e32 vcc_lo, 1, v117
	s_cbranch_vccnz .LBB118_482
; %bb.481:
	s_clause 0x3
	buffer_load_dword v118, v115, s[0:3], 0 offen offset:8
	buffer_load_dword v119, v115, s[0:3], 0 offen offset:12
	buffer_load_dword v122, v115, s[0:3], 0 offen
	buffer_load_dword v123, v115, s[0:3], 0 offen offset:4
	s_waitcnt vmcnt(2) lgkmcnt(0)
	v_mul_f64 v[124:125], v[3:4], v[118:119]
	v_mul_f64 v[118:119], v[1:2], v[118:119]
	s_waitcnt vmcnt(0)
	v_fma_f64 v[1:2], v[1:2], v[122:123], -v[124:125]
	v_fma_f64 v[3:4], v[3:4], v[122:123], v[118:119]
.LBB118_482:
	s_mov_b32 s8, exec_lo
	v_cmpx_ne_u32_e32 6, v0
	s_cbranch_execz .LBB118_486
; %bb.483:
	v_add_nc_u32_e32 v118, 0x380, v121
	v_add3_u32 v119, 0, v121, 16
	v_mov_b32_e32 v120, v0
	s_mov_b32 s62, 0
	.p2align	6
.LBB118_484:                            ; =>This Inner Loop Header: Depth=1
	s_clause 0x3
	buffer_load_dword v126, v119, s[0:3], 0 offen offset:8
	buffer_load_dword v127, v119, s[0:3], 0 offen offset:12
	buffer_load_dword v128, v119, s[0:3], 0 offen
	buffer_load_dword v129, v119, s[0:3], 0 offen offset:4
	ds_read_b128 v[122:125], v118
	v_add_nc_u32_e32 v120, 1, v120
	v_add_nc_u32_e32 v118, 16, v118
	;; [unrolled: 1-line block ×3, first 2 shown]
	v_cmp_lt_u32_e32 vcc_lo, 5, v120
	s_or_b32 s62, vcc_lo, s62
	s_waitcnt vmcnt(2) lgkmcnt(0)
	v_mul_f64 v[130:131], v[124:125], v[126:127]
	v_mul_f64 v[126:127], v[122:123], v[126:127]
	s_waitcnt vmcnt(0)
	v_fma_f64 v[122:123], v[122:123], v[128:129], -v[130:131]
	v_fma_f64 v[124:125], v[124:125], v[128:129], v[126:127]
	v_add_f64 v[1:2], v[1:2], v[122:123]
	v_add_f64 v[3:4], v[3:4], v[124:125]
	s_andn2_b32 exec_lo, exec_lo, s62
	s_cbranch_execnz .LBB118_484
; %bb.485:
	s_or_b32 exec_lo, exec_lo, s62
.LBB118_486:
	s_or_b32 exec_lo, exec_lo, s8
	v_mov_b32_e32 v118, 0
	ds_read_b128 v[122:125], v118 offset:112
	s_waitcnt lgkmcnt(0)
	v_mul_f64 v[118:119], v[3:4], v[124:125]
	v_mul_f64 v[124:125], v[1:2], v[124:125]
	v_fma_f64 v[1:2], v[1:2], v[122:123], -v[118:119]
	v_fma_f64 v[3:4], v[3:4], v[122:123], v[124:125]
	buffer_store_dword v2, off, s[0:3], 0 offset:116
	buffer_store_dword v1, off, s[0:3], 0 offset:112
	;; [unrolled: 1-line block ×4, first 2 shown]
.LBB118_487:
	s_or_b32 exec_lo, exec_lo, s4
	v_mov_b32_e32 v4, s54
	s_mov_b32 s4, exec_lo
	s_clause 0x3
	buffer_load_dword v1, v4, s[0:3], 0 offen
	buffer_load_dword v2, v4, s[0:3], 0 offen offset:4
	buffer_load_dword v3, v4, s[0:3], 0 offen offset:8
	;; [unrolled: 1-line block ×3, first 2 shown]
	s_waitcnt vmcnt(0)
	ds_write_b128 v116, v[1:4]
	s_waitcnt lgkmcnt(0)
	s_waitcnt_vscnt null, 0x0
	s_barrier
	buffer_gl0_inv
	v_cmpx_gt_u32_e32 8, v0
	s_cbranch_execz .LBB118_495
; %bb.488:
	ds_read_b128 v[1:4], v116
	v_cmp_ne_u32_e32 vcc_lo, 1, v117
	s_cbranch_vccnz .LBB118_490
; %bb.489:
	s_clause 0x3
	buffer_load_dword v118, v115, s[0:3], 0 offen offset:8
	buffer_load_dword v119, v115, s[0:3], 0 offen offset:12
	buffer_load_dword v122, v115, s[0:3], 0 offen
	buffer_load_dword v123, v115, s[0:3], 0 offen offset:4
	s_waitcnt vmcnt(2) lgkmcnt(0)
	v_mul_f64 v[124:125], v[3:4], v[118:119]
	v_mul_f64 v[118:119], v[1:2], v[118:119]
	s_waitcnt vmcnt(0)
	v_fma_f64 v[1:2], v[1:2], v[122:123], -v[124:125]
	v_fma_f64 v[3:4], v[3:4], v[122:123], v[118:119]
.LBB118_490:
	s_mov_b32 s8, exec_lo
	v_cmpx_ne_u32_e32 7, v0
	s_cbranch_execz .LBB118_494
; %bb.491:
	v_add_nc_u32_e32 v118, 0x380, v121
	v_add3_u32 v119, 0, v121, 16
	v_mov_b32_e32 v120, v0
	s_mov_b32 s62, 0
	.p2align	6
.LBB118_492:                            ; =>This Inner Loop Header: Depth=1
	s_clause 0x3
	buffer_load_dword v126, v119, s[0:3], 0 offen offset:8
	buffer_load_dword v127, v119, s[0:3], 0 offen offset:12
	buffer_load_dword v128, v119, s[0:3], 0 offen
	buffer_load_dword v129, v119, s[0:3], 0 offen offset:4
	ds_read_b128 v[122:125], v118
	v_add_nc_u32_e32 v120, 1, v120
	v_add_nc_u32_e32 v118, 16, v118
	v_add_nc_u32_e32 v119, 16, v119
	v_cmp_lt_u32_e32 vcc_lo, 6, v120
	s_or_b32 s62, vcc_lo, s62
	s_waitcnt vmcnt(2) lgkmcnt(0)
	v_mul_f64 v[130:131], v[124:125], v[126:127]
	v_mul_f64 v[126:127], v[122:123], v[126:127]
	s_waitcnt vmcnt(0)
	v_fma_f64 v[122:123], v[122:123], v[128:129], -v[130:131]
	v_fma_f64 v[124:125], v[124:125], v[128:129], v[126:127]
	v_add_f64 v[1:2], v[1:2], v[122:123]
	v_add_f64 v[3:4], v[3:4], v[124:125]
	s_andn2_b32 exec_lo, exec_lo, s62
	s_cbranch_execnz .LBB118_492
; %bb.493:
	s_or_b32 exec_lo, exec_lo, s62
.LBB118_494:
	s_or_b32 exec_lo, exec_lo, s8
	v_mov_b32_e32 v118, 0
	ds_read_b128 v[122:125], v118 offset:128
	s_waitcnt lgkmcnt(0)
	v_mul_f64 v[118:119], v[3:4], v[124:125]
	v_mul_f64 v[124:125], v[1:2], v[124:125]
	v_fma_f64 v[1:2], v[1:2], v[122:123], -v[118:119]
	v_fma_f64 v[3:4], v[3:4], v[122:123], v[124:125]
	buffer_store_dword v2, off, s[0:3], 0 offset:132
	buffer_store_dword v1, off, s[0:3], 0 offset:128
	;; [unrolled: 1-line block ×4, first 2 shown]
.LBB118_495:
	s_or_b32 exec_lo, exec_lo, s4
	v_mov_b32_e32 v4, s53
	s_mov_b32 s4, exec_lo
	s_clause 0x3
	buffer_load_dword v1, v4, s[0:3], 0 offen
	buffer_load_dword v2, v4, s[0:3], 0 offen offset:4
	buffer_load_dword v3, v4, s[0:3], 0 offen offset:8
	;; [unrolled: 1-line block ×3, first 2 shown]
	s_waitcnt vmcnt(0)
	ds_write_b128 v116, v[1:4]
	s_waitcnt lgkmcnt(0)
	s_waitcnt_vscnt null, 0x0
	s_barrier
	buffer_gl0_inv
	v_cmpx_gt_u32_e32 9, v0
	s_cbranch_execz .LBB118_503
; %bb.496:
	ds_read_b128 v[1:4], v116
	v_cmp_ne_u32_e32 vcc_lo, 1, v117
	s_cbranch_vccnz .LBB118_498
; %bb.497:
	s_clause 0x3
	buffer_load_dword v118, v115, s[0:3], 0 offen offset:8
	buffer_load_dword v119, v115, s[0:3], 0 offen offset:12
	buffer_load_dword v122, v115, s[0:3], 0 offen
	buffer_load_dword v123, v115, s[0:3], 0 offen offset:4
	s_waitcnt vmcnt(2) lgkmcnt(0)
	v_mul_f64 v[124:125], v[3:4], v[118:119]
	v_mul_f64 v[118:119], v[1:2], v[118:119]
	s_waitcnt vmcnt(0)
	v_fma_f64 v[1:2], v[1:2], v[122:123], -v[124:125]
	v_fma_f64 v[3:4], v[3:4], v[122:123], v[118:119]
.LBB118_498:
	s_mov_b32 s8, exec_lo
	v_cmpx_ne_u32_e32 8, v0
	s_cbranch_execz .LBB118_502
; %bb.499:
	v_add_nc_u32_e32 v118, 0x380, v121
	v_add3_u32 v119, 0, v121, 16
	v_mov_b32_e32 v120, v0
	s_mov_b32 s62, 0
	.p2align	6
.LBB118_500:                            ; =>This Inner Loop Header: Depth=1
	s_clause 0x3
	buffer_load_dword v126, v119, s[0:3], 0 offen offset:8
	buffer_load_dword v127, v119, s[0:3], 0 offen offset:12
	buffer_load_dword v128, v119, s[0:3], 0 offen
	buffer_load_dword v129, v119, s[0:3], 0 offen offset:4
	ds_read_b128 v[122:125], v118
	v_add_nc_u32_e32 v120, 1, v120
	v_add_nc_u32_e32 v118, 16, v118
	;; [unrolled: 1-line block ×3, first 2 shown]
	v_cmp_lt_u32_e32 vcc_lo, 7, v120
	s_or_b32 s62, vcc_lo, s62
	s_waitcnt vmcnt(2) lgkmcnt(0)
	v_mul_f64 v[130:131], v[124:125], v[126:127]
	v_mul_f64 v[126:127], v[122:123], v[126:127]
	s_waitcnt vmcnt(0)
	v_fma_f64 v[122:123], v[122:123], v[128:129], -v[130:131]
	v_fma_f64 v[124:125], v[124:125], v[128:129], v[126:127]
	v_add_f64 v[1:2], v[1:2], v[122:123]
	v_add_f64 v[3:4], v[3:4], v[124:125]
	s_andn2_b32 exec_lo, exec_lo, s62
	s_cbranch_execnz .LBB118_500
; %bb.501:
	s_or_b32 exec_lo, exec_lo, s62
.LBB118_502:
	s_or_b32 exec_lo, exec_lo, s8
	v_mov_b32_e32 v118, 0
	ds_read_b128 v[122:125], v118 offset:144
	s_waitcnt lgkmcnt(0)
	v_mul_f64 v[118:119], v[3:4], v[124:125]
	v_mul_f64 v[124:125], v[1:2], v[124:125]
	v_fma_f64 v[1:2], v[1:2], v[122:123], -v[118:119]
	v_fma_f64 v[3:4], v[3:4], v[122:123], v[124:125]
	buffer_store_dword v2, off, s[0:3], 0 offset:148
	buffer_store_dword v1, off, s[0:3], 0 offset:144
	;; [unrolled: 1-line block ×4, first 2 shown]
.LBB118_503:
	s_or_b32 exec_lo, exec_lo, s4
	v_mov_b32_e32 v4, s52
	s_mov_b32 s4, exec_lo
	s_clause 0x3
	buffer_load_dword v1, v4, s[0:3], 0 offen
	buffer_load_dword v2, v4, s[0:3], 0 offen offset:4
	buffer_load_dword v3, v4, s[0:3], 0 offen offset:8
	;; [unrolled: 1-line block ×3, first 2 shown]
	s_waitcnt vmcnt(0)
	ds_write_b128 v116, v[1:4]
	s_waitcnt lgkmcnt(0)
	s_waitcnt_vscnt null, 0x0
	s_barrier
	buffer_gl0_inv
	v_cmpx_gt_u32_e32 10, v0
	s_cbranch_execz .LBB118_511
; %bb.504:
	ds_read_b128 v[1:4], v116
	v_cmp_ne_u32_e32 vcc_lo, 1, v117
	s_cbranch_vccnz .LBB118_506
; %bb.505:
	s_clause 0x3
	buffer_load_dword v118, v115, s[0:3], 0 offen offset:8
	buffer_load_dword v119, v115, s[0:3], 0 offen offset:12
	buffer_load_dword v122, v115, s[0:3], 0 offen
	buffer_load_dword v123, v115, s[0:3], 0 offen offset:4
	s_waitcnt vmcnt(2) lgkmcnt(0)
	v_mul_f64 v[124:125], v[3:4], v[118:119]
	v_mul_f64 v[118:119], v[1:2], v[118:119]
	s_waitcnt vmcnt(0)
	v_fma_f64 v[1:2], v[1:2], v[122:123], -v[124:125]
	v_fma_f64 v[3:4], v[3:4], v[122:123], v[118:119]
.LBB118_506:
	s_mov_b32 s8, exec_lo
	v_cmpx_ne_u32_e32 9, v0
	s_cbranch_execz .LBB118_510
; %bb.507:
	v_add_nc_u32_e32 v118, 0x380, v121
	v_add3_u32 v119, 0, v121, 16
	v_mov_b32_e32 v120, v0
	s_mov_b32 s62, 0
	.p2align	6
.LBB118_508:                            ; =>This Inner Loop Header: Depth=1
	s_clause 0x3
	buffer_load_dword v126, v119, s[0:3], 0 offen offset:8
	buffer_load_dword v127, v119, s[0:3], 0 offen offset:12
	buffer_load_dword v128, v119, s[0:3], 0 offen
	buffer_load_dword v129, v119, s[0:3], 0 offen offset:4
	ds_read_b128 v[122:125], v118
	v_add_nc_u32_e32 v120, 1, v120
	v_add_nc_u32_e32 v118, 16, v118
	;; [unrolled: 1-line block ×3, first 2 shown]
	v_cmp_lt_u32_e32 vcc_lo, 8, v120
	s_or_b32 s62, vcc_lo, s62
	s_waitcnt vmcnt(2) lgkmcnt(0)
	v_mul_f64 v[130:131], v[124:125], v[126:127]
	v_mul_f64 v[126:127], v[122:123], v[126:127]
	s_waitcnt vmcnt(0)
	v_fma_f64 v[122:123], v[122:123], v[128:129], -v[130:131]
	v_fma_f64 v[124:125], v[124:125], v[128:129], v[126:127]
	v_add_f64 v[1:2], v[1:2], v[122:123]
	v_add_f64 v[3:4], v[3:4], v[124:125]
	s_andn2_b32 exec_lo, exec_lo, s62
	s_cbranch_execnz .LBB118_508
; %bb.509:
	s_or_b32 exec_lo, exec_lo, s62
.LBB118_510:
	s_or_b32 exec_lo, exec_lo, s8
	v_mov_b32_e32 v118, 0
	ds_read_b128 v[122:125], v118 offset:160
	s_waitcnt lgkmcnt(0)
	v_mul_f64 v[118:119], v[3:4], v[124:125]
	v_mul_f64 v[124:125], v[1:2], v[124:125]
	v_fma_f64 v[1:2], v[1:2], v[122:123], -v[118:119]
	v_fma_f64 v[3:4], v[3:4], v[122:123], v[124:125]
	buffer_store_dword v2, off, s[0:3], 0 offset:164
	buffer_store_dword v1, off, s[0:3], 0 offset:160
	;; [unrolled: 1-line block ×4, first 2 shown]
.LBB118_511:
	s_or_b32 exec_lo, exec_lo, s4
	v_mov_b32_e32 v4, s51
	s_mov_b32 s4, exec_lo
	s_clause 0x3
	buffer_load_dword v1, v4, s[0:3], 0 offen
	buffer_load_dword v2, v4, s[0:3], 0 offen offset:4
	buffer_load_dword v3, v4, s[0:3], 0 offen offset:8
	buffer_load_dword v4, v4, s[0:3], 0 offen offset:12
	s_waitcnt vmcnt(0)
	ds_write_b128 v116, v[1:4]
	s_waitcnt lgkmcnt(0)
	s_waitcnt_vscnt null, 0x0
	s_barrier
	buffer_gl0_inv
	v_cmpx_gt_u32_e32 11, v0
	s_cbranch_execz .LBB118_519
; %bb.512:
	ds_read_b128 v[1:4], v116
	v_cmp_ne_u32_e32 vcc_lo, 1, v117
	s_cbranch_vccnz .LBB118_514
; %bb.513:
	s_clause 0x3
	buffer_load_dword v118, v115, s[0:3], 0 offen offset:8
	buffer_load_dword v119, v115, s[0:3], 0 offen offset:12
	buffer_load_dword v122, v115, s[0:3], 0 offen
	buffer_load_dword v123, v115, s[0:3], 0 offen offset:4
	s_waitcnt vmcnt(2) lgkmcnt(0)
	v_mul_f64 v[124:125], v[3:4], v[118:119]
	v_mul_f64 v[118:119], v[1:2], v[118:119]
	s_waitcnt vmcnt(0)
	v_fma_f64 v[1:2], v[1:2], v[122:123], -v[124:125]
	v_fma_f64 v[3:4], v[3:4], v[122:123], v[118:119]
.LBB118_514:
	s_mov_b32 s8, exec_lo
	v_cmpx_ne_u32_e32 10, v0
	s_cbranch_execz .LBB118_518
; %bb.515:
	v_add_nc_u32_e32 v118, 0x380, v121
	v_add3_u32 v119, 0, v121, 16
	v_mov_b32_e32 v120, v0
	s_mov_b32 s62, 0
	.p2align	6
.LBB118_516:                            ; =>This Inner Loop Header: Depth=1
	s_clause 0x3
	buffer_load_dword v126, v119, s[0:3], 0 offen offset:8
	buffer_load_dword v127, v119, s[0:3], 0 offen offset:12
	buffer_load_dword v128, v119, s[0:3], 0 offen
	buffer_load_dword v129, v119, s[0:3], 0 offen offset:4
	ds_read_b128 v[122:125], v118
	v_add_nc_u32_e32 v120, 1, v120
	v_add_nc_u32_e32 v118, 16, v118
	;; [unrolled: 1-line block ×3, first 2 shown]
	v_cmp_lt_u32_e32 vcc_lo, 9, v120
	s_or_b32 s62, vcc_lo, s62
	s_waitcnt vmcnt(2) lgkmcnt(0)
	v_mul_f64 v[130:131], v[124:125], v[126:127]
	v_mul_f64 v[126:127], v[122:123], v[126:127]
	s_waitcnt vmcnt(0)
	v_fma_f64 v[122:123], v[122:123], v[128:129], -v[130:131]
	v_fma_f64 v[124:125], v[124:125], v[128:129], v[126:127]
	v_add_f64 v[1:2], v[1:2], v[122:123]
	v_add_f64 v[3:4], v[3:4], v[124:125]
	s_andn2_b32 exec_lo, exec_lo, s62
	s_cbranch_execnz .LBB118_516
; %bb.517:
	s_or_b32 exec_lo, exec_lo, s62
.LBB118_518:
	s_or_b32 exec_lo, exec_lo, s8
	v_mov_b32_e32 v118, 0
	ds_read_b128 v[122:125], v118 offset:176
	s_waitcnt lgkmcnt(0)
	v_mul_f64 v[118:119], v[3:4], v[124:125]
	v_mul_f64 v[124:125], v[1:2], v[124:125]
	v_fma_f64 v[1:2], v[1:2], v[122:123], -v[118:119]
	v_fma_f64 v[3:4], v[3:4], v[122:123], v[124:125]
	buffer_store_dword v2, off, s[0:3], 0 offset:180
	buffer_store_dword v1, off, s[0:3], 0 offset:176
	;; [unrolled: 1-line block ×4, first 2 shown]
.LBB118_519:
	s_or_b32 exec_lo, exec_lo, s4
	v_mov_b32_e32 v4, s50
	s_mov_b32 s4, exec_lo
	s_clause 0x3
	buffer_load_dword v1, v4, s[0:3], 0 offen
	buffer_load_dword v2, v4, s[0:3], 0 offen offset:4
	buffer_load_dword v3, v4, s[0:3], 0 offen offset:8
	;; [unrolled: 1-line block ×3, first 2 shown]
	s_waitcnt vmcnt(0)
	ds_write_b128 v116, v[1:4]
	s_waitcnt lgkmcnt(0)
	s_waitcnt_vscnt null, 0x0
	s_barrier
	buffer_gl0_inv
	v_cmpx_gt_u32_e32 12, v0
	s_cbranch_execz .LBB118_527
; %bb.520:
	ds_read_b128 v[1:4], v116
	v_cmp_ne_u32_e32 vcc_lo, 1, v117
	s_cbranch_vccnz .LBB118_522
; %bb.521:
	s_clause 0x3
	buffer_load_dword v118, v115, s[0:3], 0 offen offset:8
	buffer_load_dword v119, v115, s[0:3], 0 offen offset:12
	buffer_load_dword v122, v115, s[0:3], 0 offen
	buffer_load_dword v123, v115, s[0:3], 0 offen offset:4
	s_waitcnt vmcnt(2) lgkmcnt(0)
	v_mul_f64 v[124:125], v[3:4], v[118:119]
	v_mul_f64 v[118:119], v[1:2], v[118:119]
	s_waitcnt vmcnt(0)
	v_fma_f64 v[1:2], v[1:2], v[122:123], -v[124:125]
	v_fma_f64 v[3:4], v[3:4], v[122:123], v[118:119]
.LBB118_522:
	s_mov_b32 s8, exec_lo
	v_cmpx_ne_u32_e32 11, v0
	s_cbranch_execz .LBB118_526
; %bb.523:
	v_add_nc_u32_e32 v118, 0x380, v121
	v_add3_u32 v119, 0, v121, 16
	v_mov_b32_e32 v120, v0
	s_mov_b32 s62, 0
	.p2align	6
.LBB118_524:                            ; =>This Inner Loop Header: Depth=1
	s_clause 0x3
	buffer_load_dword v126, v119, s[0:3], 0 offen offset:8
	buffer_load_dword v127, v119, s[0:3], 0 offen offset:12
	buffer_load_dword v128, v119, s[0:3], 0 offen
	buffer_load_dword v129, v119, s[0:3], 0 offen offset:4
	ds_read_b128 v[122:125], v118
	v_add_nc_u32_e32 v120, 1, v120
	v_add_nc_u32_e32 v118, 16, v118
	;; [unrolled: 1-line block ×3, first 2 shown]
	v_cmp_lt_u32_e32 vcc_lo, 10, v120
	s_or_b32 s62, vcc_lo, s62
	s_waitcnt vmcnt(2) lgkmcnt(0)
	v_mul_f64 v[130:131], v[124:125], v[126:127]
	v_mul_f64 v[126:127], v[122:123], v[126:127]
	s_waitcnt vmcnt(0)
	v_fma_f64 v[122:123], v[122:123], v[128:129], -v[130:131]
	v_fma_f64 v[124:125], v[124:125], v[128:129], v[126:127]
	v_add_f64 v[1:2], v[1:2], v[122:123]
	v_add_f64 v[3:4], v[3:4], v[124:125]
	s_andn2_b32 exec_lo, exec_lo, s62
	s_cbranch_execnz .LBB118_524
; %bb.525:
	s_or_b32 exec_lo, exec_lo, s62
.LBB118_526:
	s_or_b32 exec_lo, exec_lo, s8
	v_mov_b32_e32 v118, 0
	ds_read_b128 v[122:125], v118 offset:192
	s_waitcnt lgkmcnt(0)
	v_mul_f64 v[118:119], v[3:4], v[124:125]
	v_mul_f64 v[124:125], v[1:2], v[124:125]
	v_fma_f64 v[1:2], v[1:2], v[122:123], -v[118:119]
	v_fma_f64 v[3:4], v[3:4], v[122:123], v[124:125]
	buffer_store_dword v2, off, s[0:3], 0 offset:196
	buffer_store_dword v1, off, s[0:3], 0 offset:192
	;; [unrolled: 1-line block ×4, first 2 shown]
.LBB118_527:
	s_or_b32 exec_lo, exec_lo, s4
	v_mov_b32_e32 v4, s49
	s_mov_b32 s4, exec_lo
	s_clause 0x3
	buffer_load_dword v1, v4, s[0:3], 0 offen
	buffer_load_dword v2, v4, s[0:3], 0 offen offset:4
	buffer_load_dword v3, v4, s[0:3], 0 offen offset:8
	;; [unrolled: 1-line block ×3, first 2 shown]
	s_waitcnt vmcnt(0)
	ds_write_b128 v116, v[1:4]
	s_waitcnt lgkmcnt(0)
	s_waitcnt_vscnt null, 0x0
	s_barrier
	buffer_gl0_inv
	v_cmpx_gt_u32_e32 13, v0
	s_cbranch_execz .LBB118_535
; %bb.528:
	ds_read_b128 v[1:4], v116
	v_cmp_ne_u32_e32 vcc_lo, 1, v117
	s_cbranch_vccnz .LBB118_530
; %bb.529:
	s_clause 0x3
	buffer_load_dword v118, v115, s[0:3], 0 offen offset:8
	buffer_load_dword v119, v115, s[0:3], 0 offen offset:12
	buffer_load_dword v122, v115, s[0:3], 0 offen
	buffer_load_dword v123, v115, s[0:3], 0 offen offset:4
	s_waitcnt vmcnt(2) lgkmcnt(0)
	v_mul_f64 v[124:125], v[3:4], v[118:119]
	v_mul_f64 v[118:119], v[1:2], v[118:119]
	s_waitcnt vmcnt(0)
	v_fma_f64 v[1:2], v[1:2], v[122:123], -v[124:125]
	v_fma_f64 v[3:4], v[3:4], v[122:123], v[118:119]
.LBB118_530:
	s_mov_b32 s8, exec_lo
	v_cmpx_ne_u32_e32 12, v0
	s_cbranch_execz .LBB118_534
; %bb.531:
	v_add_nc_u32_e32 v118, 0x380, v121
	v_add3_u32 v119, 0, v121, 16
	v_mov_b32_e32 v120, v0
	s_mov_b32 s62, 0
	.p2align	6
.LBB118_532:                            ; =>This Inner Loop Header: Depth=1
	s_clause 0x3
	buffer_load_dword v126, v119, s[0:3], 0 offen offset:8
	buffer_load_dword v127, v119, s[0:3], 0 offen offset:12
	buffer_load_dword v128, v119, s[0:3], 0 offen
	buffer_load_dword v129, v119, s[0:3], 0 offen offset:4
	ds_read_b128 v[122:125], v118
	v_add_nc_u32_e32 v120, 1, v120
	v_add_nc_u32_e32 v118, 16, v118
	;; [unrolled: 1-line block ×3, first 2 shown]
	v_cmp_lt_u32_e32 vcc_lo, 11, v120
	s_or_b32 s62, vcc_lo, s62
	s_waitcnt vmcnt(2) lgkmcnt(0)
	v_mul_f64 v[130:131], v[124:125], v[126:127]
	v_mul_f64 v[126:127], v[122:123], v[126:127]
	s_waitcnt vmcnt(0)
	v_fma_f64 v[122:123], v[122:123], v[128:129], -v[130:131]
	v_fma_f64 v[124:125], v[124:125], v[128:129], v[126:127]
	v_add_f64 v[1:2], v[1:2], v[122:123]
	v_add_f64 v[3:4], v[3:4], v[124:125]
	s_andn2_b32 exec_lo, exec_lo, s62
	s_cbranch_execnz .LBB118_532
; %bb.533:
	s_or_b32 exec_lo, exec_lo, s62
.LBB118_534:
	s_or_b32 exec_lo, exec_lo, s8
	v_mov_b32_e32 v118, 0
	ds_read_b128 v[122:125], v118 offset:208
	s_waitcnt lgkmcnt(0)
	v_mul_f64 v[118:119], v[3:4], v[124:125]
	v_mul_f64 v[124:125], v[1:2], v[124:125]
	v_fma_f64 v[1:2], v[1:2], v[122:123], -v[118:119]
	v_fma_f64 v[3:4], v[3:4], v[122:123], v[124:125]
	buffer_store_dword v2, off, s[0:3], 0 offset:212
	buffer_store_dword v1, off, s[0:3], 0 offset:208
	;; [unrolled: 1-line block ×4, first 2 shown]
.LBB118_535:
	s_or_b32 exec_lo, exec_lo, s4
	v_mov_b32_e32 v4, s48
	s_mov_b32 s4, exec_lo
	s_clause 0x3
	buffer_load_dword v1, v4, s[0:3], 0 offen
	buffer_load_dword v2, v4, s[0:3], 0 offen offset:4
	buffer_load_dword v3, v4, s[0:3], 0 offen offset:8
	;; [unrolled: 1-line block ×3, first 2 shown]
	s_waitcnt vmcnt(0)
	ds_write_b128 v116, v[1:4]
	s_waitcnt lgkmcnt(0)
	s_waitcnt_vscnt null, 0x0
	s_barrier
	buffer_gl0_inv
	v_cmpx_gt_u32_e32 14, v0
	s_cbranch_execz .LBB118_543
; %bb.536:
	ds_read_b128 v[1:4], v116
	v_cmp_ne_u32_e32 vcc_lo, 1, v117
	s_cbranch_vccnz .LBB118_538
; %bb.537:
	s_clause 0x3
	buffer_load_dword v118, v115, s[0:3], 0 offen offset:8
	buffer_load_dword v119, v115, s[0:3], 0 offen offset:12
	buffer_load_dword v122, v115, s[0:3], 0 offen
	buffer_load_dword v123, v115, s[0:3], 0 offen offset:4
	s_waitcnt vmcnt(2) lgkmcnt(0)
	v_mul_f64 v[124:125], v[3:4], v[118:119]
	v_mul_f64 v[118:119], v[1:2], v[118:119]
	s_waitcnt vmcnt(0)
	v_fma_f64 v[1:2], v[1:2], v[122:123], -v[124:125]
	v_fma_f64 v[3:4], v[3:4], v[122:123], v[118:119]
.LBB118_538:
	s_mov_b32 s8, exec_lo
	v_cmpx_ne_u32_e32 13, v0
	s_cbranch_execz .LBB118_542
; %bb.539:
	v_add_nc_u32_e32 v118, 0x380, v121
	v_add3_u32 v119, 0, v121, 16
	v_mov_b32_e32 v120, v0
	s_mov_b32 s62, 0
	.p2align	6
.LBB118_540:                            ; =>This Inner Loop Header: Depth=1
	s_clause 0x3
	buffer_load_dword v126, v119, s[0:3], 0 offen offset:8
	buffer_load_dword v127, v119, s[0:3], 0 offen offset:12
	buffer_load_dword v128, v119, s[0:3], 0 offen
	buffer_load_dword v129, v119, s[0:3], 0 offen offset:4
	ds_read_b128 v[122:125], v118
	v_add_nc_u32_e32 v120, 1, v120
	v_add_nc_u32_e32 v118, 16, v118
	;; [unrolled: 1-line block ×3, first 2 shown]
	v_cmp_lt_u32_e32 vcc_lo, 12, v120
	s_or_b32 s62, vcc_lo, s62
	s_waitcnt vmcnt(2) lgkmcnt(0)
	v_mul_f64 v[130:131], v[124:125], v[126:127]
	v_mul_f64 v[126:127], v[122:123], v[126:127]
	s_waitcnt vmcnt(0)
	v_fma_f64 v[122:123], v[122:123], v[128:129], -v[130:131]
	v_fma_f64 v[124:125], v[124:125], v[128:129], v[126:127]
	v_add_f64 v[1:2], v[1:2], v[122:123]
	v_add_f64 v[3:4], v[3:4], v[124:125]
	s_andn2_b32 exec_lo, exec_lo, s62
	s_cbranch_execnz .LBB118_540
; %bb.541:
	s_or_b32 exec_lo, exec_lo, s62
.LBB118_542:
	s_or_b32 exec_lo, exec_lo, s8
	v_mov_b32_e32 v118, 0
	ds_read_b128 v[122:125], v118 offset:224
	s_waitcnt lgkmcnt(0)
	v_mul_f64 v[118:119], v[3:4], v[124:125]
	v_mul_f64 v[124:125], v[1:2], v[124:125]
	v_fma_f64 v[1:2], v[1:2], v[122:123], -v[118:119]
	v_fma_f64 v[3:4], v[3:4], v[122:123], v[124:125]
	buffer_store_dword v2, off, s[0:3], 0 offset:228
	buffer_store_dword v1, off, s[0:3], 0 offset:224
	;; [unrolled: 1-line block ×4, first 2 shown]
.LBB118_543:
	s_or_b32 exec_lo, exec_lo, s4
	v_mov_b32_e32 v4, s47
	s_mov_b32 s4, exec_lo
	s_clause 0x3
	buffer_load_dword v1, v4, s[0:3], 0 offen
	buffer_load_dword v2, v4, s[0:3], 0 offen offset:4
	buffer_load_dword v3, v4, s[0:3], 0 offen offset:8
	;; [unrolled: 1-line block ×3, first 2 shown]
	s_waitcnt vmcnt(0)
	ds_write_b128 v116, v[1:4]
	s_waitcnt lgkmcnt(0)
	s_waitcnt_vscnt null, 0x0
	s_barrier
	buffer_gl0_inv
	v_cmpx_gt_u32_e32 15, v0
	s_cbranch_execz .LBB118_551
; %bb.544:
	ds_read_b128 v[1:4], v116
	v_cmp_ne_u32_e32 vcc_lo, 1, v117
	s_cbranch_vccnz .LBB118_546
; %bb.545:
	s_clause 0x3
	buffer_load_dword v118, v115, s[0:3], 0 offen offset:8
	buffer_load_dword v119, v115, s[0:3], 0 offen offset:12
	buffer_load_dword v122, v115, s[0:3], 0 offen
	buffer_load_dword v123, v115, s[0:3], 0 offen offset:4
	s_waitcnt vmcnt(2) lgkmcnt(0)
	v_mul_f64 v[124:125], v[3:4], v[118:119]
	v_mul_f64 v[118:119], v[1:2], v[118:119]
	s_waitcnt vmcnt(0)
	v_fma_f64 v[1:2], v[1:2], v[122:123], -v[124:125]
	v_fma_f64 v[3:4], v[3:4], v[122:123], v[118:119]
.LBB118_546:
	s_mov_b32 s8, exec_lo
	v_cmpx_ne_u32_e32 14, v0
	s_cbranch_execz .LBB118_550
; %bb.547:
	v_add_nc_u32_e32 v118, 0x380, v121
	v_add3_u32 v119, 0, v121, 16
	v_mov_b32_e32 v120, v0
	s_mov_b32 s62, 0
	.p2align	6
.LBB118_548:                            ; =>This Inner Loop Header: Depth=1
	s_clause 0x3
	buffer_load_dword v126, v119, s[0:3], 0 offen offset:8
	buffer_load_dword v127, v119, s[0:3], 0 offen offset:12
	buffer_load_dword v128, v119, s[0:3], 0 offen
	buffer_load_dword v129, v119, s[0:3], 0 offen offset:4
	ds_read_b128 v[122:125], v118
	v_add_nc_u32_e32 v120, 1, v120
	v_add_nc_u32_e32 v118, 16, v118
	;; [unrolled: 1-line block ×3, first 2 shown]
	v_cmp_lt_u32_e32 vcc_lo, 13, v120
	s_or_b32 s62, vcc_lo, s62
	s_waitcnt vmcnt(2) lgkmcnt(0)
	v_mul_f64 v[130:131], v[124:125], v[126:127]
	v_mul_f64 v[126:127], v[122:123], v[126:127]
	s_waitcnt vmcnt(0)
	v_fma_f64 v[122:123], v[122:123], v[128:129], -v[130:131]
	v_fma_f64 v[124:125], v[124:125], v[128:129], v[126:127]
	v_add_f64 v[1:2], v[1:2], v[122:123]
	v_add_f64 v[3:4], v[3:4], v[124:125]
	s_andn2_b32 exec_lo, exec_lo, s62
	s_cbranch_execnz .LBB118_548
; %bb.549:
	s_or_b32 exec_lo, exec_lo, s62
.LBB118_550:
	s_or_b32 exec_lo, exec_lo, s8
	v_mov_b32_e32 v118, 0
	ds_read_b128 v[122:125], v118 offset:240
	s_waitcnt lgkmcnt(0)
	v_mul_f64 v[118:119], v[3:4], v[124:125]
	v_mul_f64 v[124:125], v[1:2], v[124:125]
	v_fma_f64 v[1:2], v[1:2], v[122:123], -v[118:119]
	v_fma_f64 v[3:4], v[3:4], v[122:123], v[124:125]
	buffer_store_dword v2, off, s[0:3], 0 offset:244
	buffer_store_dword v1, off, s[0:3], 0 offset:240
	;; [unrolled: 1-line block ×4, first 2 shown]
.LBB118_551:
	s_or_b32 exec_lo, exec_lo, s4
	v_mov_b32_e32 v4, s46
	s_mov_b32 s4, exec_lo
	s_clause 0x3
	buffer_load_dword v1, v4, s[0:3], 0 offen
	buffer_load_dword v2, v4, s[0:3], 0 offen offset:4
	buffer_load_dword v3, v4, s[0:3], 0 offen offset:8
	;; [unrolled: 1-line block ×3, first 2 shown]
	s_waitcnt vmcnt(0)
	ds_write_b128 v116, v[1:4]
	s_waitcnt lgkmcnt(0)
	s_waitcnt_vscnt null, 0x0
	s_barrier
	buffer_gl0_inv
	v_cmpx_gt_u32_e32 16, v0
	s_cbranch_execz .LBB118_559
; %bb.552:
	ds_read_b128 v[1:4], v116
	v_cmp_ne_u32_e32 vcc_lo, 1, v117
	s_cbranch_vccnz .LBB118_554
; %bb.553:
	s_clause 0x3
	buffer_load_dword v118, v115, s[0:3], 0 offen offset:8
	buffer_load_dword v119, v115, s[0:3], 0 offen offset:12
	buffer_load_dword v122, v115, s[0:3], 0 offen
	buffer_load_dword v123, v115, s[0:3], 0 offen offset:4
	s_waitcnt vmcnt(2) lgkmcnt(0)
	v_mul_f64 v[124:125], v[3:4], v[118:119]
	v_mul_f64 v[118:119], v[1:2], v[118:119]
	s_waitcnt vmcnt(0)
	v_fma_f64 v[1:2], v[1:2], v[122:123], -v[124:125]
	v_fma_f64 v[3:4], v[3:4], v[122:123], v[118:119]
.LBB118_554:
	s_mov_b32 s8, exec_lo
	v_cmpx_ne_u32_e32 15, v0
	s_cbranch_execz .LBB118_558
; %bb.555:
	v_add_nc_u32_e32 v118, 0x380, v121
	v_add3_u32 v119, 0, v121, 16
	v_mov_b32_e32 v120, v0
	s_mov_b32 s62, 0
	.p2align	6
.LBB118_556:                            ; =>This Inner Loop Header: Depth=1
	s_clause 0x3
	buffer_load_dword v126, v119, s[0:3], 0 offen offset:8
	buffer_load_dword v127, v119, s[0:3], 0 offen offset:12
	buffer_load_dword v128, v119, s[0:3], 0 offen
	buffer_load_dword v129, v119, s[0:3], 0 offen offset:4
	ds_read_b128 v[122:125], v118
	v_add_nc_u32_e32 v120, 1, v120
	v_add_nc_u32_e32 v118, 16, v118
	v_add_nc_u32_e32 v119, 16, v119
	v_cmp_lt_u32_e32 vcc_lo, 14, v120
	s_or_b32 s62, vcc_lo, s62
	s_waitcnt vmcnt(2) lgkmcnt(0)
	v_mul_f64 v[130:131], v[124:125], v[126:127]
	v_mul_f64 v[126:127], v[122:123], v[126:127]
	s_waitcnt vmcnt(0)
	v_fma_f64 v[122:123], v[122:123], v[128:129], -v[130:131]
	v_fma_f64 v[124:125], v[124:125], v[128:129], v[126:127]
	v_add_f64 v[1:2], v[1:2], v[122:123]
	v_add_f64 v[3:4], v[3:4], v[124:125]
	s_andn2_b32 exec_lo, exec_lo, s62
	s_cbranch_execnz .LBB118_556
; %bb.557:
	s_or_b32 exec_lo, exec_lo, s62
.LBB118_558:
	s_or_b32 exec_lo, exec_lo, s8
	v_mov_b32_e32 v118, 0
	ds_read_b128 v[122:125], v118 offset:256
	s_waitcnt lgkmcnt(0)
	v_mul_f64 v[118:119], v[3:4], v[124:125]
	v_mul_f64 v[124:125], v[1:2], v[124:125]
	v_fma_f64 v[1:2], v[1:2], v[122:123], -v[118:119]
	v_fma_f64 v[3:4], v[3:4], v[122:123], v[124:125]
	buffer_store_dword v2, off, s[0:3], 0 offset:260
	buffer_store_dword v1, off, s[0:3], 0 offset:256
	;; [unrolled: 1-line block ×4, first 2 shown]
.LBB118_559:
	s_or_b32 exec_lo, exec_lo, s4
	v_mov_b32_e32 v4, s45
	s_mov_b32 s4, exec_lo
	s_clause 0x3
	buffer_load_dword v1, v4, s[0:3], 0 offen
	buffer_load_dword v2, v4, s[0:3], 0 offen offset:4
	buffer_load_dword v3, v4, s[0:3], 0 offen offset:8
	;; [unrolled: 1-line block ×3, first 2 shown]
	s_waitcnt vmcnt(0)
	ds_write_b128 v116, v[1:4]
	s_waitcnt lgkmcnt(0)
	s_waitcnt_vscnt null, 0x0
	s_barrier
	buffer_gl0_inv
	v_cmpx_gt_u32_e32 17, v0
	s_cbranch_execz .LBB118_567
; %bb.560:
	ds_read_b128 v[1:4], v116
	v_cmp_ne_u32_e32 vcc_lo, 1, v117
	s_cbranch_vccnz .LBB118_562
; %bb.561:
	s_clause 0x3
	buffer_load_dword v118, v115, s[0:3], 0 offen offset:8
	buffer_load_dword v119, v115, s[0:3], 0 offen offset:12
	buffer_load_dword v122, v115, s[0:3], 0 offen
	buffer_load_dword v123, v115, s[0:3], 0 offen offset:4
	s_waitcnt vmcnt(2) lgkmcnt(0)
	v_mul_f64 v[124:125], v[3:4], v[118:119]
	v_mul_f64 v[118:119], v[1:2], v[118:119]
	s_waitcnt vmcnt(0)
	v_fma_f64 v[1:2], v[1:2], v[122:123], -v[124:125]
	v_fma_f64 v[3:4], v[3:4], v[122:123], v[118:119]
.LBB118_562:
	s_mov_b32 s8, exec_lo
	v_cmpx_ne_u32_e32 16, v0
	s_cbranch_execz .LBB118_566
; %bb.563:
	v_add_nc_u32_e32 v118, 0x380, v121
	v_add3_u32 v119, 0, v121, 16
	v_mov_b32_e32 v120, v0
	s_mov_b32 s62, 0
	.p2align	6
.LBB118_564:                            ; =>This Inner Loop Header: Depth=1
	s_clause 0x3
	buffer_load_dword v126, v119, s[0:3], 0 offen offset:8
	buffer_load_dword v127, v119, s[0:3], 0 offen offset:12
	buffer_load_dword v128, v119, s[0:3], 0 offen
	buffer_load_dword v129, v119, s[0:3], 0 offen offset:4
	ds_read_b128 v[122:125], v118
	v_add_nc_u32_e32 v120, 1, v120
	v_add_nc_u32_e32 v118, 16, v118
	;; [unrolled: 1-line block ×3, first 2 shown]
	v_cmp_lt_u32_e32 vcc_lo, 15, v120
	s_or_b32 s62, vcc_lo, s62
	s_waitcnt vmcnt(2) lgkmcnt(0)
	v_mul_f64 v[130:131], v[124:125], v[126:127]
	v_mul_f64 v[126:127], v[122:123], v[126:127]
	s_waitcnt vmcnt(0)
	v_fma_f64 v[122:123], v[122:123], v[128:129], -v[130:131]
	v_fma_f64 v[124:125], v[124:125], v[128:129], v[126:127]
	v_add_f64 v[1:2], v[1:2], v[122:123]
	v_add_f64 v[3:4], v[3:4], v[124:125]
	s_andn2_b32 exec_lo, exec_lo, s62
	s_cbranch_execnz .LBB118_564
; %bb.565:
	s_or_b32 exec_lo, exec_lo, s62
.LBB118_566:
	s_or_b32 exec_lo, exec_lo, s8
	v_mov_b32_e32 v118, 0
	ds_read_b128 v[122:125], v118 offset:272
	s_waitcnt lgkmcnt(0)
	v_mul_f64 v[118:119], v[3:4], v[124:125]
	v_mul_f64 v[124:125], v[1:2], v[124:125]
	v_fma_f64 v[1:2], v[1:2], v[122:123], -v[118:119]
	v_fma_f64 v[3:4], v[3:4], v[122:123], v[124:125]
	buffer_store_dword v2, off, s[0:3], 0 offset:276
	buffer_store_dword v1, off, s[0:3], 0 offset:272
	;; [unrolled: 1-line block ×4, first 2 shown]
.LBB118_567:
	s_or_b32 exec_lo, exec_lo, s4
	v_mov_b32_e32 v4, s44
	s_mov_b32 s4, exec_lo
	s_clause 0x3
	buffer_load_dword v1, v4, s[0:3], 0 offen
	buffer_load_dword v2, v4, s[0:3], 0 offen offset:4
	buffer_load_dword v3, v4, s[0:3], 0 offen offset:8
	;; [unrolled: 1-line block ×3, first 2 shown]
	s_waitcnt vmcnt(0)
	ds_write_b128 v116, v[1:4]
	s_waitcnt lgkmcnt(0)
	s_waitcnt_vscnt null, 0x0
	s_barrier
	buffer_gl0_inv
	v_cmpx_gt_u32_e32 18, v0
	s_cbranch_execz .LBB118_575
; %bb.568:
	ds_read_b128 v[1:4], v116
	v_cmp_ne_u32_e32 vcc_lo, 1, v117
	s_cbranch_vccnz .LBB118_570
; %bb.569:
	s_clause 0x3
	buffer_load_dword v118, v115, s[0:3], 0 offen offset:8
	buffer_load_dword v119, v115, s[0:3], 0 offen offset:12
	buffer_load_dword v122, v115, s[0:3], 0 offen
	buffer_load_dword v123, v115, s[0:3], 0 offen offset:4
	s_waitcnt vmcnt(2) lgkmcnt(0)
	v_mul_f64 v[124:125], v[3:4], v[118:119]
	v_mul_f64 v[118:119], v[1:2], v[118:119]
	s_waitcnt vmcnt(0)
	v_fma_f64 v[1:2], v[1:2], v[122:123], -v[124:125]
	v_fma_f64 v[3:4], v[3:4], v[122:123], v[118:119]
.LBB118_570:
	s_mov_b32 s8, exec_lo
	v_cmpx_ne_u32_e32 17, v0
	s_cbranch_execz .LBB118_574
; %bb.571:
	v_add_nc_u32_e32 v118, 0x380, v121
	v_add3_u32 v119, 0, v121, 16
	v_mov_b32_e32 v120, v0
	s_mov_b32 s62, 0
	.p2align	6
.LBB118_572:                            ; =>This Inner Loop Header: Depth=1
	s_clause 0x3
	buffer_load_dword v126, v119, s[0:3], 0 offen offset:8
	buffer_load_dword v127, v119, s[0:3], 0 offen offset:12
	buffer_load_dword v128, v119, s[0:3], 0 offen
	buffer_load_dword v129, v119, s[0:3], 0 offen offset:4
	ds_read_b128 v[122:125], v118
	v_add_nc_u32_e32 v120, 1, v120
	v_add_nc_u32_e32 v118, 16, v118
	;; [unrolled: 1-line block ×3, first 2 shown]
	v_cmp_lt_u32_e32 vcc_lo, 16, v120
	s_or_b32 s62, vcc_lo, s62
	s_waitcnt vmcnt(2) lgkmcnt(0)
	v_mul_f64 v[130:131], v[124:125], v[126:127]
	v_mul_f64 v[126:127], v[122:123], v[126:127]
	s_waitcnt vmcnt(0)
	v_fma_f64 v[122:123], v[122:123], v[128:129], -v[130:131]
	v_fma_f64 v[124:125], v[124:125], v[128:129], v[126:127]
	v_add_f64 v[1:2], v[1:2], v[122:123]
	v_add_f64 v[3:4], v[3:4], v[124:125]
	s_andn2_b32 exec_lo, exec_lo, s62
	s_cbranch_execnz .LBB118_572
; %bb.573:
	s_or_b32 exec_lo, exec_lo, s62
.LBB118_574:
	s_or_b32 exec_lo, exec_lo, s8
	v_mov_b32_e32 v118, 0
	ds_read_b128 v[122:125], v118 offset:288
	s_waitcnt lgkmcnt(0)
	v_mul_f64 v[118:119], v[3:4], v[124:125]
	v_mul_f64 v[124:125], v[1:2], v[124:125]
	v_fma_f64 v[1:2], v[1:2], v[122:123], -v[118:119]
	v_fma_f64 v[3:4], v[3:4], v[122:123], v[124:125]
	buffer_store_dword v2, off, s[0:3], 0 offset:292
	buffer_store_dword v1, off, s[0:3], 0 offset:288
	;; [unrolled: 1-line block ×4, first 2 shown]
.LBB118_575:
	s_or_b32 exec_lo, exec_lo, s4
	v_mov_b32_e32 v4, s43
	s_mov_b32 s4, exec_lo
	s_clause 0x3
	buffer_load_dword v1, v4, s[0:3], 0 offen
	buffer_load_dword v2, v4, s[0:3], 0 offen offset:4
	buffer_load_dword v3, v4, s[0:3], 0 offen offset:8
	;; [unrolled: 1-line block ×3, first 2 shown]
	s_waitcnt vmcnt(0)
	ds_write_b128 v116, v[1:4]
	s_waitcnt lgkmcnt(0)
	s_waitcnt_vscnt null, 0x0
	s_barrier
	buffer_gl0_inv
	v_cmpx_gt_u32_e32 19, v0
	s_cbranch_execz .LBB118_583
; %bb.576:
	ds_read_b128 v[1:4], v116
	v_cmp_ne_u32_e32 vcc_lo, 1, v117
	s_cbranch_vccnz .LBB118_578
; %bb.577:
	s_clause 0x3
	buffer_load_dword v118, v115, s[0:3], 0 offen offset:8
	buffer_load_dword v119, v115, s[0:3], 0 offen offset:12
	buffer_load_dword v122, v115, s[0:3], 0 offen
	buffer_load_dword v123, v115, s[0:3], 0 offen offset:4
	s_waitcnt vmcnt(2) lgkmcnt(0)
	v_mul_f64 v[124:125], v[3:4], v[118:119]
	v_mul_f64 v[118:119], v[1:2], v[118:119]
	s_waitcnt vmcnt(0)
	v_fma_f64 v[1:2], v[1:2], v[122:123], -v[124:125]
	v_fma_f64 v[3:4], v[3:4], v[122:123], v[118:119]
.LBB118_578:
	s_mov_b32 s8, exec_lo
	v_cmpx_ne_u32_e32 18, v0
	s_cbranch_execz .LBB118_582
; %bb.579:
	v_add_nc_u32_e32 v118, 0x380, v121
	v_add3_u32 v119, 0, v121, 16
	v_mov_b32_e32 v120, v0
	s_mov_b32 s62, 0
	.p2align	6
.LBB118_580:                            ; =>This Inner Loop Header: Depth=1
	s_clause 0x3
	buffer_load_dword v126, v119, s[0:3], 0 offen offset:8
	buffer_load_dword v127, v119, s[0:3], 0 offen offset:12
	buffer_load_dword v128, v119, s[0:3], 0 offen
	buffer_load_dword v129, v119, s[0:3], 0 offen offset:4
	ds_read_b128 v[122:125], v118
	v_add_nc_u32_e32 v120, 1, v120
	v_add_nc_u32_e32 v118, 16, v118
	;; [unrolled: 1-line block ×3, first 2 shown]
	v_cmp_lt_u32_e32 vcc_lo, 17, v120
	s_or_b32 s62, vcc_lo, s62
	s_waitcnt vmcnt(2) lgkmcnt(0)
	v_mul_f64 v[130:131], v[124:125], v[126:127]
	v_mul_f64 v[126:127], v[122:123], v[126:127]
	s_waitcnt vmcnt(0)
	v_fma_f64 v[122:123], v[122:123], v[128:129], -v[130:131]
	v_fma_f64 v[124:125], v[124:125], v[128:129], v[126:127]
	v_add_f64 v[1:2], v[1:2], v[122:123]
	v_add_f64 v[3:4], v[3:4], v[124:125]
	s_andn2_b32 exec_lo, exec_lo, s62
	s_cbranch_execnz .LBB118_580
; %bb.581:
	s_or_b32 exec_lo, exec_lo, s62
.LBB118_582:
	s_or_b32 exec_lo, exec_lo, s8
	v_mov_b32_e32 v118, 0
	ds_read_b128 v[122:125], v118 offset:304
	s_waitcnt lgkmcnt(0)
	v_mul_f64 v[118:119], v[3:4], v[124:125]
	v_mul_f64 v[124:125], v[1:2], v[124:125]
	v_fma_f64 v[1:2], v[1:2], v[122:123], -v[118:119]
	v_fma_f64 v[3:4], v[3:4], v[122:123], v[124:125]
	buffer_store_dword v2, off, s[0:3], 0 offset:308
	buffer_store_dword v1, off, s[0:3], 0 offset:304
	;; [unrolled: 1-line block ×4, first 2 shown]
.LBB118_583:
	s_or_b32 exec_lo, exec_lo, s4
	v_mov_b32_e32 v4, s42
	s_mov_b32 s4, exec_lo
	s_clause 0x3
	buffer_load_dword v1, v4, s[0:3], 0 offen
	buffer_load_dword v2, v4, s[0:3], 0 offen offset:4
	buffer_load_dword v3, v4, s[0:3], 0 offen offset:8
	;; [unrolled: 1-line block ×3, first 2 shown]
	s_waitcnt vmcnt(0)
	ds_write_b128 v116, v[1:4]
	s_waitcnt lgkmcnt(0)
	s_waitcnt_vscnt null, 0x0
	s_barrier
	buffer_gl0_inv
	v_cmpx_gt_u32_e32 20, v0
	s_cbranch_execz .LBB118_591
; %bb.584:
	ds_read_b128 v[1:4], v116
	v_cmp_ne_u32_e32 vcc_lo, 1, v117
	s_cbranch_vccnz .LBB118_586
; %bb.585:
	s_clause 0x3
	buffer_load_dword v118, v115, s[0:3], 0 offen offset:8
	buffer_load_dword v119, v115, s[0:3], 0 offen offset:12
	buffer_load_dword v122, v115, s[0:3], 0 offen
	buffer_load_dword v123, v115, s[0:3], 0 offen offset:4
	s_waitcnt vmcnt(2) lgkmcnt(0)
	v_mul_f64 v[124:125], v[3:4], v[118:119]
	v_mul_f64 v[118:119], v[1:2], v[118:119]
	s_waitcnt vmcnt(0)
	v_fma_f64 v[1:2], v[1:2], v[122:123], -v[124:125]
	v_fma_f64 v[3:4], v[3:4], v[122:123], v[118:119]
.LBB118_586:
	s_mov_b32 s8, exec_lo
	v_cmpx_ne_u32_e32 19, v0
	s_cbranch_execz .LBB118_590
; %bb.587:
	v_add_nc_u32_e32 v118, 0x380, v121
	v_add3_u32 v119, 0, v121, 16
	v_mov_b32_e32 v120, v0
	s_mov_b32 s62, 0
	.p2align	6
.LBB118_588:                            ; =>This Inner Loop Header: Depth=1
	s_clause 0x3
	buffer_load_dword v126, v119, s[0:3], 0 offen offset:8
	buffer_load_dword v127, v119, s[0:3], 0 offen offset:12
	buffer_load_dword v128, v119, s[0:3], 0 offen
	buffer_load_dword v129, v119, s[0:3], 0 offen offset:4
	ds_read_b128 v[122:125], v118
	v_add_nc_u32_e32 v120, 1, v120
	v_add_nc_u32_e32 v118, 16, v118
	;; [unrolled: 1-line block ×3, first 2 shown]
	v_cmp_lt_u32_e32 vcc_lo, 18, v120
	s_or_b32 s62, vcc_lo, s62
	s_waitcnt vmcnt(2) lgkmcnt(0)
	v_mul_f64 v[130:131], v[124:125], v[126:127]
	v_mul_f64 v[126:127], v[122:123], v[126:127]
	s_waitcnt vmcnt(0)
	v_fma_f64 v[122:123], v[122:123], v[128:129], -v[130:131]
	v_fma_f64 v[124:125], v[124:125], v[128:129], v[126:127]
	v_add_f64 v[1:2], v[1:2], v[122:123]
	v_add_f64 v[3:4], v[3:4], v[124:125]
	s_andn2_b32 exec_lo, exec_lo, s62
	s_cbranch_execnz .LBB118_588
; %bb.589:
	s_or_b32 exec_lo, exec_lo, s62
.LBB118_590:
	s_or_b32 exec_lo, exec_lo, s8
	v_mov_b32_e32 v118, 0
	ds_read_b128 v[122:125], v118 offset:320
	s_waitcnt lgkmcnt(0)
	v_mul_f64 v[118:119], v[3:4], v[124:125]
	v_mul_f64 v[124:125], v[1:2], v[124:125]
	v_fma_f64 v[1:2], v[1:2], v[122:123], -v[118:119]
	v_fma_f64 v[3:4], v[3:4], v[122:123], v[124:125]
	buffer_store_dword v2, off, s[0:3], 0 offset:324
	buffer_store_dword v1, off, s[0:3], 0 offset:320
	;; [unrolled: 1-line block ×4, first 2 shown]
.LBB118_591:
	s_or_b32 exec_lo, exec_lo, s4
	v_mov_b32_e32 v4, s41
	s_mov_b32 s4, exec_lo
	s_clause 0x3
	buffer_load_dword v1, v4, s[0:3], 0 offen
	buffer_load_dword v2, v4, s[0:3], 0 offen offset:4
	buffer_load_dword v3, v4, s[0:3], 0 offen offset:8
	;; [unrolled: 1-line block ×3, first 2 shown]
	s_waitcnt vmcnt(0)
	ds_write_b128 v116, v[1:4]
	s_waitcnt lgkmcnt(0)
	s_waitcnt_vscnt null, 0x0
	s_barrier
	buffer_gl0_inv
	v_cmpx_gt_u32_e32 21, v0
	s_cbranch_execz .LBB118_599
; %bb.592:
	ds_read_b128 v[1:4], v116
	v_cmp_ne_u32_e32 vcc_lo, 1, v117
	s_cbranch_vccnz .LBB118_594
; %bb.593:
	s_clause 0x3
	buffer_load_dword v118, v115, s[0:3], 0 offen offset:8
	buffer_load_dword v119, v115, s[0:3], 0 offen offset:12
	buffer_load_dword v122, v115, s[0:3], 0 offen
	buffer_load_dword v123, v115, s[0:3], 0 offen offset:4
	s_waitcnt vmcnt(2) lgkmcnt(0)
	v_mul_f64 v[124:125], v[3:4], v[118:119]
	v_mul_f64 v[118:119], v[1:2], v[118:119]
	s_waitcnt vmcnt(0)
	v_fma_f64 v[1:2], v[1:2], v[122:123], -v[124:125]
	v_fma_f64 v[3:4], v[3:4], v[122:123], v[118:119]
.LBB118_594:
	s_mov_b32 s8, exec_lo
	v_cmpx_ne_u32_e32 20, v0
	s_cbranch_execz .LBB118_598
; %bb.595:
	v_add_nc_u32_e32 v118, 0x380, v121
	v_add3_u32 v119, 0, v121, 16
	v_mov_b32_e32 v120, v0
	s_mov_b32 s62, 0
	.p2align	6
.LBB118_596:                            ; =>This Inner Loop Header: Depth=1
	s_clause 0x3
	buffer_load_dword v126, v119, s[0:3], 0 offen offset:8
	buffer_load_dword v127, v119, s[0:3], 0 offen offset:12
	buffer_load_dword v128, v119, s[0:3], 0 offen
	buffer_load_dword v129, v119, s[0:3], 0 offen offset:4
	ds_read_b128 v[122:125], v118
	v_add_nc_u32_e32 v120, 1, v120
	v_add_nc_u32_e32 v118, 16, v118
	;; [unrolled: 1-line block ×3, first 2 shown]
	v_cmp_lt_u32_e32 vcc_lo, 19, v120
	s_or_b32 s62, vcc_lo, s62
	s_waitcnt vmcnt(2) lgkmcnt(0)
	v_mul_f64 v[130:131], v[124:125], v[126:127]
	v_mul_f64 v[126:127], v[122:123], v[126:127]
	s_waitcnt vmcnt(0)
	v_fma_f64 v[122:123], v[122:123], v[128:129], -v[130:131]
	v_fma_f64 v[124:125], v[124:125], v[128:129], v[126:127]
	v_add_f64 v[1:2], v[1:2], v[122:123]
	v_add_f64 v[3:4], v[3:4], v[124:125]
	s_andn2_b32 exec_lo, exec_lo, s62
	s_cbranch_execnz .LBB118_596
; %bb.597:
	s_or_b32 exec_lo, exec_lo, s62
.LBB118_598:
	s_or_b32 exec_lo, exec_lo, s8
	v_mov_b32_e32 v118, 0
	ds_read_b128 v[122:125], v118 offset:336
	s_waitcnt lgkmcnt(0)
	v_mul_f64 v[118:119], v[3:4], v[124:125]
	v_mul_f64 v[124:125], v[1:2], v[124:125]
	v_fma_f64 v[1:2], v[1:2], v[122:123], -v[118:119]
	v_fma_f64 v[3:4], v[3:4], v[122:123], v[124:125]
	buffer_store_dword v2, off, s[0:3], 0 offset:340
	buffer_store_dword v1, off, s[0:3], 0 offset:336
	;; [unrolled: 1-line block ×4, first 2 shown]
.LBB118_599:
	s_or_b32 exec_lo, exec_lo, s4
	v_mov_b32_e32 v4, s40
	s_mov_b32 s4, exec_lo
	s_clause 0x3
	buffer_load_dword v1, v4, s[0:3], 0 offen
	buffer_load_dword v2, v4, s[0:3], 0 offen offset:4
	buffer_load_dword v3, v4, s[0:3], 0 offen offset:8
	;; [unrolled: 1-line block ×3, first 2 shown]
	s_waitcnt vmcnt(0)
	ds_write_b128 v116, v[1:4]
	s_waitcnt lgkmcnt(0)
	s_waitcnt_vscnt null, 0x0
	s_barrier
	buffer_gl0_inv
	v_cmpx_gt_u32_e32 22, v0
	s_cbranch_execz .LBB118_607
; %bb.600:
	ds_read_b128 v[1:4], v116
	v_cmp_ne_u32_e32 vcc_lo, 1, v117
	s_cbranch_vccnz .LBB118_602
; %bb.601:
	s_clause 0x3
	buffer_load_dword v118, v115, s[0:3], 0 offen offset:8
	buffer_load_dword v119, v115, s[0:3], 0 offen offset:12
	buffer_load_dword v122, v115, s[0:3], 0 offen
	buffer_load_dword v123, v115, s[0:3], 0 offen offset:4
	s_waitcnt vmcnt(2) lgkmcnt(0)
	v_mul_f64 v[124:125], v[3:4], v[118:119]
	v_mul_f64 v[118:119], v[1:2], v[118:119]
	s_waitcnt vmcnt(0)
	v_fma_f64 v[1:2], v[1:2], v[122:123], -v[124:125]
	v_fma_f64 v[3:4], v[3:4], v[122:123], v[118:119]
.LBB118_602:
	s_mov_b32 s8, exec_lo
	v_cmpx_ne_u32_e32 21, v0
	s_cbranch_execz .LBB118_606
; %bb.603:
	v_add_nc_u32_e32 v118, 0x380, v121
	v_add3_u32 v119, 0, v121, 16
	v_mov_b32_e32 v120, v0
	s_mov_b32 s62, 0
	.p2align	6
.LBB118_604:                            ; =>This Inner Loop Header: Depth=1
	s_clause 0x3
	buffer_load_dword v126, v119, s[0:3], 0 offen offset:8
	buffer_load_dword v127, v119, s[0:3], 0 offen offset:12
	buffer_load_dword v128, v119, s[0:3], 0 offen
	buffer_load_dword v129, v119, s[0:3], 0 offen offset:4
	ds_read_b128 v[122:125], v118
	v_add_nc_u32_e32 v120, 1, v120
	v_add_nc_u32_e32 v118, 16, v118
	;; [unrolled: 1-line block ×3, first 2 shown]
	v_cmp_lt_u32_e32 vcc_lo, 20, v120
	s_or_b32 s62, vcc_lo, s62
	s_waitcnt vmcnt(2) lgkmcnt(0)
	v_mul_f64 v[130:131], v[124:125], v[126:127]
	v_mul_f64 v[126:127], v[122:123], v[126:127]
	s_waitcnt vmcnt(0)
	v_fma_f64 v[122:123], v[122:123], v[128:129], -v[130:131]
	v_fma_f64 v[124:125], v[124:125], v[128:129], v[126:127]
	v_add_f64 v[1:2], v[1:2], v[122:123]
	v_add_f64 v[3:4], v[3:4], v[124:125]
	s_andn2_b32 exec_lo, exec_lo, s62
	s_cbranch_execnz .LBB118_604
; %bb.605:
	s_or_b32 exec_lo, exec_lo, s62
.LBB118_606:
	s_or_b32 exec_lo, exec_lo, s8
	v_mov_b32_e32 v118, 0
	ds_read_b128 v[122:125], v118 offset:352
	s_waitcnt lgkmcnt(0)
	v_mul_f64 v[118:119], v[3:4], v[124:125]
	v_mul_f64 v[124:125], v[1:2], v[124:125]
	v_fma_f64 v[1:2], v[1:2], v[122:123], -v[118:119]
	v_fma_f64 v[3:4], v[3:4], v[122:123], v[124:125]
	buffer_store_dword v2, off, s[0:3], 0 offset:356
	buffer_store_dword v1, off, s[0:3], 0 offset:352
	;; [unrolled: 1-line block ×4, first 2 shown]
.LBB118_607:
	s_or_b32 exec_lo, exec_lo, s4
	v_mov_b32_e32 v4, s39
	s_mov_b32 s4, exec_lo
	s_clause 0x3
	buffer_load_dword v1, v4, s[0:3], 0 offen
	buffer_load_dword v2, v4, s[0:3], 0 offen offset:4
	buffer_load_dword v3, v4, s[0:3], 0 offen offset:8
	;; [unrolled: 1-line block ×3, first 2 shown]
	s_waitcnt vmcnt(0)
	ds_write_b128 v116, v[1:4]
	s_waitcnt lgkmcnt(0)
	s_waitcnt_vscnt null, 0x0
	s_barrier
	buffer_gl0_inv
	v_cmpx_gt_u32_e32 23, v0
	s_cbranch_execz .LBB118_615
; %bb.608:
	ds_read_b128 v[1:4], v116
	v_cmp_ne_u32_e32 vcc_lo, 1, v117
	s_cbranch_vccnz .LBB118_610
; %bb.609:
	s_clause 0x3
	buffer_load_dword v118, v115, s[0:3], 0 offen offset:8
	buffer_load_dword v119, v115, s[0:3], 0 offen offset:12
	buffer_load_dword v122, v115, s[0:3], 0 offen
	buffer_load_dword v123, v115, s[0:3], 0 offen offset:4
	s_waitcnt vmcnt(2) lgkmcnt(0)
	v_mul_f64 v[124:125], v[3:4], v[118:119]
	v_mul_f64 v[118:119], v[1:2], v[118:119]
	s_waitcnt vmcnt(0)
	v_fma_f64 v[1:2], v[1:2], v[122:123], -v[124:125]
	v_fma_f64 v[3:4], v[3:4], v[122:123], v[118:119]
.LBB118_610:
	s_mov_b32 s8, exec_lo
	v_cmpx_ne_u32_e32 22, v0
	s_cbranch_execz .LBB118_614
; %bb.611:
	v_add_nc_u32_e32 v118, 0x380, v121
	v_add3_u32 v119, 0, v121, 16
	v_mov_b32_e32 v120, v0
	s_mov_b32 s62, 0
	.p2align	6
.LBB118_612:                            ; =>This Inner Loop Header: Depth=1
	s_clause 0x3
	buffer_load_dword v126, v119, s[0:3], 0 offen offset:8
	buffer_load_dword v127, v119, s[0:3], 0 offen offset:12
	buffer_load_dword v128, v119, s[0:3], 0 offen
	buffer_load_dword v129, v119, s[0:3], 0 offen offset:4
	ds_read_b128 v[122:125], v118
	v_add_nc_u32_e32 v120, 1, v120
	v_add_nc_u32_e32 v118, 16, v118
	;; [unrolled: 1-line block ×3, first 2 shown]
	v_cmp_lt_u32_e32 vcc_lo, 21, v120
	s_or_b32 s62, vcc_lo, s62
	s_waitcnt vmcnt(2) lgkmcnt(0)
	v_mul_f64 v[130:131], v[124:125], v[126:127]
	v_mul_f64 v[126:127], v[122:123], v[126:127]
	s_waitcnt vmcnt(0)
	v_fma_f64 v[122:123], v[122:123], v[128:129], -v[130:131]
	v_fma_f64 v[124:125], v[124:125], v[128:129], v[126:127]
	v_add_f64 v[1:2], v[1:2], v[122:123]
	v_add_f64 v[3:4], v[3:4], v[124:125]
	s_andn2_b32 exec_lo, exec_lo, s62
	s_cbranch_execnz .LBB118_612
; %bb.613:
	s_or_b32 exec_lo, exec_lo, s62
.LBB118_614:
	s_or_b32 exec_lo, exec_lo, s8
	v_mov_b32_e32 v118, 0
	ds_read_b128 v[122:125], v118 offset:368
	s_waitcnt lgkmcnt(0)
	v_mul_f64 v[118:119], v[3:4], v[124:125]
	v_mul_f64 v[124:125], v[1:2], v[124:125]
	v_fma_f64 v[1:2], v[1:2], v[122:123], -v[118:119]
	v_fma_f64 v[3:4], v[3:4], v[122:123], v[124:125]
	buffer_store_dword v2, off, s[0:3], 0 offset:372
	buffer_store_dword v1, off, s[0:3], 0 offset:368
	;; [unrolled: 1-line block ×4, first 2 shown]
.LBB118_615:
	s_or_b32 exec_lo, exec_lo, s4
	v_mov_b32_e32 v4, s38
	s_mov_b32 s4, exec_lo
	s_clause 0x3
	buffer_load_dword v1, v4, s[0:3], 0 offen
	buffer_load_dword v2, v4, s[0:3], 0 offen offset:4
	buffer_load_dword v3, v4, s[0:3], 0 offen offset:8
	;; [unrolled: 1-line block ×3, first 2 shown]
	s_waitcnt vmcnt(0)
	ds_write_b128 v116, v[1:4]
	s_waitcnt lgkmcnt(0)
	s_waitcnt_vscnt null, 0x0
	s_barrier
	buffer_gl0_inv
	v_cmpx_gt_u32_e32 24, v0
	s_cbranch_execz .LBB118_623
; %bb.616:
	ds_read_b128 v[1:4], v116
	v_cmp_ne_u32_e32 vcc_lo, 1, v117
	s_cbranch_vccnz .LBB118_618
; %bb.617:
	s_clause 0x3
	buffer_load_dword v118, v115, s[0:3], 0 offen offset:8
	buffer_load_dword v119, v115, s[0:3], 0 offen offset:12
	buffer_load_dword v122, v115, s[0:3], 0 offen
	buffer_load_dword v123, v115, s[0:3], 0 offen offset:4
	s_waitcnt vmcnt(2) lgkmcnt(0)
	v_mul_f64 v[124:125], v[3:4], v[118:119]
	v_mul_f64 v[118:119], v[1:2], v[118:119]
	s_waitcnt vmcnt(0)
	v_fma_f64 v[1:2], v[1:2], v[122:123], -v[124:125]
	v_fma_f64 v[3:4], v[3:4], v[122:123], v[118:119]
.LBB118_618:
	s_mov_b32 s8, exec_lo
	v_cmpx_ne_u32_e32 23, v0
	s_cbranch_execz .LBB118_622
; %bb.619:
	v_add_nc_u32_e32 v118, 0x380, v121
	v_add3_u32 v119, 0, v121, 16
	v_mov_b32_e32 v120, v0
	s_mov_b32 s62, 0
	.p2align	6
.LBB118_620:                            ; =>This Inner Loop Header: Depth=1
	s_clause 0x3
	buffer_load_dword v126, v119, s[0:3], 0 offen offset:8
	buffer_load_dword v127, v119, s[0:3], 0 offen offset:12
	buffer_load_dword v128, v119, s[0:3], 0 offen
	buffer_load_dword v129, v119, s[0:3], 0 offen offset:4
	ds_read_b128 v[122:125], v118
	v_add_nc_u32_e32 v120, 1, v120
	v_add_nc_u32_e32 v118, 16, v118
	;; [unrolled: 1-line block ×3, first 2 shown]
	v_cmp_lt_u32_e32 vcc_lo, 22, v120
	s_or_b32 s62, vcc_lo, s62
	s_waitcnt vmcnt(2) lgkmcnt(0)
	v_mul_f64 v[130:131], v[124:125], v[126:127]
	v_mul_f64 v[126:127], v[122:123], v[126:127]
	s_waitcnt vmcnt(0)
	v_fma_f64 v[122:123], v[122:123], v[128:129], -v[130:131]
	v_fma_f64 v[124:125], v[124:125], v[128:129], v[126:127]
	v_add_f64 v[1:2], v[1:2], v[122:123]
	v_add_f64 v[3:4], v[3:4], v[124:125]
	s_andn2_b32 exec_lo, exec_lo, s62
	s_cbranch_execnz .LBB118_620
; %bb.621:
	s_or_b32 exec_lo, exec_lo, s62
.LBB118_622:
	s_or_b32 exec_lo, exec_lo, s8
	v_mov_b32_e32 v118, 0
	ds_read_b128 v[122:125], v118 offset:384
	s_waitcnt lgkmcnt(0)
	v_mul_f64 v[118:119], v[3:4], v[124:125]
	v_mul_f64 v[124:125], v[1:2], v[124:125]
	v_fma_f64 v[1:2], v[1:2], v[122:123], -v[118:119]
	v_fma_f64 v[3:4], v[3:4], v[122:123], v[124:125]
	buffer_store_dword v2, off, s[0:3], 0 offset:388
	buffer_store_dword v1, off, s[0:3], 0 offset:384
	;; [unrolled: 1-line block ×4, first 2 shown]
.LBB118_623:
	s_or_b32 exec_lo, exec_lo, s4
	v_mov_b32_e32 v4, s37
	s_mov_b32 s4, exec_lo
	s_clause 0x3
	buffer_load_dword v1, v4, s[0:3], 0 offen
	buffer_load_dword v2, v4, s[0:3], 0 offen offset:4
	buffer_load_dword v3, v4, s[0:3], 0 offen offset:8
	;; [unrolled: 1-line block ×3, first 2 shown]
	s_waitcnt vmcnt(0)
	ds_write_b128 v116, v[1:4]
	s_waitcnt lgkmcnt(0)
	s_waitcnt_vscnt null, 0x0
	s_barrier
	buffer_gl0_inv
	v_cmpx_gt_u32_e32 25, v0
	s_cbranch_execz .LBB118_631
; %bb.624:
	ds_read_b128 v[1:4], v116
	v_cmp_ne_u32_e32 vcc_lo, 1, v117
	s_cbranch_vccnz .LBB118_626
; %bb.625:
	s_clause 0x3
	buffer_load_dword v118, v115, s[0:3], 0 offen offset:8
	buffer_load_dword v119, v115, s[0:3], 0 offen offset:12
	buffer_load_dword v122, v115, s[0:3], 0 offen
	buffer_load_dword v123, v115, s[0:3], 0 offen offset:4
	s_waitcnt vmcnt(2) lgkmcnt(0)
	v_mul_f64 v[124:125], v[3:4], v[118:119]
	v_mul_f64 v[118:119], v[1:2], v[118:119]
	s_waitcnt vmcnt(0)
	v_fma_f64 v[1:2], v[1:2], v[122:123], -v[124:125]
	v_fma_f64 v[3:4], v[3:4], v[122:123], v[118:119]
.LBB118_626:
	s_mov_b32 s8, exec_lo
	v_cmpx_ne_u32_e32 24, v0
	s_cbranch_execz .LBB118_630
; %bb.627:
	v_add_nc_u32_e32 v118, 0x380, v121
	v_add3_u32 v119, 0, v121, 16
	v_mov_b32_e32 v120, v0
	s_mov_b32 s62, 0
	.p2align	6
.LBB118_628:                            ; =>This Inner Loop Header: Depth=1
	s_clause 0x3
	buffer_load_dword v126, v119, s[0:3], 0 offen offset:8
	buffer_load_dword v127, v119, s[0:3], 0 offen offset:12
	buffer_load_dword v128, v119, s[0:3], 0 offen
	buffer_load_dword v129, v119, s[0:3], 0 offen offset:4
	ds_read_b128 v[122:125], v118
	v_add_nc_u32_e32 v120, 1, v120
	v_add_nc_u32_e32 v118, 16, v118
	v_add_nc_u32_e32 v119, 16, v119
	v_cmp_lt_u32_e32 vcc_lo, 23, v120
	s_or_b32 s62, vcc_lo, s62
	s_waitcnt vmcnt(2) lgkmcnt(0)
	v_mul_f64 v[130:131], v[124:125], v[126:127]
	v_mul_f64 v[126:127], v[122:123], v[126:127]
	s_waitcnt vmcnt(0)
	v_fma_f64 v[122:123], v[122:123], v[128:129], -v[130:131]
	v_fma_f64 v[124:125], v[124:125], v[128:129], v[126:127]
	v_add_f64 v[1:2], v[1:2], v[122:123]
	v_add_f64 v[3:4], v[3:4], v[124:125]
	s_andn2_b32 exec_lo, exec_lo, s62
	s_cbranch_execnz .LBB118_628
; %bb.629:
	s_or_b32 exec_lo, exec_lo, s62
.LBB118_630:
	s_or_b32 exec_lo, exec_lo, s8
	v_mov_b32_e32 v118, 0
	ds_read_b128 v[122:125], v118 offset:400
	s_waitcnt lgkmcnt(0)
	v_mul_f64 v[118:119], v[3:4], v[124:125]
	v_mul_f64 v[124:125], v[1:2], v[124:125]
	v_fma_f64 v[1:2], v[1:2], v[122:123], -v[118:119]
	v_fma_f64 v[3:4], v[3:4], v[122:123], v[124:125]
	buffer_store_dword v2, off, s[0:3], 0 offset:404
	buffer_store_dword v1, off, s[0:3], 0 offset:400
	;; [unrolled: 1-line block ×4, first 2 shown]
.LBB118_631:
	s_or_b32 exec_lo, exec_lo, s4
	v_mov_b32_e32 v4, s36
	s_mov_b32 s4, exec_lo
	s_clause 0x3
	buffer_load_dword v1, v4, s[0:3], 0 offen
	buffer_load_dword v2, v4, s[0:3], 0 offen offset:4
	buffer_load_dword v3, v4, s[0:3], 0 offen offset:8
	;; [unrolled: 1-line block ×3, first 2 shown]
	s_waitcnt vmcnt(0)
	ds_write_b128 v116, v[1:4]
	s_waitcnt lgkmcnt(0)
	s_waitcnt_vscnt null, 0x0
	s_barrier
	buffer_gl0_inv
	v_cmpx_gt_u32_e32 26, v0
	s_cbranch_execz .LBB118_639
; %bb.632:
	ds_read_b128 v[1:4], v116
	v_cmp_ne_u32_e32 vcc_lo, 1, v117
	s_cbranch_vccnz .LBB118_634
; %bb.633:
	s_clause 0x3
	buffer_load_dword v118, v115, s[0:3], 0 offen offset:8
	buffer_load_dword v119, v115, s[0:3], 0 offen offset:12
	buffer_load_dword v122, v115, s[0:3], 0 offen
	buffer_load_dword v123, v115, s[0:3], 0 offen offset:4
	s_waitcnt vmcnt(2) lgkmcnt(0)
	v_mul_f64 v[124:125], v[3:4], v[118:119]
	v_mul_f64 v[118:119], v[1:2], v[118:119]
	s_waitcnt vmcnt(0)
	v_fma_f64 v[1:2], v[1:2], v[122:123], -v[124:125]
	v_fma_f64 v[3:4], v[3:4], v[122:123], v[118:119]
.LBB118_634:
	s_mov_b32 s8, exec_lo
	v_cmpx_ne_u32_e32 25, v0
	s_cbranch_execz .LBB118_638
; %bb.635:
	v_add_nc_u32_e32 v118, 0x380, v121
	v_add3_u32 v119, 0, v121, 16
	v_mov_b32_e32 v120, v0
	s_mov_b32 s62, 0
	.p2align	6
.LBB118_636:                            ; =>This Inner Loop Header: Depth=1
	s_clause 0x3
	buffer_load_dword v126, v119, s[0:3], 0 offen offset:8
	buffer_load_dword v127, v119, s[0:3], 0 offen offset:12
	buffer_load_dword v128, v119, s[0:3], 0 offen
	buffer_load_dword v129, v119, s[0:3], 0 offen offset:4
	ds_read_b128 v[122:125], v118
	v_add_nc_u32_e32 v120, 1, v120
	v_add_nc_u32_e32 v118, 16, v118
	;; [unrolled: 1-line block ×3, first 2 shown]
	v_cmp_lt_u32_e32 vcc_lo, 24, v120
	s_or_b32 s62, vcc_lo, s62
	s_waitcnt vmcnt(2) lgkmcnt(0)
	v_mul_f64 v[130:131], v[124:125], v[126:127]
	v_mul_f64 v[126:127], v[122:123], v[126:127]
	s_waitcnt vmcnt(0)
	v_fma_f64 v[122:123], v[122:123], v[128:129], -v[130:131]
	v_fma_f64 v[124:125], v[124:125], v[128:129], v[126:127]
	v_add_f64 v[1:2], v[1:2], v[122:123]
	v_add_f64 v[3:4], v[3:4], v[124:125]
	s_andn2_b32 exec_lo, exec_lo, s62
	s_cbranch_execnz .LBB118_636
; %bb.637:
	s_or_b32 exec_lo, exec_lo, s62
.LBB118_638:
	s_or_b32 exec_lo, exec_lo, s8
	v_mov_b32_e32 v118, 0
	ds_read_b128 v[122:125], v118 offset:416
	s_waitcnt lgkmcnt(0)
	v_mul_f64 v[118:119], v[3:4], v[124:125]
	v_mul_f64 v[124:125], v[1:2], v[124:125]
	v_fma_f64 v[1:2], v[1:2], v[122:123], -v[118:119]
	v_fma_f64 v[3:4], v[3:4], v[122:123], v[124:125]
	buffer_store_dword v2, off, s[0:3], 0 offset:420
	buffer_store_dword v1, off, s[0:3], 0 offset:416
	;; [unrolled: 1-line block ×4, first 2 shown]
.LBB118_639:
	s_or_b32 exec_lo, exec_lo, s4
	v_mov_b32_e32 v4, s35
	s_mov_b32 s4, exec_lo
	s_clause 0x3
	buffer_load_dword v1, v4, s[0:3], 0 offen
	buffer_load_dword v2, v4, s[0:3], 0 offen offset:4
	buffer_load_dword v3, v4, s[0:3], 0 offen offset:8
	buffer_load_dword v4, v4, s[0:3], 0 offen offset:12
	s_waitcnt vmcnt(0)
	ds_write_b128 v116, v[1:4]
	s_waitcnt lgkmcnt(0)
	s_waitcnt_vscnt null, 0x0
	s_barrier
	buffer_gl0_inv
	v_cmpx_gt_u32_e32 27, v0
	s_cbranch_execz .LBB118_647
; %bb.640:
	ds_read_b128 v[1:4], v116
	v_cmp_ne_u32_e32 vcc_lo, 1, v117
	s_cbranch_vccnz .LBB118_642
; %bb.641:
	s_clause 0x3
	buffer_load_dword v118, v115, s[0:3], 0 offen offset:8
	buffer_load_dword v119, v115, s[0:3], 0 offen offset:12
	buffer_load_dword v122, v115, s[0:3], 0 offen
	buffer_load_dword v123, v115, s[0:3], 0 offen offset:4
	s_waitcnt vmcnt(2) lgkmcnt(0)
	v_mul_f64 v[124:125], v[3:4], v[118:119]
	v_mul_f64 v[118:119], v[1:2], v[118:119]
	s_waitcnt vmcnt(0)
	v_fma_f64 v[1:2], v[1:2], v[122:123], -v[124:125]
	v_fma_f64 v[3:4], v[3:4], v[122:123], v[118:119]
.LBB118_642:
	s_mov_b32 s8, exec_lo
	v_cmpx_ne_u32_e32 26, v0
	s_cbranch_execz .LBB118_646
; %bb.643:
	v_add_nc_u32_e32 v118, 0x380, v121
	v_add3_u32 v119, 0, v121, 16
	v_mov_b32_e32 v120, v0
	s_mov_b32 s62, 0
	.p2align	6
.LBB118_644:                            ; =>This Inner Loop Header: Depth=1
	s_clause 0x3
	buffer_load_dword v126, v119, s[0:3], 0 offen offset:8
	buffer_load_dword v127, v119, s[0:3], 0 offen offset:12
	buffer_load_dword v128, v119, s[0:3], 0 offen
	buffer_load_dword v129, v119, s[0:3], 0 offen offset:4
	ds_read_b128 v[122:125], v118
	v_add_nc_u32_e32 v120, 1, v120
	v_add_nc_u32_e32 v118, 16, v118
	;; [unrolled: 1-line block ×3, first 2 shown]
	v_cmp_lt_u32_e32 vcc_lo, 25, v120
	s_or_b32 s62, vcc_lo, s62
	s_waitcnt vmcnt(2) lgkmcnt(0)
	v_mul_f64 v[130:131], v[124:125], v[126:127]
	v_mul_f64 v[126:127], v[122:123], v[126:127]
	s_waitcnt vmcnt(0)
	v_fma_f64 v[122:123], v[122:123], v[128:129], -v[130:131]
	v_fma_f64 v[124:125], v[124:125], v[128:129], v[126:127]
	v_add_f64 v[1:2], v[1:2], v[122:123]
	v_add_f64 v[3:4], v[3:4], v[124:125]
	s_andn2_b32 exec_lo, exec_lo, s62
	s_cbranch_execnz .LBB118_644
; %bb.645:
	s_or_b32 exec_lo, exec_lo, s62
.LBB118_646:
	s_or_b32 exec_lo, exec_lo, s8
	v_mov_b32_e32 v118, 0
	ds_read_b128 v[122:125], v118 offset:432
	s_waitcnt lgkmcnt(0)
	v_mul_f64 v[118:119], v[3:4], v[124:125]
	v_mul_f64 v[124:125], v[1:2], v[124:125]
	v_fma_f64 v[1:2], v[1:2], v[122:123], -v[118:119]
	v_fma_f64 v[3:4], v[3:4], v[122:123], v[124:125]
	buffer_store_dword v2, off, s[0:3], 0 offset:436
	buffer_store_dword v1, off, s[0:3], 0 offset:432
	;; [unrolled: 1-line block ×4, first 2 shown]
.LBB118_647:
	s_or_b32 exec_lo, exec_lo, s4
	v_mov_b32_e32 v4, s34
	s_mov_b32 s4, exec_lo
	s_clause 0x3
	buffer_load_dword v1, v4, s[0:3], 0 offen
	buffer_load_dword v2, v4, s[0:3], 0 offen offset:4
	buffer_load_dword v3, v4, s[0:3], 0 offen offset:8
	buffer_load_dword v4, v4, s[0:3], 0 offen offset:12
	s_waitcnt vmcnt(0)
	ds_write_b128 v116, v[1:4]
	s_waitcnt lgkmcnt(0)
	s_waitcnt_vscnt null, 0x0
	s_barrier
	buffer_gl0_inv
	v_cmpx_gt_u32_e32 28, v0
	s_cbranch_execz .LBB118_655
; %bb.648:
	ds_read_b128 v[1:4], v116
	v_cmp_ne_u32_e32 vcc_lo, 1, v117
	s_cbranch_vccnz .LBB118_650
; %bb.649:
	s_clause 0x3
	buffer_load_dword v118, v115, s[0:3], 0 offen offset:8
	buffer_load_dword v119, v115, s[0:3], 0 offen offset:12
	buffer_load_dword v122, v115, s[0:3], 0 offen
	buffer_load_dword v123, v115, s[0:3], 0 offen offset:4
	s_waitcnt vmcnt(2) lgkmcnt(0)
	v_mul_f64 v[124:125], v[3:4], v[118:119]
	v_mul_f64 v[118:119], v[1:2], v[118:119]
	s_waitcnt vmcnt(0)
	v_fma_f64 v[1:2], v[1:2], v[122:123], -v[124:125]
	v_fma_f64 v[3:4], v[3:4], v[122:123], v[118:119]
.LBB118_650:
	s_mov_b32 s8, exec_lo
	v_cmpx_ne_u32_e32 27, v0
	s_cbranch_execz .LBB118_654
; %bb.651:
	v_add_nc_u32_e32 v118, 0x380, v121
	v_add3_u32 v119, 0, v121, 16
	v_mov_b32_e32 v120, v0
	s_mov_b32 s62, 0
	.p2align	6
.LBB118_652:                            ; =>This Inner Loop Header: Depth=1
	s_clause 0x3
	buffer_load_dword v126, v119, s[0:3], 0 offen offset:8
	buffer_load_dword v127, v119, s[0:3], 0 offen offset:12
	buffer_load_dword v128, v119, s[0:3], 0 offen
	buffer_load_dword v129, v119, s[0:3], 0 offen offset:4
	ds_read_b128 v[122:125], v118
	v_add_nc_u32_e32 v120, 1, v120
	v_add_nc_u32_e32 v118, 16, v118
	;; [unrolled: 1-line block ×3, first 2 shown]
	v_cmp_lt_u32_e32 vcc_lo, 26, v120
	s_or_b32 s62, vcc_lo, s62
	s_waitcnt vmcnt(2) lgkmcnt(0)
	v_mul_f64 v[130:131], v[124:125], v[126:127]
	v_mul_f64 v[126:127], v[122:123], v[126:127]
	s_waitcnt vmcnt(0)
	v_fma_f64 v[122:123], v[122:123], v[128:129], -v[130:131]
	v_fma_f64 v[124:125], v[124:125], v[128:129], v[126:127]
	v_add_f64 v[1:2], v[1:2], v[122:123]
	v_add_f64 v[3:4], v[3:4], v[124:125]
	s_andn2_b32 exec_lo, exec_lo, s62
	s_cbranch_execnz .LBB118_652
; %bb.653:
	s_or_b32 exec_lo, exec_lo, s62
.LBB118_654:
	s_or_b32 exec_lo, exec_lo, s8
	v_mov_b32_e32 v118, 0
	ds_read_b128 v[122:125], v118 offset:448
	s_waitcnt lgkmcnt(0)
	v_mul_f64 v[118:119], v[3:4], v[124:125]
	v_mul_f64 v[124:125], v[1:2], v[124:125]
	v_fma_f64 v[1:2], v[1:2], v[122:123], -v[118:119]
	v_fma_f64 v[3:4], v[3:4], v[122:123], v[124:125]
	buffer_store_dword v2, off, s[0:3], 0 offset:452
	buffer_store_dword v1, off, s[0:3], 0 offset:448
	buffer_store_dword v4, off, s[0:3], 0 offset:460
	buffer_store_dword v3, off, s[0:3], 0 offset:456
.LBB118_655:
	s_or_b32 exec_lo, exec_lo, s4
	v_mov_b32_e32 v4, s33
	s_mov_b32 s4, exec_lo
	s_clause 0x3
	buffer_load_dword v1, v4, s[0:3], 0 offen
	buffer_load_dword v2, v4, s[0:3], 0 offen offset:4
	buffer_load_dword v3, v4, s[0:3], 0 offen offset:8
	;; [unrolled: 1-line block ×3, first 2 shown]
	s_waitcnt vmcnt(0)
	ds_write_b128 v116, v[1:4]
	s_waitcnt lgkmcnt(0)
	s_waitcnt_vscnt null, 0x0
	s_barrier
	buffer_gl0_inv
	v_cmpx_gt_u32_e32 29, v0
	s_cbranch_execz .LBB118_663
; %bb.656:
	ds_read_b128 v[1:4], v116
	v_cmp_ne_u32_e32 vcc_lo, 1, v117
	s_cbranch_vccnz .LBB118_658
; %bb.657:
	s_clause 0x3
	buffer_load_dword v118, v115, s[0:3], 0 offen offset:8
	buffer_load_dword v119, v115, s[0:3], 0 offen offset:12
	buffer_load_dword v122, v115, s[0:3], 0 offen
	buffer_load_dword v123, v115, s[0:3], 0 offen offset:4
	s_waitcnt vmcnt(2) lgkmcnt(0)
	v_mul_f64 v[124:125], v[3:4], v[118:119]
	v_mul_f64 v[118:119], v[1:2], v[118:119]
	s_waitcnt vmcnt(0)
	v_fma_f64 v[1:2], v[1:2], v[122:123], -v[124:125]
	v_fma_f64 v[3:4], v[3:4], v[122:123], v[118:119]
.LBB118_658:
	s_mov_b32 s8, exec_lo
	v_cmpx_ne_u32_e32 28, v0
	s_cbranch_execz .LBB118_662
; %bb.659:
	v_add_nc_u32_e32 v118, 0x380, v121
	v_add3_u32 v119, 0, v121, 16
	v_mov_b32_e32 v120, v0
	s_mov_b32 s62, 0
	.p2align	6
.LBB118_660:                            ; =>This Inner Loop Header: Depth=1
	s_clause 0x3
	buffer_load_dword v126, v119, s[0:3], 0 offen offset:8
	buffer_load_dword v127, v119, s[0:3], 0 offen offset:12
	buffer_load_dword v128, v119, s[0:3], 0 offen
	buffer_load_dword v129, v119, s[0:3], 0 offen offset:4
	ds_read_b128 v[122:125], v118
	v_add_nc_u32_e32 v120, 1, v120
	v_add_nc_u32_e32 v118, 16, v118
	v_add_nc_u32_e32 v119, 16, v119
	v_cmp_lt_u32_e32 vcc_lo, 27, v120
	s_or_b32 s62, vcc_lo, s62
	s_waitcnt vmcnt(2) lgkmcnt(0)
	v_mul_f64 v[130:131], v[124:125], v[126:127]
	v_mul_f64 v[126:127], v[122:123], v[126:127]
	s_waitcnt vmcnt(0)
	v_fma_f64 v[122:123], v[122:123], v[128:129], -v[130:131]
	v_fma_f64 v[124:125], v[124:125], v[128:129], v[126:127]
	v_add_f64 v[1:2], v[1:2], v[122:123]
	v_add_f64 v[3:4], v[3:4], v[124:125]
	s_andn2_b32 exec_lo, exec_lo, s62
	s_cbranch_execnz .LBB118_660
; %bb.661:
	s_or_b32 exec_lo, exec_lo, s62
.LBB118_662:
	s_or_b32 exec_lo, exec_lo, s8
	v_mov_b32_e32 v118, 0
	ds_read_b128 v[122:125], v118 offset:464
	s_waitcnt lgkmcnt(0)
	v_mul_f64 v[118:119], v[3:4], v[124:125]
	v_mul_f64 v[124:125], v[1:2], v[124:125]
	v_fma_f64 v[1:2], v[1:2], v[122:123], -v[118:119]
	v_fma_f64 v[3:4], v[3:4], v[122:123], v[124:125]
	buffer_store_dword v2, off, s[0:3], 0 offset:468
	buffer_store_dword v1, off, s[0:3], 0 offset:464
	;; [unrolled: 1-line block ×4, first 2 shown]
.LBB118_663:
	s_or_b32 exec_lo, exec_lo, s4
	v_mov_b32_e32 v4, s31
	s_mov_b32 s4, exec_lo
	s_clause 0x3
	buffer_load_dword v1, v4, s[0:3], 0 offen
	buffer_load_dword v2, v4, s[0:3], 0 offen offset:4
	buffer_load_dword v3, v4, s[0:3], 0 offen offset:8
	;; [unrolled: 1-line block ×3, first 2 shown]
	s_waitcnt vmcnt(0)
	ds_write_b128 v116, v[1:4]
	s_waitcnt lgkmcnt(0)
	s_waitcnt_vscnt null, 0x0
	s_barrier
	buffer_gl0_inv
	v_cmpx_gt_u32_e32 30, v0
	s_cbranch_execz .LBB118_671
; %bb.664:
	ds_read_b128 v[1:4], v116
	v_cmp_ne_u32_e32 vcc_lo, 1, v117
	s_cbranch_vccnz .LBB118_666
; %bb.665:
	s_clause 0x3
	buffer_load_dword v118, v115, s[0:3], 0 offen offset:8
	buffer_load_dword v119, v115, s[0:3], 0 offen offset:12
	buffer_load_dword v122, v115, s[0:3], 0 offen
	buffer_load_dword v123, v115, s[0:3], 0 offen offset:4
	s_waitcnt vmcnt(2) lgkmcnt(0)
	v_mul_f64 v[124:125], v[3:4], v[118:119]
	v_mul_f64 v[118:119], v[1:2], v[118:119]
	s_waitcnt vmcnt(0)
	v_fma_f64 v[1:2], v[1:2], v[122:123], -v[124:125]
	v_fma_f64 v[3:4], v[3:4], v[122:123], v[118:119]
.LBB118_666:
	s_mov_b32 s8, exec_lo
	v_cmpx_ne_u32_e32 29, v0
	s_cbranch_execz .LBB118_670
; %bb.667:
	v_add_nc_u32_e32 v118, 0x380, v121
	v_add3_u32 v119, 0, v121, 16
	v_mov_b32_e32 v120, v0
	s_mov_b32 s62, 0
	.p2align	6
.LBB118_668:                            ; =>This Inner Loop Header: Depth=1
	s_clause 0x3
	buffer_load_dword v126, v119, s[0:3], 0 offen offset:8
	buffer_load_dword v127, v119, s[0:3], 0 offen offset:12
	buffer_load_dword v128, v119, s[0:3], 0 offen
	buffer_load_dword v129, v119, s[0:3], 0 offen offset:4
	ds_read_b128 v[122:125], v118
	v_add_nc_u32_e32 v120, 1, v120
	v_add_nc_u32_e32 v118, 16, v118
	v_add_nc_u32_e32 v119, 16, v119
	v_cmp_lt_u32_e32 vcc_lo, 28, v120
	s_or_b32 s62, vcc_lo, s62
	s_waitcnt vmcnt(2) lgkmcnt(0)
	v_mul_f64 v[130:131], v[124:125], v[126:127]
	v_mul_f64 v[126:127], v[122:123], v[126:127]
	s_waitcnt vmcnt(0)
	v_fma_f64 v[122:123], v[122:123], v[128:129], -v[130:131]
	v_fma_f64 v[124:125], v[124:125], v[128:129], v[126:127]
	v_add_f64 v[1:2], v[1:2], v[122:123]
	v_add_f64 v[3:4], v[3:4], v[124:125]
	s_andn2_b32 exec_lo, exec_lo, s62
	s_cbranch_execnz .LBB118_668
; %bb.669:
	s_or_b32 exec_lo, exec_lo, s62
.LBB118_670:
	s_or_b32 exec_lo, exec_lo, s8
	v_mov_b32_e32 v118, 0
	ds_read_b128 v[122:125], v118 offset:480
	s_waitcnt lgkmcnt(0)
	v_mul_f64 v[118:119], v[3:4], v[124:125]
	v_mul_f64 v[124:125], v[1:2], v[124:125]
	v_fma_f64 v[1:2], v[1:2], v[122:123], -v[118:119]
	v_fma_f64 v[3:4], v[3:4], v[122:123], v[124:125]
	buffer_store_dword v2, off, s[0:3], 0 offset:484
	buffer_store_dword v1, off, s[0:3], 0 offset:480
	;; [unrolled: 1-line block ×4, first 2 shown]
.LBB118_671:
	s_or_b32 exec_lo, exec_lo, s4
	v_mov_b32_e32 v4, s30
	s_mov_b32 s4, exec_lo
	s_clause 0x3
	buffer_load_dword v1, v4, s[0:3], 0 offen
	buffer_load_dword v2, v4, s[0:3], 0 offen offset:4
	buffer_load_dword v3, v4, s[0:3], 0 offen offset:8
	;; [unrolled: 1-line block ×3, first 2 shown]
	s_waitcnt vmcnt(0)
	ds_write_b128 v116, v[1:4]
	s_waitcnt lgkmcnt(0)
	s_waitcnt_vscnt null, 0x0
	s_barrier
	buffer_gl0_inv
	v_cmpx_gt_u32_e32 31, v0
	s_cbranch_execz .LBB118_679
; %bb.672:
	ds_read_b128 v[1:4], v116
	v_cmp_ne_u32_e32 vcc_lo, 1, v117
	s_cbranch_vccnz .LBB118_674
; %bb.673:
	s_clause 0x3
	buffer_load_dword v118, v115, s[0:3], 0 offen offset:8
	buffer_load_dword v119, v115, s[0:3], 0 offen offset:12
	buffer_load_dword v122, v115, s[0:3], 0 offen
	buffer_load_dword v123, v115, s[0:3], 0 offen offset:4
	s_waitcnt vmcnt(2) lgkmcnt(0)
	v_mul_f64 v[124:125], v[3:4], v[118:119]
	v_mul_f64 v[118:119], v[1:2], v[118:119]
	s_waitcnt vmcnt(0)
	v_fma_f64 v[1:2], v[1:2], v[122:123], -v[124:125]
	v_fma_f64 v[3:4], v[3:4], v[122:123], v[118:119]
.LBB118_674:
	s_mov_b32 s8, exec_lo
	v_cmpx_ne_u32_e32 30, v0
	s_cbranch_execz .LBB118_678
; %bb.675:
	v_add_nc_u32_e32 v118, 0x380, v121
	v_add3_u32 v119, 0, v121, 16
	v_mov_b32_e32 v120, v0
	s_mov_b32 s62, 0
	.p2align	6
.LBB118_676:                            ; =>This Inner Loop Header: Depth=1
	s_clause 0x3
	buffer_load_dword v126, v119, s[0:3], 0 offen offset:8
	buffer_load_dword v127, v119, s[0:3], 0 offen offset:12
	buffer_load_dword v128, v119, s[0:3], 0 offen
	buffer_load_dword v129, v119, s[0:3], 0 offen offset:4
	ds_read_b128 v[122:125], v118
	v_add_nc_u32_e32 v120, 1, v120
	v_add_nc_u32_e32 v118, 16, v118
	;; [unrolled: 1-line block ×3, first 2 shown]
	v_cmp_lt_u32_e32 vcc_lo, 29, v120
	s_or_b32 s62, vcc_lo, s62
	s_waitcnt vmcnt(2) lgkmcnt(0)
	v_mul_f64 v[130:131], v[124:125], v[126:127]
	v_mul_f64 v[126:127], v[122:123], v[126:127]
	s_waitcnt vmcnt(0)
	v_fma_f64 v[122:123], v[122:123], v[128:129], -v[130:131]
	v_fma_f64 v[124:125], v[124:125], v[128:129], v[126:127]
	v_add_f64 v[1:2], v[1:2], v[122:123]
	v_add_f64 v[3:4], v[3:4], v[124:125]
	s_andn2_b32 exec_lo, exec_lo, s62
	s_cbranch_execnz .LBB118_676
; %bb.677:
	s_or_b32 exec_lo, exec_lo, s62
.LBB118_678:
	s_or_b32 exec_lo, exec_lo, s8
	v_mov_b32_e32 v118, 0
	ds_read_b128 v[122:125], v118 offset:496
	s_waitcnt lgkmcnt(0)
	v_mul_f64 v[118:119], v[3:4], v[124:125]
	v_mul_f64 v[124:125], v[1:2], v[124:125]
	v_fma_f64 v[1:2], v[1:2], v[122:123], -v[118:119]
	v_fma_f64 v[3:4], v[3:4], v[122:123], v[124:125]
	buffer_store_dword v2, off, s[0:3], 0 offset:500
	buffer_store_dword v1, off, s[0:3], 0 offset:496
	;; [unrolled: 1-line block ×4, first 2 shown]
.LBB118_679:
	s_or_b32 exec_lo, exec_lo, s4
	v_mov_b32_e32 v4, s29
	s_mov_b32 s4, exec_lo
	s_clause 0x3
	buffer_load_dword v1, v4, s[0:3], 0 offen
	buffer_load_dword v2, v4, s[0:3], 0 offen offset:4
	buffer_load_dword v3, v4, s[0:3], 0 offen offset:8
	;; [unrolled: 1-line block ×3, first 2 shown]
	s_waitcnt vmcnt(0)
	ds_write_b128 v116, v[1:4]
	s_waitcnt lgkmcnt(0)
	s_waitcnt_vscnt null, 0x0
	s_barrier
	buffer_gl0_inv
	v_cmpx_gt_u32_e32 32, v0
	s_cbranch_execz .LBB118_687
; %bb.680:
	ds_read_b128 v[1:4], v116
	v_cmp_ne_u32_e32 vcc_lo, 1, v117
	s_cbranch_vccnz .LBB118_682
; %bb.681:
	s_clause 0x3
	buffer_load_dword v118, v115, s[0:3], 0 offen offset:8
	buffer_load_dword v119, v115, s[0:3], 0 offen offset:12
	buffer_load_dword v122, v115, s[0:3], 0 offen
	buffer_load_dword v123, v115, s[0:3], 0 offen offset:4
	s_waitcnt vmcnt(2) lgkmcnt(0)
	v_mul_f64 v[124:125], v[3:4], v[118:119]
	v_mul_f64 v[118:119], v[1:2], v[118:119]
	s_waitcnt vmcnt(0)
	v_fma_f64 v[1:2], v[1:2], v[122:123], -v[124:125]
	v_fma_f64 v[3:4], v[3:4], v[122:123], v[118:119]
.LBB118_682:
	s_mov_b32 s8, exec_lo
	v_cmpx_ne_u32_e32 31, v0
	s_cbranch_execz .LBB118_686
; %bb.683:
	v_add_nc_u32_e32 v118, 0x380, v121
	v_add3_u32 v119, 0, v121, 16
	v_mov_b32_e32 v120, v0
	s_mov_b32 s62, 0
	.p2align	6
.LBB118_684:                            ; =>This Inner Loop Header: Depth=1
	s_clause 0x3
	buffer_load_dword v126, v119, s[0:3], 0 offen offset:8
	buffer_load_dword v127, v119, s[0:3], 0 offen offset:12
	buffer_load_dword v128, v119, s[0:3], 0 offen
	buffer_load_dword v129, v119, s[0:3], 0 offen offset:4
	ds_read_b128 v[122:125], v118
	v_add_nc_u32_e32 v120, 1, v120
	v_add_nc_u32_e32 v118, 16, v118
	;; [unrolled: 1-line block ×3, first 2 shown]
	v_cmp_lt_u32_e32 vcc_lo, 30, v120
	s_or_b32 s62, vcc_lo, s62
	s_waitcnt vmcnt(2) lgkmcnt(0)
	v_mul_f64 v[130:131], v[124:125], v[126:127]
	v_mul_f64 v[126:127], v[122:123], v[126:127]
	s_waitcnt vmcnt(0)
	v_fma_f64 v[122:123], v[122:123], v[128:129], -v[130:131]
	v_fma_f64 v[124:125], v[124:125], v[128:129], v[126:127]
	v_add_f64 v[1:2], v[1:2], v[122:123]
	v_add_f64 v[3:4], v[3:4], v[124:125]
	s_andn2_b32 exec_lo, exec_lo, s62
	s_cbranch_execnz .LBB118_684
; %bb.685:
	s_or_b32 exec_lo, exec_lo, s62
.LBB118_686:
	s_or_b32 exec_lo, exec_lo, s8
	v_mov_b32_e32 v118, 0
	ds_read_b128 v[122:125], v118 offset:512
	s_waitcnt lgkmcnt(0)
	v_mul_f64 v[118:119], v[3:4], v[124:125]
	v_mul_f64 v[124:125], v[1:2], v[124:125]
	v_fma_f64 v[1:2], v[1:2], v[122:123], -v[118:119]
	v_fma_f64 v[3:4], v[3:4], v[122:123], v[124:125]
	buffer_store_dword v2, off, s[0:3], 0 offset:516
	buffer_store_dword v1, off, s[0:3], 0 offset:512
	;; [unrolled: 1-line block ×4, first 2 shown]
.LBB118_687:
	s_or_b32 exec_lo, exec_lo, s4
	v_mov_b32_e32 v4, s28
	s_mov_b32 s4, exec_lo
	s_clause 0x3
	buffer_load_dword v1, v4, s[0:3], 0 offen
	buffer_load_dword v2, v4, s[0:3], 0 offen offset:4
	buffer_load_dword v3, v4, s[0:3], 0 offen offset:8
	;; [unrolled: 1-line block ×3, first 2 shown]
	s_waitcnt vmcnt(0)
	ds_write_b128 v116, v[1:4]
	s_waitcnt lgkmcnt(0)
	s_waitcnt_vscnt null, 0x0
	s_barrier
	buffer_gl0_inv
	v_cmpx_gt_u32_e32 33, v0
	s_cbranch_execz .LBB118_695
; %bb.688:
	ds_read_b128 v[1:4], v116
	v_cmp_ne_u32_e32 vcc_lo, 1, v117
	s_cbranch_vccnz .LBB118_690
; %bb.689:
	s_clause 0x3
	buffer_load_dword v118, v115, s[0:3], 0 offen offset:8
	buffer_load_dword v119, v115, s[0:3], 0 offen offset:12
	buffer_load_dword v122, v115, s[0:3], 0 offen
	buffer_load_dword v123, v115, s[0:3], 0 offen offset:4
	s_waitcnt vmcnt(2) lgkmcnt(0)
	v_mul_f64 v[124:125], v[3:4], v[118:119]
	v_mul_f64 v[118:119], v[1:2], v[118:119]
	s_waitcnt vmcnt(0)
	v_fma_f64 v[1:2], v[1:2], v[122:123], -v[124:125]
	v_fma_f64 v[3:4], v[3:4], v[122:123], v[118:119]
.LBB118_690:
	s_mov_b32 s8, exec_lo
	v_cmpx_ne_u32_e32 32, v0
	s_cbranch_execz .LBB118_694
; %bb.691:
	v_add_nc_u32_e32 v118, 0x380, v121
	v_add3_u32 v119, 0, v121, 16
	v_mov_b32_e32 v120, v0
	s_mov_b32 s62, 0
	.p2align	6
.LBB118_692:                            ; =>This Inner Loop Header: Depth=1
	s_clause 0x3
	buffer_load_dword v126, v119, s[0:3], 0 offen offset:8
	buffer_load_dword v127, v119, s[0:3], 0 offen offset:12
	buffer_load_dword v128, v119, s[0:3], 0 offen
	buffer_load_dword v129, v119, s[0:3], 0 offen offset:4
	ds_read_b128 v[122:125], v118
	v_add_nc_u32_e32 v120, 1, v120
	v_add_nc_u32_e32 v118, 16, v118
	;; [unrolled: 1-line block ×3, first 2 shown]
	v_cmp_lt_u32_e32 vcc_lo, 31, v120
	s_or_b32 s62, vcc_lo, s62
	s_waitcnt vmcnt(2) lgkmcnt(0)
	v_mul_f64 v[130:131], v[124:125], v[126:127]
	v_mul_f64 v[126:127], v[122:123], v[126:127]
	s_waitcnt vmcnt(0)
	v_fma_f64 v[122:123], v[122:123], v[128:129], -v[130:131]
	v_fma_f64 v[124:125], v[124:125], v[128:129], v[126:127]
	v_add_f64 v[1:2], v[1:2], v[122:123]
	v_add_f64 v[3:4], v[3:4], v[124:125]
	s_andn2_b32 exec_lo, exec_lo, s62
	s_cbranch_execnz .LBB118_692
; %bb.693:
	s_or_b32 exec_lo, exec_lo, s62
.LBB118_694:
	s_or_b32 exec_lo, exec_lo, s8
	v_mov_b32_e32 v118, 0
	ds_read_b128 v[122:125], v118 offset:528
	s_waitcnt lgkmcnt(0)
	v_mul_f64 v[118:119], v[3:4], v[124:125]
	v_mul_f64 v[124:125], v[1:2], v[124:125]
	v_fma_f64 v[1:2], v[1:2], v[122:123], -v[118:119]
	v_fma_f64 v[3:4], v[3:4], v[122:123], v[124:125]
	buffer_store_dword v2, off, s[0:3], 0 offset:532
	buffer_store_dword v1, off, s[0:3], 0 offset:528
	;; [unrolled: 1-line block ×4, first 2 shown]
.LBB118_695:
	s_or_b32 exec_lo, exec_lo, s4
	v_mov_b32_e32 v4, s27
	s_mov_b32 s4, exec_lo
	s_clause 0x3
	buffer_load_dword v1, v4, s[0:3], 0 offen
	buffer_load_dword v2, v4, s[0:3], 0 offen offset:4
	buffer_load_dword v3, v4, s[0:3], 0 offen offset:8
	;; [unrolled: 1-line block ×3, first 2 shown]
	s_waitcnt vmcnt(0)
	ds_write_b128 v116, v[1:4]
	s_waitcnt lgkmcnt(0)
	s_waitcnt_vscnt null, 0x0
	s_barrier
	buffer_gl0_inv
	v_cmpx_gt_u32_e32 34, v0
	s_cbranch_execz .LBB118_703
; %bb.696:
	ds_read_b128 v[1:4], v116
	v_cmp_ne_u32_e32 vcc_lo, 1, v117
	s_cbranch_vccnz .LBB118_698
; %bb.697:
	s_clause 0x3
	buffer_load_dword v118, v115, s[0:3], 0 offen offset:8
	buffer_load_dword v119, v115, s[0:3], 0 offen offset:12
	buffer_load_dword v122, v115, s[0:3], 0 offen
	buffer_load_dword v123, v115, s[0:3], 0 offen offset:4
	s_waitcnt vmcnt(2) lgkmcnt(0)
	v_mul_f64 v[124:125], v[3:4], v[118:119]
	v_mul_f64 v[118:119], v[1:2], v[118:119]
	s_waitcnt vmcnt(0)
	v_fma_f64 v[1:2], v[1:2], v[122:123], -v[124:125]
	v_fma_f64 v[3:4], v[3:4], v[122:123], v[118:119]
.LBB118_698:
	s_mov_b32 s8, exec_lo
	v_cmpx_ne_u32_e32 33, v0
	s_cbranch_execz .LBB118_702
; %bb.699:
	v_add_nc_u32_e32 v118, 0x380, v121
	v_add3_u32 v119, 0, v121, 16
	v_mov_b32_e32 v120, v0
	s_mov_b32 s62, 0
	.p2align	6
.LBB118_700:                            ; =>This Inner Loop Header: Depth=1
	s_clause 0x3
	buffer_load_dword v126, v119, s[0:3], 0 offen offset:8
	buffer_load_dword v127, v119, s[0:3], 0 offen offset:12
	buffer_load_dword v128, v119, s[0:3], 0 offen
	buffer_load_dword v129, v119, s[0:3], 0 offen offset:4
	ds_read_b128 v[122:125], v118
	v_add_nc_u32_e32 v120, 1, v120
	v_add_nc_u32_e32 v118, 16, v118
	;; [unrolled: 1-line block ×3, first 2 shown]
	v_cmp_lt_u32_e32 vcc_lo, 32, v120
	s_or_b32 s62, vcc_lo, s62
	s_waitcnt vmcnt(2) lgkmcnt(0)
	v_mul_f64 v[130:131], v[124:125], v[126:127]
	v_mul_f64 v[126:127], v[122:123], v[126:127]
	s_waitcnt vmcnt(0)
	v_fma_f64 v[122:123], v[122:123], v[128:129], -v[130:131]
	v_fma_f64 v[124:125], v[124:125], v[128:129], v[126:127]
	v_add_f64 v[1:2], v[1:2], v[122:123]
	v_add_f64 v[3:4], v[3:4], v[124:125]
	s_andn2_b32 exec_lo, exec_lo, s62
	s_cbranch_execnz .LBB118_700
; %bb.701:
	s_or_b32 exec_lo, exec_lo, s62
.LBB118_702:
	s_or_b32 exec_lo, exec_lo, s8
	v_mov_b32_e32 v118, 0
	ds_read_b128 v[122:125], v118 offset:544
	s_waitcnt lgkmcnt(0)
	v_mul_f64 v[118:119], v[3:4], v[124:125]
	v_mul_f64 v[124:125], v[1:2], v[124:125]
	v_fma_f64 v[1:2], v[1:2], v[122:123], -v[118:119]
	v_fma_f64 v[3:4], v[3:4], v[122:123], v[124:125]
	buffer_store_dword v2, off, s[0:3], 0 offset:548
	buffer_store_dword v1, off, s[0:3], 0 offset:544
	;; [unrolled: 1-line block ×4, first 2 shown]
.LBB118_703:
	s_or_b32 exec_lo, exec_lo, s4
	v_mov_b32_e32 v4, s26
	s_mov_b32 s4, exec_lo
	s_clause 0x3
	buffer_load_dword v1, v4, s[0:3], 0 offen
	buffer_load_dword v2, v4, s[0:3], 0 offen offset:4
	buffer_load_dword v3, v4, s[0:3], 0 offen offset:8
	;; [unrolled: 1-line block ×3, first 2 shown]
	s_waitcnt vmcnt(0)
	ds_write_b128 v116, v[1:4]
	s_waitcnt lgkmcnt(0)
	s_waitcnt_vscnt null, 0x0
	s_barrier
	buffer_gl0_inv
	v_cmpx_gt_u32_e32 35, v0
	s_cbranch_execz .LBB118_711
; %bb.704:
	ds_read_b128 v[1:4], v116
	v_cmp_ne_u32_e32 vcc_lo, 1, v117
	s_cbranch_vccnz .LBB118_706
; %bb.705:
	s_clause 0x3
	buffer_load_dword v118, v115, s[0:3], 0 offen offset:8
	buffer_load_dword v119, v115, s[0:3], 0 offen offset:12
	buffer_load_dword v122, v115, s[0:3], 0 offen
	buffer_load_dword v123, v115, s[0:3], 0 offen offset:4
	s_waitcnt vmcnt(2) lgkmcnt(0)
	v_mul_f64 v[124:125], v[3:4], v[118:119]
	v_mul_f64 v[118:119], v[1:2], v[118:119]
	s_waitcnt vmcnt(0)
	v_fma_f64 v[1:2], v[1:2], v[122:123], -v[124:125]
	v_fma_f64 v[3:4], v[3:4], v[122:123], v[118:119]
.LBB118_706:
	s_mov_b32 s8, exec_lo
	v_cmpx_ne_u32_e32 34, v0
	s_cbranch_execz .LBB118_710
; %bb.707:
	v_add_nc_u32_e32 v118, 0x380, v121
	v_add3_u32 v119, 0, v121, 16
	v_mov_b32_e32 v120, v0
	s_mov_b32 s62, 0
	.p2align	6
.LBB118_708:                            ; =>This Inner Loop Header: Depth=1
	s_clause 0x3
	buffer_load_dword v126, v119, s[0:3], 0 offen offset:8
	buffer_load_dword v127, v119, s[0:3], 0 offen offset:12
	buffer_load_dword v128, v119, s[0:3], 0 offen
	buffer_load_dword v129, v119, s[0:3], 0 offen offset:4
	ds_read_b128 v[122:125], v118
	v_add_nc_u32_e32 v120, 1, v120
	v_add_nc_u32_e32 v118, 16, v118
	;; [unrolled: 1-line block ×3, first 2 shown]
	v_cmp_lt_u32_e32 vcc_lo, 33, v120
	s_or_b32 s62, vcc_lo, s62
	s_waitcnt vmcnt(2) lgkmcnt(0)
	v_mul_f64 v[130:131], v[124:125], v[126:127]
	v_mul_f64 v[126:127], v[122:123], v[126:127]
	s_waitcnt vmcnt(0)
	v_fma_f64 v[122:123], v[122:123], v[128:129], -v[130:131]
	v_fma_f64 v[124:125], v[124:125], v[128:129], v[126:127]
	v_add_f64 v[1:2], v[1:2], v[122:123]
	v_add_f64 v[3:4], v[3:4], v[124:125]
	s_andn2_b32 exec_lo, exec_lo, s62
	s_cbranch_execnz .LBB118_708
; %bb.709:
	s_or_b32 exec_lo, exec_lo, s62
.LBB118_710:
	s_or_b32 exec_lo, exec_lo, s8
	v_mov_b32_e32 v118, 0
	ds_read_b128 v[122:125], v118 offset:560
	s_waitcnt lgkmcnt(0)
	v_mul_f64 v[118:119], v[3:4], v[124:125]
	v_mul_f64 v[124:125], v[1:2], v[124:125]
	v_fma_f64 v[1:2], v[1:2], v[122:123], -v[118:119]
	v_fma_f64 v[3:4], v[3:4], v[122:123], v[124:125]
	buffer_store_dword v2, off, s[0:3], 0 offset:564
	buffer_store_dword v1, off, s[0:3], 0 offset:560
	;; [unrolled: 1-line block ×4, first 2 shown]
.LBB118_711:
	s_or_b32 exec_lo, exec_lo, s4
	v_mov_b32_e32 v4, s25
	s_mov_b32 s4, exec_lo
	s_clause 0x3
	buffer_load_dword v1, v4, s[0:3], 0 offen
	buffer_load_dword v2, v4, s[0:3], 0 offen offset:4
	buffer_load_dword v3, v4, s[0:3], 0 offen offset:8
	;; [unrolled: 1-line block ×3, first 2 shown]
	s_waitcnt vmcnt(0)
	ds_write_b128 v116, v[1:4]
	s_waitcnt lgkmcnt(0)
	s_waitcnt_vscnt null, 0x0
	s_barrier
	buffer_gl0_inv
	v_cmpx_gt_u32_e32 36, v0
	s_cbranch_execz .LBB118_719
; %bb.712:
	ds_read_b128 v[1:4], v116
	v_cmp_ne_u32_e32 vcc_lo, 1, v117
	s_cbranch_vccnz .LBB118_714
; %bb.713:
	s_clause 0x3
	buffer_load_dword v118, v115, s[0:3], 0 offen offset:8
	buffer_load_dword v119, v115, s[0:3], 0 offen offset:12
	buffer_load_dword v122, v115, s[0:3], 0 offen
	buffer_load_dword v123, v115, s[0:3], 0 offen offset:4
	s_waitcnt vmcnt(2) lgkmcnt(0)
	v_mul_f64 v[124:125], v[3:4], v[118:119]
	v_mul_f64 v[118:119], v[1:2], v[118:119]
	s_waitcnt vmcnt(0)
	v_fma_f64 v[1:2], v[1:2], v[122:123], -v[124:125]
	v_fma_f64 v[3:4], v[3:4], v[122:123], v[118:119]
.LBB118_714:
	s_mov_b32 s8, exec_lo
	v_cmpx_ne_u32_e32 35, v0
	s_cbranch_execz .LBB118_718
; %bb.715:
	v_add_nc_u32_e32 v118, 0x380, v121
	v_add3_u32 v119, 0, v121, 16
	v_mov_b32_e32 v120, v0
	s_mov_b32 s62, 0
	.p2align	6
.LBB118_716:                            ; =>This Inner Loop Header: Depth=1
	s_clause 0x3
	buffer_load_dword v126, v119, s[0:3], 0 offen offset:8
	buffer_load_dword v127, v119, s[0:3], 0 offen offset:12
	buffer_load_dword v128, v119, s[0:3], 0 offen
	buffer_load_dword v129, v119, s[0:3], 0 offen offset:4
	ds_read_b128 v[122:125], v118
	v_add_nc_u32_e32 v120, 1, v120
	v_add_nc_u32_e32 v118, 16, v118
	;; [unrolled: 1-line block ×3, first 2 shown]
	v_cmp_lt_u32_e32 vcc_lo, 34, v120
	s_or_b32 s62, vcc_lo, s62
	s_waitcnt vmcnt(2) lgkmcnt(0)
	v_mul_f64 v[130:131], v[124:125], v[126:127]
	v_mul_f64 v[126:127], v[122:123], v[126:127]
	s_waitcnt vmcnt(0)
	v_fma_f64 v[122:123], v[122:123], v[128:129], -v[130:131]
	v_fma_f64 v[124:125], v[124:125], v[128:129], v[126:127]
	v_add_f64 v[1:2], v[1:2], v[122:123]
	v_add_f64 v[3:4], v[3:4], v[124:125]
	s_andn2_b32 exec_lo, exec_lo, s62
	s_cbranch_execnz .LBB118_716
; %bb.717:
	s_or_b32 exec_lo, exec_lo, s62
.LBB118_718:
	s_or_b32 exec_lo, exec_lo, s8
	v_mov_b32_e32 v118, 0
	ds_read_b128 v[122:125], v118 offset:576
	s_waitcnt lgkmcnt(0)
	v_mul_f64 v[118:119], v[3:4], v[124:125]
	v_mul_f64 v[124:125], v[1:2], v[124:125]
	v_fma_f64 v[1:2], v[1:2], v[122:123], -v[118:119]
	v_fma_f64 v[3:4], v[3:4], v[122:123], v[124:125]
	buffer_store_dword v2, off, s[0:3], 0 offset:580
	buffer_store_dword v1, off, s[0:3], 0 offset:576
	;; [unrolled: 1-line block ×4, first 2 shown]
.LBB118_719:
	s_or_b32 exec_lo, exec_lo, s4
	v_mov_b32_e32 v4, s24
	s_mov_b32 s4, exec_lo
	s_clause 0x3
	buffer_load_dword v1, v4, s[0:3], 0 offen
	buffer_load_dword v2, v4, s[0:3], 0 offen offset:4
	buffer_load_dword v3, v4, s[0:3], 0 offen offset:8
	;; [unrolled: 1-line block ×3, first 2 shown]
	s_waitcnt vmcnt(0)
	ds_write_b128 v116, v[1:4]
	s_waitcnt lgkmcnt(0)
	s_waitcnt_vscnt null, 0x0
	s_barrier
	buffer_gl0_inv
	v_cmpx_gt_u32_e32 37, v0
	s_cbranch_execz .LBB118_727
; %bb.720:
	ds_read_b128 v[1:4], v116
	v_cmp_ne_u32_e32 vcc_lo, 1, v117
	s_cbranch_vccnz .LBB118_722
; %bb.721:
	s_clause 0x3
	buffer_load_dword v118, v115, s[0:3], 0 offen offset:8
	buffer_load_dword v119, v115, s[0:3], 0 offen offset:12
	buffer_load_dword v122, v115, s[0:3], 0 offen
	buffer_load_dword v123, v115, s[0:3], 0 offen offset:4
	s_waitcnt vmcnt(2) lgkmcnt(0)
	v_mul_f64 v[124:125], v[3:4], v[118:119]
	v_mul_f64 v[118:119], v[1:2], v[118:119]
	s_waitcnt vmcnt(0)
	v_fma_f64 v[1:2], v[1:2], v[122:123], -v[124:125]
	v_fma_f64 v[3:4], v[3:4], v[122:123], v[118:119]
.LBB118_722:
	s_mov_b32 s8, exec_lo
	v_cmpx_ne_u32_e32 36, v0
	s_cbranch_execz .LBB118_726
; %bb.723:
	v_add_nc_u32_e32 v118, 0x380, v121
	v_add3_u32 v119, 0, v121, 16
	v_mov_b32_e32 v120, v0
	s_mov_b32 s62, 0
	.p2align	6
.LBB118_724:                            ; =>This Inner Loop Header: Depth=1
	s_clause 0x3
	buffer_load_dword v126, v119, s[0:3], 0 offen offset:8
	buffer_load_dword v127, v119, s[0:3], 0 offen offset:12
	buffer_load_dword v128, v119, s[0:3], 0 offen
	buffer_load_dword v129, v119, s[0:3], 0 offen offset:4
	ds_read_b128 v[122:125], v118
	v_add_nc_u32_e32 v120, 1, v120
	v_add_nc_u32_e32 v118, 16, v118
	;; [unrolled: 1-line block ×3, first 2 shown]
	v_cmp_lt_u32_e32 vcc_lo, 35, v120
	s_or_b32 s62, vcc_lo, s62
	s_waitcnt vmcnt(2) lgkmcnt(0)
	v_mul_f64 v[130:131], v[124:125], v[126:127]
	v_mul_f64 v[126:127], v[122:123], v[126:127]
	s_waitcnt vmcnt(0)
	v_fma_f64 v[122:123], v[122:123], v[128:129], -v[130:131]
	v_fma_f64 v[124:125], v[124:125], v[128:129], v[126:127]
	v_add_f64 v[1:2], v[1:2], v[122:123]
	v_add_f64 v[3:4], v[3:4], v[124:125]
	s_andn2_b32 exec_lo, exec_lo, s62
	s_cbranch_execnz .LBB118_724
; %bb.725:
	s_or_b32 exec_lo, exec_lo, s62
.LBB118_726:
	s_or_b32 exec_lo, exec_lo, s8
	v_mov_b32_e32 v118, 0
	ds_read_b128 v[122:125], v118 offset:592
	s_waitcnt lgkmcnt(0)
	v_mul_f64 v[118:119], v[3:4], v[124:125]
	v_mul_f64 v[124:125], v[1:2], v[124:125]
	v_fma_f64 v[1:2], v[1:2], v[122:123], -v[118:119]
	v_fma_f64 v[3:4], v[3:4], v[122:123], v[124:125]
	buffer_store_dword v2, off, s[0:3], 0 offset:596
	buffer_store_dword v1, off, s[0:3], 0 offset:592
	;; [unrolled: 1-line block ×4, first 2 shown]
.LBB118_727:
	s_or_b32 exec_lo, exec_lo, s4
	v_mov_b32_e32 v4, s23
	s_mov_b32 s4, exec_lo
	s_clause 0x3
	buffer_load_dword v1, v4, s[0:3], 0 offen
	buffer_load_dword v2, v4, s[0:3], 0 offen offset:4
	buffer_load_dword v3, v4, s[0:3], 0 offen offset:8
	;; [unrolled: 1-line block ×3, first 2 shown]
	s_waitcnt vmcnt(0)
	ds_write_b128 v116, v[1:4]
	s_waitcnt lgkmcnt(0)
	s_waitcnt_vscnt null, 0x0
	s_barrier
	buffer_gl0_inv
	v_cmpx_gt_u32_e32 38, v0
	s_cbranch_execz .LBB118_735
; %bb.728:
	ds_read_b128 v[1:4], v116
	v_cmp_ne_u32_e32 vcc_lo, 1, v117
	s_cbranch_vccnz .LBB118_730
; %bb.729:
	s_clause 0x3
	buffer_load_dword v118, v115, s[0:3], 0 offen offset:8
	buffer_load_dword v119, v115, s[0:3], 0 offen offset:12
	buffer_load_dword v122, v115, s[0:3], 0 offen
	buffer_load_dword v123, v115, s[0:3], 0 offen offset:4
	s_waitcnt vmcnt(2) lgkmcnt(0)
	v_mul_f64 v[124:125], v[3:4], v[118:119]
	v_mul_f64 v[118:119], v[1:2], v[118:119]
	s_waitcnt vmcnt(0)
	v_fma_f64 v[1:2], v[1:2], v[122:123], -v[124:125]
	v_fma_f64 v[3:4], v[3:4], v[122:123], v[118:119]
.LBB118_730:
	s_mov_b32 s8, exec_lo
	v_cmpx_ne_u32_e32 37, v0
	s_cbranch_execz .LBB118_734
; %bb.731:
	v_add_nc_u32_e32 v118, 0x380, v121
	v_add3_u32 v119, 0, v121, 16
	v_mov_b32_e32 v120, v0
	s_mov_b32 s62, 0
	.p2align	6
.LBB118_732:                            ; =>This Inner Loop Header: Depth=1
	s_clause 0x3
	buffer_load_dword v126, v119, s[0:3], 0 offen offset:8
	buffer_load_dword v127, v119, s[0:3], 0 offen offset:12
	buffer_load_dword v128, v119, s[0:3], 0 offen
	buffer_load_dword v129, v119, s[0:3], 0 offen offset:4
	ds_read_b128 v[122:125], v118
	v_add_nc_u32_e32 v120, 1, v120
	v_add_nc_u32_e32 v118, 16, v118
	;; [unrolled: 1-line block ×3, first 2 shown]
	v_cmp_lt_u32_e32 vcc_lo, 36, v120
	s_or_b32 s62, vcc_lo, s62
	s_waitcnt vmcnt(2) lgkmcnt(0)
	v_mul_f64 v[130:131], v[124:125], v[126:127]
	v_mul_f64 v[126:127], v[122:123], v[126:127]
	s_waitcnt vmcnt(0)
	v_fma_f64 v[122:123], v[122:123], v[128:129], -v[130:131]
	v_fma_f64 v[124:125], v[124:125], v[128:129], v[126:127]
	v_add_f64 v[1:2], v[1:2], v[122:123]
	v_add_f64 v[3:4], v[3:4], v[124:125]
	s_andn2_b32 exec_lo, exec_lo, s62
	s_cbranch_execnz .LBB118_732
; %bb.733:
	s_or_b32 exec_lo, exec_lo, s62
.LBB118_734:
	s_or_b32 exec_lo, exec_lo, s8
	v_mov_b32_e32 v118, 0
	ds_read_b128 v[122:125], v118 offset:608
	s_waitcnt lgkmcnt(0)
	v_mul_f64 v[118:119], v[3:4], v[124:125]
	v_mul_f64 v[124:125], v[1:2], v[124:125]
	v_fma_f64 v[1:2], v[1:2], v[122:123], -v[118:119]
	v_fma_f64 v[3:4], v[3:4], v[122:123], v[124:125]
	buffer_store_dword v2, off, s[0:3], 0 offset:612
	buffer_store_dword v1, off, s[0:3], 0 offset:608
	;; [unrolled: 1-line block ×4, first 2 shown]
.LBB118_735:
	s_or_b32 exec_lo, exec_lo, s4
	v_mov_b32_e32 v4, s22
	s_mov_b32 s4, exec_lo
	s_clause 0x3
	buffer_load_dword v1, v4, s[0:3], 0 offen
	buffer_load_dword v2, v4, s[0:3], 0 offen offset:4
	buffer_load_dword v3, v4, s[0:3], 0 offen offset:8
	;; [unrolled: 1-line block ×3, first 2 shown]
	s_waitcnt vmcnt(0)
	ds_write_b128 v116, v[1:4]
	s_waitcnt lgkmcnt(0)
	s_waitcnt_vscnt null, 0x0
	s_barrier
	buffer_gl0_inv
	v_cmpx_gt_u32_e32 39, v0
	s_cbranch_execz .LBB118_743
; %bb.736:
	ds_read_b128 v[1:4], v116
	v_cmp_ne_u32_e32 vcc_lo, 1, v117
	s_cbranch_vccnz .LBB118_738
; %bb.737:
	s_clause 0x3
	buffer_load_dword v118, v115, s[0:3], 0 offen offset:8
	buffer_load_dword v119, v115, s[0:3], 0 offen offset:12
	buffer_load_dword v122, v115, s[0:3], 0 offen
	buffer_load_dword v123, v115, s[0:3], 0 offen offset:4
	s_waitcnt vmcnt(2) lgkmcnt(0)
	v_mul_f64 v[124:125], v[3:4], v[118:119]
	v_mul_f64 v[118:119], v[1:2], v[118:119]
	s_waitcnt vmcnt(0)
	v_fma_f64 v[1:2], v[1:2], v[122:123], -v[124:125]
	v_fma_f64 v[3:4], v[3:4], v[122:123], v[118:119]
.LBB118_738:
	s_mov_b32 s8, exec_lo
	v_cmpx_ne_u32_e32 38, v0
	s_cbranch_execz .LBB118_742
; %bb.739:
	v_add_nc_u32_e32 v118, 0x380, v121
	v_add3_u32 v119, 0, v121, 16
	v_mov_b32_e32 v120, v0
	s_mov_b32 s62, 0
	.p2align	6
.LBB118_740:                            ; =>This Inner Loop Header: Depth=1
	s_clause 0x3
	buffer_load_dword v126, v119, s[0:3], 0 offen offset:8
	buffer_load_dword v127, v119, s[0:3], 0 offen offset:12
	buffer_load_dword v128, v119, s[0:3], 0 offen
	buffer_load_dword v129, v119, s[0:3], 0 offen offset:4
	ds_read_b128 v[122:125], v118
	v_add_nc_u32_e32 v120, 1, v120
	v_add_nc_u32_e32 v118, 16, v118
	;; [unrolled: 1-line block ×3, first 2 shown]
	v_cmp_lt_u32_e32 vcc_lo, 37, v120
	s_or_b32 s62, vcc_lo, s62
	s_waitcnt vmcnt(2) lgkmcnt(0)
	v_mul_f64 v[130:131], v[124:125], v[126:127]
	v_mul_f64 v[126:127], v[122:123], v[126:127]
	s_waitcnt vmcnt(0)
	v_fma_f64 v[122:123], v[122:123], v[128:129], -v[130:131]
	v_fma_f64 v[124:125], v[124:125], v[128:129], v[126:127]
	v_add_f64 v[1:2], v[1:2], v[122:123]
	v_add_f64 v[3:4], v[3:4], v[124:125]
	s_andn2_b32 exec_lo, exec_lo, s62
	s_cbranch_execnz .LBB118_740
; %bb.741:
	s_or_b32 exec_lo, exec_lo, s62
.LBB118_742:
	s_or_b32 exec_lo, exec_lo, s8
	v_mov_b32_e32 v118, 0
	ds_read_b128 v[122:125], v118 offset:624
	s_waitcnt lgkmcnt(0)
	v_mul_f64 v[118:119], v[3:4], v[124:125]
	v_mul_f64 v[124:125], v[1:2], v[124:125]
	v_fma_f64 v[1:2], v[1:2], v[122:123], -v[118:119]
	v_fma_f64 v[3:4], v[3:4], v[122:123], v[124:125]
	buffer_store_dword v2, off, s[0:3], 0 offset:628
	buffer_store_dword v1, off, s[0:3], 0 offset:624
	;; [unrolled: 1-line block ×4, first 2 shown]
.LBB118_743:
	s_or_b32 exec_lo, exec_lo, s4
	v_mov_b32_e32 v4, s21
	s_mov_b32 s4, exec_lo
	s_clause 0x3
	buffer_load_dword v1, v4, s[0:3], 0 offen
	buffer_load_dword v2, v4, s[0:3], 0 offen offset:4
	buffer_load_dword v3, v4, s[0:3], 0 offen offset:8
	;; [unrolled: 1-line block ×3, first 2 shown]
	s_waitcnt vmcnt(0)
	ds_write_b128 v116, v[1:4]
	s_waitcnt lgkmcnt(0)
	s_waitcnt_vscnt null, 0x0
	s_barrier
	buffer_gl0_inv
	v_cmpx_gt_u32_e32 40, v0
	s_cbranch_execz .LBB118_751
; %bb.744:
	ds_read_b128 v[1:4], v116
	v_cmp_ne_u32_e32 vcc_lo, 1, v117
	s_cbranch_vccnz .LBB118_746
; %bb.745:
	s_clause 0x3
	buffer_load_dword v118, v115, s[0:3], 0 offen offset:8
	buffer_load_dword v119, v115, s[0:3], 0 offen offset:12
	buffer_load_dword v122, v115, s[0:3], 0 offen
	buffer_load_dword v123, v115, s[0:3], 0 offen offset:4
	s_waitcnt vmcnt(2) lgkmcnt(0)
	v_mul_f64 v[124:125], v[3:4], v[118:119]
	v_mul_f64 v[118:119], v[1:2], v[118:119]
	s_waitcnt vmcnt(0)
	v_fma_f64 v[1:2], v[1:2], v[122:123], -v[124:125]
	v_fma_f64 v[3:4], v[3:4], v[122:123], v[118:119]
.LBB118_746:
	s_mov_b32 s8, exec_lo
	v_cmpx_ne_u32_e32 39, v0
	s_cbranch_execz .LBB118_750
; %bb.747:
	v_add_nc_u32_e32 v118, 0x380, v121
	v_add3_u32 v119, 0, v121, 16
	v_mov_b32_e32 v120, v0
	s_mov_b32 s62, 0
	.p2align	6
.LBB118_748:                            ; =>This Inner Loop Header: Depth=1
	s_clause 0x3
	buffer_load_dword v126, v119, s[0:3], 0 offen offset:8
	buffer_load_dword v127, v119, s[0:3], 0 offen offset:12
	buffer_load_dword v128, v119, s[0:3], 0 offen
	buffer_load_dword v129, v119, s[0:3], 0 offen offset:4
	ds_read_b128 v[122:125], v118
	v_add_nc_u32_e32 v120, 1, v120
	v_add_nc_u32_e32 v118, 16, v118
	;; [unrolled: 1-line block ×3, first 2 shown]
	v_cmp_lt_u32_e32 vcc_lo, 38, v120
	s_or_b32 s62, vcc_lo, s62
	s_waitcnt vmcnt(2) lgkmcnt(0)
	v_mul_f64 v[130:131], v[124:125], v[126:127]
	v_mul_f64 v[126:127], v[122:123], v[126:127]
	s_waitcnt vmcnt(0)
	v_fma_f64 v[122:123], v[122:123], v[128:129], -v[130:131]
	v_fma_f64 v[124:125], v[124:125], v[128:129], v[126:127]
	v_add_f64 v[1:2], v[1:2], v[122:123]
	v_add_f64 v[3:4], v[3:4], v[124:125]
	s_andn2_b32 exec_lo, exec_lo, s62
	s_cbranch_execnz .LBB118_748
; %bb.749:
	s_or_b32 exec_lo, exec_lo, s62
.LBB118_750:
	s_or_b32 exec_lo, exec_lo, s8
	v_mov_b32_e32 v118, 0
	ds_read_b128 v[122:125], v118 offset:640
	s_waitcnt lgkmcnt(0)
	v_mul_f64 v[118:119], v[3:4], v[124:125]
	v_mul_f64 v[124:125], v[1:2], v[124:125]
	v_fma_f64 v[1:2], v[1:2], v[122:123], -v[118:119]
	v_fma_f64 v[3:4], v[3:4], v[122:123], v[124:125]
	buffer_store_dword v2, off, s[0:3], 0 offset:644
	buffer_store_dword v1, off, s[0:3], 0 offset:640
	;; [unrolled: 1-line block ×4, first 2 shown]
.LBB118_751:
	s_or_b32 exec_lo, exec_lo, s4
	v_mov_b32_e32 v4, s20
	s_mov_b32 s4, exec_lo
	s_clause 0x3
	buffer_load_dword v1, v4, s[0:3], 0 offen
	buffer_load_dword v2, v4, s[0:3], 0 offen offset:4
	buffer_load_dword v3, v4, s[0:3], 0 offen offset:8
	;; [unrolled: 1-line block ×3, first 2 shown]
	s_waitcnt vmcnt(0)
	ds_write_b128 v116, v[1:4]
	s_waitcnt lgkmcnt(0)
	s_waitcnt_vscnt null, 0x0
	s_barrier
	buffer_gl0_inv
	v_cmpx_gt_u32_e32 41, v0
	s_cbranch_execz .LBB118_759
; %bb.752:
	ds_read_b128 v[1:4], v116
	v_cmp_ne_u32_e32 vcc_lo, 1, v117
	s_cbranch_vccnz .LBB118_754
; %bb.753:
	s_clause 0x3
	buffer_load_dword v118, v115, s[0:3], 0 offen offset:8
	buffer_load_dword v119, v115, s[0:3], 0 offen offset:12
	buffer_load_dword v122, v115, s[0:3], 0 offen
	buffer_load_dword v123, v115, s[0:3], 0 offen offset:4
	s_waitcnt vmcnt(2) lgkmcnt(0)
	v_mul_f64 v[124:125], v[3:4], v[118:119]
	v_mul_f64 v[118:119], v[1:2], v[118:119]
	s_waitcnt vmcnt(0)
	v_fma_f64 v[1:2], v[1:2], v[122:123], -v[124:125]
	v_fma_f64 v[3:4], v[3:4], v[122:123], v[118:119]
.LBB118_754:
	s_mov_b32 s8, exec_lo
	v_cmpx_ne_u32_e32 40, v0
	s_cbranch_execz .LBB118_758
; %bb.755:
	v_add_nc_u32_e32 v118, 0x380, v121
	v_add3_u32 v119, 0, v121, 16
	v_mov_b32_e32 v120, v0
	s_mov_b32 s62, 0
	.p2align	6
.LBB118_756:                            ; =>This Inner Loop Header: Depth=1
	s_clause 0x3
	buffer_load_dword v126, v119, s[0:3], 0 offen offset:8
	buffer_load_dword v127, v119, s[0:3], 0 offen offset:12
	buffer_load_dword v128, v119, s[0:3], 0 offen
	buffer_load_dword v129, v119, s[0:3], 0 offen offset:4
	ds_read_b128 v[122:125], v118
	v_add_nc_u32_e32 v120, 1, v120
	v_add_nc_u32_e32 v118, 16, v118
	;; [unrolled: 1-line block ×3, first 2 shown]
	v_cmp_lt_u32_e32 vcc_lo, 39, v120
	s_or_b32 s62, vcc_lo, s62
	s_waitcnt vmcnt(2) lgkmcnt(0)
	v_mul_f64 v[130:131], v[124:125], v[126:127]
	v_mul_f64 v[126:127], v[122:123], v[126:127]
	s_waitcnt vmcnt(0)
	v_fma_f64 v[122:123], v[122:123], v[128:129], -v[130:131]
	v_fma_f64 v[124:125], v[124:125], v[128:129], v[126:127]
	v_add_f64 v[1:2], v[1:2], v[122:123]
	v_add_f64 v[3:4], v[3:4], v[124:125]
	s_andn2_b32 exec_lo, exec_lo, s62
	s_cbranch_execnz .LBB118_756
; %bb.757:
	s_or_b32 exec_lo, exec_lo, s62
.LBB118_758:
	s_or_b32 exec_lo, exec_lo, s8
	v_mov_b32_e32 v118, 0
	ds_read_b128 v[122:125], v118 offset:656
	s_waitcnt lgkmcnt(0)
	v_mul_f64 v[118:119], v[3:4], v[124:125]
	v_mul_f64 v[124:125], v[1:2], v[124:125]
	v_fma_f64 v[1:2], v[1:2], v[122:123], -v[118:119]
	v_fma_f64 v[3:4], v[3:4], v[122:123], v[124:125]
	buffer_store_dword v2, off, s[0:3], 0 offset:660
	buffer_store_dword v1, off, s[0:3], 0 offset:656
	;; [unrolled: 1-line block ×4, first 2 shown]
.LBB118_759:
	s_or_b32 exec_lo, exec_lo, s4
	v_mov_b32_e32 v4, s19
	s_mov_b32 s4, exec_lo
	s_clause 0x3
	buffer_load_dword v1, v4, s[0:3], 0 offen
	buffer_load_dword v2, v4, s[0:3], 0 offen offset:4
	buffer_load_dword v3, v4, s[0:3], 0 offen offset:8
	;; [unrolled: 1-line block ×3, first 2 shown]
	s_waitcnt vmcnt(0)
	ds_write_b128 v116, v[1:4]
	s_waitcnt lgkmcnt(0)
	s_waitcnt_vscnt null, 0x0
	s_barrier
	buffer_gl0_inv
	v_cmpx_gt_u32_e32 42, v0
	s_cbranch_execz .LBB118_767
; %bb.760:
	ds_read_b128 v[1:4], v116
	v_cmp_ne_u32_e32 vcc_lo, 1, v117
	s_cbranch_vccnz .LBB118_762
; %bb.761:
	s_clause 0x3
	buffer_load_dword v118, v115, s[0:3], 0 offen offset:8
	buffer_load_dword v119, v115, s[0:3], 0 offen offset:12
	buffer_load_dword v122, v115, s[0:3], 0 offen
	buffer_load_dword v123, v115, s[0:3], 0 offen offset:4
	s_waitcnt vmcnt(2) lgkmcnt(0)
	v_mul_f64 v[124:125], v[3:4], v[118:119]
	v_mul_f64 v[118:119], v[1:2], v[118:119]
	s_waitcnt vmcnt(0)
	v_fma_f64 v[1:2], v[1:2], v[122:123], -v[124:125]
	v_fma_f64 v[3:4], v[3:4], v[122:123], v[118:119]
.LBB118_762:
	s_mov_b32 s8, exec_lo
	v_cmpx_ne_u32_e32 41, v0
	s_cbranch_execz .LBB118_766
; %bb.763:
	v_add_nc_u32_e32 v118, 0x380, v121
	v_add3_u32 v119, 0, v121, 16
	v_mov_b32_e32 v120, v0
	s_mov_b32 s62, 0
	.p2align	6
.LBB118_764:                            ; =>This Inner Loop Header: Depth=1
	s_clause 0x3
	buffer_load_dword v126, v119, s[0:3], 0 offen offset:8
	buffer_load_dword v127, v119, s[0:3], 0 offen offset:12
	buffer_load_dword v128, v119, s[0:3], 0 offen
	buffer_load_dword v129, v119, s[0:3], 0 offen offset:4
	ds_read_b128 v[122:125], v118
	v_add_nc_u32_e32 v120, 1, v120
	v_add_nc_u32_e32 v118, 16, v118
	;; [unrolled: 1-line block ×3, first 2 shown]
	v_cmp_lt_u32_e32 vcc_lo, 40, v120
	s_or_b32 s62, vcc_lo, s62
	s_waitcnt vmcnt(2) lgkmcnt(0)
	v_mul_f64 v[130:131], v[124:125], v[126:127]
	v_mul_f64 v[126:127], v[122:123], v[126:127]
	s_waitcnt vmcnt(0)
	v_fma_f64 v[122:123], v[122:123], v[128:129], -v[130:131]
	v_fma_f64 v[124:125], v[124:125], v[128:129], v[126:127]
	v_add_f64 v[1:2], v[1:2], v[122:123]
	v_add_f64 v[3:4], v[3:4], v[124:125]
	s_andn2_b32 exec_lo, exec_lo, s62
	s_cbranch_execnz .LBB118_764
; %bb.765:
	s_or_b32 exec_lo, exec_lo, s62
.LBB118_766:
	s_or_b32 exec_lo, exec_lo, s8
	v_mov_b32_e32 v118, 0
	ds_read_b128 v[122:125], v118 offset:672
	s_waitcnt lgkmcnt(0)
	v_mul_f64 v[118:119], v[3:4], v[124:125]
	v_mul_f64 v[124:125], v[1:2], v[124:125]
	v_fma_f64 v[1:2], v[1:2], v[122:123], -v[118:119]
	v_fma_f64 v[3:4], v[3:4], v[122:123], v[124:125]
	buffer_store_dword v2, off, s[0:3], 0 offset:676
	buffer_store_dword v1, off, s[0:3], 0 offset:672
	;; [unrolled: 1-line block ×4, first 2 shown]
.LBB118_767:
	s_or_b32 exec_lo, exec_lo, s4
	v_mov_b32_e32 v4, s18
	s_mov_b32 s4, exec_lo
	s_clause 0x3
	buffer_load_dword v1, v4, s[0:3], 0 offen
	buffer_load_dword v2, v4, s[0:3], 0 offen offset:4
	buffer_load_dword v3, v4, s[0:3], 0 offen offset:8
	;; [unrolled: 1-line block ×3, first 2 shown]
	s_waitcnt vmcnt(0)
	ds_write_b128 v116, v[1:4]
	s_waitcnt lgkmcnt(0)
	s_waitcnt_vscnt null, 0x0
	s_barrier
	buffer_gl0_inv
	v_cmpx_gt_u32_e32 43, v0
	s_cbranch_execz .LBB118_775
; %bb.768:
	ds_read_b128 v[1:4], v116
	v_cmp_ne_u32_e32 vcc_lo, 1, v117
	s_cbranch_vccnz .LBB118_770
; %bb.769:
	s_clause 0x3
	buffer_load_dword v118, v115, s[0:3], 0 offen offset:8
	buffer_load_dword v119, v115, s[0:3], 0 offen offset:12
	buffer_load_dword v122, v115, s[0:3], 0 offen
	buffer_load_dword v123, v115, s[0:3], 0 offen offset:4
	s_waitcnt vmcnt(2) lgkmcnt(0)
	v_mul_f64 v[124:125], v[3:4], v[118:119]
	v_mul_f64 v[118:119], v[1:2], v[118:119]
	s_waitcnt vmcnt(0)
	v_fma_f64 v[1:2], v[1:2], v[122:123], -v[124:125]
	v_fma_f64 v[3:4], v[3:4], v[122:123], v[118:119]
.LBB118_770:
	s_mov_b32 s8, exec_lo
	v_cmpx_ne_u32_e32 42, v0
	s_cbranch_execz .LBB118_774
; %bb.771:
	v_add_nc_u32_e32 v118, 0x380, v121
	v_add3_u32 v119, 0, v121, 16
	v_mov_b32_e32 v120, v0
	s_mov_b32 s62, 0
	.p2align	6
.LBB118_772:                            ; =>This Inner Loop Header: Depth=1
	s_clause 0x3
	buffer_load_dword v126, v119, s[0:3], 0 offen offset:8
	buffer_load_dword v127, v119, s[0:3], 0 offen offset:12
	buffer_load_dword v128, v119, s[0:3], 0 offen
	buffer_load_dword v129, v119, s[0:3], 0 offen offset:4
	ds_read_b128 v[122:125], v118
	v_add_nc_u32_e32 v120, 1, v120
	v_add_nc_u32_e32 v118, 16, v118
	v_add_nc_u32_e32 v119, 16, v119
	v_cmp_lt_u32_e32 vcc_lo, 41, v120
	s_or_b32 s62, vcc_lo, s62
	s_waitcnt vmcnt(2) lgkmcnt(0)
	v_mul_f64 v[130:131], v[124:125], v[126:127]
	v_mul_f64 v[126:127], v[122:123], v[126:127]
	s_waitcnt vmcnt(0)
	v_fma_f64 v[122:123], v[122:123], v[128:129], -v[130:131]
	v_fma_f64 v[124:125], v[124:125], v[128:129], v[126:127]
	v_add_f64 v[1:2], v[1:2], v[122:123]
	v_add_f64 v[3:4], v[3:4], v[124:125]
	s_andn2_b32 exec_lo, exec_lo, s62
	s_cbranch_execnz .LBB118_772
; %bb.773:
	s_or_b32 exec_lo, exec_lo, s62
.LBB118_774:
	s_or_b32 exec_lo, exec_lo, s8
	v_mov_b32_e32 v118, 0
	ds_read_b128 v[122:125], v118 offset:688
	s_waitcnt lgkmcnt(0)
	v_mul_f64 v[118:119], v[3:4], v[124:125]
	v_mul_f64 v[124:125], v[1:2], v[124:125]
	v_fma_f64 v[1:2], v[1:2], v[122:123], -v[118:119]
	v_fma_f64 v[3:4], v[3:4], v[122:123], v[124:125]
	buffer_store_dword v2, off, s[0:3], 0 offset:692
	buffer_store_dword v1, off, s[0:3], 0 offset:688
	;; [unrolled: 1-line block ×4, first 2 shown]
.LBB118_775:
	s_or_b32 exec_lo, exec_lo, s4
	v_mov_b32_e32 v4, s17
	s_mov_b32 s4, exec_lo
	s_clause 0x3
	buffer_load_dword v1, v4, s[0:3], 0 offen
	buffer_load_dword v2, v4, s[0:3], 0 offen offset:4
	buffer_load_dword v3, v4, s[0:3], 0 offen offset:8
	;; [unrolled: 1-line block ×3, first 2 shown]
	s_waitcnt vmcnt(0)
	ds_write_b128 v116, v[1:4]
	s_waitcnt lgkmcnt(0)
	s_waitcnt_vscnt null, 0x0
	s_barrier
	buffer_gl0_inv
	v_cmpx_gt_u32_e32 44, v0
	s_cbranch_execz .LBB118_783
; %bb.776:
	ds_read_b128 v[1:4], v116
	v_cmp_ne_u32_e32 vcc_lo, 1, v117
	s_cbranch_vccnz .LBB118_778
; %bb.777:
	s_clause 0x3
	buffer_load_dword v118, v115, s[0:3], 0 offen offset:8
	buffer_load_dword v119, v115, s[0:3], 0 offen offset:12
	buffer_load_dword v122, v115, s[0:3], 0 offen
	buffer_load_dword v123, v115, s[0:3], 0 offen offset:4
	s_waitcnt vmcnt(2) lgkmcnt(0)
	v_mul_f64 v[124:125], v[3:4], v[118:119]
	v_mul_f64 v[118:119], v[1:2], v[118:119]
	s_waitcnt vmcnt(0)
	v_fma_f64 v[1:2], v[1:2], v[122:123], -v[124:125]
	v_fma_f64 v[3:4], v[3:4], v[122:123], v[118:119]
.LBB118_778:
	s_mov_b32 s8, exec_lo
	v_cmpx_ne_u32_e32 43, v0
	s_cbranch_execz .LBB118_782
; %bb.779:
	v_add_nc_u32_e32 v118, 0x380, v121
	v_add3_u32 v119, 0, v121, 16
	v_mov_b32_e32 v120, v0
	s_mov_b32 s62, 0
	.p2align	6
.LBB118_780:                            ; =>This Inner Loop Header: Depth=1
	s_clause 0x3
	buffer_load_dword v126, v119, s[0:3], 0 offen offset:8
	buffer_load_dword v127, v119, s[0:3], 0 offen offset:12
	buffer_load_dword v128, v119, s[0:3], 0 offen
	buffer_load_dword v129, v119, s[0:3], 0 offen offset:4
	ds_read_b128 v[122:125], v118
	v_add_nc_u32_e32 v120, 1, v120
	v_add_nc_u32_e32 v118, 16, v118
	;; [unrolled: 1-line block ×3, first 2 shown]
	v_cmp_lt_u32_e32 vcc_lo, 42, v120
	s_or_b32 s62, vcc_lo, s62
	s_waitcnt vmcnt(2) lgkmcnt(0)
	v_mul_f64 v[130:131], v[124:125], v[126:127]
	v_mul_f64 v[126:127], v[122:123], v[126:127]
	s_waitcnt vmcnt(0)
	v_fma_f64 v[122:123], v[122:123], v[128:129], -v[130:131]
	v_fma_f64 v[124:125], v[124:125], v[128:129], v[126:127]
	v_add_f64 v[1:2], v[1:2], v[122:123]
	v_add_f64 v[3:4], v[3:4], v[124:125]
	s_andn2_b32 exec_lo, exec_lo, s62
	s_cbranch_execnz .LBB118_780
; %bb.781:
	s_or_b32 exec_lo, exec_lo, s62
.LBB118_782:
	s_or_b32 exec_lo, exec_lo, s8
	v_mov_b32_e32 v118, 0
	ds_read_b128 v[122:125], v118 offset:704
	s_waitcnt lgkmcnt(0)
	v_mul_f64 v[118:119], v[3:4], v[124:125]
	v_mul_f64 v[124:125], v[1:2], v[124:125]
	v_fma_f64 v[1:2], v[1:2], v[122:123], -v[118:119]
	v_fma_f64 v[3:4], v[3:4], v[122:123], v[124:125]
	buffer_store_dword v2, off, s[0:3], 0 offset:708
	buffer_store_dword v1, off, s[0:3], 0 offset:704
	;; [unrolled: 1-line block ×4, first 2 shown]
.LBB118_783:
	s_or_b32 exec_lo, exec_lo, s4
	v_mov_b32_e32 v4, s16
	s_mov_b32 s4, exec_lo
	s_clause 0x3
	buffer_load_dword v1, v4, s[0:3], 0 offen
	buffer_load_dword v2, v4, s[0:3], 0 offen offset:4
	buffer_load_dword v3, v4, s[0:3], 0 offen offset:8
	;; [unrolled: 1-line block ×3, first 2 shown]
	s_waitcnt vmcnt(0)
	ds_write_b128 v116, v[1:4]
	s_waitcnt lgkmcnt(0)
	s_waitcnt_vscnt null, 0x0
	s_barrier
	buffer_gl0_inv
	v_cmpx_gt_u32_e32 45, v0
	s_cbranch_execz .LBB118_791
; %bb.784:
	ds_read_b128 v[1:4], v116
	v_cmp_ne_u32_e32 vcc_lo, 1, v117
	s_cbranch_vccnz .LBB118_786
; %bb.785:
	s_clause 0x3
	buffer_load_dword v118, v115, s[0:3], 0 offen offset:8
	buffer_load_dword v119, v115, s[0:3], 0 offen offset:12
	buffer_load_dword v122, v115, s[0:3], 0 offen
	buffer_load_dword v123, v115, s[0:3], 0 offen offset:4
	s_waitcnt vmcnt(2) lgkmcnt(0)
	v_mul_f64 v[124:125], v[3:4], v[118:119]
	v_mul_f64 v[118:119], v[1:2], v[118:119]
	s_waitcnt vmcnt(0)
	v_fma_f64 v[1:2], v[1:2], v[122:123], -v[124:125]
	v_fma_f64 v[3:4], v[3:4], v[122:123], v[118:119]
.LBB118_786:
	s_mov_b32 s8, exec_lo
	v_cmpx_ne_u32_e32 44, v0
	s_cbranch_execz .LBB118_790
; %bb.787:
	v_add_nc_u32_e32 v118, 0x380, v121
	v_add3_u32 v119, 0, v121, 16
	v_mov_b32_e32 v120, v0
	s_mov_b32 s62, 0
	.p2align	6
.LBB118_788:                            ; =>This Inner Loop Header: Depth=1
	s_clause 0x3
	buffer_load_dword v126, v119, s[0:3], 0 offen offset:8
	buffer_load_dword v127, v119, s[0:3], 0 offen offset:12
	buffer_load_dword v128, v119, s[0:3], 0 offen
	buffer_load_dword v129, v119, s[0:3], 0 offen offset:4
	ds_read_b128 v[122:125], v118
	v_add_nc_u32_e32 v120, 1, v120
	v_add_nc_u32_e32 v118, 16, v118
	;; [unrolled: 1-line block ×3, first 2 shown]
	v_cmp_lt_u32_e32 vcc_lo, 43, v120
	s_or_b32 s62, vcc_lo, s62
	s_waitcnt vmcnt(2) lgkmcnt(0)
	v_mul_f64 v[130:131], v[124:125], v[126:127]
	v_mul_f64 v[126:127], v[122:123], v[126:127]
	s_waitcnt vmcnt(0)
	v_fma_f64 v[122:123], v[122:123], v[128:129], -v[130:131]
	v_fma_f64 v[124:125], v[124:125], v[128:129], v[126:127]
	v_add_f64 v[1:2], v[1:2], v[122:123]
	v_add_f64 v[3:4], v[3:4], v[124:125]
	s_andn2_b32 exec_lo, exec_lo, s62
	s_cbranch_execnz .LBB118_788
; %bb.789:
	s_or_b32 exec_lo, exec_lo, s62
.LBB118_790:
	s_or_b32 exec_lo, exec_lo, s8
	v_mov_b32_e32 v118, 0
	ds_read_b128 v[122:125], v118 offset:720
	s_waitcnt lgkmcnt(0)
	v_mul_f64 v[118:119], v[3:4], v[124:125]
	v_mul_f64 v[124:125], v[1:2], v[124:125]
	v_fma_f64 v[1:2], v[1:2], v[122:123], -v[118:119]
	v_fma_f64 v[3:4], v[3:4], v[122:123], v[124:125]
	buffer_store_dword v2, off, s[0:3], 0 offset:724
	buffer_store_dword v1, off, s[0:3], 0 offset:720
	;; [unrolled: 1-line block ×4, first 2 shown]
.LBB118_791:
	s_or_b32 exec_lo, exec_lo, s4
	v_mov_b32_e32 v4, s15
	s_mov_b32 s4, exec_lo
	s_clause 0x3
	buffer_load_dword v1, v4, s[0:3], 0 offen
	buffer_load_dword v2, v4, s[0:3], 0 offen offset:4
	buffer_load_dword v3, v4, s[0:3], 0 offen offset:8
	;; [unrolled: 1-line block ×3, first 2 shown]
	s_waitcnt vmcnt(0)
	ds_write_b128 v116, v[1:4]
	s_waitcnt lgkmcnt(0)
	s_waitcnt_vscnt null, 0x0
	s_barrier
	buffer_gl0_inv
	v_cmpx_gt_u32_e32 46, v0
	s_cbranch_execz .LBB118_799
; %bb.792:
	ds_read_b128 v[1:4], v116
	v_cmp_ne_u32_e32 vcc_lo, 1, v117
	s_cbranch_vccnz .LBB118_794
; %bb.793:
	s_clause 0x3
	buffer_load_dword v118, v115, s[0:3], 0 offen offset:8
	buffer_load_dword v119, v115, s[0:3], 0 offen offset:12
	buffer_load_dword v122, v115, s[0:3], 0 offen
	buffer_load_dword v123, v115, s[0:3], 0 offen offset:4
	s_waitcnt vmcnt(2) lgkmcnt(0)
	v_mul_f64 v[124:125], v[3:4], v[118:119]
	v_mul_f64 v[118:119], v[1:2], v[118:119]
	s_waitcnt vmcnt(0)
	v_fma_f64 v[1:2], v[1:2], v[122:123], -v[124:125]
	v_fma_f64 v[3:4], v[3:4], v[122:123], v[118:119]
.LBB118_794:
	s_mov_b32 s8, exec_lo
	v_cmpx_ne_u32_e32 45, v0
	s_cbranch_execz .LBB118_798
; %bb.795:
	v_add_nc_u32_e32 v118, 0x380, v121
	v_add3_u32 v119, 0, v121, 16
	v_mov_b32_e32 v120, v0
	s_mov_b32 s62, 0
	.p2align	6
.LBB118_796:                            ; =>This Inner Loop Header: Depth=1
	s_clause 0x3
	buffer_load_dword v126, v119, s[0:3], 0 offen offset:8
	buffer_load_dword v127, v119, s[0:3], 0 offen offset:12
	buffer_load_dword v128, v119, s[0:3], 0 offen
	buffer_load_dword v129, v119, s[0:3], 0 offen offset:4
	ds_read_b128 v[122:125], v118
	v_add_nc_u32_e32 v120, 1, v120
	v_add_nc_u32_e32 v118, 16, v118
	;; [unrolled: 1-line block ×3, first 2 shown]
	v_cmp_lt_u32_e32 vcc_lo, 44, v120
	s_or_b32 s62, vcc_lo, s62
	s_waitcnt vmcnt(2) lgkmcnt(0)
	v_mul_f64 v[130:131], v[124:125], v[126:127]
	v_mul_f64 v[126:127], v[122:123], v[126:127]
	s_waitcnt vmcnt(0)
	v_fma_f64 v[122:123], v[122:123], v[128:129], -v[130:131]
	v_fma_f64 v[124:125], v[124:125], v[128:129], v[126:127]
	v_add_f64 v[1:2], v[1:2], v[122:123]
	v_add_f64 v[3:4], v[3:4], v[124:125]
	s_andn2_b32 exec_lo, exec_lo, s62
	s_cbranch_execnz .LBB118_796
; %bb.797:
	s_or_b32 exec_lo, exec_lo, s62
.LBB118_798:
	s_or_b32 exec_lo, exec_lo, s8
	v_mov_b32_e32 v118, 0
	ds_read_b128 v[122:125], v118 offset:736
	s_waitcnt lgkmcnt(0)
	v_mul_f64 v[118:119], v[3:4], v[124:125]
	v_mul_f64 v[124:125], v[1:2], v[124:125]
	v_fma_f64 v[1:2], v[1:2], v[122:123], -v[118:119]
	v_fma_f64 v[3:4], v[3:4], v[122:123], v[124:125]
	buffer_store_dword v2, off, s[0:3], 0 offset:740
	buffer_store_dword v1, off, s[0:3], 0 offset:736
	;; [unrolled: 1-line block ×4, first 2 shown]
.LBB118_799:
	s_or_b32 exec_lo, exec_lo, s4
	v_mov_b32_e32 v4, s14
	s_mov_b32 s4, exec_lo
	s_clause 0x3
	buffer_load_dword v1, v4, s[0:3], 0 offen
	buffer_load_dword v2, v4, s[0:3], 0 offen offset:4
	buffer_load_dword v3, v4, s[0:3], 0 offen offset:8
	;; [unrolled: 1-line block ×3, first 2 shown]
	s_waitcnt vmcnt(0)
	ds_write_b128 v116, v[1:4]
	s_waitcnt lgkmcnt(0)
	s_waitcnt_vscnt null, 0x0
	s_barrier
	buffer_gl0_inv
	v_cmpx_gt_u32_e32 47, v0
	s_cbranch_execz .LBB118_807
; %bb.800:
	ds_read_b128 v[1:4], v116
	v_cmp_ne_u32_e32 vcc_lo, 1, v117
	s_cbranch_vccnz .LBB118_802
; %bb.801:
	s_clause 0x3
	buffer_load_dword v118, v115, s[0:3], 0 offen offset:8
	buffer_load_dword v119, v115, s[0:3], 0 offen offset:12
	buffer_load_dword v122, v115, s[0:3], 0 offen
	buffer_load_dword v123, v115, s[0:3], 0 offen offset:4
	s_waitcnt vmcnt(2) lgkmcnt(0)
	v_mul_f64 v[124:125], v[3:4], v[118:119]
	v_mul_f64 v[118:119], v[1:2], v[118:119]
	s_waitcnt vmcnt(0)
	v_fma_f64 v[1:2], v[1:2], v[122:123], -v[124:125]
	v_fma_f64 v[3:4], v[3:4], v[122:123], v[118:119]
.LBB118_802:
	s_mov_b32 s8, exec_lo
	v_cmpx_ne_u32_e32 46, v0
	s_cbranch_execz .LBB118_806
; %bb.803:
	v_add_nc_u32_e32 v118, 0x380, v121
	v_add3_u32 v119, 0, v121, 16
	v_mov_b32_e32 v120, v0
	s_mov_b32 s62, 0
	.p2align	6
.LBB118_804:                            ; =>This Inner Loop Header: Depth=1
	s_clause 0x3
	buffer_load_dword v126, v119, s[0:3], 0 offen offset:8
	buffer_load_dword v127, v119, s[0:3], 0 offen offset:12
	buffer_load_dword v128, v119, s[0:3], 0 offen
	buffer_load_dword v129, v119, s[0:3], 0 offen offset:4
	ds_read_b128 v[122:125], v118
	v_add_nc_u32_e32 v120, 1, v120
	v_add_nc_u32_e32 v118, 16, v118
	;; [unrolled: 1-line block ×3, first 2 shown]
	v_cmp_lt_u32_e32 vcc_lo, 45, v120
	s_or_b32 s62, vcc_lo, s62
	s_waitcnt vmcnt(2) lgkmcnt(0)
	v_mul_f64 v[130:131], v[124:125], v[126:127]
	v_mul_f64 v[126:127], v[122:123], v[126:127]
	s_waitcnt vmcnt(0)
	v_fma_f64 v[122:123], v[122:123], v[128:129], -v[130:131]
	v_fma_f64 v[124:125], v[124:125], v[128:129], v[126:127]
	v_add_f64 v[1:2], v[1:2], v[122:123]
	v_add_f64 v[3:4], v[3:4], v[124:125]
	s_andn2_b32 exec_lo, exec_lo, s62
	s_cbranch_execnz .LBB118_804
; %bb.805:
	s_or_b32 exec_lo, exec_lo, s62
.LBB118_806:
	s_or_b32 exec_lo, exec_lo, s8
	v_mov_b32_e32 v118, 0
	ds_read_b128 v[122:125], v118 offset:752
	s_waitcnt lgkmcnt(0)
	v_mul_f64 v[118:119], v[3:4], v[124:125]
	v_mul_f64 v[124:125], v[1:2], v[124:125]
	v_fma_f64 v[1:2], v[1:2], v[122:123], -v[118:119]
	v_fma_f64 v[3:4], v[3:4], v[122:123], v[124:125]
	buffer_store_dword v2, off, s[0:3], 0 offset:756
	buffer_store_dword v1, off, s[0:3], 0 offset:752
	;; [unrolled: 1-line block ×4, first 2 shown]
.LBB118_807:
	s_or_b32 exec_lo, exec_lo, s4
	v_mov_b32_e32 v4, s13
	s_mov_b32 s4, exec_lo
	s_clause 0x3
	buffer_load_dword v1, v4, s[0:3], 0 offen
	buffer_load_dword v2, v4, s[0:3], 0 offen offset:4
	buffer_load_dword v3, v4, s[0:3], 0 offen offset:8
	;; [unrolled: 1-line block ×3, first 2 shown]
	s_waitcnt vmcnt(0)
	ds_write_b128 v116, v[1:4]
	s_waitcnt lgkmcnt(0)
	s_waitcnt_vscnt null, 0x0
	s_barrier
	buffer_gl0_inv
	v_cmpx_gt_u32_e32 48, v0
	s_cbranch_execz .LBB118_815
; %bb.808:
	ds_read_b128 v[1:4], v116
	v_cmp_ne_u32_e32 vcc_lo, 1, v117
	s_cbranch_vccnz .LBB118_810
; %bb.809:
	s_clause 0x3
	buffer_load_dword v118, v115, s[0:3], 0 offen offset:8
	buffer_load_dword v119, v115, s[0:3], 0 offen offset:12
	buffer_load_dword v122, v115, s[0:3], 0 offen
	buffer_load_dword v123, v115, s[0:3], 0 offen offset:4
	s_waitcnt vmcnt(2) lgkmcnt(0)
	v_mul_f64 v[124:125], v[3:4], v[118:119]
	v_mul_f64 v[118:119], v[1:2], v[118:119]
	s_waitcnt vmcnt(0)
	v_fma_f64 v[1:2], v[1:2], v[122:123], -v[124:125]
	v_fma_f64 v[3:4], v[3:4], v[122:123], v[118:119]
.LBB118_810:
	s_mov_b32 s8, exec_lo
	v_cmpx_ne_u32_e32 47, v0
	s_cbranch_execz .LBB118_814
; %bb.811:
	v_add_nc_u32_e32 v118, 0x380, v121
	v_add3_u32 v119, 0, v121, 16
	v_mov_b32_e32 v120, v0
	s_mov_b32 s62, 0
	.p2align	6
.LBB118_812:                            ; =>This Inner Loop Header: Depth=1
	s_clause 0x3
	buffer_load_dword v126, v119, s[0:3], 0 offen offset:8
	buffer_load_dword v127, v119, s[0:3], 0 offen offset:12
	buffer_load_dword v128, v119, s[0:3], 0 offen
	buffer_load_dword v129, v119, s[0:3], 0 offen offset:4
	ds_read_b128 v[122:125], v118
	v_add_nc_u32_e32 v120, 1, v120
	v_add_nc_u32_e32 v118, 16, v118
	v_add_nc_u32_e32 v119, 16, v119
	v_cmp_lt_u32_e32 vcc_lo, 46, v120
	s_or_b32 s62, vcc_lo, s62
	s_waitcnt vmcnt(2) lgkmcnt(0)
	v_mul_f64 v[130:131], v[124:125], v[126:127]
	v_mul_f64 v[126:127], v[122:123], v[126:127]
	s_waitcnt vmcnt(0)
	v_fma_f64 v[122:123], v[122:123], v[128:129], -v[130:131]
	v_fma_f64 v[124:125], v[124:125], v[128:129], v[126:127]
	v_add_f64 v[1:2], v[1:2], v[122:123]
	v_add_f64 v[3:4], v[3:4], v[124:125]
	s_andn2_b32 exec_lo, exec_lo, s62
	s_cbranch_execnz .LBB118_812
; %bb.813:
	s_or_b32 exec_lo, exec_lo, s62
.LBB118_814:
	s_or_b32 exec_lo, exec_lo, s8
	v_mov_b32_e32 v118, 0
	ds_read_b128 v[122:125], v118 offset:768
	s_waitcnt lgkmcnt(0)
	v_mul_f64 v[118:119], v[3:4], v[124:125]
	v_mul_f64 v[124:125], v[1:2], v[124:125]
	v_fma_f64 v[1:2], v[1:2], v[122:123], -v[118:119]
	v_fma_f64 v[3:4], v[3:4], v[122:123], v[124:125]
	buffer_store_dword v2, off, s[0:3], 0 offset:772
	buffer_store_dword v1, off, s[0:3], 0 offset:768
	buffer_store_dword v4, off, s[0:3], 0 offset:780
	buffer_store_dword v3, off, s[0:3], 0 offset:776
.LBB118_815:
	s_or_b32 exec_lo, exec_lo, s4
	v_mov_b32_e32 v4, s12
	s_mov_b32 s4, exec_lo
	s_clause 0x3
	buffer_load_dword v1, v4, s[0:3], 0 offen
	buffer_load_dword v2, v4, s[0:3], 0 offen offset:4
	buffer_load_dword v3, v4, s[0:3], 0 offen offset:8
	;; [unrolled: 1-line block ×3, first 2 shown]
	s_waitcnt vmcnt(0)
	ds_write_b128 v116, v[1:4]
	s_waitcnt lgkmcnt(0)
	s_waitcnt_vscnt null, 0x0
	s_barrier
	buffer_gl0_inv
	v_cmpx_gt_u32_e32 49, v0
	s_cbranch_execz .LBB118_823
; %bb.816:
	ds_read_b128 v[1:4], v116
	v_cmp_ne_u32_e32 vcc_lo, 1, v117
	s_cbranch_vccnz .LBB118_818
; %bb.817:
	s_clause 0x3
	buffer_load_dword v118, v115, s[0:3], 0 offen offset:8
	buffer_load_dword v119, v115, s[0:3], 0 offen offset:12
	buffer_load_dword v122, v115, s[0:3], 0 offen
	buffer_load_dword v123, v115, s[0:3], 0 offen offset:4
	s_waitcnt vmcnt(2) lgkmcnt(0)
	v_mul_f64 v[124:125], v[3:4], v[118:119]
	v_mul_f64 v[118:119], v[1:2], v[118:119]
	s_waitcnt vmcnt(0)
	v_fma_f64 v[1:2], v[1:2], v[122:123], -v[124:125]
	v_fma_f64 v[3:4], v[3:4], v[122:123], v[118:119]
.LBB118_818:
	s_mov_b32 s8, exec_lo
	v_cmpx_ne_u32_e32 48, v0
	s_cbranch_execz .LBB118_822
; %bb.819:
	v_add_nc_u32_e32 v118, 0x380, v121
	v_add3_u32 v119, 0, v121, 16
	v_mov_b32_e32 v120, v0
	s_mov_b32 s62, 0
	.p2align	6
.LBB118_820:                            ; =>This Inner Loop Header: Depth=1
	s_clause 0x3
	buffer_load_dword v126, v119, s[0:3], 0 offen offset:8
	buffer_load_dword v127, v119, s[0:3], 0 offen offset:12
	buffer_load_dword v128, v119, s[0:3], 0 offen
	buffer_load_dword v129, v119, s[0:3], 0 offen offset:4
	ds_read_b128 v[122:125], v118
	v_add_nc_u32_e32 v120, 1, v120
	v_add_nc_u32_e32 v118, 16, v118
	;; [unrolled: 1-line block ×3, first 2 shown]
	v_cmp_lt_u32_e32 vcc_lo, 47, v120
	s_or_b32 s62, vcc_lo, s62
	s_waitcnt vmcnt(2) lgkmcnt(0)
	v_mul_f64 v[130:131], v[124:125], v[126:127]
	v_mul_f64 v[126:127], v[122:123], v[126:127]
	s_waitcnt vmcnt(0)
	v_fma_f64 v[122:123], v[122:123], v[128:129], -v[130:131]
	v_fma_f64 v[124:125], v[124:125], v[128:129], v[126:127]
	v_add_f64 v[1:2], v[1:2], v[122:123]
	v_add_f64 v[3:4], v[3:4], v[124:125]
	s_andn2_b32 exec_lo, exec_lo, s62
	s_cbranch_execnz .LBB118_820
; %bb.821:
	s_or_b32 exec_lo, exec_lo, s62
.LBB118_822:
	s_or_b32 exec_lo, exec_lo, s8
	v_mov_b32_e32 v118, 0
	ds_read_b128 v[122:125], v118 offset:784
	s_waitcnt lgkmcnt(0)
	v_mul_f64 v[118:119], v[3:4], v[124:125]
	v_mul_f64 v[124:125], v[1:2], v[124:125]
	v_fma_f64 v[1:2], v[1:2], v[122:123], -v[118:119]
	v_fma_f64 v[3:4], v[3:4], v[122:123], v[124:125]
	buffer_store_dword v2, off, s[0:3], 0 offset:788
	buffer_store_dword v1, off, s[0:3], 0 offset:784
	buffer_store_dword v4, off, s[0:3], 0 offset:796
	buffer_store_dword v3, off, s[0:3], 0 offset:792
.LBB118_823:
	s_or_b32 exec_lo, exec_lo, s4
	v_mov_b32_e32 v4, s11
	s_mov_b32 s4, exec_lo
	s_clause 0x3
	buffer_load_dword v1, v4, s[0:3], 0 offen
	buffer_load_dword v2, v4, s[0:3], 0 offen offset:4
	buffer_load_dword v3, v4, s[0:3], 0 offen offset:8
	;; [unrolled: 1-line block ×3, first 2 shown]
	s_waitcnt vmcnt(0)
	ds_write_b128 v116, v[1:4]
	s_waitcnt lgkmcnt(0)
	s_waitcnt_vscnt null, 0x0
	s_barrier
	buffer_gl0_inv
	v_cmpx_gt_u32_e32 50, v0
	s_cbranch_execz .LBB118_831
; %bb.824:
	ds_read_b128 v[1:4], v116
	v_cmp_ne_u32_e32 vcc_lo, 1, v117
	s_cbranch_vccnz .LBB118_826
; %bb.825:
	s_clause 0x3
	buffer_load_dword v118, v115, s[0:3], 0 offen offset:8
	buffer_load_dword v119, v115, s[0:3], 0 offen offset:12
	buffer_load_dword v122, v115, s[0:3], 0 offen
	buffer_load_dword v123, v115, s[0:3], 0 offen offset:4
	s_waitcnt vmcnt(2) lgkmcnt(0)
	v_mul_f64 v[124:125], v[3:4], v[118:119]
	v_mul_f64 v[118:119], v[1:2], v[118:119]
	s_waitcnt vmcnt(0)
	v_fma_f64 v[1:2], v[1:2], v[122:123], -v[124:125]
	v_fma_f64 v[3:4], v[3:4], v[122:123], v[118:119]
.LBB118_826:
	s_mov_b32 s8, exec_lo
	v_cmpx_ne_u32_e32 49, v0
	s_cbranch_execz .LBB118_830
; %bb.827:
	v_add_nc_u32_e32 v118, 0x380, v121
	v_add3_u32 v119, 0, v121, 16
	v_mov_b32_e32 v120, v0
	s_mov_b32 s62, 0
	.p2align	6
.LBB118_828:                            ; =>This Inner Loop Header: Depth=1
	s_clause 0x3
	buffer_load_dword v126, v119, s[0:3], 0 offen offset:8
	buffer_load_dword v127, v119, s[0:3], 0 offen offset:12
	buffer_load_dword v128, v119, s[0:3], 0 offen
	buffer_load_dword v129, v119, s[0:3], 0 offen offset:4
	ds_read_b128 v[122:125], v118
	v_add_nc_u32_e32 v120, 1, v120
	v_add_nc_u32_e32 v118, 16, v118
	;; [unrolled: 1-line block ×3, first 2 shown]
	v_cmp_lt_u32_e32 vcc_lo, 48, v120
	s_or_b32 s62, vcc_lo, s62
	s_waitcnt vmcnt(2) lgkmcnt(0)
	v_mul_f64 v[130:131], v[124:125], v[126:127]
	v_mul_f64 v[126:127], v[122:123], v[126:127]
	s_waitcnt vmcnt(0)
	v_fma_f64 v[122:123], v[122:123], v[128:129], -v[130:131]
	v_fma_f64 v[124:125], v[124:125], v[128:129], v[126:127]
	v_add_f64 v[1:2], v[1:2], v[122:123]
	v_add_f64 v[3:4], v[3:4], v[124:125]
	s_andn2_b32 exec_lo, exec_lo, s62
	s_cbranch_execnz .LBB118_828
; %bb.829:
	s_or_b32 exec_lo, exec_lo, s62
.LBB118_830:
	s_or_b32 exec_lo, exec_lo, s8
	v_mov_b32_e32 v118, 0
	ds_read_b128 v[122:125], v118 offset:800
	s_waitcnt lgkmcnt(0)
	v_mul_f64 v[118:119], v[3:4], v[124:125]
	v_mul_f64 v[124:125], v[1:2], v[124:125]
	v_fma_f64 v[1:2], v[1:2], v[122:123], -v[118:119]
	v_fma_f64 v[3:4], v[3:4], v[122:123], v[124:125]
	buffer_store_dword v2, off, s[0:3], 0 offset:804
	buffer_store_dword v1, off, s[0:3], 0 offset:800
	;; [unrolled: 1-line block ×4, first 2 shown]
.LBB118_831:
	s_or_b32 exec_lo, exec_lo, s4
	v_mov_b32_e32 v4, s10
	s_mov_b32 s4, exec_lo
	s_clause 0x3
	buffer_load_dword v1, v4, s[0:3], 0 offen
	buffer_load_dword v2, v4, s[0:3], 0 offen offset:4
	buffer_load_dword v3, v4, s[0:3], 0 offen offset:8
	;; [unrolled: 1-line block ×3, first 2 shown]
	s_waitcnt vmcnt(0)
	ds_write_b128 v116, v[1:4]
	s_waitcnt lgkmcnt(0)
	s_waitcnt_vscnt null, 0x0
	s_barrier
	buffer_gl0_inv
	v_cmpx_gt_u32_e32 51, v0
	s_cbranch_execz .LBB118_839
; %bb.832:
	ds_read_b128 v[1:4], v116
	v_cmp_ne_u32_e32 vcc_lo, 1, v117
	s_cbranch_vccnz .LBB118_834
; %bb.833:
	s_clause 0x3
	buffer_load_dword v118, v115, s[0:3], 0 offen offset:8
	buffer_load_dword v119, v115, s[0:3], 0 offen offset:12
	buffer_load_dword v122, v115, s[0:3], 0 offen
	buffer_load_dword v123, v115, s[0:3], 0 offen offset:4
	s_waitcnt vmcnt(2) lgkmcnt(0)
	v_mul_f64 v[124:125], v[3:4], v[118:119]
	v_mul_f64 v[118:119], v[1:2], v[118:119]
	s_waitcnt vmcnt(0)
	v_fma_f64 v[1:2], v[1:2], v[122:123], -v[124:125]
	v_fma_f64 v[3:4], v[3:4], v[122:123], v[118:119]
.LBB118_834:
	s_mov_b32 s8, exec_lo
	v_cmpx_ne_u32_e32 50, v0
	s_cbranch_execz .LBB118_838
; %bb.835:
	v_add_nc_u32_e32 v118, 0x380, v121
	v_add3_u32 v119, 0, v121, 16
	v_mov_b32_e32 v120, v0
	s_mov_b32 s62, 0
	.p2align	6
.LBB118_836:                            ; =>This Inner Loop Header: Depth=1
	s_clause 0x3
	buffer_load_dword v126, v119, s[0:3], 0 offen offset:8
	buffer_load_dword v127, v119, s[0:3], 0 offen offset:12
	buffer_load_dword v128, v119, s[0:3], 0 offen
	buffer_load_dword v129, v119, s[0:3], 0 offen offset:4
	ds_read_b128 v[122:125], v118
	v_add_nc_u32_e32 v120, 1, v120
	v_add_nc_u32_e32 v118, 16, v118
	;; [unrolled: 1-line block ×3, first 2 shown]
	v_cmp_lt_u32_e32 vcc_lo, 49, v120
	s_or_b32 s62, vcc_lo, s62
	s_waitcnt vmcnt(2) lgkmcnt(0)
	v_mul_f64 v[130:131], v[124:125], v[126:127]
	v_mul_f64 v[126:127], v[122:123], v[126:127]
	s_waitcnt vmcnt(0)
	v_fma_f64 v[122:123], v[122:123], v[128:129], -v[130:131]
	v_fma_f64 v[124:125], v[124:125], v[128:129], v[126:127]
	v_add_f64 v[1:2], v[1:2], v[122:123]
	v_add_f64 v[3:4], v[3:4], v[124:125]
	s_andn2_b32 exec_lo, exec_lo, s62
	s_cbranch_execnz .LBB118_836
; %bb.837:
	s_or_b32 exec_lo, exec_lo, s62
.LBB118_838:
	s_or_b32 exec_lo, exec_lo, s8
	v_mov_b32_e32 v118, 0
	ds_read_b128 v[122:125], v118 offset:816
	s_waitcnt lgkmcnt(0)
	v_mul_f64 v[118:119], v[3:4], v[124:125]
	v_mul_f64 v[124:125], v[1:2], v[124:125]
	v_fma_f64 v[1:2], v[1:2], v[122:123], -v[118:119]
	v_fma_f64 v[3:4], v[3:4], v[122:123], v[124:125]
	buffer_store_dword v2, off, s[0:3], 0 offset:820
	buffer_store_dword v1, off, s[0:3], 0 offset:816
	;; [unrolled: 1-line block ×4, first 2 shown]
.LBB118_839:
	s_or_b32 exec_lo, exec_lo, s4
	v_mov_b32_e32 v4, s9
	s_mov_b32 s4, exec_lo
	s_clause 0x3
	buffer_load_dword v1, v4, s[0:3], 0 offen
	buffer_load_dword v2, v4, s[0:3], 0 offen offset:4
	buffer_load_dword v3, v4, s[0:3], 0 offen offset:8
	;; [unrolled: 1-line block ×3, first 2 shown]
	s_waitcnt vmcnt(0)
	ds_write_b128 v116, v[1:4]
	s_waitcnt lgkmcnt(0)
	s_waitcnt_vscnt null, 0x0
	s_barrier
	buffer_gl0_inv
	v_cmpx_gt_u32_e32 52, v0
	s_cbranch_execz .LBB118_847
; %bb.840:
	ds_read_b128 v[1:4], v116
	v_cmp_ne_u32_e32 vcc_lo, 1, v117
	s_cbranch_vccnz .LBB118_842
; %bb.841:
	s_clause 0x3
	buffer_load_dword v118, v115, s[0:3], 0 offen offset:8
	buffer_load_dword v119, v115, s[0:3], 0 offen offset:12
	buffer_load_dword v122, v115, s[0:3], 0 offen
	buffer_load_dword v123, v115, s[0:3], 0 offen offset:4
	s_waitcnt vmcnt(2) lgkmcnt(0)
	v_mul_f64 v[124:125], v[3:4], v[118:119]
	v_mul_f64 v[118:119], v[1:2], v[118:119]
	s_waitcnt vmcnt(0)
	v_fma_f64 v[1:2], v[1:2], v[122:123], -v[124:125]
	v_fma_f64 v[3:4], v[3:4], v[122:123], v[118:119]
.LBB118_842:
	s_mov_b32 s8, exec_lo
	v_cmpx_ne_u32_e32 51, v0
	s_cbranch_execz .LBB118_846
; %bb.843:
	v_add_nc_u32_e32 v118, 0x380, v121
	v_add3_u32 v119, 0, v121, 16
	v_mov_b32_e32 v120, v0
	s_mov_b32 s62, 0
	.p2align	6
.LBB118_844:                            ; =>This Inner Loop Header: Depth=1
	s_clause 0x3
	buffer_load_dword v126, v119, s[0:3], 0 offen offset:8
	buffer_load_dword v127, v119, s[0:3], 0 offen offset:12
	buffer_load_dword v128, v119, s[0:3], 0 offen
	buffer_load_dword v129, v119, s[0:3], 0 offen offset:4
	ds_read_b128 v[122:125], v118
	v_add_nc_u32_e32 v120, 1, v120
	v_add_nc_u32_e32 v118, 16, v118
	;; [unrolled: 1-line block ×3, first 2 shown]
	v_cmp_lt_u32_e32 vcc_lo, 50, v120
	s_or_b32 s62, vcc_lo, s62
	s_waitcnt vmcnt(2) lgkmcnt(0)
	v_mul_f64 v[130:131], v[124:125], v[126:127]
	v_mul_f64 v[126:127], v[122:123], v[126:127]
	s_waitcnt vmcnt(0)
	v_fma_f64 v[122:123], v[122:123], v[128:129], -v[130:131]
	v_fma_f64 v[124:125], v[124:125], v[128:129], v[126:127]
	v_add_f64 v[1:2], v[1:2], v[122:123]
	v_add_f64 v[3:4], v[3:4], v[124:125]
	s_andn2_b32 exec_lo, exec_lo, s62
	s_cbranch_execnz .LBB118_844
; %bb.845:
	s_or_b32 exec_lo, exec_lo, s62
.LBB118_846:
	s_or_b32 exec_lo, exec_lo, s8
	v_mov_b32_e32 v118, 0
	ds_read_b128 v[122:125], v118 offset:832
	s_waitcnt lgkmcnt(0)
	v_mul_f64 v[118:119], v[3:4], v[124:125]
	v_mul_f64 v[124:125], v[1:2], v[124:125]
	v_fma_f64 v[1:2], v[1:2], v[122:123], -v[118:119]
	v_fma_f64 v[3:4], v[3:4], v[122:123], v[124:125]
	buffer_store_dword v2, off, s[0:3], 0 offset:836
	buffer_store_dword v1, off, s[0:3], 0 offset:832
	;; [unrolled: 1-line block ×4, first 2 shown]
.LBB118_847:
	s_or_b32 exec_lo, exec_lo, s4
	v_mov_b32_e32 v4, s7
	v_cmp_gt_u32_e64 s4, 53, v0
	s_clause 0x3
	buffer_load_dword v1, v4, s[0:3], 0 offen
	buffer_load_dword v2, v4, s[0:3], 0 offen offset:4
	buffer_load_dword v3, v4, s[0:3], 0 offen offset:8
	;; [unrolled: 1-line block ×3, first 2 shown]
	s_waitcnt vmcnt(0)
	ds_write_b128 v116, v[1:4]
	s_waitcnt lgkmcnt(0)
	s_waitcnt_vscnt null, 0x0
	s_barrier
	buffer_gl0_inv
	s_and_saveexec_b32 s8, s4
	s_cbranch_execz .LBB118_855
; %bb.848:
	ds_read_b128 v[1:4], v116
	v_cmp_ne_u32_e32 vcc_lo, 1, v117
	s_cbranch_vccnz .LBB118_850
; %bb.849:
	s_clause 0x3
	buffer_load_dword v118, v115, s[0:3], 0 offen offset:8
	buffer_load_dword v119, v115, s[0:3], 0 offen offset:12
	buffer_load_dword v122, v115, s[0:3], 0 offen
	buffer_load_dword v123, v115, s[0:3], 0 offen offset:4
	s_waitcnt vmcnt(2) lgkmcnt(0)
	v_mul_f64 v[124:125], v[3:4], v[118:119]
	v_mul_f64 v[118:119], v[1:2], v[118:119]
	s_waitcnt vmcnt(0)
	v_fma_f64 v[1:2], v[1:2], v[122:123], -v[124:125]
	v_fma_f64 v[3:4], v[3:4], v[122:123], v[118:119]
.LBB118_850:
	s_mov_b32 s62, exec_lo
	v_cmpx_ne_u32_e32 52, v0
	s_cbranch_execz .LBB118_854
; %bb.851:
	v_add_nc_u32_e32 v118, 0x380, v121
	v_add3_u32 v119, 0, v121, 16
	v_mov_b32_e32 v120, v0
	s_mov_b32 s63, 0
	.p2align	6
.LBB118_852:                            ; =>This Inner Loop Header: Depth=1
	s_clause 0x3
	buffer_load_dword v126, v119, s[0:3], 0 offen offset:8
	buffer_load_dword v127, v119, s[0:3], 0 offen offset:12
	buffer_load_dword v128, v119, s[0:3], 0 offen
	buffer_load_dword v129, v119, s[0:3], 0 offen offset:4
	ds_read_b128 v[122:125], v118
	v_add_nc_u32_e32 v120, 1, v120
	v_add_nc_u32_e32 v118, 16, v118
	;; [unrolled: 1-line block ×3, first 2 shown]
	v_cmp_lt_u32_e32 vcc_lo, 51, v120
	s_or_b32 s63, vcc_lo, s63
	s_waitcnt vmcnt(2) lgkmcnt(0)
	v_mul_f64 v[130:131], v[124:125], v[126:127]
	v_mul_f64 v[126:127], v[122:123], v[126:127]
	s_waitcnt vmcnt(0)
	v_fma_f64 v[122:123], v[122:123], v[128:129], -v[130:131]
	v_fma_f64 v[124:125], v[124:125], v[128:129], v[126:127]
	v_add_f64 v[1:2], v[1:2], v[122:123]
	v_add_f64 v[3:4], v[3:4], v[124:125]
	s_andn2_b32 exec_lo, exec_lo, s63
	s_cbranch_execnz .LBB118_852
; %bb.853:
	s_or_b32 exec_lo, exec_lo, s63
.LBB118_854:
	s_or_b32 exec_lo, exec_lo, s62
	v_mov_b32_e32 v118, 0
	ds_read_b128 v[122:125], v118 offset:848
	s_waitcnt lgkmcnt(0)
	v_mul_f64 v[118:119], v[3:4], v[124:125]
	v_mul_f64 v[124:125], v[1:2], v[124:125]
	v_fma_f64 v[1:2], v[1:2], v[122:123], -v[118:119]
	v_fma_f64 v[3:4], v[3:4], v[122:123], v[124:125]
	buffer_store_dword v2, off, s[0:3], 0 offset:852
	buffer_store_dword v1, off, s[0:3], 0 offset:848
	;; [unrolled: 1-line block ×4, first 2 shown]
.LBB118_855:
	s_or_b32 exec_lo, exec_lo, s8
	v_mov_b32_e32 v4, s6
	s_mov_b32 s8, exec_lo
                                        ; implicit-def: $sgpr64
	s_clause 0x3
	buffer_load_dword v1, v4, s[0:3], 0 offen
	buffer_load_dword v2, v4, s[0:3], 0 offen offset:4
	buffer_load_dword v3, v4, s[0:3], 0 offen offset:8
	;; [unrolled: 1-line block ×3, first 2 shown]
	s_waitcnt vmcnt(0)
	ds_write_b128 v116, v[1:4]
	s_waitcnt lgkmcnt(0)
	s_waitcnt_vscnt null, 0x0
	s_barrier
	buffer_gl0_inv
                                        ; implicit-def: $vgpr1_vgpr2
	v_cmpx_ne_u32_e32 54, v0
	s_cbranch_execz .LBB118_863
; %bb.856:
	ds_read_b128 v[1:4], v116
	v_cmp_ne_u32_e32 vcc_lo, 1, v117
	s_cbranch_vccnz .LBB118_858
; %bb.857:
	s_clause 0x3
	buffer_load_dword v116, v115, s[0:3], 0 offen offset:8
	buffer_load_dword v117, v115, s[0:3], 0 offen offset:12
	buffer_load_dword v118, v115, s[0:3], 0 offen
	buffer_load_dword v119, v115, s[0:3], 0 offen offset:4
	s_waitcnt vmcnt(2) lgkmcnt(0)
	v_mul_f64 v[122:123], v[3:4], v[116:117]
	v_mul_f64 v[115:116], v[1:2], v[116:117]
	s_waitcnt vmcnt(0)
	v_fma_f64 v[1:2], v[1:2], v[118:119], -v[122:123]
	v_fma_f64 v[3:4], v[3:4], v[118:119], v[115:116]
.LBB118_858:
	s_and_saveexec_b32 s62, s4
	s_cbranch_execz .LBB118_862
; %bb.859:
	v_add_nc_u32_e32 v115, 0x380, v121
	v_add3_u32 v116, 0, v121, 16
	s_mov_b32 s4, 0
	.p2align	6
.LBB118_860:                            ; =>This Inner Loop Header: Depth=1
	s_clause 0x3
	buffer_load_dword v121, v116, s[0:3], 0 offen offset:8
	buffer_load_dword v122, v116, s[0:3], 0 offen offset:12
	buffer_load_dword v123, v116, s[0:3], 0 offen
	buffer_load_dword v124, v116, s[0:3], 0 offen offset:4
	ds_read_b128 v[117:120], v115
	v_add_nc_u32_e32 v0, 1, v0
	v_add_nc_u32_e32 v115, 16, v115
	;; [unrolled: 1-line block ×3, first 2 shown]
	v_cmp_lt_u32_e32 vcc_lo, 52, v0
	s_or_b32 s4, vcc_lo, s4
	s_waitcnt vmcnt(2) lgkmcnt(0)
	v_mul_f64 v[125:126], v[119:120], v[121:122]
	v_mul_f64 v[121:122], v[117:118], v[121:122]
	s_waitcnt vmcnt(0)
	v_fma_f64 v[117:118], v[117:118], v[123:124], -v[125:126]
	v_fma_f64 v[119:120], v[119:120], v[123:124], v[121:122]
	v_add_f64 v[1:2], v[1:2], v[117:118]
	v_add_f64 v[3:4], v[3:4], v[119:120]
	s_andn2_b32 exec_lo, exec_lo, s4
	s_cbranch_execnz .LBB118_860
; %bb.861:
	s_or_b32 exec_lo, exec_lo, s4
.LBB118_862:
	s_or_b32 exec_lo, exec_lo, s62
	v_mov_b32_e32 v0, 0
	s_movk_i32 s64, 0x368
	s_or_b32 s5, s5, exec_lo
	ds_read_b128 v[115:118], v0 offset:864
	s_waitcnt lgkmcnt(0)
	v_mul_f64 v[119:120], v[3:4], v[117:118]
	v_mul_f64 v[117:118], v[1:2], v[117:118]
	v_fma_f64 v[119:120], v[1:2], v[115:116], -v[119:120]
	v_fma_f64 v[1:2], v[3:4], v[115:116], v[117:118]
	buffer_store_dword v120, off, s[0:3], 0 offset:868
	buffer_store_dword v119, off, s[0:3], 0 offset:864
.LBB118_863:
	s_or_b32 exec_lo, exec_lo, s8
.LBB118_864:
	s_and_saveexec_b32 s4, s5
	s_cbranch_execz .LBB118_866
; %bb.865:
	v_mov_b32_e32 v0, s64
	buffer_store_dword v2, v0, s[0:3], 0 offen offset:4
	buffer_store_dword v1, v0, s[0:3], 0 offen
.LBB118_866:
	s_or_b32 exec_lo, exec_lo, s4
	s_clause 0x3
	buffer_load_dword v0, off, s[0:3], 0
	buffer_load_dword v1, off, s[0:3], 0 offset:4
	buffer_load_dword v2, off, s[0:3], 0 offset:8
	;; [unrolled: 1-line block ×3, first 2 shown]
	v_mov_b32_e32 v4, s61
	s_waitcnt vmcnt(0)
	flat_store_dwordx4 v[5:6], v[0:3]
	s_clause 0x3
	buffer_load_dword v0, v4, s[0:3], 0 offen
	buffer_load_dword v1, v4, s[0:3], 0 offen offset:4
	buffer_load_dword v2, v4, s[0:3], 0 offen offset:8
	buffer_load_dword v3, v4, s[0:3], 0 offen offset:12
	v_mov_b32_e32 v4, s60
	s_waitcnt vmcnt(0)
	flat_store_dwordx4 v[59:60], v[0:3]
	s_clause 0x3
	buffer_load_dword v0, v4, s[0:3], 0 offen
	buffer_load_dword v1, v4, s[0:3], 0 offen offset:4
	buffer_load_dword v2, v4, s[0:3], 0 offen offset:8
	buffer_load_dword v3, v4, s[0:3], 0 offen offset:12
	;; [unrolled: 8-line block ×54, first 2 shown]
	s_waitcnt vmcnt(0)
	flat_store_dwordx4 v[113:114], v[0:3]
.LBB118_867:
	s_endpgm
	.section	.rodata,"a",@progbits
	.p2align	6, 0x0
	.amdhsa_kernel _ZN9rocsolver6v33100L18trti2_kernel_smallILi55E19rocblas_complex_numIdEPKPS3_EEv13rocblas_fill_17rocblas_diagonal_T1_iil
		.amdhsa_group_segment_fixed_size 1760
		.amdhsa_private_segment_fixed_size 896
		.amdhsa_kernarg_size 32
		.amdhsa_user_sgpr_count 6
		.amdhsa_user_sgpr_private_segment_buffer 1
		.amdhsa_user_sgpr_dispatch_ptr 0
		.amdhsa_user_sgpr_queue_ptr 0
		.amdhsa_user_sgpr_kernarg_segment_ptr 1
		.amdhsa_user_sgpr_dispatch_id 0
		.amdhsa_user_sgpr_flat_scratch_init 0
		.amdhsa_user_sgpr_private_segment_size 0
		.amdhsa_wavefront_size32 1
		.amdhsa_uses_dynamic_stack 0
		.amdhsa_system_sgpr_private_segment_wavefront_offset 1
		.amdhsa_system_sgpr_workgroup_id_x 1
		.amdhsa_system_sgpr_workgroup_id_y 0
		.amdhsa_system_sgpr_workgroup_id_z 0
		.amdhsa_system_sgpr_workgroup_info 0
		.amdhsa_system_vgpr_workitem_id 0
		.amdhsa_next_free_vgpr 132
		.amdhsa_next_free_sgpr 87
		.amdhsa_reserve_vcc 1
		.amdhsa_reserve_flat_scratch 0
		.amdhsa_float_round_mode_32 0
		.amdhsa_float_round_mode_16_64 0
		.amdhsa_float_denorm_mode_32 3
		.amdhsa_float_denorm_mode_16_64 3
		.amdhsa_dx10_clamp 1
		.amdhsa_ieee_mode 1
		.amdhsa_fp16_overflow 0
		.amdhsa_workgroup_processor_mode 1
		.amdhsa_memory_ordered 1
		.amdhsa_forward_progress 1
		.amdhsa_shared_vgpr_count 0
		.amdhsa_exception_fp_ieee_invalid_op 0
		.amdhsa_exception_fp_denorm_src 0
		.amdhsa_exception_fp_ieee_div_zero 0
		.amdhsa_exception_fp_ieee_overflow 0
		.amdhsa_exception_fp_ieee_underflow 0
		.amdhsa_exception_fp_ieee_inexact 0
		.amdhsa_exception_int_div_zero 0
	.end_amdhsa_kernel
	.section	.text._ZN9rocsolver6v33100L18trti2_kernel_smallILi55E19rocblas_complex_numIdEPKPS3_EEv13rocblas_fill_17rocblas_diagonal_T1_iil,"axG",@progbits,_ZN9rocsolver6v33100L18trti2_kernel_smallILi55E19rocblas_complex_numIdEPKPS3_EEv13rocblas_fill_17rocblas_diagonal_T1_iil,comdat
.Lfunc_end118:
	.size	_ZN9rocsolver6v33100L18trti2_kernel_smallILi55E19rocblas_complex_numIdEPKPS3_EEv13rocblas_fill_17rocblas_diagonal_T1_iil, .Lfunc_end118-_ZN9rocsolver6v33100L18trti2_kernel_smallILi55E19rocblas_complex_numIdEPKPS3_EEv13rocblas_fill_17rocblas_diagonal_T1_iil
                                        ; -- End function
	.set _ZN9rocsolver6v33100L18trti2_kernel_smallILi55E19rocblas_complex_numIdEPKPS3_EEv13rocblas_fill_17rocblas_diagonal_T1_iil.num_vgpr, 132
	.set _ZN9rocsolver6v33100L18trti2_kernel_smallILi55E19rocblas_complex_numIdEPKPS3_EEv13rocblas_fill_17rocblas_diagonal_T1_iil.num_agpr, 0
	.set _ZN9rocsolver6v33100L18trti2_kernel_smallILi55E19rocblas_complex_numIdEPKPS3_EEv13rocblas_fill_17rocblas_diagonal_T1_iil.numbered_sgpr, 87
	.set _ZN9rocsolver6v33100L18trti2_kernel_smallILi55E19rocblas_complex_numIdEPKPS3_EEv13rocblas_fill_17rocblas_diagonal_T1_iil.num_named_barrier, 0
	.set _ZN9rocsolver6v33100L18trti2_kernel_smallILi55E19rocblas_complex_numIdEPKPS3_EEv13rocblas_fill_17rocblas_diagonal_T1_iil.private_seg_size, 896
	.set _ZN9rocsolver6v33100L18trti2_kernel_smallILi55E19rocblas_complex_numIdEPKPS3_EEv13rocblas_fill_17rocblas_diagonal_T1_iil.uses_vcc, 1
	.set _ZN9rocsolver6v33100L18trti2_kernel_smallILi55E19rocblas_complex_numIdEPKPS3_EEv13rocblas_fill_17rocblas_diagonal_T1_iil.uses_flat_scratch, 0
	.set _ZN9rocsolver6v33100L18trti2_kernel_smallILi55E19rocblas_complex_numIdEPKPS3_EEv13rocblas_fill_17rocblas_diagonal_T1_iil.has_dyn_sized_stack, 0
	.set _ZN9rocsolver6v33100L18trti2_kernel_smallILi55E19rocblas_complex_numIdEPKPS3_EEv13rocblas_fill_17rocblas_diagonal_T1_iil.has_recursion, 0
	.set _ZN9rocsolver6v33100L18trti2_kernel_smallILi55E19rocblas_complex_numIdEPKPS3_EEv13rocblas_fill_17rocblas_diagonal_T1_iil.has_indirect_call, 0
	.section	.AMDGPU.csdata,"",@progbits
; Kernel info:
; codeLenInByte = 56096
; TotalNumSgprs: 89
; NumVgprs: 132
; ScratchSize: 896
; MemoryBound: 0
; FloatMode: 240
; IeeeMode: 1
; LDSByteSize: 1760 bytes/workgroup (compile time only)
; SGPRBlocks: 0
; VGPRBlocks: 16
; NumSGPRsForWavesPerEU: 89
; NumVGPRsForWavesPerEU: 132
; Occupancy: 7
; WaveLimiterHint : 1
; COMPUTE_PGM_RSRC2:SCRATCH_EN: 1
; COMPUTE_PGM_RSRC2:USER_SGPR: 6
; COMPUTE_PGM_RSRC2:TRAP_HANDLER: 0
; COMPUTE_PGM_RSRC2:TGID_X_EN: 1
; COMPUTE_PGM_RSRC2:TGID_Y_EN: 0
; COMPUTE_PGM_RSRC2:TGID_Z_EN: 0
; COMPUTE_PGM_RSRC2:TIDIG_COMP_CNT: 0
	.section	.text._ZN9rocsolver6v33100L18trti2_kernel_smallILi56E19rocblas_complex_numIdEPKPS3_EEv13rocblas_fill_17rocblas_diagonal_T1_iil,"axG",@progbits,_ZN9rocsolver6v33100L18trti2_kernel_smallILi56E19rocblas_complex_numIdEPKPS3_EEv13rocblas_fill_17rocblas_diagonal_T1_iil,comdat
	.globl	_ZN9rocsolver6v33100L18trti2_kernel_smallILi56E19rocblas_complex_numIdEPKPS3_EEv13rocblas_fill_17rocblas_diagonal_T1_iil ; -- Begin function _ZN9rocsolver6v33100L18trti2_kernel_smallILi56E19rocblas_complex_numIdEPKPS3_EEv13rocblas_fill_17rocblas_diagonal_T1_iil
	.p2align	8
	.type	_ZN9rocsolver6v33100L18trti2_kernel_smallILi56E19rocblas_complex_numIdEPKPS3_EEv13rocblas_fill_17rocblas_diagonal_T1_iil,@function
_ZN9rocsolver6v33100L18trti2_kernel_smallILi56E19rocblas_complex_numIdEPKPS3_EEv13rocblas_fill_17rocblas_diagonal_T1_iil: ; @_ZN9rocsolver6v33100L18trti2_kernel_smallILi56E19rocblas_complex_numIdEPKPS3_EEv13rocblas_fill_17rocblas_diagonal_T1_iil
; %bb.0:
	s_add_u32 s0, s0, s7
	s_addc_u32 s1, s1, 0
	s_mov_b32 s7, exec_lo
	v_cmpx_gt_u32_e32 56, v0
	s_cbranch_execz .LBB119_883
; %bb.1:
	s_clause 0x1
	s_load_dwordx2 s[12:13], s[4:5], 0x10
	s_load_dwordx4 s[8:11], s[4:5], 0x0
	s_ashr_i32 s7, s6, 31
	v_lshlrev_b32_e32 v123, 4, v0
	s_lshl_b64 s[4:5], s[6:7], 3
	s_movk_i32 s14, 0xd0
	s_movk_i32 s15, 0xe0
	;; [unrolled: 1-line block ×15, first 2 shown]
	s_waitcnt lgkmcnt(0)
	s_ashr_i32 s7, s12, 31
	s_add_u32 s4, s10, s4
	s_addc_u32 s5, s11, s5
	s_mov_b32 s6, s12
	s_load_dwordx2 s[4:5], s[4:5], 0x0
	s_lshl_b64 s[6:7], s[6:7], 4
	v_add3_u32 v7, s13, s13, v0
	s_movk_i32 s10, 0x90
	s_movk_i32 s11, 0xa0
	;; [unrolled: 1-line block ×4, first 2 shown]
	v_ashrrev_i32_e32 v8, 31, v7
	s_movk_i32 s30, 0x1d0
	s_movk_i32 s31, 0x1e0
	;; [unrolled: 1-line block ×4, first 2 shown]
	v_lshlrev_b64 v[8:9], 4, v[7:8]
	v_add_nc_u32_e32 v7, s13, v7
	s_movk_i32 s66, 0x210
	s_movk_i32 s67, 0x220
	;; [unrolled: 1-line block ×6, first 2 shown]
	s_waitcnt lgkmcnt(0)
	s_add_u32 s6, s4, s6
	s_addc_u32 s7, s5, s7
	v_add_co_u32 v5, s4, s6, v123
	v_add_co_ci_u32_e64 v6, null, s7, 0, s4
	s_mov_b32 s4, s13
	s_ashr_i32 s5, s13, 31
	s_movk_i32 s72, 0x270
	flat_load_dwordx4 v[1:4], v[5:6]
	s_lshl_b64 s[4:5], s[4:5], 4
	s_cmpk_lg_i32 s9, 0x84
	v_add_co_u32 v59, vcc_lo, v5, s4
	v_add_co_ci_u32_e64 v60, null, s5, v6, vcc_lo
	v_add_co_u32 v57, vcc_lo, s6, v8
	v_add_co_ci_u32_e64 v58, null, s7, v9, vcc_lo
	v_ashrrev_i32_e32 v8, 31, v7
	s_movk_i32 s4, 0x50
	s_movk_i32 s5, 0x60
	;; [unrolled: 1-line block ×4, first 2 shown]
	v_lshlrev_b64 v[8:9], 4, v[7:8]
	v_add_nc_u32_e32 v7, s13, v7
	s_movk_i32 s75, 0x2a0
	s_movk_i32 s76, 0x2b0
	;; [unrolled: 1-line block ×4, first 2 shown]
	v_add_co_u32 v55, vcc_lo, s6, v8
	v_add_co_ci_u32_e64 v56, null, s7, v9, vcc_lo
	v_ashrrev_i32_e32 v8, 31, v7
	s_movk_i32 s79, 0x2e0
	s_movk_i32 s80, 0x2f0
	;; [unrolled: 1-line block ×4, first 2 shown]
	v_lshlrev_b64 v[8:9], 4, v[7:8]
	v_add_nc_u32_e32 v7, s13, v7
	s_movk_i32 s83, 0x320
	s_movk_i32 s84, 0x330
	s_movk_i32 s85, 0x340
	s_movk_i32 s86, 0x350
	v_add_co_u32 v53, vcc_lo, s6, v8
	v_add_co_ci_u32_e64 v54, null, s7, v9, vcc_lo
	v_ashrrev_i32_e32 v8, 31, v7
	s_movk_i32 s87, 0x360
	s_movk_i32 s88, 0x370
	s_cselect_b32 s64, -1, 0
	s_cmpk_eq_i32 s9, 0x84
	v_lshlrev_b64 v[8:9], 4, v[7:8]
	v_add_nc_u32_e32 v7, s13, v7
	s_waitcnt vmcnt(0) lgkmcnt(0)
	buffer_store_dword v4, off, s[0:3], 0 offset:12
	buffer_store_dword v3, off, s[0:3], 0 offset:8
	buffer_store_dword v2, off, s[0:3], 0 offset:4
	buffer_store_dword v1, off, s[0:3], 0
	flat_load_dwordx4 v[1:4], v[59:60]
	v_add_co_u32 v49, vcc_lo, s6, v8
	v_add_co_ci_u32_e64 v50, null, s7, v9, vcc_lo
	v_ashrrev_i32_e32 v8, 31, v7
	s_waitcnt vmcnt(0) lgkmcnt(0)
	buffer_store_dword v4, off, s[0:3], 0 offset:28
	buffer_store_dword v3, off, s[0:3], 0 offset:24
	buffer_store_dword v2, off, s[0:3], 0 offset:20
	buffer_store_dword v1, off, s[0:3], 0 offset:16
	flat_load_dwordx4 v[1:4], v[57:58]
	v_lshlrev_b64 v[8:9], 4, v[7:8]
	v_add_nc_u32_e32 v7, s13, v7
	s_waitcnt vmcnt(0) lgkmcnt(0)
	buffer_store_dword v4, off, s[0:3], 0 offset:44
	buffer_store_dword v3, off, s[0:3], 0 offset:40
	buffer_store_dword v2, off, s[0:3], 0 offset:36
	buffer_store_dword v1, off, s[0:3], 0 offset:32
	flat_load_dwordx4 v[1:4], v[55:56]
	v_add_co_u32 v47, vcc_lo, s6, v8
	v_add_co_ci_u32_e64 v48, null, s7, v9, vcc_lo
	v_ashrrev_i32_e32 v8, 31, v7
	s_waitcnt vmcnt(0) lgkmcnt(0)
	buffer_store_dword v4, off, s[0:3], 0 offset:60
	buffer_store_dword v3, off, s[0:3], 0 offset:56
	buffer_store_dword v2, off, s[0:3], 0 offset:52
	buffer_store_dword v1, off, s[0:3], 0 offset:48
	flat_load_dwordx4 v[1:4], v[53:54]
	v_lshlrev_b64 v[8:9], 4, v[7:8]
	v_add_nc_u32_e32 v7, s13, v7
	s_waitcnt vmcnt(0) lgkmcnt(0)
	buffer_store_dword v4, off, s[0:3], 0 offset:76
	buffer_store_dword v3, off, s[0:3], 0 offset:72
	buffer_store_dword v2, off, s[0:3], 0 offset:68
	buffer_store_dword v1, off, s[0:3], 0 offset:64
	;; [unrolled: 17-line block ×4, first 2 shown]
	v_add_co_u32 v41, vcc_lo, s6, v8
	v_add_co_ci_u32_e64 v42, null, s7, v9, vcc_lo
	v_ashrrev_i32_e32 v8, 31, v7
	flat_load_dwordx4 v[1:4], v[41:42]
	s_waitcnt vmcnt(0) lgkmcnt(0)
	buffer_store_dword v4, off, s[0:3], 0 offset:156
	buffer_store_dword v3, off, s[0:3], 0 offset:152
	buffer_store_dword v2, off, s[0:3], 0 offset:148
	buffer_store_dword v1, off, s[0:3], 0 offset:144
	v_lshlrev_b64 v[8:9], 4, v[7:8]
	v_add_nc_u32_e32 v7, s13, v7
	v_add_co_u32 v39, vcc_lo, s6, v8
	v_add_co_ci_u32_e64 v40, null, s7, v9, vcc_lo
	v_ashrrev_i32_e32 v8, 31, v7
	flat_load_dwordx4 v[1:4], v[39:40]
	s_waitcnt vmcnt(0) lgkmcnt(0)
	buffer_store_dword v4, off, s[0:3], 0 offset:172
	buffer_store_dword v3, off, s[0:3], 0 offset:168
	buffer_store_dword v2, off, s[0:3], 0 offset:164
	buffer_store_dword v1, off, s[0:3], 0 offset:160
	v_lshlrev_b64 v[8:9], 4, v[7:8]
	v_add_nc_u32_e32 v7, s13, v7
	;; [unrolled: 11-line block ×14, first 2 shown]
	v_add_co_u32 v11, vcc_lo, s6, v8
	v_add_co_ci_u32_e64 v12, null, s7, v9, vcc_lo
	v_ashrrev_i32_e32 v8, 31, v7
	v_add_nc_u32_e32 v33, s13, v7
	flat_load_dwordx4 v[1:4], v[11:12]
	s_waitcnt vmcnt(0) lgkmcnt(0)
	buffer_store_dword v4, off, s[0:3], 0 offset:380
	buffer_store_dword v3, off, s[0:3], 0 offset:376
	;; [unrolled: 1-line block ×4, first 2 shown]
	v_lshlrev_b64 v[9:10], 4, v[7:8]
	v_ashrrev_i32_e32 v34, 31, v33
	v_add_nc_u32_e32 v51, s13, v33
	v_add_co_u32 v9, vcc_lo, s6, v9
	v_add_co_ci_u32_e64 v10, null, s7, v10, vcc_lo
	v_lshlrev_b64 v[7:8], 4, v[33:34]
	v_ashrrev_i32_e32 v52, 31, v51
	v_add_nc_u32_e32 v61, s13, v51
	flat_load_dwordx4 v[1:4], v[9:10]
	s_waitcnt vmcnt(0) lgkmcnt(0)
	buffer_store_dword v4, off, s[0:3], 0 offset:396
	buffer_store_dword v3, off, s[0:3], 0 offset:392
	buffer_store_dword v2, off, s[0:3], 0 offset:388
	buffer_store_dword v1, off, s[0:3], 0 offset:384
	v_add_co_u32 v7, vcc_lo, s6, v7
	v_add_co_ci_u32_e64 v8, null, s7, v8, vcc_lo
	v_lshlrev_b64 v[33:34], 4, v[51:52]
	v_ashrrev_i32_e32 v62, 31, v61
	v_add_nc_u32_e32 v63, s13, v61
	flat_load_dwordx4 v[1:4], v[7:8]
	s_waitcnt vmcnt(0) lgkmcnt(0)
	buffer_store_dword v4, off, s[0:3], 0 offset:412
	buffer_store_dword v3, off, s[0:3], 0 offset:408
	buffer_store_dword v2, off, s[0:3], 0 offset:404
	buffer_store_dword v1, off, s[0:3], 0 offset:400
	;; [unrolled: 11-line block ×28, first 2 shown]
	v_add_co_u32 v109, vcc_lo, s6, v109
	v_add_co_ci_u32_e64 v110, null, s7, v110, vcc_lo
	v_lshlrev_b64 v[111:112], 4, v[113:114]
	v_ashrrev_i32_e32 v116, 31, v115
	flat_load_dwordx4 v[1:4], v[109:110]
	s_waitcnt vmcnt(0) lgkmcnt(0)
	buffer_store_dword v4, off, s[0:3], 0 offset:844
	buffer_store_dword v3, off, s[0:3], 0 offset:840
	;; [unrolled: 1-line block ×4, first 2 shown]
	v_add_co_u32 v111, vcc_lo, s6, v111
	v_add_co_ci_u32_e64 v112, null, s7, v112, vcc_lo
	v_lshlrev_b64 v[113:114], 4, v[115:116]
	v_add_nc_u32_e32 v115, s13, v115
	s_movk_i32 s13, 0xc0
	flat_load_dwordx4 v[1:4], v[111:112]
	s_waitcnt vmcnt(0) lgkmcnt(0)
	buffer_store_dword v4, off, s[0:3], 0 offset:860
	buffer_store_dword v3, off, s[0:3], 0 offset:856
	;; [unrolled: 1-line block ×4, first 2 shown]
	v_add_co_u32 v113, vcc_lo, s6, v113
	v_add_co_ci_u32_e64 v114, null, s7, v114, vcc_lo
	v_ashrrev_i32_e32 v116, 31, v115
	flat_load_dwordx4 v[1:4], v[113:114]
	s_waitcnt vmcnt(0) lgkmcnt(0)
	buffer_store_dword v4, off, s[0:3], 0 offset:876
	buffer_store_dword v3, off, s[0:3], 0 offset:872
	;; [unrolled: 1-line block ×4, first 2 shown]
	v_lshlrev_b64 v[115:116], 4, v[115:116]
	v_add_co_u32 v115, vcc_lo, s6, v115
	v_add_co_ci_u32_e64 v116, null, s7, v116, vcc_lo
	s_movk_i32 s6, 0x70
	s_movk_i32 s7, 0x80
	flat_load_dwordx4 v[1:4], v[115:116]
	s_waitcnt vmcnt(0) lgkmcnt(0)
	buffer_store_dword v4, off, s[0:3], 0 offset:892
	buffer_store_dword v3, off, s[0:3], 0 offset:888
	;; [unrolled: 1-line block ×4, first 2 shown]
	s_cbranch_scc1 .LBB119_7
; %bb.2:
	v_lshl_add_u32 v124, v0, 4, 0
                                        ; implicit-def: $vgpr119_vgpr120
                                        ; implicit-def: $vgpr3_vgpr4
	s_clause 0x3
	buffer_load_dword v117, v124, s[0:3], 0 offen
	buffer_load_dword v118, v124, s[0:3], 0 offen offset:4
	buffer_load_dword v121, v124, s[0:3], 0 offen offset:8
	;; [unrolled: 1-line block ×3, first 2 shown]
	s_waitcnt vmcnt(0)
	v_cmp_ngt_f64_e64 s9, |v[117:118]|, |v[121:122]|
	s_and_saveexec_b32 s34, s9
	s_xor_b32 s9, exec_lo, s34
	s_cbranch_execz .LBB119_4
; %bb.3:
	v_div_scale_f64 v[1:2], null, v[121:122], v[121:122], v[117:118]
	v_div_scale_f64 v[125:126], vcc_lo, v[117:118], v[121:122], v[117:118]
	v_rcp_f64_e32 v[3:4], v[1:2]
	v_fma_f64 v[119:120], -v[1:2], v[3:4], 1.0
	v_fma_f64 v[3:4], v[3:4], v[119:120], v[3:4]
	v_fma_f64 v[119:120], -v[1:2], v[3:4], 1.0
	v_fma_f64 v[3:4], v[3:4], v[119:120], v[3:4]
	v_mul_f64 v[119:120], v[125:126], v[3:4]
	v_fma_f64 v[1:2], -v[1:2], v[119:120], v[125:126]
	v_div_fmas_f64 v[1:2], v[1:2], v[3:4], v[119:120]
	v_div_fixup_f64 v[1:2], v[1:2], v[121:122], v[117:118]
	v_fma_f64 v[3:4], v[117:118], v[1:2], v[121:122]
	v_div_scale_f64 v[117:118], null, v[3:4], v[3:4], 1.0
	v_div_scale_f64 v[125:126], vcc_lo, 1.0, v[3:4], 1.0
	v_rcp_f64_e32 v[119:120], v[117:118]
	v_fma_f64 v[121:122], -v[117:118], v[119:120], 1.0
	v_fma_f64 v[119:120], v[119:120], v[121:122], v[119:120]
	v_fma_f64 v[121:122], -v[117:118], v[119:120], 1.0
	v_fma_f64 v[119:120], v[119:120], v[121:122], v[119:120]
	v_mul_f64 v[121:122], v[125:126], v[119:120]
	v_fma_f64 v[117:118], -v[117:118], v[121:122], v[125:126]
	v_div_fmas_f64 v[117:118], v[117:118], v[119:120], v[121:122]
                                        ; implicit-def: $vgpr121_vgpr122
	v_div_fixup_f64 v[3:4], v[117:118], v[3:4], 1.0
                                        ; implicit-def: $vgpr117_vgpr118
	v_mul_f64 v[119:120], v[1:2], v[3:4]
	v_xor_b32_e32 v4, 0x80000000, v4
	v_xor_b32_e32 v2, 0x80000000, v120
	v_mov_b32_e32 v1, v119
.LBB119_4:
	s_andn2_saveexec_b32 s9, s9
	s_cbranch_execz .LBB119_6
; %bb.5:
	v_div_scale_f64 v[1:2], null, v[117:118], v[117:118], v[121:122]
	v_div_scale_f64 v[125:126], vcc_lo, v[121:122], v[117:118], v[121:122]
	v_rcp_f64_e32 v[3:4], v[1:2]
	v_fma_f64 v[119:120], -v[1:2], v[3:4], 1.0
	v_fma_f64 v[3:4], v[3:4], v[119:120], v[3:4]
	v_fma_f64 v[119:120], -v[1:2], v[3:4], 1.0
	v_fma_f64 v[3:4], v[3:4], v[119:120], v[3:4]
	v_mul_f64 v[119:120], v[125:126], v[3:4]
	v_fma_f64 v[1:2], -v[1:2], v[119:120], v[125:126]
	v_div_fmas_f64 v[1:2], v[1:2], v[3:4], v[119:120]
	v_div_fixup_f64 v[1:2], v[1:2], v[117:118], v[121:122]
	v_fma_f64 v[3:4], v[121:122], v[1:2], v[117:118]
	v_div_scale_f64 v[117:118], null, v[3:4], v[3:4], 1.0
	v_rcp_f64_e32 v[119:120], v[117:118]
	v_fma_f64 v[121:122], -v[117:118], v[119:120], 1.0
	v_fma_f64 v[119:120], v[119:120], v[121:122], v[119:120]
	v_fma_f64 v[121:122], -v[117:118], v[119:120], 1.0
	v_fma_f64 v[119:120], v[119:120], v[121:122], v[119:120]
	v_div_scale_f64 v[121:122], vcc_lo, 1.0, v[3:4], 1.0
	v_mul_f64 v[125:126], v[121:122], v[119:120]
	v_fma_f64 v[117:118], -v[117:118], v[125:126], v[121:122]
	v_div_fmas_f64 v[117:118], v[117:118], v[119:120], v[125:126]
	v_div_fixup_f64 v[119:120], v[117:118], v[3:4], 1.0
	v_mul_f64 v[3:4], v[1:2], -v[119:120]
	v_xor_b32_e32 v2, 0x80000000, v120
	v_mov_b32_e32 v1, v119
.LBB119_6:
	s_or_b32 exec_lo, exec_lo, s9
	buffer_store_dword v4, v124, s[0:3], 0 offen offset:12
	v_xor_b32_e32 v4, 0x80000000, v4
	buffer_store_dword v120, v124, s[0:3], 0 offen offset:4
	buffer_store_dword v119, v124, s[0:3], 0 offen
	buffer_store_dword v3, v124, s[0:3], 0 offen offset:8
	s_branch .LBB119_8
.LBB119_7:
	v_mov_b32_e32 v1, 0
	v_mov_b32_e32 v3, 0
	;; [unrolled: 1-line block ×4, first 2 shown]
.LBB119_8:
	v_add_nc_u32_e32 v118, 0x380, v123
	v_mov_b32_e32 v117, v123
	s_mov_b32 s63, 16
	s_mov_b32 s62, 32
	;; [unrolled: 1-line block ×54, first 2 shown]
	s_cmpk_eq_i32 s8, 0x79
	ds_write_b128 v123, v[1:4]
	s_cbranch_scc1 .LBB119_444
; %bb.9:
	v_mov_b32_e32 v4, s9
	v_cmp_eq_u32_e64 s4, 55, v0
	s_clause 0x3
	buffer_load_dword v1, v4, s[0:3], 0 offen
	buffer_load_dword v2, v4, s[0:3], 0 offen offset:4
	buffer_load_dword v3, v4, s[0:3], 0 offen offset:8
	;; [unrolled: 1-line block ×3, first 2 shown]
	s_waitcnt vmcnt(0)
	ds_write_b128 v118, v[1:4]
	s_waitcnt lgkmcnt(0)
	s_waitcnt_vscnt null, 0x0
	s_barrier
	buffer_gl0_inv
	s_and_saveexec_b32 s5, s4
	s_cbranch_execz .LBB119_13
; %bb.10:
	ds_read_b128 v[1:4], v118
	s_andn2_b32 vcc_lo, exec_lo, s64
	s_cbranch_vccnz .LBB119_12
; %bb.11:
	s_clause 0x3
	buffer_load_dword v119, v117, s[0:3], 0 offen offset:8
	buffer_load_dword v120, v117, s[0:3], 0 offen offset:12
	buffer_load_dword v121, v117, s[0:3], 0 offen
	buffer_load_dword v122, v117, s[0:3], 0 offen offset:4
	s_waitcnt vmcnt(2) lgkmcnt(0)
	v_mul_f64 v[124:125], v[3:4], v[119:120]
	v_mul_f64 v[119:120], v[1:2], v[119:120]
	s_waitcnt vmcnt(0)
	v_fma_f64 v[1:2], v[1:2], v[121:122], -v[124:125]
	v_fma_f64 v[3:4], v[3:4], v[121:122], v[119:120]
.LBB119_12:
	v_mov_b32_e32 v119, 0
	ds_read_b128 v[119:122], v119 offset:864
	s_waitcnt lgkmcnt(0)
	v_mul_f64 v[124:125], v[3:4], v[121:122]
	v_mul_f64 v[121:122], v[1:2], v[121:122]
	v_fma_f64 v[1:2], v[1:2], v[119:120], -v[124:125]
	v_fma_f64 v[3:4], v[3:4], v[119:120], v[121:122]
	buffer_store_dword v2, off, s[0:3], 0 offset:868
	buffer_store_dword v1, off, s[0:3], 0 offset:864
	;; [unrolled: 1-line block ×4, first 2 shown]
.LBB119_13:
	s_or_b32 exec_lo, exec_lo, s5
	v_mov_b32_e32 v4, s10
	v_cmp_lt_u32_e64 s5, 53, v0
	s_clause 0x3
	buffer_load_dword v1, v4, s[0:3], 0 offen
	buffer_load_dword v2, v4, s[0:3], 0 offen offset:4
	buffer_load_dword v3, v4, s[0:3], 0 offen offset:8
	;; [unrolled: 1-line block ×3, first 2 shown]
	s_waitcnt vmcnt(0)
	ds_write_b128 v118, v[1:4]
	s_waitcnt lgkmcnt(0)
	s_waitcnt_vscnt null, 0x0
	s_barrier
	buffer_gl0_inv
	s_and_saveexec_b32 s6, s5
	s_cbranch_execz .LBB119_19
; %bb.14:
	ds_read_b128 v[1:4], v118
	s_andn2_b32 vcc_lo, exec_lo, s64
	s_cbranch_vccnz .LBB119_16
; %bb.15:
	s_clause 0x3
	buffer_load_dword v119, v117, s[0:3], 0 offen offset:8
	buffer_load_dword v120, v117, s[0:3], 0 offen offset:12
	buffer_load_dword v121, v117, s[0:3], 0 offen
	buffer_load_dword v122, v117, s[0:3], 0 offen offset:4
	s_waitcnt vmcnt(2) lgkmcnt(0)
	v_mul_f64 v[124:125], v[3:4], v[119:120]
	v_mul_f64 v[119:120], v[1:2], v[119:120]
	s_waitcnt vmcnt(0)
	v_fma_f64 v[1:2], v[1:2], v[121:122], -v[124:125]
	v_fma_f64 v[3:4], v[3:4], v[121:122], v[119:120]
.LBB119_16:
	s_and_saveexec_b32 s8, s4
	s_cbranch_execz .LBB119_18
; %bb.17:
	s_clause 0x3
	buffer_load_dword v124, off, s[0:3], 0 offset:872
	buffer_load_dword v125, off, s[0:3], 0 offset:876
	buffer_load_dword v126, off, s[0:3], 0 offset:864
	buffer_load_dword v127, off, s[0:3], 0 offset:868
	v_mov_b32_e32 v119, 0
	ds_read_b128 v[119:122], v119 offset:1760
	s_waitcnt vmcnt(2) lgkmcnt(0)
	v_mul_f64 v[128:129], v[119:120], v[124:125]
	v_mul_f64 v[124:125], v[121:122], v[124:125]
	s_waitcnt vmcnt(0)
	v_fma_f64 v[121:122], v[121:122], v[126:127], v[128:129]
	v_fma_f64 v[119:120], v[119:120], v[126:127], -v[124:125]
	v_add_f64 v[3:4], v[3:4], v[121:122]
	v_add_f64 v[1:2], v[1:2], v[119:120]
.LBB119_18:
	s_or_b32 exec_lo, exec_lo, s8
	v_mov_b32_e32 v119, 0
	ds_read_b128 v[119:122], v119 offset:848
	s_waitcnt lgkmcnt(0)
	v_mul_f64 v[124:125], v[3:4], v[121:122]
	v_mul_f64 v[121:122], v[1:2], v[121:122]
	v_fma_f64 v[1:2], v[1:2], v[119:120], -v[124:125]
	v_fma_f64 v[3:4], v[3:4], v[119:120], v[121:122]
	buffer_store_dword v2, off, s[0:3], 0 offset:852
	buffer_store_dword v1, off, s[0:3], 0 offset:848
	;; [unrolled: 1-line block ×4, first 2 shown]
.LBB119_19:
	s_or_b32 exec_lo, exec_lo, s6
	v_mov_b32_e32 v4, s11
	v_cmp_lt_u32_e64 s4, 52, v0
	s_clause 0x3
	buffer_load_dword v1, v4, s[0:3], 0 offen
	buffer_load_dword v2, v4, s[0:3], 0 offen offset:4
	buffer_load_dword v3, v4, s[0:3], 0 offen offset:8
	;; [unrolled: 1-line block ×3, first 2 shown]
	s_waitcnt vmcnt(0)
	ds_write_b128 v118, v[1:4]
	s_waitcnt lgkmcnt(0)
	s_waitcnt_vscnt null, 0x0
	s_barrier
	buffer_gl0_inv
	s_and_saveexec_b32 s6, s4
	s_cbranch_execz .LBB119_27
; %bb.20:
	ds_read_b128 v[1:4], v118
	s_andn2_b32 vcc_lo, exec_lo, s64
	s_cbranch_vccnz .LBB119_22
; %bb.21:
	s_clause 0x3
	buffer_load_dword v119, v117, s[0:3], 0 offen offset:8
	buffer_load_dword v120, v117, s[0:3], 0 offen offset:12
	buffer_load_dword v121, v117, s[0:3], 0 offen
	buffer_load_dword v122, v117, s[0:3], 0 offen offset:4
	s_waitcnt vmcnt(2) lgkmcnt(0)
	v_mul_f64 v[124:125], v[3:4], v[119:120]
	v_mul_f64 v[119:120], v[1:2], v[119:120]
	s_waitcnt vmcnt(0)
	v_fma_f64 v[1:2], v[1:2], v[121:122], -v[124:125]
	v_fma_f64 v[3:4], v[3:4], v[121:122], v[119:120]
.LBB119_22:
	s_and_saveexec_b32 s8, s5
	s_cbranch_execz .LBB119_26
; %bb.23:
	v_subrev_nc_u32_e32 v119, 53, v0
	s_movk_i32 s65, 0x6d0
	s_mov_b32 s5, 0
	s_mov_b32 s66, s10
	.p2align	6
.LBB119_24:                             ; =>This Inner Loop Header: Depth=1
	v_mov_b32_e32 v122, s66
	v_add_nc_u32_e32 v119, -1, v119
	s_add_i32 s66, s66, 16
	s_clause 0x3
	buffer_load_dword v120, v122, s[0:3], 0 offen offset:8
	buffer_load_dword v121, v122, s[0:3], 0 offen offset:12
	buffer_load_dword v128, v122, s[0:3], 0 offen
	buffer_load_dword v129, v122, s[0:3], 0 offen offset:4
	v_mov_b32_e32 v122, s65
	v_cmp_eq_u32_e32 vcc_lo, 0, v119
	s_add_i32 s65, s65, 16
	ds_read_b128 v[124:127], v122
	s_or_b32 s5, vcc_lo, s5
	s_waitcnt vmcnt(2) lgkmcnt(0)
	v_mul_f64 v[130:131], v[126:127], v[120:121]
	v_mul_f64 v[120:121], v[124:125], v[120:121]
	s_waitcnt vmcnt(0)
	v_fma_f64 v[124:125], v[124:125], v[128:129], -v[130:131]
	v_fma_f64 v[120:121], v[126:127], v[128:129], v[120:121]
	v_add_f64 v[1:2], v[1:2], v[124:125]
	v_add_f64 v[3:4], v[3:4], v[120:121]
	s_andn2_b32 exec_lo, exec_lo, s5
	s_cbranch_execnz .LBB119_24
; %bb.25:
	s_or_b32 exec_lo, exec_lo, s5
.LBB119_26:
	s_or_b32 exec_lo, exec_lo, s8
	v_mov_b32_e32 v119, 0
	ds_read_b128 v[119:122], v119 offset:832
	s_waitcnt lgkmcnt(0)
	v_mul_f64 v[124:125], v[3:4], v[121:122]
	v_mul_f64 v[121:122], v[1:2], v[121:122]
	v_fma_f64 v[1:2], v[1:2], v[119:120], -v[124:125]
	v_fma_f64 v[3:4], v[3:4], v[119:120], v[121:122]
	buffer_store_dword v2, off, s[0:3], 0 offset:836
	buffer_store_dword v1, off, s[0:3], 0 offset:832
	;; [unrolled: 1-line block ×4, first 2 shown]
.LBB119_27:
	s_or_b32 exec_lo, exec_lo, s6
	v_mov_b32_e32 v4, s12
	v_cmp_lt_u32_e64 s5, 51, v0
	s_clause 0x3
	buffer_load_dword v1, v4, s[0:3], 0 offen
	buffer_load_dword v2, v4, s[0:3], 0 offen offset:4
	buffer_load_dword v3, v4, s[0:3], 0 offen offset:8
	;; [unrolled: 1-line block ×3, first 2 shown]
	s_waitcnt vmcnt(0)
	ds_write_b128 v118, v[1:4]
	s_waitcnt lgkmcnt(0)
	s_waitcnt_vscnt null, 0x0
	s_barrier
	buffer_gl0_inv
	s_and_saveexec_b32 s6, s5
	s_cbranch_execz .LBB119_35
; %bb.28:
	ds_read_b128 v[1:4], v118
	s_andn2_b32 vcc_lo, exec_lo, s64
	s_cbranch_vccnz .LBB119_30
; %bb.29:
	s_clause 0x3
	buffer_load_dword v119, v117, s[0:3], 0 offen offset:8
	buffer_load_dword v120, v117, s[0:3], 0 offen offset:12
	buffer_load_dword v121, v117, s[0:3], 0 offen
	buffer_load_dword v122, v117, s[0:3], 0 offen offset:4
	s_waitcnt vmcnt(2) lgkmcnt(0)
	v_mul_f64 v[124:125], v[3:4], v[119:120]
	v_mul_f64 v[119:120], v[1:2], v[119:120]
	s_waitcnt vmcnt(0)
	v_fma_f64 v[1:2], v[1:2], v[121:122], -v[124:125]
	v_fma_f64 v[3:4], v[3:4], v[121:122], v[119:120]
.LBB119_30:
	s_and_saveexec_b32 s8, s4
	s_cbranch_execz .LBB119_34
; %bb.31:
	v_subrev_nc_u32_e32 v119, 52, v0
	s_movk_i32 s65, 0x6c0
	s_mov_b32 s4, 0
	s_mov_b32 s66, s11
	.p2align	6
.LBB119_32:                             ; =>This Inner Loop Header: Depth=1
	v_mov_b32_e32 v122, s66
	v_add_nc_u32_e32 v119, -1, v119
	s_add_i32 s66, s66, 16
	s_clause 0x3
	buffer_load_dword v120, v122, s[0:3], 0 offen offset:8
	buffer_load_dword v121, v122, s[0:3], 0 offen offset:12
	buffer_load_dword v128, v122, s[0:3], 0 offen
	buffer_load_dword v129, v122, s[0:3], 0 offen offset:4
	v_mov_b32_e32 v122, s65
	v_cmp_eq_u32_e32 vcc_lo, 0, v119
	s_add_i32 s65, s65, 16
	ds_read_b128 v[124:127], v122
	s_or_b32 s4, vcc_lo, s4
	s_waitcnt vmcnt(2) lgkmcnt(0)
	v_mul_f64 v[130:131], v[126:127], v[120:121]
	v_mul_f64 v[120:121], v[124:125], v[120:121]
	s_waitcnt vmcnt(0)
	v_fma_f64 v[124:125], v[124:125], v[128:129], -v[130:131]
	v_fma_f64 v[120:121], v[126:127], v[128:129], v[120:121]
	v_add_f64 v[1:2], v[1:2], v[124:125]
	v_add_f64 v[3:4], v[3:4], v[120:121]
	s_andn2_b32 exec_lo, exec_lo, s4
	s_cbranch_execnz .LBB119_32
; %bb.33:
	s_or_b32 exec_lo, exec_lo, s4
.LBB119_34:
	s_or_b32 exec_lo, exec_lo, s8
	v_mov_b32_e32 v119, 0
	ds_read_b128 v[119:122], v119 offset:816
	s_waitcnt lgkmcnt(0)
	v_mul_f64 v[124:125], v[3:4], v[121:122]
	v_mul_f64 v[121:122], v[1:2], v[121:122]
	v_fma_f64 v[1:2], v[1:2], v[119:120], -v[124:125]
	v_fma_f64 v[3:4], v[3:4], v[119:120], v[121:122]
	buffer_store_dword v2, off, s[0:3], 0 offset:820
	buffer_store_dword v1, off, s[0:3], 0 offset:816
	;; [unrolled: 1-line block ×4, first 2 shown]
.LBB119_35:
	s_or_b32 exec_lo, exec_lo, s6
	v_mov_b32_e32 v4, s13
	v_cmp_lt_u32_e64 s4, 50, v0
	s_clause 0x3
	buffer_load_dword v1, v4, s[0:3], 0 offen
	buffer_load_dword v2, v4, s[0:3], 0 offen offset:4
	buffer_load_dword v3, v4, s[0:3], 0 offen offset:8
	;; [unrolled: 1-line block ×3, first 2 shown]
	s_waitcnt vmcnt(0)
	ds_write_b128 v118, v[1:4]
	s_waitcnt lgkmcnt(0)
	s_waitcnt_vscnt null, 0x0
	s_barrier
	buffer_gl0_inv
	s_and_saveexec_b32 s6, s4
	s_cbranch_execz .LBB119_43
; %bb.36:
	ds_read_b128 v[1:4], v118
	s_andn2_b32 vcc_lo, exec_lo, s64
	s_cbranch_vccnz .LBB119_38
; %bb.37:
	s_clause 0x3
	buffer_load_dword v119, v117, s[0:3], 0 offen offset:8
	buffer_load_dword v120, v117, s[0:3], 0 offen offset:12
	buffer_load_dword v121, v117, s[0:3], 0 offen
	buffer_load_dword v122, v117, s[0:3], 0 offen offset:4
	s_waitcnt vmcnt(2) lgkmcnt(0)
	v_mul_f64 v[124:125], v[3:4], v[119:120]
	v_mul_f64 v[119:120], v[1:2], v[119:120]
	s_waitcnt vmcnt(0)
	v_fma_f64 v[1:2], v[1:2], v[121:122], -v[124:125]
	v_fma_f64 v[3:4], v[3:4], v[121:122], v[119:120]
.LBB119_38:
	s_and_saveexec_b32 s8, s5
	s_cbranch_execz .LBB119_42
; %bb.39:
	v_subrev_nc_u32_e32 v119, 51, v0
	s_movk_i32 s65, 0x6b0
	s_mov_b32 s5, 0
	s_mov_b32 s66, s12
	.p2align	6
.LBB119_40:                             ; =>This Inner Loop Header: Depth=1
	v_mov_b32_e32 v122, s66
	v_add_nc_u32_e32 v119, -1, v119
	s_add_i32 s66, s66, 16
	s_clause 0x3
	buffer_load_dword v120, v122, s[0:3], 0 offen offset:8
	buffer_load_dword v121, v122, s[0:3], 0 offen offset:12
	buffer_load_dword v128, v122, s[0:3], 0 offen
	buffer_load_dword v129, v122, s[0:3], 0 offen offset:4
	v_mov_b32_e32 v122, s65
	v_cmp_eq_u32_e32 vcc_lo, 0, v119
	s_add_i32 s65, s65, 16
	ds_read_b128 v[124:127], v122
	s_or_b32 s5, vcc_lo, s5
	s_waitcnt vmcnt(2) lgkmcnt(0)
	v_mul_f64 v[130:131], v[126:127], v[120:121]
	v_mul_f64 v[120:121], v[124:125], v[120:121]
	s_waitcnt vmcnt(0)
	v_fma_f64 v[124:125], v[124:125], v[128:129], -v[130:131]
	v_fma_f64 v[120:121], v[126:127], v[128:129], v[120:121]
	v_add_f64 v[1:2], v[1:2], v[124:125]
	v_add_f64 v[3:4], v[3:4], v[120:121]
	s_andn2_b32 exec_lo, exec_lo, s5
	s_cbranch_execnz .LBB119_40
; %bb.41:
	s_or_b32 exec_lo, exec_lo, s5
.LBB119_42:
	s_or_b32 exec_lo, exec_lo, s8
	v_mov_b32_e32 v119, 0
	ds_read_b128 v[119:122], v119 offset:800
	s_waitcnt lgkmcnt(0)
	v_mul_f64 v[124:125], v[3:4], v[121:122]
	v_mul_f64 v[121:122], v[1:2], v[121:122]
	v_fma_f64 v[1:2], v[1:2], v[119:120], -v[124:125]
	v_fma_f64 v[3:4], v[3:4], v[119:120], v[121:122]
	buffer_store_dword v2, off, s[0:3], 0 offset:804
	buffer_store_dword v1, off, s[0:3], 0 offset:800
	buffer_store_dword v4, off, s[0:3], 0 offset:812
	buffer_store_dword v3, off, s[0:3], 0 offset:808
.LBB119_43:
	s_or_b32 exec_lo, exec_lo, s6
	v_mov_b32_e32 v4, s14
	v_cmp_lt_u32_e64 s5, 49, v0
	s_clause 0x3
	buffer_load_dword v1, v4, s[0:3], 0 offen
	buffer_load_dword v2, v4, s[0:3], 0 offen offset:4
	buffer_load_dword v3, v4, s[0:3], 0 offen offset:8
	;; [unrolled: 1-line block ×3, first 2 shown]
	s_waitcnt vmcnt(0)
	ds_write_b128 v118, v[1:4]
	s_waitcnt lgkmcnt(0)
	s_waitcnt_vscnt null, 0x0
	s_barrier
	buffer_gl0_inv
	s_and_saveexec_b32 s6, s5
	s_cbranch_execz .LBB119_51
; %bb.44:
	ds_read_b128 v[1:4], v118
	s_andn2_b32 vcc_lo, exec_lo, s64
	s_cbranch_vccnz .LBB119_46
; %bb.45:
	s_clause 0x3
	buffer_load_dword v119, v117, s[0:3], 0 offen offset:8
	buffer_load_dword v120, v117, s[0:3], 0 offen offset:12
	buffer_load_dword v121, v117, s[0:3], 0 offen
	buffer_load_dword v122, v117, s[0:3], 0 offen offset:4
	s_waitcnt vmcnt(2) lgkmcnt(0)
	v_mul_f64 v[124:125], v[3:4], v[119:120]
	v_mul_f64 v[119:120], v[1:2], v[119:120]
	s_waitcnt vmcnt(0)
	v_fma_f64 v[1:2], v[1:2], v[121:122], -v[124:125]
	v_fma_f64 v[3:4], v[3:4], v[121:122], v[119:120]
.LBB119_46:
	s_and_saveexec_b32 s8, s4
	s_cbranch_execz .LBB119_50
; %bb.47:
	v_subrev_nc_u32_e32 v119, 50, v0
	s_movk_i32 s65, 0x6a0
	s_mov_b32 s4, 0
	s_mov_b32 s66, s13
	.p2align	6
.LBB119_48:                             ; =>This Inner Loop Header: Depth=1
	v_mov_b32_e32 v122, s66
	v_add_nc_u32_e32 v119, -1, v119
	s_add_i32 s66, s66, 16
	s_clause 0x3
	buffer_load_dword v120, v122, s[0:3], 0 offen offset:8
	buffer_load_dword v121, v122, s[0:3], 0 offen offset:12
	buffer_load_dword v128, v122, s[0:3], 0 offen
	buffer_load_dword v129, v122, s[0:3], 0 offen offset:4
	v_mov_b32_e32 v122, s65
	v_cmp_eq_u32_e32 vcc_lo, 0, v119
	s_add_i32 s65, s65, 16
	ds_read_b128 v[124:127], v122
	s_or_b32 s4, vcc_lo, s4
	s_waitcnt vmcnt(2) lgkmcnt(0)
	v_mul_f64 v[130:131], v[126:127], v[120:121]
	v_mul_f64 v[120:121], v[124:125], v[120:121]
	s_waitcnt vmcnt(0)
	v_fma_f64 v[124:125], v[124:125], v[128:129], -v[130:131]
	v_fma_f64 v[120:121], v[126:127], v[128:129], v[120:121]
	v_add_f64 v[1:2], v[1:2], v[124:125]
	v_add_f64 v[3:4], v[3:4], v[120:121]
	s_andn2_b32 exec_lo, exec_lo, s4
	s_cbranch_execnz .LBB119_48
; %bb.49:
	s_or_b32 exec_lo, exec_lo, s4
.LBB119_50:
	s_or_b32 exec_lo, exec_lo, s8
	v_mov_b32_e32 v119, 0
	ds_read_b128 v[119:122], v119 offset:784
	s_waitcnt lgkmcnt(0)
	v_mul_f64 v[124:125], v[3:4], v[121:122]
	v_mul_f64 v[121:122], v[1:2], v[121:122]
	v_fma_f64 v[1:2], v[1:2], v[119:120], -v[124:125]
	v_fma_f64 v[3:4], v[3:4], v[119:120], v[121:122]
	buffer_store_dword v2, off, s[0:3], 0 offset:788
	buffer_store_dword v1, off, s[0:3], 0 offset:784
	;; [unrolled: 1-line block ×4, first 2 shown]
.LBB119_51:
	s_or_b32 exec_lo, exec_lo, s6
	v_mov_b32_e32 v4, s15
	v_cmp_lt_u32_e64 s4, 48, v0
	s_clause 0x3
	buffer_load_dword v1, v4, s[0:3], 0 offen
	buffer_load_dword v2, v4, s[0:3], 0 offen offset:4
	buffer_load_dword v3, v4, s[0:3], 0 offen offset:8
	;; [unrolled: 1-line block ×3, first 2 shown]
	s_waitcnt vmcnt(0)
	ds_write_b128 v118, v[1:4]
	s_waitcnt lgkmcnt(0)
	s_waitcnt_vscnt null, 0x0
	s_barrier
	buffer_gl0_inv
	s_and_saveexec_b32 s6, s4
	s_cbranch_execz .LBB119_59
; %bb.52:
	ds_read_b128 v[1:4], v118
	s_andn2_b32 vcc_lo, exec_lo, s64
	s_cbranch_vccnz .LBB119_54
; %bb.53:
	s_clause 0x3
	buffer_load_dword v119, v117, s[0:3], 0 offen offset:8
	buffer_load_dword v120, v117, s[0:3], 0 offen offset:12
	buffer_load_dword v121, v117, s[0:3], 0 offen
	buffer_load_dword v122, v117, s[0:3], 0 offen offset:4
	s_waitcnt vmcnt(2) lgkmcnt(0)
	v_mul_f64 v[124:125], v[3:4], v[119:120]
	v_mul_f64 v[119:120], v[1:2], v[119:120]
	s_waitcnt vmcnt(0)
	v_fma_f64 v[1:2], v[1:2], v[121:122], -v[124:125]
	v_fma_f64 v[3:4], v[3:4], v[121:122], v[119:120]
.LBB119_54:
	s_and_saveexec_b32 s8, s5
	s_cbranch_execz .LBB119_58
; %bb.55:
	v_subrev_nc_u32_e32 v119, 49, v0
	s_movk_i32 s65, 0x690
	s_mov_b32 s5, 0
	s_mov_b32 s66, s14
	.p2align	6
.LBB119_56:                             ; =>This Inner Loop Header: Depth=1
	v_mov_b32_e32 v122, s66
	v_add_nc_u32_e32 v119, -1, v119
	s_add_i32 s66, s66, 16
	s_clause 0x3
	buffer_load_dword v120, v122, s[0:3], 0 offen offset:8
	buffer_load_dword v121, v122, s[0:3], 0 offen offset:12
	buffer_load_dword v128, v122, s[0:3], 0 offen
	buffer_load_dword v129, v122, s[0:3], 0 offen offset:4
	v_mov_b32_e32 v122, s65
	v_cmp_eq_u32_e32 vcc_lo, 0, v119
	s_add_i32 s65, s65, 16
	ds_read_b128 v[124:127], v122
	s_or_b32 s5, vcc_lo, s5
	s_waitcnt vmcnt(2) lgkmcnt(0)
	v_mul_f64 v[130:131], v[126:127], v[120:121]
	v_mul_f64 v[120:121], v[124:125], v[120:121]
	s_waitcnt vmcnt(0)
	v_fma_f64 v[124:125], v[124:125], v[128:129], -v[130:131]
	v_fma_f64 v[120:121], v[126:127], v[128:129], v[120:121]
	v_add_f64 v[1:2], v[1:2], v[124:125]
	v_add_f64 v[3:4], v[3:4], v[120:121]
	s_andn2_b32 exec_lo, exec_lo, s5
	s_cbranch_execnz .LBB119_56
; %bb.57:
	s_or_b32 exec_lo, exec_lo, s5
.LBB119_58:
	s_or_b32 exec_lo, exec_lo, s8
	v_mov_b32_e32 v119, 0
	ds_read_b128 v[119:122], v119 offset:768
	s_waitcnt lgkmcnt(0)
	v_mul_f64 v[124:125], v[3:4], v[121:122]
	v_mul_f64 v[121:122], v[1:2], v[121:122]
	v_fma_f64 v[1:2], v[1:2], v[119:120], -v[124:125]
	v_fma_f64 v[3:4], v[3:4], v[119:120], v[121:122]
	buffer_store_dword v2, off, s[0:3], 0 offset:772
	buffer_store_dword v1, off, s[0:3], 0 offset:768
	;; [unrolled: 1-line block ×4, first 2 shown]
.LBB119_59:
	s_or_b32 exec_lo, exec_lo, s6
	v_mov_b32_e32 v4, s16
	v_cmp_lt_u32_e64 s5, 47, v0
	s_clause 0x3
	buffer_load_dword v1, v4, s[0:3], 0 offen
	buffer_load_dword v2, v4, s[0:3], 0 offen offset:4
	buffer_load_dword v3, v4, s[0:3], 0 offen offset:8
	;; [unrolled: 1-line block ×3, first 2 shown]
	s_waitcnt vmcnt(0)
	ds_write_b128 v118, v[1:4]
	s_waitcnt lgkmcnt(0)
	s_waitcnt_vscnt null, 0x0
	s_barrier
	buffer_gl0_inv
	s_and_saveexec_b32 s6, s5
	s_cbranch_execz .LBB119_67
; %bb.60:
	ds_read_b128 v[1:4], v118
	s_andn2_b32 vcc_lo, exec_lo, s64
	s_cbranch_vccnz .LBB119_62
; %bb.61:
	s_clause 0x3
	buffer_load_dword v119, v117, s[0:3], 0 offen offset:8
	buffer_load_dword v120, v117, s[0:3], 0 offen offset:12
	buffer_load_dword v121, v117, s[0:3], 0 offen
	buffer_load_dword v122, v117, s[0:3], 0 offen offset:4
	s_waitcnt vmcnt(2) lgkmcnt(0)
	v_mul_f64 v[124:125], v[3:4], v[119:120]
	v_mul_f64 v[119:120], v[1:2], v[119:120]
	s_waitcnt vmcnt(0)
	v_fma_f64 v[1:2], v[1:2], v[121:122], -v[124:125]
	v_fma_f64 v[3:4], v[3:4], v[121:122], v[119:120]
.LBB119_62:
	s_and_saveexec_b32 s8, s4
	s_cbranch_execz .LBB119_66
; %bb.63:
	v_subrev_nc_u32_e32 v119, 48, v0
	s_movk_i32 s65, 0x680
	s_mov_b32 s4, 0
	s_mov_b32 s66, s15
	.p2align	6
.LBB119_64:                             ; =>This Inner Loop Header: Depth=1
	v_mov_b32_e32 v122, s66
	v_add_nc_u32_e32 v119, -1, v119
	s_add_i32 s66, s66, 16
	s_clause 0x3
	buffer_load_dword v120, v122, s[0:3], 0 offen offset:8
	buffer_load_dword v121, v122, s[0:3], 0 offen offset:12
	buffer_load_dword v128, v122, s[0:3], 0 offen
	buffer_load_dword v129, v122, s[0:3], 0 offen offset:4
	v_mov_b32_e32 v122, s65
	v_cmp_eq_u32_e32 vcc_lo, 0, v119
	s_add_i32 s65, s65, 16
	ds_read_b128 v[124:127], v122
	s_or_b32 s4, vcc_lo, s4
	s_waitcnt vmcnt(2) lgkmcnt(0)
	v_mul_f64 v[130:131], v[126:127], v[120:121]
	v_mul_f64 v[120:121], v[124:125], v[120:121]
	s_waitcnt vmcnt(0)
	v_fma_f64 v[124:125], v[124:125], v[128:129], -v[130:131]
	v_fma_f64 v[120:121], v[126:127], v[128:129], v[120:121]
	v_add_f64 v[1:2], v[1:2], v[124:125]
	v_add_f64 v[3:4], v[3:4], v[120:121]
	s_andn2_b32 exec_lo, exec_lo, s4
	s_cbranch_execnz .LBB119_64
; %bb.65:
	s_or_b32 exec_lo, exec_lo, s4
.LBB119_66:
	s_or_b32 exec_lo, exec_lo, s8
	v_mov_b32_e32 v119, 0
	ds_read_b128 v[119:122], v119 offset:752
	s_waitcnt lgkmcnt(0)
	v_mul_f64 v[124:125], v[3:4], v[121:122]
	v_mul_f64 v[121:122], v[1:2], v[121:122]
	v_fma_f64 v[1:2], v[1:2], v[119:120], -v[124:125]
	v_fma_f64 v[3:4], v[3:4], v[119:120], v[121:122]
	buffer_store_dword v2, off, s[0:3], 0 offset:756
	buffer_store_dword v1, off, s[0:3], 0 offset:752
	;; [unrolled: 1-line block ×4, first 2 shown]
.LBB119_67:
	s_or_b32 exec_lo, exec_lo, s6
	v_mov_b32_e32 v4, s17
	v_cmp_lt_u32_e64 s4, 46, v0
	s_clause 0x3
	buffer_load_dword v1, v4, s[0:3], 0 offen
	buffer_load_dword v2, v4, s[0:3], 0 offen offset:4
	buffer_load_dword v3, v4, s[0:3], 0 offen offset:8
	buffer_load_dword v4, v4, s[0:3], 0 offen offset:12
	s_waitcnt vmcnt(0)
	ds_write_b128 v118, v[1:4]
	s_waitcnt lgkmcnt(0)
	s_waitcnt_vscnt null, 0x0
	s_barrier
	buffer_gl0_inv
	s_and_saveexec_b32 s6, s4
	s_cbranch_execz .LBB119_75
; %bb.68:
	ds_read_b128 v[1:4], v118
	s_andn2_b32 vcc_lo, exec_lo, s64
	s_cbranch_vccnz .LBB119_70
; %bb.69:
	s_clause 0x3
	buffer_load_dword v119, v117, s[0:3], 0 offen offset:8
	buffer_load_dword v120, v117, s[0:3], 0 offen offset:12
	buffer_load_dword v121, v117, s[0:3], 0 offen
	buffer_load_dword v122, v117, s[0:3], 0 offen offset:4
	s_waitcnt vmcnt(2) lgkmcnt(0)
	v_mul_f64 v[124:125], v[3:4], v[119:120]
	v_mul_f64 v[119:120], v[1:2], v[119:120]
	s_waitcnt vmcnt(0)
	v_fma_f64 v[1:2], v[1:2], v[121:122], -v[124:125]
	v_fma_f64 v[3:4], v[3:4], v[121:122], v[119:120]
.LBB119_70:
	s_and_saveexec_b32 s8, s5
	s_cbranch_execz .LBB119_74
; %bb.71:
	v_subrev_nc_u32_e32 v119, 47, v0
	s_movk_i32 s65, 0x670
	s_mov_b32 s5, 0
	s_mov_b32 s66, s16
	.p2align	6
.LBB119_72:                             ; =>This Inner Loop Header: Depth=1
	v_mov_b32_e32 v122, s66
	v_add_nc_u32_e32 v119, -1, v119
	s_add_i32 s66, s66, 16
	s_clause 0x3
	buffer_load_dword v120, v122, s[0:3], 0 offen offset:8
	buffer_load_dword v121, v122, s[0:3], 0 offen offset:12
	buffer_load_dword v128, v122, s[0:3], 0 offen
	buffer_load_dword v129, v122, s[0:3], 0 offen offset:4
	v_mov_b32_e32 v122, s65
	v_cmp_eq_u32_e32 vcc_lo, 0, v119
	s_add_i32 s65, s65, 16
	ds_read_b128 v[124:127], v122
	s_or_b32 s5, vcc_lo, s5
	s_waitcnt vmcnt(2) lgkmcnt(0)
	v_mul_f64 v[130:131], v[126:127], v[120:121]
	v_mul_f64 v[120:121], v[124:125], v[120:121]
	s_waitcnt vmcnt(0)
	v_fma_f64 v[124:125], v[124:125], v[128:129], -v[130:131]
	v_fma_f64 v[120:121], v[126:127], v[128:129], v[120:121]
	v_add_f64 v[1:2], v[1:2], v[124:125]
	v_add_f64 v[3:4], v[3:4], v[120:121]
	s_andn2_b32 exec_lo, exec_lo, s5
	s_cbranch_execnz .LBB119_72
; %bb.73:
	s_or_b32 exec_lo, exec_lo, s5
.LBB119_74:
	s_or_b32 exec_lo, exec_lo, s8
	v_mov_b32_e32 v119, 0
	ds_read_b128 v[119:122], v119 offset:736
	s_waitcnt lgkmcnt(0)
	v_mul_f64 v[124:125], v[3:4], v[121:122]
	v_mul_f64 v[121:122], v[1:2], v[121:122]
	v_fma_f64 v[1:2], v[1:2], v[119:120], -v[124:125]
	v_fma_f64 v[3:4], v[3:4], v[119:120], v[121:122]
	buffer_store_dword v2, off, s[0:3], 0 offset:740
	buffer_store_dword v1, off, s[0:3], 0 offset:736
	;; [unrolled: 1-line block ×4, first 2 shown]
.LBB119_75:
	s_or_b32 exec_lo, exec_lo, s6
	v_mov_b32_e32 v4, s18
	v_cmp_lt_u32_e64 s5, 45, v0
	s_clause 0x3
	buffer_load_dword v1, v4, s[0:3], 0 offen
	buffer_load_dword v2, v4, s[0:3], 0 offen offset:4
	buffer_load_dword v3, v4, s[0:3], 0 offen offset:8
	;; [unrolled: 1-line block ×3, first 2 shown]
	s_waitcnt vmcnt(0)
	ds_write_b128 v118, v[1:4]
	s_waitcnt lgkmcnt(0)
	s_waitcnt_vscnt null, 0x0
	s_barrier
	buffer_gl0_inv
	s_and_saveexec_b32 s6, s5
	s_cbranch_execz .LBB119_83
; %bb.76:
	ds_read_b128 v[1:4], v118
	s_andn2_b32 vcc_lo, exec_lo, s64
	s_cbranch_vccnz .LBB119_78
; %bb.77:
	s_clause 0x3
	buffer_load_dword v119, v117, s[0:3], 0 offen offset:8
	buffer_load_dword v120, v117, s[0:3], 0 offen offset:12
	buffer_load_dword v121, v117, s[0:3], 0 offen
	buffer_load_dword v122, v117, s[0:3], 0 offen offset:4
	s_waitcnt vmcnt(2) lgkmcnt(0)
	v_mul_f64 v[124:125], v[3:4], v[119:120]
	v_mul_f64 v[119:120], v[1:2], v[119:120]
	s_waitcnt vmcnt(0)
	v_fma_f64 v[1:2], v[1:2], v[121:122], -v[124:125]
	v_fma_f64 v[3:4], v[3:4], v[121:122], v[119:120]
.LBB119_78:
	s_and_saveexec_b32 s8, s4
	s_cbranch_execz .LBB119_82
; %bb.79:
	v_subrev_nc_u32_e32 v119, 46, v0
	s_movk_i32 s65, 0x660
	s_mov_b32 s4, 0
	s_mov_b32 s66, s17
	.p2align	6
.LBB119_80:                             ; =>This Inner Loop Header: Depth=1
	v_mov_b32_e32 v122, s66
	v_add_nc_u32_e32 v119, -1, v119
	s_add_i32 s66, s66, 16
	s_clause 0x3
	buffer_load_dword v120, v122, s[0:3], 0 offen offset:8
	buffer_load_dword v121, v122, s[0:3], 0 offen offset:12
	buffer_load_dword v128, v122, s[0:3], 0 offen
	buffer_load_dword v129, v122, s[0:3], 0 offen offset:4
	v_mov_b32_e32 v122, s65
	v_cmp_eq_u32_e32 vcc_lo, 0, v119
	s_add_i32 s65, s65, 16
	ds_read_b128 v[124:127], v122
	s_or_b32 s4, vcc_lo, s4
	s_waitcnt vmcnt(2) lgkmcnt(0)
	v_mul_f64 v[130:131], v[126:127], v[120:121]
	v_mul_f64 v[120:121], v[124:125], v[120:121]
	s_waitcnt vmcnt(0)
	v_fma_f64 v[124:125], v[124:125], v[128:129], -v[130:131]
	v_fma_f64 v[120:121], v[126:127], v[128:129], v[120:121]
	v_add_f64 v[1:2], v[1:2], v[124:125]
	v_add_f64 v[3:4], v[3:4], v[120:121]
	s_andn2_b32 exec_lo, exec_lo, s4
	s_cbranch_execnz .LBB119_80
; %bb.81:
	s_or_b32 exec_lo, exec_lo, s4
.LBB119_82:
	s_or_b32 exec_lo, exec_lo, s8
	v_mov_b32_e32 v119, 0
	ds_read_b128 v[119:122], v119 offset:720
	s_waitcnt lgkmcnt(0)
	v_mul_f64 v[124:125], v[3:4], v[121:122]
	v_mul_f64 v[121:122], v[1:2], v[121:122]
	v_fma_f64 v[1:2], v[1:2], v[119:120], -v[124:125]
	v_fma_f64 v[3:4], v[3:4], v[119:120], v[121:122]
	buffer_store_dword v2, off, s[0:3], 0 offset:724
	buffer_store_dword v1, off, s[0:3], 0 offset:720
	;; [unrolled: 1-line block ×4, first 2 shown]
.LBB119_83:
	s_or_b32 exec_lo, exec_lo, s6
	v_mov_b32_e32 v4, s19
	v_cmp_lt_u32_e64 s4, 44, v0
	s_clause 0x3
	buffer_load_dword v1, v4, s[0:3], 0 offen
	buffer_load_dword v2, v4, s[0:3], 0 offen offset:4
	buffer_load_dword v3, v4, s[0:3], 0 offen offset:8
	;; [unrolled: 1-line block ×3, first 2 shown]
	s_waitcnt vmcnt(0)
	ds_write_b128 v118, v[1:4]
	s_waitcnt lgkmcnt(0)
	s_waitcnt_vscnt null, 0x0
	s_barrier
	buffer_gl0_inv
	s_and_saveexec_b32 s6, s4
	s_cbranch_execz .LBB119_91
; %bb.84:
	ds_read_b128 v[1:4], v118
	s_andn2_b32 vcc_lo, exec_lo, s64
	s_cbranch_vccnz .LBB119_86
; %bb.85:
	s_clause 0x3
	buffer_load_dword v119, v117, s[0:3], 0 offen offset:8
	buffer_load_dword v120, v117, s[0:3], 0 offen offset:12
	buffer_load_dword v121, v117, s[0:3], 0 offen
	buffer_load_dword v122, v117, s[0:3], 0 offen offset:4
	s_waitcnt vmcnt(2) lgkmcnt(0)
	v_mul_f64 v[124:125], v[3:4], v[119:120]
	v_mul_f64 v[119:120], v[1:2], v[119:120]
	s_waitcnt vmcnt(0)
	v_fma_f64 v[1:2], v[1:2], v[121:122], -v[124:125]
	v_fma_f64 v[3:4], v[3:4], v[121:122], v[119:120]
.LBB119_86:
	s_and_saveexec_b32 s8, s5
	s_cbranch_execz .LBB119_90
; %bb.87:
	v_subrev_nc_u32_e32 v119, 45, v0
	s_movk_i32 s65, 0x650
	s_mov_b32 s5, 0
	s_mov_b32 s66, s18
	.p2align	6
.LBB119_88:                             ; =>This Inner Loop Header: Depth=1
	v_mov_b32_e32 v122, s66
	v_add_nc_u32_e32 v119, -1, v119
	s_add_i32 s66, s66, 16
	s_clause 0x3
	buffer_load_dword v120, v122, s[0:3], 0 offen offset:8
	buffer_load_dword v121, v122, s[0:3], 0 offen offset:12
	buffer_load_dword v128, v122, s[0:3], 0 offen
	buffer_load_dword v129, v122, s[0:3], 0 offen offset:4
	v_mov_b32_e32 v122, s65
	v_cmp_eq_u32_e32 vcc_lo, 0, v119
	s_add_i32 s65, s65, 16
	ds_read_b128 v[124:127], v122
	s_or_b32 s5, vcc_lo, s5
	s_waitcnt vmcnt(2) lgkmcnt(0)
	v_mul_f64 v[130:131], v[126:127], v[120:121]
	v_mul_f64 v[120:121], v[124:125], v[120:121]
	s_waitcnt vmcnt(0)
	v_fma_f64 v[124:125], v[124:125], v[128:129], -v[130:131]
	v_fma_f64 v[120:121], v[126:127], v[128:129], v[120:121]
	v_add_f64 v[1:2], v[1:2], v[124:125]
	v_add_f64 v[3:4], v[3:4], v[120:121]
	s_andn2_b32 exec_lo, exec_lo, s5
	s_cbranch_execnz .LBB119_88
; %bb.89:
	s_or_b32 exec_lo, exec_lo, s5
.LBB119_90:
	s_or_b32 exec_lo, exec_lo, s8
	v_mov_b32_e32 v119, 0
	ds_read_b128 v[119:122], v119 offset:704
	s_waitcnt lgkmcnt(0)
	v_mul_f64 v[124:125], v[3:4], v[121:122]
	v_mul_f64 v[121:122], v[1:2], v[121:122]
	v_fma_f64 v[1:2], v[1:2], v[119:120], -v[124:125]
	v_fma_f64 v[3:4], v[3:4], v[119:120], v[121:122]
	buffer_store_dword v2, off, s[0:3], 0 offset:708
	buffer_store_dword v1, off, s[0:3], 0 offset:704
	;; [unrolled: 1-line block ×4, first 2 shown]
.LBB119_91:
	s_or_b32 exec_lo, exec_lo, s6
	v_mov_b32_e32 v4, s20
	v_cmp_lt_u32_e64 s5, 43, v0
	s_clause 0x3
	buffer_load_dword v1, v4, s[0:3], 0 offen
	buffer_load_dword v2, v4, s[0:3], 0 offen offset:4
	buffer_load_dword v3, v4, s[0:3], 0 offen offset:8
	;; [unrolled: 1-line block ×3, first 2 shown]
	s_waitcnt vmcnt(0)
	ds_write_b128 v118, v[1:4]
	s_waitcnt lgkmcnt(0)
	s_waitcnt_vscnt null, 0x0
	s_barrier
	buffer_gl0_inv
	s_and_saveexec_b32 s6, s5
	s_cbranch_execz .LBB119_99
; %bb.92:
	ds_read_b128 v[1:4], v118
	s_andn2_b32 vcc_lo, exec_lo, s64
	s_cbranch_vccnz .LBB119_94
; %bb.93:
	s_clause 0x3
	buffer_load_dword v119, v117, s[0:3], 0 offen offset:8
	buffer_load_dword v120, v117, s[0:3], 0 offen offset:12
	buffer_load_dword v121, v117, s[0:3], 0 offen
	buffer_load_dword v122, v117, s[0:3], 0 offen offset:4
	s_waitcnt vmcnt(2) lgkmcnt(0)
	v_mul_f64 v[124:125], v[3:4], v[119:120]
	v_mul_f64 v[119:120], v[1:2], v[119:120]
	s_waitcnt vmcnt(0)
	v_fma_f64 v[1:2], v[1:2], v[121:122], -v[124:125]
	v_fma_f64 v[3:4], v[3:4], v[121:122], v[119:120]
.LBB119_94:
	s_and_saveexec_b32 s8, s4
	s_cbranch_execz .LBB119_98
; %bb.95:
	v_subrev_nc_u32_e32 v119, 44, v0
	s_movk_i32 s65, 0x640
	s_mov_b32 s4, 0
	s_mov_b32 s66, s19
	.p2align	6
.LBB119_96:                             ; =>This Inner Loop Header: Depth=1
	v_mov_b32_e32 v122, s66
	v_add_nc_u32_e32 v119, -1, v119
	s_add_i32 s66, s66, 16
	s_clause 0x3
	buffer_load_dword v120, v122, s[0:3], 0 offen offset:8
	buffer_load_dword v121, v122, s[0:3], 0 offen offset:12
	buffer_load_dword v128, v122, s[0:3], 0 offen
	buffer_load_dword v129, v122, s[0:3], 0 offen offset:4
	v_mov_b32_e32 v122, s65
	v_cmp_eq_u32_e32 vcc_lo, 0, v119
	s_add_i32 s65, s65, 16
	ds_read_b128 v[124:127], v122
	s_or_b32 s4, vcc_lo, s4
	s_waitcnt vmcnt(2) lgkmcnt(0)
	v_mul_f64 v[130:131], v[126:127], v[120:121]
	v_mul_f64 v[120:121], v[124:125], v[120:121]
	s_waitcnt vmcnt(0)
	v_fma_f64 v[124:125], v[124:125], v[128:129], -v[130:131]
	v_fma_f64 v[120:121], v[126:127], v[128:129], v[120:121]
	v_add_f64 v[1:2], v[1:2], v[124:125]
	v_add_f64 v[3:4], v[3:4], v[120:121]
	s_andn2_b32 exec_lo, exec_lo, s4
	s_cbranch_execnz .LBB119_96
; %bb.97:
	s_or_b32 exec_lo, exec_lo, s4
.LBB119_98:
	s_or_b32 exec_lo, exec_lo, s8
	v_mov_b32_e32 v119, 0
	ds_read_b128 v[119:122], v119 offset:688
	s_waitcnt lgkmcnt(0)
	v_mul_f64 v[124:125], v[3:4], v[121:122]
	v_mul_f64 v[121:122], v[1:2], v[121:122]
	v_fma_f64 v[1:2], v[1:2], v[119:120], -v[124:125]
	v_fma_f64 v[3:4], v[3:4], v[119:120], v[121:122]
	buffer_store_dword v2, off, s[0:3], 0 offset:692
	buffer_store_dword v1, off, s[0:3], 0 offset:688
	;; [unrolled: 1-line block ×4, first 2 shown]
.LBB119_99:
	s_or_b32 exec_lo, exec_lo, s6
	v_mov_b32_e32 v4, s21
	v_cmp_lt_u32_e64 s4, 42, v0
	s_clause 0x3
	buffer_load_dword v1, v4, s[0:3], 0 offen
	buffer_load_dword v2, v4, s[0:3], 0 offen offset:4
	buffer_load_dword v3, v4, s[0:3], 0 offen offset:8
	;; [unrolled: 1-line block ×3, first 2 shown]
	s_waitcnt vmcnt(0)
	ds_write_b128 v118, v[1:4]
	s_waitcnt lgkmcnt(0)
	s_waitcnt_vscnt null, 0x0
	s_barrier
	buffer_gl0_inv
	s_and_saveexec_b32 s6, s4
	s_cbranch_execz .LBB119_107
; %bb.100:
	ds_read_b128 v[1:4], v118
	s_andn2_b32 vcc_lo, exec_lo, s64
	s_cbranch_vccnz .LBB119_102
; %bb.101:
	s_clause 0x3
	buffer_load_dword v119, v117, s[0:3], 0 offen offset:8
	buffer_load_dword v120, v117, s[0:3], 0 offen offset:12
	buffer_load_dword v121, v117, s[0:3], 0 offen
	buffer_load_dword v122, v117, s[0:3], 0 offen offset:4
	s_waitcnt vmcnt(2) lgkmcnt(0)
	v_mul_f64 v[124:125], v[3:4], v[119:120]
	v_mul_f64 v[119:120], v[1:2], v[119:120]
	s_waitcnt vmcnt(0)
	v_fma_f64 v[1:2], v[1:2], v[121:122], -v[124:125]
	v_fma_f64 v[3:4], v[3:4], v[121:122], v[119:120]
.LBB119_102:
	s_and_saveexec_b32 s8, s5
	s_cbranch_execz .LBB119_106
; %bb.103:
	v_subrev_nc_u32_e32 v119, 43, v0
	s_movk_i32 s65, 0x630
	s_mov_b32 s5, 0
	s_mov_b32 s66, s20
	.p2align	6
.LBB119_104:                            ; =>This Inner Loop Header: Depth=1
	v_mov_b32_e32 v122, s66
	v_add_nc_u32_e32 v119, -1, v119
	s_add_i32 s66, s66, 16
	s_clause 0x3
	buffer_load_dword v120, v122, s[0:3], 0 offen offset:8
	buffer_load_dword v121, v122, s[0:3], 0 offen offset:12
	buffer_load_dword v128, v122, s[0:3], 0 offen
	buffer_load_dword v129, v122, s[0:3], 0 offen offset:4
	v_mov_b32_e32 v122, s65
	v_cmp_eq_u32_e32 vcc_lo, 0, v119
	s_add_i32 s65, s65, 16
	ds_read_b128 v[124:127], v122
	s_or_b32 s5, vcc_lo, s5
	s_waitcnt vmcnt(2) lgkmcnt(0)
	v_mul_f64 v[130:131], v[126:127], v[120:121]
	v_mul_f64 v[120:121], v[124:125], v[120:121]
	s_waitcnt vmcnt(0)
	v_fma_f64 v[124:125], v[124:125], v[128:129], -v[130:131]
	v_fma_f64 v[120:121], v[126:127], v[128:129], v[120:121]
	v_add_f64 v[1:2], v[1:2], v[124:125]
	v_add_f64 v[3:4], v[3:4], v[120:121]
	s_andn2_b32 exec_lo, exec_lo, s5
	s_cbranch_execnz .LBB119_104
; %bb.105:
	s_or_b32 exec_lo, exec_lo, s5
.LBB119_106:
	s_or_b32 exec_lo, exec_lo, s8
	v_mov_b32_e32 v119, 0
	ds_read_b128 v[119:122], v119 offset:672
	s_waitcnt lgkmcnt(0)
	v_mul_f64 v[124:125], v[3:4], v[121:122]
	v_mul_f64 v[121:122], v[1:2], v[121:122]
	v_fma_f64 v[1:2], v[1:2], v[119:120], -v[124:125]
	v_fma_f64 v[3:4], v[3:4], v[119:120], v[121:122]
	buffer_store_dword v2, off, s[0:3], 0 offset:676
	buffer_store_dword v1, off, s[0:3], 0 offset:672
	;; [unrolled: 1-line block ×4, first 2 shown]
.LBB119_107:
	s_or_b32 exec_lo, exec_lo, s6
	v_mov_b32_e32 v4, s22
	v_cmp_lt_u32_e64 s5, 41, v0
	s_clause 0x3
	buffer_load_dword v1, v4, s[0:3], 0 offen
	buffer_load_dword v2, v4, s[0:3], 0 offen offset:4
	buffer_load_dword v3, v4, s[0:3], 0 offen offset:8
	;; [unrolled: 1-line block ×3, first 2 shown]
	s_waitcnt vmcnt(0)
	ds_write_b128 v118, v[1:4]
	s_waitcnt lgkmcnt(0)
	s_waitcnt_vscnt null, 0x0
	s_barrier
	buffer_gl0_inv
	s_and_saveexec_b32 s6, s5
	s_cbranch_execz .LBB119_115
; %bb.108:
	ds_read_b128 v[1:4], v118
	s_andn2_b32 vcc_lo, exec_lo, s64
	s_cbranch_vccnz .LBB119_110
; %bb.109:
	s_clause 0x3
	buffer_load_dword v119, v117, s[0:3], 0 offen offset:8
	buffer_load_dword v120, v117, s[0:3], 0 offen offset:12
	buffer_load_dword v121, v117, s[0:3], 0 offen
	buffer_load_dword v122, v117, s[0:3], 0 offen offset:4
	s_waitcnt vmcnt(2) lgkmcnt(0)
	v_mul_f64 v[124:125], v[3:4], v[119:120]
	v_mul_f64 v[119:120], v[1:2], v[119:120]
	s_waitcnt vmcnt(0)
	v_fma_f64 v[1:2], v[1:2], v[121:122], -v[124:125]
	v_fma_f64 v[3:4], v[3:4], v[121:122], v[119:120]
.LBB119_110:
	s_and_saveexec_b32 s8, s4
	s_cbranch_execz .LBB119_114
; %bb.111:
	v_subrev_nc_u32_e32 v119, 42, v0
	s_movk_i32 s65, 0x620
	s_mov_b32 s4, 0
	s_mov_b32 s66, s21
	.p2align	6
.LBB119_112:                            ; =>This Inner Loop Header: Depth=1
	v_mov_b32_e32 v122, s66
	v_add_nc_u32_e32 v119, -1, v119
	s_add_i32 s66, s66, 16
	s_clause 0x3
	buffer_load_dword v120, v122, s[0:3], 0 offen offset:8
	buffer_load_dword v121, v122, s[0:3], 0 offen offset:12
	buffer_load_dword v128, v122, s[0:3], 0 offen
	buffer_load_dword v129, v122, s[0:3], 0 offen offset:4
	v_mov_b32_e32 v122, s65
	v_cmp_eq_u32_e32 vcc_lo, 0, v119
	s_add_i32 s65, s65, 16
	ds_read_b128 v[124:127], v122
	s_or_b32 s4, vcc_lo, s4
	s_waitcnt vmcnt(2) lgkmcnt(0)
	v_mul_f64 v[130:131], v[126:127], v[120:121]
	v_mul_f64 v[120:121], v[124:125], v[120:121]
	s_waitcnt vmcnt(0)
	v_fma_f64 v[124:125], v[124:125], v[128:129], -v[130:131]
	v_fma_f64 v[120:121], v[126:127], v[128:129], v[120:121]
	v_add_f64 v[1:2], v[1:2], v[124:125]
	v_add_f64 v[3:4], v[3:4], v[120:121]
	s_andn2_b32 exec_lo, exec_lo, s4
	s_cbranch_execnz .LBB119_112
; %bb.113:
	s_or_b32 exec_lo, exec_lo, s4
.LBB119_114:
	s_or_b32 exec_lo, exec_lo, s8
	v_mov_b32_e32 v119, 0
	ds_read_b128 v[119:122], v119 offset:656
	s_waitcnt lgkmcnt(0)
	v_mul_f64 v[124:125], v[3:4], v[121:122]
	v_mul_f64 v[121:122], v[1:2], v[121:122]
	v_fma_f64 v[1:2], v[1:2], v[119:120], -v[124:125]
	v_fma_f64 v[3:4], v[3:4], v[119:120], v[121:122]
	buffer_store_dword v2, off, s[0:3], 0 offset:660
	buffer_store_dword v1, off, s[0:3], 0 offset:656
	;; [unrolled: 1-line block ×4, first 2 shown]
.LBB119_115:
	s_or_b32 exec_lo, exec_lo, s6
	v_mov_b32_e32 v4, s23
	v_cmp_lt_u32_e64 s4, 40, v0
	s_clause 0x3
	buffer_load_dword v1, v4, s[0:3], 0 offen
	buffer_load_dword v2, v4, s[0:3], 0 offen offset:4
	buffer_load_dword v3, v4, s[0:3], 0 offen offset:8
	buffer_load_dword v4, v4, s[0:3], 0 offen offset:12
	s_waitcnt vmcnt(0)
	ds_write_b128 v118, v[1:4]
	s_waitcnt lgkmcnt(0)
	s_waitcnt_vscnt null, 0x0
	s_barrier
	buffer_gl0_inv
	s_and_saveexec_b32 s6, s4
	s_cbranch_execz .LBB119_123
; %bb.116:
	ds_read_b128 v[1:4], v118
	s_andn2_b32 vcc_lo, exec_lo, s64
	s_cbranch_vccnz .LBB119_118
; %bb.117:
	s_clause 0x3
	buffer_load_dword v119, v117, s[0:3], 0 offen offset:8
	buffer_load_dword v120, v117, s[0:3], 0 offen offset:12
	buffer_load_dword v121, v117, s[0:3], 0 offen
	buffer_load_dword v122, v117, s[0:3], 0 offen offset:4
	s_waitcnt vmcnt(2) lgkmcnt(0)
	v_mul_f64 v[124:125], v[3:4], v[119:120]
	v_mul_f64 v[119:120], v[1:2], v[119:120]
	s_waitcnt vmcnt(0)
	v_fma_f64 v[1:2], v[1:2], v[121:122], -v[124:125]
	v_fma_f64 v[3:4], v[3:4], v[121:122], v[119:120]
.LBB119_118:
	s_and_saveexec_b32 s8, s5
	s_cbranch_execz .LBB119_122
; %bb.119:
	v_subrev_nc_u32_e32 v119, 41, v0
	s_movk_i32 s65, 0x610
	s_mov_b32 s5, 0
	s_mov_b32 s66, s22
	.p2align	6
.LBB119_120:                            ; =>This Inner Loop Header: Depth=1
	v_mov_b32_e32 v122, s66
	v_add_nc_u32_e32 v119, -1, v119
	s_add_i32 s66, s66, 16
	s_clause 0x3
	buffer_load_dword v120, v122, s[0:3], 0 offen offset:8
	buffer_load_dword v121, v122, s[0:3], 0 offen offset:12
	buffer_load_dword v128, v122, s[0:3], 0 offen
	buffer_load_dword v129, v122, s[0:3], 0 offen offset:4
	v_mov_b32_e32 v122, s65
	v_cmp_eq_u32_e32 vcc_lo, 0, v119
	s_add_i32 s65, s65, 16
	ds_read_b128 v[124:127], v122
	s_or_b32 s5, vcc_lo, s5
	s_waitcnt vmcnt(2) lgkmcnt(0)
	v_mul_f64 v[130:131], v[126:127], v[120:121]
	v_mul_f64 v[120:121], v[124:125], v[120:121]
	s_waitcnt vmcnt(0)
	v_fma_f64 v[124:125], v[124:125], v[128:129], -v[130:131]
	v_fma_f64 v[120:121], v[126:127], v[128:129], v[120:121]
	v_add_f64 v[1:2], v[1:2], v[124:125]
	v_add_f64 v[3:4], v[3:4], v[120:121]
	s_andn2_b32 exec_lo, exec_lo, s5
	s_cbranch_execnz .LBB119_120
; %bb.121:
	s_or_b32 exec_lo, exec_lo, s5
.LBB119_122:
	s_or_b32 exec_lo, exec_lo, s8
	v_mov_b32_e32 v119, 0
	ds_read_b128 v[119:122], v119 offset:640
	s_waitcnt lgkmcnt(0)
	v_mul_f64 v[124:125], v[3:4], v[121:122]
	v_mul_f64 v[121:122], v[1:2], v[121:122]
	v_fma_f64 v[1:2], v[1:2], v[119:120], -v[124:125]
	v_fma_f64 v[3:4], v[3:4], v[119:120], v[121:122]
	buffer_store_dword v2, off, s[0:3], 0 offset:644
	buffer_store_dword v1, off, s[0:3], 0 offset:640
	;; [unrolled: 1-line block ×4, first 2 shown]
.LBB119_123:
	s_or_b32 exec_lo, exec_lo, s6
	v_mov_b32_e32 v4, s24
	v_cmp_lt_u32_e64 s5, 39, v0
	s_clause 0x3
	buffer_load_dword v1, v4, s[0:3], 0 offen
	buffer_load_dword v2, v4, s[0:3], 0 offen offset:4
	buffer_load_dword v3, v4, s[0:3], 0 offen offset:8
	;; [unrolled: 1-line block ×3, first 2 shown]
	s_waitcnt vmcnt(0)
	ds_write_b128 v118, v[1:4]
	s_waitcnt lgkmcnt(0)
	s_waitcnt_vscnt null, 0x0
	s_barrier
	buffer_gl0_inv
	s_and_saveexec_b32 s6, s5
	s_cbranch_execz .LBB119_131
; %bb.124:
	ds_read_b128 v[1:4], v118
	s_andn2_b32 vcc_lo, exec_lo, s64
	s_cbranch_vccnz .LBB119_126
; %bb.125:
	s_clause 0x3
	buffer_load_dword v119, v117, s[0:3], 0 offen offset:8
	buffer_load_dword v120, v117, s[0:3], 0 offen offset:12
	buffer_load_dword v121, v117, s[0:3], 0 offen
	buffer_load_dword v122, v117, s[0:3], 0 offen offset:4
	s_waitcnt vmcnt(2) lgkmcnt(0)
	v_mul_f64 v[124:125], v[3:4], v[119:120]
	v_mul_f64 v[119:120], v[1:2], v[119:120]
	s_waitcnt vmcnt(0)
	v_fma_f64 v[1:2], v[1:2], v[121:122], -v[124:125]
	v_fma_f64 v[3:4], v[3:4], v[121:122], v[119:120]
.LBB119_126:
	s_and_saveexec_b32 s8, s4
	s_cbranch_execz .LBB119_130
; %bb.127:
	v_subrev_nc_u32_e32 v119, 40, v0
	s_movk_i32 s65, 0x600
	s_mov_b32 s4, 0
	s_mov_b32 s66, s23
	.p2align	6
.LBB119_128:                            ; =>This Inner Loop Header: Depth=1
	v_mov_b32_e32 v122, s66
	v_add_nc_u32_e32 v119, -1, v119
	s_add_i32 s66, s66, 16
	s_clause 0x3
	buffer_load_dword v120, v122, s[0:3], 0 offen offset:8
	buffer_load_dword v121, v122, s[0:3], 0 offen offset:12
	buffer_load_dword v128, v122, s[0:3], 0 offen
	buffer_load_dword v129, v122, s[0:3], 0 offen offset:4
	v_mov_b32_e32 v122, s65
	v_cmp_eq_u32_e32 vcc_lo, 0, v119
	s_add_i32 s65, s65, 16
	ds_read_b128 v[124:127], v122
	s_or_b32 s4, vcc_lo, s4
	s_waitcnt vmcnt(2) lgkmcnt(0)
	v_mul_f64 v[130:131], v[126:127], v[120:121]
	v_mul_f64 v[120:121], v[124:125], v[120:121]
	s_waitcnt vmcnt(0)
	v_fma_f64 v[124:125], v[124:125], v[128:129], -v[130:131]
	v_fma_f64 v[120:121], v[126:127], v[128:129], v[120:121]
	v_add_f64 v[1:2], v[1:2], v[124:125]
	v_add_f64 v[3:4], v[3:4], v[120:121]
	s_andn2_b32 exec_lo, exec_lo, s4
	s_cbranch_execnz .LBB119_128
; %bb.129:
	s_or_b32 exec_lo, exec_lo, s4
.LBB119_130:
	s_or_b32 exec_lo, exec_lo, s8
	v_mov_b32_e32 v119, 0
	ds_read_b128 v[119:122], v119 offset:624
	s_waitcnt lgkmcnt(0)
	v_mul_f64 v[124:125], v[3:4], v[121:122]
	v_mul_f64 v[121:122], v[1:2], v[121:122]
	v_fma_f64 v[1:2], v[1:2], v[119:120], -v[124:125]
	v_fma_f64 v[3:4], v[3:4], v[119:120], v[121:122]
	buffer_store_dword v2, off, s[0:3], 0 offset:628
	buffer_store_dword v1, off, s[0:3], 0 offset:624
	;; [unrolled: 1-line block ×4, first 2 shown]
.LBB119_131:
	s_or_b32 exec_lo, exec_lo, s6
	v_mov_b32_e32 v4, s25
	v_cmp_lt_u32_e64 s4, 38, v0
	s_clause 0x3
	buffer_load_dword v1, v4, s[0:3], 0 offen
	buffer_load_dword v2, v4, s[0:3], 0 offen offset:4
	buffer_load_dword v3, v4, s[0:3], 0 offen offset:8
	;; [unrolled: 1-line block ×3, first 2 shown]
	s_waitcnt vmcnt(0)
	ds_write_b128 v118, v[1:4]
	s_waitcnt lgkmcnt(0)
	s_waitcnt_vscnt null, 0x0
	s_barrier
	buffer_gl0_inv
	s_and_saveexec_b32 s6, s4
	s_cbranch_execz .LBB119_139
; %bb.132:
	ds_read_b128 v[1:4], v118
	s_andn2_b32 vcc_lo, exec_lo, s64
	s_cbranch_vccnz .LBB119_134
; %bb.133:
	s_clause 0x3
	buffer_load_dword v119, v117, s[0:3], 0 offen offset:8
	buffer_load_dword v120, v117, s[0:3], 0 offen offset:12
	buffer_load_dword v121, v117, s[0:3], 0 offen
	buffer_load_dword v122, v117, s[0:3], 0 offen offset:4
	s_waitcnt vmcnt(2) lgkmcnt(0)
	v_mul_f64 v[124:125], v[3:4], v[119:120]
	v_mul_f64 v[119:120], v[1:2], v[119:120]
	s_waitcnt vmcnt(0)
	v_fma_f64 v[1:2], v[1:2], v[121:122], -v[124:125]
	v_fma_f64 v[3:4], v[3:4], v[121:122], v[119:120]
.LBB119_134:
	s_and_saveexec_b32 s8, s5
	s_cbranch_execz .LBB119_138
; %bb.135:
	v_subrev_nc_u32_e32 v119, 39, v0
	s_movk_i32 s65, 0x5f0
	s_mov_b32 s5, 0
	s_mov_b32 s66, s24
	.p2align	6
.LBB119_136:                            ; =>This Inner Loop Header: Depth=1
	v_mov_b32_e32 v122, s66
	v_add_nc_u32_e32 v119, -1, v119
	s_add_i32 s66, s66, 16
	s_clause 0x3
	buffer_load_dword v120, v122, s[0:3], 0 offen offset:8
	buffer_load_dword v121, v122, s[0:3], 0 offen offset:12
	buffer_load_dword v128, v122, s[0:3], 0 offen
	buffer_load_dword v129, v122, s[0:3], 0 offen offset:4
	v_mov_b32_e32 v122, s65
	v_cmp_eq_u32_e32 vcc_lo, 0, v119
	s_add_i32 s65, s65, 16
	ds_read_b128 v[124:127], v122
	s_or_b32 s5, vcc_lo, s5
	s_waitcnt vmcnt(2) lgkmcnt(0)
	v_mul_f64 v[130:131], v[126:127], v[120:121]
	v_mul_f64 v[120:121], v[124:125], v[120:121]
	s_waitcnt vmcnt(0)
	v_fma_f64 v[124:125], v[124:125], v[128:129], -v[130:131]
	v_fma_f64 v[120:121], v[126:127], v[128:129], v[120:121]
	v_add_f64 v[1:2], v[1:2], v[124:125]
	v_add_f64 v[3:4], v[3:4], v[120:121]
	s_andn2_b32 exec_lo, exec_lo, s5
	s_cbranch_execnz .LBB119_136
; %bb.137:
	s_or_b32 exec_lo, exec_lo, s5
.LBB119_138:
	s_or_b32 exec_lo, exec_lo, s8
	v_mov_b32_e32 v119, 0
	ds_read_b128 v[119:122], v119 offset:608
	s_waitcnt lgkmcnt(0)
	v_mul_f64 v[124:125], v[3:4], v[121:122]
	v_mul_f64 v[121:122], v[1:2], v[121:122]
	v_fma_f64 v[1:2], v[1:2], v[119:120], -v[124:125]
	v_fma_f64 v[3:4], v[3:4], v[119:120], v[121:122]
	buffer_store_dword v2, off, s[0:3], 0 offset:612
	buffer_store_dword v1, off, s[0:3], 0 offset:608
	;; [unrolled: 1-line block ×4, first 2 shown]
.LBB119_139:
	s_or_b32 exec_lo, exec_lo, s6
	v_mov_b32_e32 v4, s26
	v_cmp_lt_u32_e64 s5, 37, v0
	s_clause 0x3
	buffer_load_dword v1, v4, s[0:3], 0 offen
	buffer_load_dword v2, v4, s[0:3], 0 offen offset:4
	buffer_load_dword v3, v4, s[0:3], 0 offen offset:8
	;; [unrolled: 1-line block ×3, first 2 shown]
	s_waitcnt vmcnt(0)
	ds_write_b128 v118, v[1:4]
	s_waitcnt lgkmcnt(0)
	s_waitcnt_vscnt null, 0x0
	s_barrier
	buffer_gl0_inv
	s_and_saveexec_b32 s6, s5
	s_cbranch_execz .LBB119_147
; %bb.140:
	ds_read_b128 v[1:4], v118
	s_andn2_b32 vcc_lo, exec_lo, s64
	s_cbranch_vccnz .LBB119_142
; %bb.141:
	s_clause 0x3
	buffer_load_dword v119, v117, s[0:3], 0 offen offset:8
	buffer_load_dword v120, v117, s[0:3], 0 offen offset:12
	buffer_load_dword v121, v117, s[0:3], 0 offen
	buffer_load_dword v122, v117, s[0:3], 0 offen offset:4
	s_waitcnt vmcnt(2) lgkmcnt(0)
	v_mul_f64 v[124:125], v[3:4], v[119:120]
	v_mul_f64 v[119:120], v[1:2], v[119:120]
	s_waitcnt vmcnt(0)
	v_fma_f64 v[1:2], v[1:2], v[121:122], -v[124:125]
	v_fma_f64 v[3:4], v[3:4], v[121:122], v[119:120]
.LBB119_142:
	s_and_saveexec_b32 s8, s4
	s_cbranch_execz .LBB119_146
; %bb.143:
	v_subrev_nc_u32_e32 v119, 38, v0
	s_movk_i32 s65, 0x5e0
	s_mov_b32 s4, 0
	s_mov_b32 s66, s25
	.p2align	6
.LBB119_144:                            ; =>This Inner Loop Header: Depth=1
	v_mov_b32_e32 v122, s66
	v_add_nc_u32_e32 v119, -1, v119
	s_add_i32 s66, s66, 16
	s_clause 0x3
	buffer_load_dword v120, v122, s[0:3], 0 offen offset:8
	buffer_load_dword v121, v122, s[0:3], 0 offen offset:12
	buffer_load_dword v128, v122, s[0:3], 0 offen
	buffer_load_dword v129, v122, s[0:3], 0 offen offset:4
	v_mov_b32_e32 v122, s65
	v_cmp_eq_u32_e32 vcc_lo, 0, v119
	s_add_i32 s65, s65, 16
	ds_read_b128 v[124:127], v122
	s_or_b32 s4, vcc_lo, s4
	s_waitcnt vmcnt(2) lgkmcnt(0)
	v_mul_f64 v[130:131], v[126:127], v[120:121]
	v_mul_f64 v[120:121], v[124:125], v[120:121]
	s_waitcnt vmcnt(0)
	v_fma_f64 v[124:125], v[124:125], v[128:129], -v[130:131]
	v_fma_f64 v[120:121], v[126:127], v[128:129], v[120:121]
	v_add_f64 v[1:2], v[1:2], v[124:125]
	v_add_f64 v[3:4], v[3:4], v[120:121]
	s_andn2_b32 exec_lo, exec_lo, s4
	s_cbranch_execnz .LBB119_144
; %bb.145:
	s_or_b32 exec_lo, exec_lo, s4
.LBB119_146:
	s_or_b32 exec_lo, exec_lo, s8
	v_mov_b32_e32 v119, 0
	ds_read_b128 v[119:122], v119 offset:592
	s_waitcnt lgkmcnt(0)
	v_mul_f64 v[124:125], v[3:4], v[121:122]
	v_mul_f64 v[121:122], v[1:2], v[121:122]
	v_fma_f64 v[1:2], v[1:2], v[119:120], -v[124:125]
	v_fma_f64 v[3:4], v[3:4], v[119:120], v[121:122]
	buffer_store_dword v2, off, s[0:3], 0 offset:596
	buffer_store_dword v1, off, s[0:3], 0 offset:592
	;; [unrolled: 1-line block ×4, first 2 shown]
.LBB119_147:
	s_or_b32 exec_lo, exec_lo, s6
	v_mov_b32_e32 v4, s27
	v_cmp_lt_u32_e64 s4, 36, v0
	s_clause 0x3
	buffer_load_dword v1, v4, s[0:3], 0 offen
	buffer_load_dword v2, v4, s[0:3], 0 offen offset:4
	buffer_load_dword v3, v4, s[0:3], 0 offen offset:8
	;; [unrolled: 1-line block ×3, first 2 shown]
	s_waitcnt vmcnt(0)
	ds_write_b128 v118, v[1:4]
	s_waitcnt lgkmcnt(0)
	s_waitcnt_vscnt null, 0x0
	s_barrier
	buffer_gl0_inv
	s_and_saveexec_b32 s6, s4
	s_cbranch_execz .LBB119_155
; %bb.148:
	ds_read_b128 v[1:4], v118
	s_andn2_b32 vcc_lo, exec_lo, s64
	s_cbranch_vccnz .LBB119_150
; %bb.149:
	s_clause 0x3
	buffer_load_dword v119, v117, s[0:3], 0 offen offset:8
	buffer_load_dword v120, v117, s[0:3], 0 offen offset:12
	buffer_load_dword v121, v117, s[0:3], 0 offen
	buffer_load_dword v122, v117, s[0:3], 0 offen offset:4
	s_waitcnt vmcnt(2) lgkmcnt(0)
	v_mul_f64 v[124:125], v[3:4], v[119:120]
	v_mul_f64 v[119:120], v[1:2], v[119:120]
	s_waitcnt vmcnt(0)
	v_fma_f64 v[1:2], v[1:2], v[121:122], -v[124:125]
	v_fma_f64 v[3:4], v[3:4], v[121:122], v[119:120]
.LBB119_150:
	s_and_saveexec_b32 s8, s5
	s_cbranch_execz .LBB119_154
; %bb.151:
	v_subrev_nc_u32_e32 v119, 37, v0
	s_movk_i32 s65, 0x5d0
	s_mov_b32 s5, 0
	s_mov_b32 s66, s26
	.p2align	6
.LBB119_152:                            ; =>This Inner Loop Header: Depth=1
	v_mov_b32_e32 v122, s66
	v_add_nc_u32_e32 v119, -1, v119
	s_add_i32 s66, s66, 16
	s_clause 0x3
	buffer_load_dword v120, v122, s[0:3], 0 offen offset:8
	buffer_load_dword v121, v122, s[0:3], 0 offen offset:12
	buffer_load_dword v128, v122, s[0:3], 0 offen
	buffer_load_dword v129, v122, s[0:3], 0 offen offset:4
	v_mov_b32_e32 v122, s65
	v_cmp_eq_u32_e32 vcc_lo, 0, v119
	s_add_i32 s65, s65, 16
	ds_read_b128 v[124:127], v122
	s_or_b32 s5, vcc_lo, s5
	s_waitcnt vmcnt(2) lgkmcnt(0)
	v_mul_f64 v[130:131], v[126:127], v[120:121]
	v_mul_f64 v[120:121], v[124:125], v[120:121]
	s_waitcnt vmcnt(0)
	v_fma_f64 v[124:125], v[124:125], v[128:129], -v[130:131]
	v_fma_f64 v[120:121], v[126:127], v[128:129], v[120:121]
	v_add_f64 v[1:2], v[1:2], v[124:125]
	v_add_f64 v[3:4], v[3:4], v[120:121]
	s_andn2_b32 exec_lo, exec_lo, s5
	s_cbranch_execnz .LBB119_152
; %bb.153:
	s_or_b32 exec_lo, exec_lo, s5
.LBB119_154:
	s_or_b32 exec_lo, exec_lo, s8
	v_mov_b32_e32 v119, 0
	ds_read_b128 v[119:122], v119 offset:576
	s_waitcnt lgkmcnt(0)
	v_mul_f64 v[124:125], v[3:4], v[121:122]
	v_mul_f64 v[121:122], v[1:2], v[121:122]
	v_fma_f64 v[1:2], v[1:2], v[119:120], -v[124:125]
	v_fma_f64 v[3:4], v[3:4], v[119:120], v[121:122]
	buffer_store_dword v2, off, s[0:3], 0 offset:580
	buffer_store_dword v1, off, s[0:3], 0 offset:576
	buffer_store_dword v4, off, s[0:3], 0 offset:588
	buffer_store_dword v3, off, s[0:3], 0 offset:584
.LBB119_155:
	s_or_b32 exec_lo, exec_lo, s6
	v_mov_b32_e32 v4, s28
	v_cmp_lt_u32_e64 s5, 35, v0
	s_clause 0x3
	buffer_load_dword v1, v4, s[0:3], 0 offen
	buffer_load_dword v2, v4, s[0:3], 0 offen offset:4
	buffer_load_dword v3, v4, s[0:3], 0 offen offset:8
	buffer_load_dword v4, v4, s[0:3], 0 offen offset:12
	s_waitcnt vmcnt(0)
	ds_write_b128 v118, v[1:4]
	s_waitcnt lgkmcnt(0)
	s_waitcnt_vscnt null, 0x0
	s_barrier
	buffer_gl0_inv
	s_and_saveexec_b32 s6, s5
	s_cbranch_execz .LBB119_163
; %bb.156:
	ds_read_b128 v[1:4], v118
	s_andn2_b32 vcc_lo, exec_lo, s64
	s_cbranch_vccnz .LBB119_158
; %bb.157:
	s_clause 0x3
	buffer_load_dword v119, v117, s[0:3], 0 offen offset:8
	buffer_load_dword v120, v117, s[0:3], 0 offen offset:12
	buffer_load_dword v121, v117, s[0:3], 0 offen
	buffer_load_dword v122, v117, s[0:3], 0 offen offset:4
	s_waitcnt vmcnt(2) lgkmcnt(0)
	v_mul_f64 v[124:125], v[3:4], v[119:120]
	v_mul_f64 v[119:120], v[1:2], v[119:120]
	s_waitcnt vmcnt(0)
	v_fma_f64 v[1:2], v[1:2], v[121:122], -v[124:125]
	v_fma_f64 v[3:4], v[3:4], v[121:122], v[119:120]
.LBB119_158:
	s_and_saveexec_b32 s8, s4
	s_cbranch_execz .LBB119_162
; %bb.159:
	v_subrev_nc_u32_e32 v119, 36, v0
	s_movk_i32 s65, 0x5c0
	s_mov_b32 s4, 0
	s_mov_b32 s66, s27
	.p2align	6
.LBB119_160:                            ; =>This Inner Loop Header: Depth=1
	v_mov_b32_e32 v122, s66
	v_add_nc_u32_e32 v119, -1, v119
	s_add_i32 s66, s66, 16
	s_clause 0x3
	buffer_load_dword v120, v122, s[0:3], 0 offen offset:8
	buffer_load_dword v121, v122, s[0:3], 0 offen offset:12
	buffer_load_dword v128, v122, s[0:3], 0 offen
	buffer_load_dword v129, v122, s[0:3], 0 offen offset:4
	v_mov_b32_e32 v122, s65
	v_cmp_eq_u32_e32 vcc_lo, 0, v119
	s_add_i32 s65, s65, 16
	ds_read_b128 v[124:127], v122
	s_or_b32 s4, vcc_lo, s4
	s_waitcnt vmcnt(2) lgkmcnt(0)
	v_mul_f64 v[130:131], v[126:127], v[120:121]
	v_mul_f64 v[120:121], v[124:125], v[120:121]
	s_waitcnt vmcnt(0)
	v_fma_f64 v[124:125], v[124:125], v[128:129], -v[130:131]
	v_fma_f64 v[120:121], v[126:127], v[128:129], v[120:121]
	v_add_f64 v[1:2], v[1:2], v[124:125]
	v_add_f64 v[3:4], v[3:4], v[120:121]
	s_andn2_b32 exec_lo, exec_lo, s4
	s_cbranch_execnz .LBB119_160
; %bb.161:
	s_or_b32 exec_lo, exec_lo, s4
.LBB119_162:
	s_or_b32 exec_lo, exec_lo, s8
	v_mov_b32_e32 v119, 0
	ds_read_b128 v[119:122], v119 offset:560
	s_waitcnt lgkmcnt(0)
	v_mul_f64 v[124:125], v[3:4], v[121:122]
	v_mul_f64 v[121:122], v[1:2], v[121:122]
	v_fma_f64 v[1:2], v[1:2], v[119:120], -v[124:125]
	v_fma_f64 v[3:4], v[3:4], v[119:120], v[121:122]
	buffer_store_dword v2, off, s[0:3], 0 offset:564
	buffer_store_dword v1, off, s[0:3], 0 offset:560
	;; [unrolled: 1-line block ×4, first 2 shown]
.LBB119_163:
	s_or_b32 exec_lo, exec_lo, s6
	v_mov_b32_e32 v4, s29
	v_cmp_lt_u32_e64 s4, 34, v0
	s_clause 0x3
	buffer_load_dword v1, v4, s[0:3], 0 offen
	buffer_load_dword v2, v4, s[0:3], 0 offen offset:4
	buffer_load_dword v3, v4, s[0:3], 0 offen offset:8
	buffer_load_dword v4, v4, s[0:3], 0 offen offset:12
	s_waitcnt vmcnt(0)
	ds_write_b128 v118, v[1:4]
	s_waitcnt lgkmcnt(0)
	s_waitcnt_vscnt null, 0x0
	s_barrier
	buffer_gl0_inv
	s_and_saveexec_b32 s6, s4
	s_cbranch_execz .LBB119_171
; %bb.164:
	ds_read_b128 v[1:4], v118
	s_andn2_b32 vcc_lo, exec_lo, s64
	s_cbranch_vccnz .LBB119_166
; %bb.165:
	s_clause 0x3
	buffer_load_dword v119, v117, s[0:3], 0 offen offset:8
	buffer_load_dword v120, v117, s[0:3], 0 offen offset:12
	buffer_load_dword v121, v117, s[0:3], 0 offen
	buffer_load_dword v122, v117, s[0:3], 0 offen offset:4
	s_waitcnt vmcnt(2) lgkmcnt(0)
	v_mul_f64 v[124:125], v[3:4], v[119:120]
	v_mul_f64 v[119:120], v[1:2], v[119:120]
	s_waitcnt vmcnt(0)
	v_fma_f64 v[1:2], v[1:2], v[121:122], -v[124:125]
	v_fma_f64 v[3:4], v[3:4], v[121:122], v[119:120]
.LBB119_166:
	s_and_saveexec_b32 s8, s5
	s_cbranch_execz .LBB119_170
; %bb.167:
	v_subrev_nc_u32_e32 v119, 35, v0
	s_movk_i32 s65, 0x5b0
	s_mov_b32 s5, 0
	s_mov_b32 s66, s28
	.p2align	6
.LBB119_168:                            ; =>This Inner Loop Header: Depth=1
	v_mov_b32_e32 v122, s66
	v_add_nc_u32_e32 v119, -1, v119
	s_add_i32 s66, s66, 16
	s_clause 0x3
	buffer_load_dword v120, v122, s[0:3], 0 offen offset:8
	buffer_load_dword v121, v122, s[0:3], 0 offen offset:12
	buffer_load_dword v128, v122, s[0:3], 0 offen
	buffer_load_dword v129, v122, s[0:3], 0 offen offset:4
	v_mov_b32_e32 v122, s65
	v_cmp_eq_u32_e32 vcc_lo, 0, v119
	s_add_i32 s65, s65, 16
	ds_read_b128 v[124:127], v122
	s_or_b32 s5, vcc_lo, s5
	s_waitcnt vmcnt(2) lgkmcnt(0)
	v_mul_f64 v[130:131], v[126:127], v[120:121]
	v_mul_f64 v[120:121], v[124:125], v[120:121]
	s_waitcnt vmcnt(0)
	v_fma_f64 v[124:125], v[124:125], v[128:129], -v[130:131]
	v_fma_f64 v[120:121], v[126:127], v[128:129], v[120:121]
	v_add_f64 v[1:2], v[1:2], v[124:125]
	v_add_f64 v[3:4], v[3:4], v[120:121]
	s_andn2_b32 exec_lo, exec_lo, s5
	s_cbranch_execnz .LBB119_168
; %bb.169:
	s_or_b32 exec_lo, exec_lo, s5
.LBB119_170:
	s_or_b32 exec_lo, exec_lo, s8
	v_mov_b32_e32 v119, 0
	ds_read_b128 v[119:122], v119 offset:544
	s_waitcnt lgkmcnt(0)
	v_mul_f64 v[124:125], v[3:4], v[121:122]
	v_mul_f64 v[121:122], v[1:2], v[121:122]
	v_fma_f64 v[1:2], v[1:2], v[119:120], -v[124:125]
	v_fma_f64 v[3:4], v[3:4], v[119:120], v[121:122]
	buffer_store_dword v2, off, s[0:3], 0 offset:548
	buffer_store_dword v1, off, s[0:3], 0 offset:544
	;; [unrolled: 1-line block ×4, first 2 shown]
.LBB119_171:
	s_or_b32 exec_lo, exec_lo, s6
	v_mov_b32_e32 v4, s30
	v_cmp_lt_u32_e64 s5, 33, v0
	s_clause 0x3
	buffer_load_dword v1, v4, s[0:3], 0 offen
	buffer_load_dword v2, v4, s[0:3], 0 offen offset:4
	buffer_load_dword v3, v4, s[0:3], 0 offen offset:8
	;; [unrolled: 1-line block ×3, first 2 shown]
	s_waitcnt vmcnt(0)
	ds_write_b128 v118, v[1:4]
	s_waitcnt lgkmcnt(0)
	s_waitcnt_vscnt null, 0x0
	s_barrier
	buffer_gl0_inv
	s_and_saveexec_b32 s6, s5
	s_cbranch_execz .LBB119_179
; %bb.172:
	ds_read_b128 v[1:4], v118
	s_andn2_b32 vcc_lo, exec_lo, s64
	s_cbranch_vccnz .LBB119_174
; %bb.173:
	s_clause 0x3
	buffer_load_dword v119, v117, s[0:3], 0 offen offset:8
	buffer_load_dword v120, v117, s[0:3], 0 offen offset:12
	buffer_load_dword v121, v117, s[0:3], 0 offen
	buffer_load_dword v122, v117, s[0:3], 0 offen offset:4
	s_waitcnt vmcnt(2) lgkmcnt(0)
	v_mul_f64 v[124:125], v[3:4], v[119:120]
	v_mul_f64 v[119:120], v[1:2], v[119:120]
	s_waitcnt vmcnt(0)
	v_fma_f64 v[1:2], v[1:2], v[121:122], -v[124:125]
	v_fma_f64 v[3:4], v[3:4], v[121:122], v[119:120]
.LBB119_174:
	s_and_saveexec_b32 s8, s4
	s_cbranch_execz .LBB119_178
; %bb.175:
	v_subrev_nc_u32_e32 v119, 34, v0
	s_movk_i32 s65, 0x5a0
	s_mov_b32 s4, 0
	s_mov_b32 s66, s29
	.p2align	6
.LBB119_176:                            ; =>This Inner Loop Header: Depth=1
	v_mov_b32_e32 v122, s66
	v_add_nc_u32_e32 v119, -1, v119
	s_add_i32 s66, s66, 16
	s_clause 0x3
	buffer_load_dword v120, v122, s[0:3], 0 offen offset:8
	buffer_load_dword v121, v122, s[0:3], 0 offen offset:12
	buffer_load_dword v128, v122, s[0:3], 0 offen
	buffer_load_dword v129, v122, s[0:3], 0 offen offset:4
	v_mov_b32_e32 v122, s65
	v_cmp_eq_u32_e32 vcc_lo, 0, v119
	s_add_i32 s65, s65, 16
	ds_read_b128 v[124:127], v122
	s_or_b32 s4, vcc_lo, s4
	s_waitcnt vmcnt(2) lgkmcnt(0)
	v_mul_f64 v[130:131], v[126:127], v[120:121]
	v_mul_f64 v[120:121], v[124:125], v[120:121]
	s_waitcnt vmcnt(0)
	v_fma_f64 v[124:125], v[124:125], v[128:129], -v[130:131]
	v_fma_f64 v[120:121], v[126:127], v[128:129], v[120:121]
	v_add_f64 v[1:2], v[1:2], v[124:125]
	v_add_f64 v[3:4], v[3:4], v[120:121]
	s_andn2_b32 exec_lo, exec_lo, s4
	s_cbranch_execnz .LBB119_176
; %bb.177:
	s_or_b32 exec_lo, exec_lo, s4
.LBB119_178:
	s_or_b32 exec_lo, exec_lo, s8
	v_mov_b32_e32 v119, 0
	ds_read_b128 v[119:122], v119 offset:528
	s_waitcnt lgkmcnt(0)
	v_mul_f64 v[124:125], v[3:4], v[121:122]
	v_mul_f64 v[121:122], v[1:2], v[121:122]
	v_fma_f64 v[1:2], v[1:2], v[119:120], -v[124:125]
	v_fma_f64 v[3:4], v[3:4], v[119:120], v[121:122]
	buffer_store_dword v2, off, s[0:3], 0 offset:532
	buffer_store_dword v1, off, s[0:3], 0 offset:528
	;; [unrolled: 1-line block ×4, first 2 shown]
.LBB119_179:
	s_or_b32 exec_lo, exec_lo, s6
	v_mov_b32_e32 v4, s31
	v_cmp_lt_u32_e64 s4, 32, v0
	s_clause 0x3
	buffer_load_dword v1, v4, s[0:3], 0 offen
	buffer_load_dword v2, v4, s[0:3], 0 offen offset:4
	buffer_load_dword v3, v4, s[0:3], 0 offen offset:8
	;; [unrolled: 1-line block ×3, first 2 shown]
	s_waitcnt vmcnt(0)
	ds_write_b128 v118, v[1:4]
	s_waitcnt lgkmcnt(0)
	s_waitcnt_vscnt null, 0x0
	s_barrier
	buffer_gl0_inv
	s_and_saveexec_b32 s6, s4
	s_cbranch_execz .LBB119_187
; %bb.180:
	ds_read_b128 v[1:4], v118
	s_andn2_b32 vcc_lo, exec_lo, s64
	s_cbranch_vccnz .LBB119_182
; %bb.181:
	s_clause 0x3
	buffer_load_dword v119, v117, s[0:3], 0 offen offset:8
	buffer_load_dword v120, v117, s[0:3], 0 offen offset:12
	buffer_load_dword v121, v117, s[0:3], 0 offen
	buffer_load_dword v122, v117, s[0:3], 0 offen offset:4
	s_waitcnt vmcnt(2) lgkmcnt(0)
	v_mul_f64 v[124:125], v[3:4], v[119:120]
	v_mul_f64 v[119:120], v[1:2], v[119:120]
	s_waitcnt vmcnt(0)
	v_fma_f64 v[1:2], v[1:2], v[121:122], -v[124:125]
	v_fma_f64 v[3:4], v[3:4], v[121:122], v[119:120]
.LBB119_182:
	s_and_saveexec_b32 s8, s5
	s_cbranch_execz .LBB119_186
; %bb.183:
	v_subrev_nc_u32_e32 v119, 33, v0
	s_movk_i32 s65, 0x590
	s_mov_b32 s5, 0
	s_mov_b32 s66, s30
	.p2align	6
.LBB119_184:                            ; =>This Inner Loop Header: Depth=1
	v_mov_b32_e32 v122, s66
	v_add_nc_u32_e32 v119, -1, v119
	s_add_i32 s66, s66, 16
	s_clause 0x3
	buffer_load_dword v120, v122, s[0:3], 0 offen offset:8
	buffer_load_dword v121, v122, s[0:3], 0 offen offset:12
	buffer_load_dword v128, v122, s[0:3], 0 offen
	buffer_load_dword v129, v122, s[0:3], 0 offen offset:4
	v_mov_b32_e32 v122, s65
	v_cmp_eq_u32_e32 vcc_lo, 0, v119
	s_add_i32 s65, s65, 16
	ds_read_b128 v[124:127], v122
	s_or_b32 s5, vcc_lo, s5
	s_waitcnt vmcnt(2) lgkmcnt(0)
	v_mul_f64 v[130:131], v[126:127], v[120:121]
	v_mul_f64 v[120:121], v[124:125], v[120:121]
	s_waitcnt vmcnt(0)
	v_fma_f64 v[124:125], v[124:125], v[128:129], -v[130:131]
	v_fma_f64 v[120:121], v[126:127], v[128:129], v[120:121]
	v_add_f64 v[1:2], v[1:2], v[124:125]
	v_add_f64 v[3:4], v[3:4], v[120:121]
	s_andn2_b32 exec_lo, exec_lo, s5
	s_cbranch_execnz .LBB119_184
; %bb.185:
	s_or_b32 exec_lo, exec_lo, s5
.LBB119_186:
	s_or_b32 exec_lo, exec_lo, s8
	v_mov_b32_e32 v119, 0
	ds_read_b128 v[119:122], v119 offset:512
	s_waitcnt lgkmcnt(0)
	v_mul_f64 v[124:125], v[3:4], v[121:122]
	v_mul_f64 v[121:122], v[1:2], v[121:122]
	v_fma_f64 v[1:2], v[1:2], v[119:120], -v[124:125]
	v_fma_f64 v[3:4], v[3:4], v[119:120], v[121:122]
	buffer_store_dword v2, off, s[0:3], 0 offset:516
	buffer_store_dword v1, off, s[0:3], 0 offset:512
	;; [unrolled: 1-line block ×4, first 2 shown]
.LBB119_187:
	s_or_b32 exec_lo, exec_lo, s6
	v_mov_b32_e32 v4, s33
	v_cmp_lt_u32_e64 s5, 31, v0
	s_clause 0x3
	buffer_load_dword v1, v4, s[0:3], 0 offen
	buffer_load_dword v2, v4, s[0:3], 0 offen offset:4
	buffer_load_dword v3, v4, s[0:3], 0 offen offset:8
	;; [unrolled: 1-line block ×3, first 2 shown]
	s_waitcnt vmcnt(0)
	ds_write_b128 v118, v[1:4]
	s_waitcnt lgkmcnt(0)
	s_waitcnt_vscnt null, 0x0
	s_barrier
	buffer_gl0_inv
	s_and_saveexec_b32 s6, s5
	s_cbranch_execz .LBB119_195
; %bb.188:
	ds_read_b128 v[1:4], v118
	s_andn2_b32 vcc_lo, exec_lo, s64
	s_cbranch_vccnz .LBB119_190
; %bb.189:
	s_clause 0x3
	buffer_load_dword v119, v117, s[0:3], 0 offen offset:8
	buffer_load_dword v120, v117, s[0:3], 0 offen offset:12
	buffer_load_dword v121, v117, s[0:3], 0 offen
	buffer_load_dword v122, v117, s[0:3], 0 offen offset:4
	s_waitcnt vmcnt(2) lgkmcnt(0)
	v_mul_f64 v[124:125], v[3:4], v[119:120]
	v_mul_f64 v[119:120], v[1:2], v[119:120]
	s_waitcnt vmcnt(0)
	v_fma_f64 v[1:2], v[1:2], v[121:122], -v[124:125]
	v_fma_f64 v[3:4], v[3:4], v[121:122], v[119:120]
.LBB119_190:
	s_and_saveexec_b32 s8, s4
	s_cbranch_execz .LBB119_194
; %bb.191:
	v_subrev_nc_u32_e32 v119, 32, v0
	s_movk_i32 s65, 0x580
	s_mov_b32 s4, 0
	s_mov_b32 s66, s31
	.p2align	6
.LBB119_192:                            ; =>This Inner Loop Header: Depth=1
	v_mov_b32_e32 v122, s66
	v_add_nc_u32_e32 v119, -1, v119
	s_add_i32 s66, s66, 16
	s_clause 0x3
	buffer_load_dword v120, v122, s[0:3], 0 offen offset:8
	buffer_load_dword v121, v122, s[0:3], 0 offen offset:12
	buffer_load_dword v128, v122, s[0:3], 0 offen
	buffer_load_dword v129, v122, s[0:3], 0 offen offset:4
	v_mov_b32_e32 v122, s65
	v_cmp_eq_u32_e32 vcc_lo, 0, v119
	s_add_i32 s65, s65, 16
	ds_read_b128 v[124:127], v122
	s_or_b32 s4, vcc_lo, s4
	s_waitcnt vmcnt(2) lgkmcnt(0)
	v_mul_f64 v[130:131], v[126:127], v[120:121]
	v_mul_f64 v[120:121], v[124:125], v[120:121]
	s_waitcnt vmcnt(0)
	v_fma_f64 v[124:125], v[124:125], v[128:129], -v[130:131]
	v_fma_f64 v[120:121], v[126:127], v[128:129], v[120:121]
	v_add_f64 v[1:2], v[1:2], v[124:125]
	v_add_f64 v[3:4], v[3:4], v[120:121]
	s_andn2_b32 exec_lo, exec_lo, s4
	s_cbranch_execnz .LBB119_192
; %bb.193:
	s_or_b32 exec_lo, exec_lo, s4
.LBB119_194:
	s_or_b32 exec_lo, exec_lo, s8
	v_mov_b32_e32 v119, 0
	ds_read_b128 v[119:122], v119 offset:496
	s_waitcnt lgkmcnt(0)
	v_mul_f64 v[124:125], v[3:4], v[121:122]
	v_mul_f64 v[121:122], v[1:2], v[121:122]
	v_fma_f64 v[1:2], v[1:2], v[119:120], -v[124:125]
	v_fma_f64 v[3:4], v[3:4], v[119:120], v[121:122]
	buffer_store_dword v2, off, s[0:3], 0 offset:500
	buffer_store_dword v1, off, s[0:3], 0 offset:496
	;; [unrolled: 1-line block ×4, first 2 shown]
.LBB119_195:
	s_or_b32 exec_lo, exec_lo, s6
	v_mov_b32_e32 v4, s34
	v_cmp_lt_u32_e64 s4, 30, v0
	s_clause 0x3
	buffer_load_dword v1, v4, s[0:3], 0 offen
	buffer_load_dword v2, v4, s[0:3], 0 offen offset:4
	buffer_load_dword v3, v4, s[0:3], 0 offen offset:8
	;; [unrolled: 1-line block ×3, first 2 shown]
	s_waitcnt vmcnt(0)
	ds_write_b128 v118, v[1:4]
	s_waitcnt lgkmcnt(0)
	s_waitcnt_vscnt null, 0x0
	s_barrier
	buffer_gl0_inv
	s_and_saveexec_b32 s6, s4
	s_cbranch_execz .LBB119_203
; %bb.196:
	ds_read_b128 v[1:4], v118
	s_andn2_b32 vcc_lo, exec_lo, s64
	s_cbranch_vccnz .LBB119_198
; %bb.197:
	s_clause 0x3
	buffer_load_dword v119, v117, s[0:3], 0 offen offset:8
	buffer_load_dword v120, v117, s[0:3], 0 offen offset:12
	buffer_load_dword v121, v117, s[0:3], 0 offen
	buffer_load_dword v122, v117, s[0:3], 0 offen offset:4
	s_waitcnt vmcnt(2) lgkmcnt(0)
	v_mul_f64 v[124:125], v[3:4], v[119:120]
	v_mul_f64 v[119:120], v[1:2], v[119:120]
	s_waitcnt vmcnt(0)
	v_fma_f64 v[1:2], v[1:2], v[121:122], -v[124:125]
	v_fma_f64 v[3:4], v[3:4], v[121:122], v[119:120]
.LBB119_198:
	s_and_saveexec_b32 s8, s5
	s_cbranch_execz .LBB119_202
; %bb.199:
	v_subrev_nc_u32_e32 v119, 31, v0
	s_movk_i32 s65, 0x570
	s_mov_b32 s5, 0
	s_mov_b32 s66, s33
	.p2align	6
.LBB119_200:                            ; =>This Inner Loop Header: Depth=1
	v_mov_b32_e32 v122, s66
	v_add_nc_u32_e32 v119, -1, v119
	s_add_i32 s66, s66, 16
	s_clause 0x3
	buffer_load_dword v120, v122, s[0:3], 0 offen offset:8
	buffer_load_dword v121, v122, s[0:3], 0 offen offset:12
	buffer_load_dword v128, v122, s[0:3], 0 offen
	buffer_load_dword v129, v122, s[0:3], 0 offen offset:4
	v_mov_b32_e32 v122, s65
	v_cmp_eq_u32_e32 vcc_lo, 0, v119
	s_add_i32 s65, s65, 16
	ds_read_b128 v[124:127], v122
	s_or_b32 s5, vcc_lo, s5
	s_waitcnt vmcnt(2) lgkmcnt(0)
	v_mul_f64 v[130:131], v[126:127], v[120:121]
	v_mul_f64 v[120:121], v[124:125], v[120:121]
	s_waitcnt vmcnt(0)
	v_fma_f64 v[124:125], v[124:125], v[128:129], -v[130:131]
	v_fma_f64 v[120:121], v[126:127], v[128:129], v[120:121]
	v_add_f64 v[1:2], v[1:2], v[124:125]
	v_add_f64 v[3:4], v[3:4], v[120:121]
	s_andn2_b32 exec_lo, exec_lo, s5
	s_cbranch_execnz .LBB119_200
; %bb.201:
	s_or_b32 exec_lo, exec_lo, s5
.LBB119_202:
	s_or_b32 exec_lo, exec_lo, s8
	v_mov_b32_e32 v119, 0
	ds_read_b128 v[119:122], v119 offset:480
	s_waitcnt lgkmcnt(0)
	v_mul_f64 v[124:125], v[3:4], v[121:122]
	v_mul_f64 v[121:122], v[1:2], v[121:122]
	v_fma_f64 v[1:2], v[1:2], v[119:120], -v[124:125]
	v_fma_f64 v[3:4], v[3:4], v[119:120], v[121:122]
	buffer_store_dword v2, off, s[0:3], 0 offset:484
	buffer_store_dword v1, off, s[0:3], 0 offset:480
	buffer_store_dword v4, off, s[0:3], 0 offset:492
	buffer_store_dword v3, off, s[0:3], 0 offset:488
.LBB119_203:
	s_or_b32 exec_lo, exec_lo, s6
	v_mov_b32_e32 v4, s35
	v_cmp_lt_u32_e64 s5, 29, v0
	s_clause 0x3
	buffer_load_dword v1, v4, s[0:3], 0 offen
	buffer_load_dword v2, v4, s[0:3], 0 offen offset:4
	buffer_load_dword v3, v4, s[0:3], 0 offen offset:8
	;; [unrolled: 1-line block ×3, first 2 shown]
	s_waitcnt vmcnt(0)
	ds_write_b128 v118, v[1:4]
	s_waitcnt lgkmcnt(0)
	s_waitcnt_vscnt null, 0x0
	s_barrier
	buffer_gl0_inv
	s_and_saveexec_b32 s6, s5
	s_cbranch_execz .LBB119_211
; %bb.204:
	ds_read_b128 v[1:4], v118
	s_andn2_b32 vcc_lo, exec_lo, s64
	s_cbranch_vccnz .LBB119_206
; %bb.205:
	s_clause 0x3
	buffer_load_dword v119, v117, s[0:3], 0 offen offset:8
	buffer_load_dword v120, v117, s[0:3], 0 offen offset:12
	buffer_load_dword v121, v117, s[0:3], 0 offen
	buffer_load_dword v122, v117, s[0:3], 0 offen offset:4
	s_waitcnt vmcnt(2) lgkmcnt(0)
	v_mul_f64 v[124:125], v[3:4], v[119:120]
	v_mul_f64 v[119:120], v[1:2], v[119:120]
	s_waitcnt vmcnt(0)
	v_fma_f64 v[1:2], v[1:2], v[121:122], -v[124:125]
	v_fma_f64 v[3:4], v[3:4], v[121:122], v[119:120]
.LBB119_206:
	s_and_saveexec_b32 s8, s4
	s_cbranch_execz .LBB119_210
; %bb.207:
	v_subrev_nc_u32_e32 v119, 30, v0
	s_movk_i32 s65, 0x560
	s_mov_b32 s4, 0
	s_mov_b32 s66, s34
	.p2align	6
.LBB119_208:                            ; =>This Inner Loop Header: Depth=1
	v_mov_b32_e32 v122, s66
	v_add_nc_u32_e32 v119, -1, v119
	s_add_i32 s66, s66, 16
	s_clause 0x3
	buffer_load_dword v120, v122, s[0:3], 0 offen offset:8
	buffer_load_dword v121, v122, s[0:3], 0 offen offset:12
	buffer_load_dword v128, v122, s[0:3], 0 offen
	buffer_load_dword v129, v122, s[0:3], 0 offen offset:4
	v_mov_b32_e32 v122, s65
	v_cmp_eq_u32_e32 vcc_lo, 0, v119
	s_add_i32 s65, s65, 16
	ds_read_b128 v[124:127], v122
	s_or_b32 s4, vcc_lo, s4
	s_waitcnt vmcnt(2) lgkmcnt(0)
	v_mul_f64 v[130:131], v[126:127], v[120:121]
	v_mul_f64 v[120:121], v[124:125], v[120:121]
	s_waitcnt vmcnt(0)
	v_fma_f64 v[124:125], v[124:125], v[128:129], -v[130:131]
	v_fma_f64 v[120:121], v[126:127], v[128:129], v[120:121]
	v_add_f64 v[1:2], v[1:2], v[124:125]
	v_add_f64 v[3:4], v[3:4], v[120:121]
	s_andn2_b32 exec_lo, exec_lo, s4
	s_cbranch_execnz .LBB119_208
; %bb.209:
	s_or_b32 exec_lo, exec_lo, s4
.LBB119_210:
	s_or_b32 exec_lo, exec_lo, s8
	v_mov_b32_e32 v119, 0
	ds_read_b128 v[119:122], v119 offset:464
	s_waitcnt lgkmcnt(0)
	v_mul_f64 v[124:125], v[3:4], v[121:122]
	v_mul_f64 v[121:122], v[1:2], v[121:122]
	v_fma_f64 v[1:2], v[1:2], v[119:120], -v[124:125]
	v_fma_f64 v[3:4], v[3:4], v[119:120], v[121:122]
	buffer_store_dword v2, off, s[0:3], 0 offset:468
	buffer_store_dword v1, off, s[0:3], 0 offset:464
	;; [unrolled: 1-line block ×4, first 2 shown]
.LBB119_211:
	s_or_b32 exec_lo, exec_lo, s6
	v_mov_b32_e32 v4, s36
	v_cmp_lt_u32_e64 s4, 28, v0
	s_clause 0x3
	buffer_load_dword v1, v4, s[0:3], 0 offen
	buffer_load_dword v2, v4, s[0:3], 0 offen offset:4
	buffer_load_dword v3, v4, s[0:3], 0 offen offset:8
	;; [unrolled: 1-line block ×3, first 2 shown]
	s_waitcnt vmcnt(0)
	ds_write_b128 v118, v[1:4]
	s_waitcnt lgkmcnt(0)
	s_waitcnt_vscnt null, 0x0
	s_barrier
	buffer_gl0_inv
	s_and_saveexec_b32 s6, s4
	s_cbranch_execz .LBB119_219
; %bb.212:
	ds_read_b128 v[1:4], v118
	s_andn2_b32 vcc_lo, exec_lo, s64
	s_cbranch_vccnz .LBB119_214
; %bb.213:
	s_clause 0x3
	buffer_load_dword v119, v117, s[0:3], 0 offen offset:8
	buffer_load_dword v120, v117, s[0:3], 0 offen offset:12
	buffer_load_dword v121, v117, s[0:3], 0 offen
	buffer_load_dword v122, v117, s[0:3], 0 offen offset:4
	s_waitcnt vmcnt(2) lgkmcnt(0)
	v_mul_f64 v[124:125], v[3:4], v[119:120]
	v_mul_f64 v[119:120], v[1:2], v[119:120]
	s_waitcnt vmcnt(0)
	v_fma_f64 v[1:2], v[1:2], v[121:122], -v[124:125]
	v_fma_f64 v[3:4], v[3:4], v[121:122], v[119:120]
.LBB119_214:
	s_and_saveexec_b32 s8, s5
	s_cbranch_execz .LBB119_218
; %bb.215:
	v_subrev_nc_u32_e32 v119, 29, v0
	s_movk_i32 s65, 0x550
	s_mov_b32 s5, 0
	s_mov_b32 s66, s35
	.p2align	6
.LBB119_216:                            ; =>This Inner Loop Header: Depth=1
	v_mov_b32_e32 v122, s66
	v_add_nc_u32_e32 v119, -1, v119
	s_add_i32 s66, s66, 16
	s_clause 0x3
	buffer_load_dword v120, v122, s[0:3], 0 offen offset:8
	buffer_load_dword v121, v122, s[0:3], 0 offen offset:12
	buffer_load_dword v128, v122, s[0:3], 0 offen
	buffer_load_dword v129, v122, s[0:3], 0 offen offset:4
	v_mov_b32_e32 v122, s65
	v_cmp_eq_u32_e32 vcc_lo, 0, v119
	s_add_i32 s65, s65, 16
	ds_read_b128 v[124:127], v122
	s_or_b32 s5, vcc_lo, s5
	s_waitcnt vmcnt(2) lgkmcnt(0)
	v_mul_f64 v[130:131], v[126:127], v[120:121]
	v_mul_f64 v[120:121], v[124:125], v[120:121]
	s_waitcnt vmcnt(0)
	v_fma_f64 v[124:125], v[124:125], v[128:129], -v[130:131]
	v_fma_f64 v[120:121], v[126:127], v[128:129], v[120:121]
	v_add_f64 v[1:2], v[1:2], v[124:125]
	v_add_f64 v[3:4], v[3:4], v[120:121]
	s_andn2_b32 exec_lo, exec_lo, s5
	s_cbranch_execnz .LBB119_216
; %bb.217:
	s_or_b32 exec_lo, exec_lo, s5
.LBB119_218:
	s_or_b32 exec_lo, exec_lo, s8
	v_mov_b32_e32 v119, 0
	ds_read_b128 v[119:122], v119 offset:448
	s_waitcnt lgkmcnt(0)
	v_mul_f64 v[124:125], v[3:4], v[121:122]
	v_mul_f64 v[121:122], v[1:2], v[121:122]
	v_fma_f64 v[1:2], v[1:2], v[119:120], -v[124:125]
	v_fma_f64 v[3:4], v[3:4], v[119:120], v[121:122]
	buffer_store_dword v2, off, s[0:3], 0 offset:452
	buffer_store_dword v1, off, s[0:3], 0 offset:448
	;; [unrolled: 1-line block ×4, first 2 shown]
.LBB119_219:
	s_or_b32 exec_lo, exec_lo, s6
	v_mov_b32_e32 v4, s37
	v_cmp_lt_u32_e64 s5, 27, v0
	s_clause 0x3
	buffer_load_dword v1, v4, s[0:3], 0 offen
	buffer_load_dword v2, v4, s[0:3], 0 offen offset:4
	buffer_load_dword v3, v4, s[0:3], 0 offen offset:8
	;; [unrolled: 1-line block ×3, first 2 shown]
	s_waitcnt vmcnt(0)
	ds_write_b128 v118, v[1:4]
	s_waitcnt lgkmcnt(0)
	s_waitcnt_vscnt null, 0x0
	s_barrier
	buffer_gl0_inv
	s_and_saveexec_b32 s6, s5
	s_cbranch_execz .LBB119_227
; %bb.220:
	ds_read_b128 v[1:4], v118
	s_andn2_b32 vcc_lo, exec_lo, s64
	s_cbranch_vccnz .LBB119_222
; %bb.221:
	s_clause 0x3
	buffer_load_dword v119, v117, s[0:3], 0 offen offset:8
	buffer_load_dword v120, v117, s[0:3], 0 offen offset:12
	buffer_load_dword v121, v117, s[0:3], 0 offen
	buffer_load_dword v122, v117, s[0:3], 0 offen offset:4
	s_waitcnt vmcnt(2) lgkmcnt(0)
	v_mul_f64 v[124:125], v[3:4], v[119:120]
	v_mul_f64 v[119:120], v[1:2], v[119:120]
	s_waitcnt vmcnt(0)
	v_fma_f64 v[1:2], v[1:2], v[121:122], -v[124:125]
	v_fma_f64 v[3:4], v[3:4], v[121:122], v[119:120]
.LBB119_222:
	s_and_saveexec_b32 s8, s4
	s_cbranch_execz .LBB119_226
; %bb.223:
	v_subrev_nc_u32_e32 v119, 28, v0
	s_movk_i32 s65, 0x540
	s_mov_b32 s4, 0
	s_mov_b32 s66, s36
	.p2align	6
.LBB119_224:                            ; =>This Inner Loop Header: Depth=1
	v_mov_b32_e32 v122, s66
	v_add_nc_u32_e32 v119, -1, v119
	s_add_i32 s66, s66, 16
	s_clause 0x3
	buffer_load_dword v120, v122, s[0:3], 0 offen offset:8
	buffer_load_dword v121, v122, s[0:3], 0 offen offset:12
	buffer_load_dword v128, v122, s[0:3], 0 offen
	buffer_load_dword v129, v122, s[0:3], 0 offen offset:4
	v_mov_b32_e32 v122, s65
	v_cmp_eq_u32_e32 vcc_lo, 0, v119
	s_add_i32 s65, s65, 16
	ds_read_b128 v[124:127], v122
	s_or_b32 s4, vcc_lo, s4
	s_waitcnt vmcnt(2) lgkmcnt(0)
	v_mul_f64 v[130:131], v[126:127], v[120:121]
	v_mul_f64 v[120:121], v[124:125], v[120:121]
	s_waitcnt vmcnt(0)
	v_fma_f64 v[124:125], v[124:125], v[128:129], -v[130:131]
	v_fma_f64 v[120:121], v[126:127], v[128:129], v[120:121]
	v_add_f64 v[1:2], v[1:2], v[124:125]
	v_add_f64 v[3:4], v[3:4], v[120:121]
	s_andn2_b32 exec_lo, exec_lo, s4
	s_cbranch_execnz .LBB119_224
; %bb.225:
	s_or_b32 exec_lo, exec_lo, s4
.LBB119_226:
	s_or_b32 exec_lo, exec_lo, s8
	v_mov_b32_e32 v119, 0
	ds_read_b128 v[119:122], v119 offset:432
	s_waitcnt lgkmcnt(0)
	v_mul_f64 v[124:125], v[3:4], v[121:122]
	v_mul_f64 v[121:122], v[1:2], v[121:122]
	v_fma_f64 v[1:2], v[1:2], v[119:120], -v[124:125]
	v_fma_f64 v[3:4], v[3:4], v[119:120], v[121:122]
	buffer_store_dword v2, off, s[0:3], 0 offset:436
	buffer_store_dword v1, off, s[0:3], 0 offset:432
	;; [unrolled: 1-line block ×4, first 2 shown]
.LBB119_227:
	s_or_b32 exec_lo, exec_lo, s6
	v_mov_b32_e32 v4, s38
	v_cmp_lt_u32_e64 s4, 26, v0
	s_clause 0x3
	buffer_load_dword v1, v4, s[0:3], 0 offen
	buffer_load_dword v2, v4, s[0:3], 0 offen offset:4
	buffer_load_dword v3, v4, s[0:3], 0 offen offset:8
	;; [unrolled: 1-line block ×3, first 2 shown]
	s_waitcnt vmcnt(0)
	ds_write_b128 v118, v[1:4]
	s_waitcnt lgkmcnt(0)
	s_waitcnt_vscnt null, 0x0
	s_barrier
	buffer_gl0_inv
	s_and_saveexec_b32 s6, s4
	s_cbranch_execz .LBB119_235
; %bb.228:
	ds_read_b128 v[1:4], v118
	s_andn2_b32 vcc_lo, exec_lo, s64
	s_cbranch_vccnz .LBB119_230
; %bb.229:
	s_clause 0x3
	buffer_load_dword v119, v117, s[0:3], 0 offen offset:8
	buffer_load_dword v120, v117, s[0:3], 0 offen offset:12
	buffer_load_dword v121, v117, s[0:3], 0 offen
	buffer_load_dword v122, v117, s[0:3], 0 offen offset:4
	s_waitcnt vmcnt(2) lgkmcnt(0)
	v_mul_f64 v[124:125], v[3:4], v[119:120]
	v_mul_f64 v[119:120], v[1:2], v[119:120]
	s_waitcnt vmcnt(0)
	v_fma_f64 v[1:2], v[1:2], v[121:122], -v[124:125]
	v_fma_f64 v[3:4], v[3:4], v[121:122], v[119:120]
.LBB119_230:
	s_and_saveexec_b32 s8, s5
	s_cbranch_execz .LBB119_234
; %bb.231:
	v_subrev_nc_u32_e32 v119, 27, v0
	s_movk_i32 s65, 0x530
	s_mov_b32 s5, 0
	s_mov_b32 s66, s37
	.p2align	6
.LBB119_232:                            ; =>This Inner Loop Header: Depth=1
	v_mov_b32_e32 v122, s66
	v_add_nc_u32_e32 v119, -1, v119
	s_add_i32 s66, s66, 16
	s_clause 0x3
	buffer_load_dword v120, v122, s[0:3], 0 offen offset:8
	buffer_load_dword v121, v122, s[0:3], 0 offen offset:12
	buffer_load_dword v128, v122, s[0:3], 0 offen
	buffer_load_dword v129, v122, s[0:3], 0 offen offset:4
	v_mov_b32_e32 v122, s65
	v_cmp_eq_u32_e32 vcc_lo, 0, v119
	s_add_i32 s65, s65, 16
	ds_read_b128 v[124:127], v122
	s_or_b32 s5, vcc_lo, s5
	s_waitcnt vmcnt(2) lgkmcnt(0)
	v_mul_f64 v[130:131], v[126:127], v[120:121]
	v_mul_f64 v[120:121], v[124:125], v[120:121]
	s_waitcnt vmcnt(0)
	v_fma_f64 v[124:125], v[124:125], v[128:129], -v[130:131]
	v_fma_f64 v[120:121], v[126:127], v[128:129], v[120:121]
	v_add_f64 v[1:2], v[1:2], v[124:125]
	v_add_f64 v[3:4], v[3:4], v[120:121]
	s_andn2_b32 exec_lo, exec_lo, s5
	s_cbranch_execnz .LBB119_232
; %bb.233:
	s_or_b32 exec_lo, exec_lo, s5
.LBB119_234:
	s_or_b32 exec_lo, exec_lo, s8
	v_mov_b32_e32 v119, 0
	ds_read_b128 v[119:122], v119 offset:416
	s_waitcnt lgkmcnt(0)
	v_mul_f64 v[124:125], v[3:4], v[121:122]
	v_mul_f64 v[121:122], v[1:2], v[121:122]
	v_fma_f64 v[1:2], v[1:2], v[119:120], -v[124:125]
	v_fma_f64 v[3:4], v[3:4], v[119:120], v[121:122]
	buffer_store_dword v2, off, s[0:3], 0 offset:420
	buffer_store_dword v1, off, s[0:3], 0 offset:416
	;; [unrolled: 1-line block ×4, first 2 shown]
.LBB119_235:
	s_or_b32 exec_lo, exec_lo, s6
	v_mov_b32_e32 v4, s39
	v_cmp_lt_u32_e64 s5, 25, v0
	s_clause 0x3
	buffer_load_dword v1, v4, s[0:3], 0 offen
	buffer_load_dword v2, v4, s[0:3], 0 offen offset:4
	buffer_load_dword v3, v4, s[0:3], 0 offen offset:8
	;; [unrolled: 1-line block ×3, first 2 shown]
	s_waitcnt vmcnt(0)
	ds_write_b128 v118, v[1:4]
	s_waitcnt lgkmcnt(0)
	s_waitcnt_vscnt null, 0x0
	s_barrier
	buffer_gl0_inv
	s_and_saveexec_b32 s6, s5
	s_cbranch_execz .LBB119_243
; %bb.236:
	ds_read_b128 v[1:4], v118
	s_andn2_b32 vcc_lo, exec_lo, s64
	s_cbranch_vccnz .LBB119_238
; %bb.237:
	s_clause 0x3
	buffer_load_dword v119, v117, s[0:3], 0 offen offset:8
	buffer_load_dword v120, v117, s[0:3], 0 offen offset:12
	buffer_load_dword v121, v117, s[0:3], 0 offen
	buffer_load_dword v122, v117, s[0:3], 0 offen offset:4
	s_waitcnt vmcnt(2) lgkmcnt(0)
	v_mul_f64 v[124:125], v[3:4], v[119:120]
	v_mul_f64 v[119:120], v[1:2], v[119:120]
	s_waitcnt vmcnt(0)
	v_fma_f64 v[1:2], v[1:2], v[121:122], -v[124:125]
	v_fma_f64 v[3:4], v[3:4], v[121:122], v[119:120]
.LBB119_238:
	s_and_saveexec_b32 s8, s4
	s_cbranch_execz .LBB119_242
; %bb.239:
	v_subrev_nc_u32_e32 v119, 26, v0
	s_movk_i32 s65, 0x520
	s_mov_b32 s4, 0
	s_mov_b32 s66, s38
	.p2align	6
.LBB119_240:                            ; =>This Inner Loop Header: Depth=1
	v_mov_b32_e32 v122, s66
	v_add_nc_u32_e32 v119, -1, v119
	s_add_i32 s66, s66, 16
	s_clause 0x3
	buffer_load_dword v120, v122, s[0:3], 0 offen offset:8
	buffer_load_dword v121, v122, s[0:3], 0 offen offset:12
	buffer_load_dword v128, v122, s[0:3], 0 offen
	buffer_load_dword v129, v122, s[0:3], 0 offen offset:4
	v_mov_b32_e32 v122, s65
	v_cmp_eq_u32_e32 vcc_lo, 0, v119
	s_add_i32 s65, s65, 16
	ds_read_b128 v[124:127], v122
	s_or_b32 s4, vcc_lo, s4
	s_waitcnt vmcnt(2) lgkmcnt(0)
	v_mul_f64 v[130:131], v[126:127], v[120:121]
	v_mul_f64 v[120:121], v[124:125], v[120:121]
	s_waitcnt vmcnt(0)
	v_fma_f64 v[124:125], v[124:125], v[128:129], -v[130:131]
	v_fma_f64 v[120:121], v[126:127], v[128:129], v[120:121]
	v_add_f64 v[1:2], v[1:2], v[124:125]
	v_add_f64 v[3:4], v[3:4], v[120:121]
	s_andn2_b32 exec_lo, exec_lo, s4
	s_cbranch_execnz .LBB119_240
; %bb.241:
	s_or_b32 exec_lo, exec_lo, s4
.LBB119_242:
	s_or_b32 exec_lo, exec_lo, s8
	v_mov_b32_e32 v119, 0
	ds_read_b128 v[119:122], v119 offset:400
	s_waitcnt lgkmcnt(0)
	v_mul_f64 v[124:125], v[3:4], v[121:122]
	v_mul_f64 v[121:122], v[1:2], v[121:122]
	v_fma_f64 v[1:2], v[1:2], v[119:120], -v[124:125]
	v_fma_f64 v[3:4], v[3:4], v[119:120], v[121:122]
	buffer_store_dword v2, off, s[0:3], 0 offset:404
	buffer_store_dword v1, off, s[0:3], 0 offset:400
	;; [unrolled: 1-line block ×4, first 2 shown]
.LBB119_243:
	s_or_b32 exec_lo, exec_lo, s6
	v_mov_b32_e32 v4, s40
	v_cmp_lt_u32_e64 s4, 24, v0
	s_clause 0x3
	buffer_load_dword v1, v4, s[0:3], 0 offen
	buffer_load_dword v2, v4, s[0:3], 0 offen offset:4
	buffer_load_dword v3, v4, s[0:3], 0 offen offset:8
	;; [unrolled: 1-line block ×3, first 2 shown]
	s_waitcnt vmcnt(0)
	ds_write_b128 v118, v[1:4]
	s_waitcnt lgkmcnt(0)
	s_waitcnt_vscnt null, 0x0
	s_barrier
	buffer_gl0_inv
	s_and_saveexec_b32 s6, s4
	s_cbranch_execz .LBB119_251
; %bb.244:
	ds_read_b128 v[1:4], v118
	s_andn2_b32 vcc_lo, exec_lo, s64
	s_cbranch_vccnz .LBB119_246
; %bb.245:
	s_clause 0x3
	buffer_load_dword v119, v117, s[0:3], 0 offen offset:8
	buffer_load_dword v120, v117, s[0:3], 0 offen offset:12
	buffer_load_dword v121, v117, s[0:3], 0 offen
	buffer_load_dword v122, v117, s[0:3], 0 offen offset:4
	s_waitcnt vmcnt(2) lgkmcnt(0)
	v_mul_f64 v[124:125], v[3:4], v[119:120]
	v_mul_f64 v[119:120], v[1:2], v[119:120]
	s_waitcnt vmcnt(0)
	v_fma_f64 v[1:2], v[1:2], v[121:122], -v[124:125]
	v_fma_f64 v[3:4], v[3:4], v[121:122], v[119:120]
.LBB119_246:
	s_and_saveexec_b32 s8, s5
	s_cbranch_execz .LBB119_250
; %bb.247:
	v_subrev_nc_u32_e32 v119, 25, v0
	s_movk_i32 s65, 0x510
	s_mov_b32 s5, 0
	s_mov_b32 s66, s39
	.p2align	6
.LBB119_248:                            ; =>This Inner Loop Header: Depth=1
	v_mov_b32_e32 v122, s66
	v_add_nc_u32_e32 v119, -1, v119
	s_add_i32 s66, s66, 16
	s_clause 0x3
	buffer_load_dword v120, v122, s[0:3], 0 offen offset:8
	buffer_load_dword v121, v122, s[0:3], 0 offen offset:12
	buffer_load_dword v128, v122, s[0:3], 0 offen
	buffer_load_dword v129, v122, s[0:3], 0 offen offset:4
	v_mov_b32_e32 v122, s65
	v_cmp_eq_u32_e32 vcc_lo, 0, v119
	s_add_i32 s65, s65, 16
	ds_read_b128 v[124:127], v122
	s_or_b32 s5, vcc_lo, s5
	s_waitcnt vmcnt(2) lgkmcnt(0)
	v_mul_f64 v[130:131], v[126:127], v[120:121]
	v_mul_f64 v[120:121], v[124:125], v[120:121]
	s_waitcnt vmcnt(0)
	v_fma_f64 v[124:125], v[124:125], v[128:129], -v[130:131]
	v_fma_f64 v[120:121], v[126:127], v[128:129], v[120:121]
	v_add_f64 v[1:2], v[1:2], v[124:125]
	v_add_f64 v[3:4], v[3:4], v[120:121]
	s_andn2_b32 exec_lo, exec_lo, s5
	s_cbranch_execnz .LBB119_248
; %bb.249:
	s_or_b32 exec_lo, exec_lo, s5
.LBB119_250:
	s_or_b32 exec_lo, exec_lo, s8
	v_mov_b32_e32 v119, 0
	ds_read_b128 v[119:122], v119 offset:384
	s_waitcnt lgkmcnt(0)
	v_mul_f64 v[124:125], v[3:4], v[121:122]
	v_mul_f64 v[121:122], v[1:2], v[121:122]
	v_fma_f64 v[1:2], v[1:2], v[119:120], -v[124:125]
	v_fma_f64 v[3:4], v[3:4], v[119:120], v[121:122]
	buffer_store_dword v2, off, s[0:3], 0 offset:388
	buffer_store_dword v1, off, s[0:3], 0 offset:384
	;; [unrolled: 1-line block ×4, first 2 shown]
.LBB119_251:
	s_or_b32 exec_lo, exec_lo, s6
	v_mov_b32_e32 v4, s41
	v_cmp_lt_u32_e64 s5, 23, v0
	s_clause 0x3
	buffer_load_dword v1, v4, s[0:3], 0 offen
	buffer_load_dword v2, v4, s[0:3], 0 offen offset:4
	buffer_load_dword v3, v4, s[0:3], 0 offen offset:8
	;; [unrolled: 1-line block ×3, first 2 shown]
	s_waitcnt vmcnt(0)
	ds_write_b128 v118, v[1:4]
	s_waitcnt lgkmcnt(0)
	s_waitcnt_vscnt null, 0x0
	s_barrier
	buffer_gl0_inv
	s_and_saveexec_b32 s6, s5
	s_cbranch_execz .LBB119_259
; %bb.252:
	ds_read_b128 v[1:4], v118
	s_andn2_b32 vcc_lo, exec_lo, s64
	s_cbranch_vccnz .LBB119_254
; %bb.253:
	s_clause 0x3
	buffer_load_dword v119, v117, s[0:3], 0 offen offset:8
	buffer_load_dword v120, v117, s[0:3], 0 offen offset:12
	buffer_load_dword v121, v117, s[0:3], 0 offen
	buffer_load_dword v122, v117, s[0:3], 0 offen offset:4
	s_waitcnt vmcnt(2) lgkmcnt(0)
	v_mul_f64 v[124:125], v[3:4], v[119:120]
	v_mul_f64 v[119:120], v[1:2], v[119:120]
	s_waitcnt vmcnt(0)
	v_fma_f64 v[1:2], v[1:2], v[121:122], -v[124:125]
	v_fma_f64 v[3:4], v[3:4], v[121:122], v[119:120]
.LBB119_254:
	s_and_saveexec_b32 s8, s4
	s_cbranch_execz .LBB119_258
; %bb.255:
	v_subrev_nc_u32_e32 v119, 24, v0
	s_movk_i32 s65, 0x500
	s_mov_b32 s4, 0
	s_mov_b32 s66, s40
	.p2align	6
.LBB119_256:                            ; =>This Inner Loop Header: Depth=1
	v_mov_b32_e32 v122, s66
	v_add_nc_u32_e32 v119, -1, v119
	s_add_i32 s66, s66, 16
	s_clause 0x3
	buffer_load_dword v120, v122, s[0:3], 0 offen offset:8
	buffer_load_dword v121, v122, s[0:3], 0 offen offset:12
	buffer_load_dword v128, v122, s[0:3], 0 offen
	buffer_load_dword v129, v122, s[0:3], 0 offen offset:4
	v_mov_b32_e32 v122, s65
	v_cmp_eq_u32_e32 vcc_lo, 0, v119
	s_add_i32 s65, s65, 16
	ds_read_b128 v[124:127], v122
	s_or_b32 s4, vcc_lo, s4
	s_waitcnt vmcnt(2) lgkmcnt(0)
	v_mul_f64 v[130:131], v[126:127], v[120:121]
	v_mul_f64 v[120:121], v[124:125], v[120:121]
	s_waitcnt vmcnt(0)
	v_fma_f64 v[124:125], v[124:125], v[128:129], -v[130:131]
	v_fma_f64 v[120:121], v[126:127], v[128:129], v[120:121]
	v_add_f64 v[1:2], v[1:2], v[124:125]
	v_add_f64 v[3:4], v[3:4], v[120:121]
	s_andn2_b32 exec_lo, exec_lo, s4
	s_cbranch_execnz .LBB119_256
; %bb.257:
	s_or_b32 exec_lo, exec_lo, s4
.LBB119_258:
	s_or_b32 exec_lo, exec_lo, s8
	v_mov_b32_e32 v119, 0
	ds_read_b128 v[119:122], v119 offset:368
	s_waitcnt lgkmcnt(0)
	v_mul_f64 v[124:125], v[3:4], v[121:122]
	v_mul_f64 v[121:122], v[1:2], v[121:122]
	v_fma_f64 v[1:2], v[1:2], v[119:120], -v[124:125]
	v_fma_f64 v[3:4], v[3:4], v[119:120], v[121:122]
	buffer_store_dword v2, off, s[0:3], 0 offset:372
	buffer_store_dword v1, off, s[0:3], 0 offset:368
	;; [unrolled: 1-line block ×4, first 2 shown]
.LBB119_259:
	s_or_b32 exec_lo, exec_lo, s6
	v_mov_b32_e32 v4, s42
	v_cmp_lt_u32_e64 s4, 22, v0
	s_clause 0x3
	buffer_load_dword v1, v4, s[0:3], 0 offen
	buffer_load_dword v2, v4, s[0:3], 0 offen offset:4
	buffer_load_dword v3, v4, s[0:3], 0 offen offset:8
	;; [unrolled: 1-line block ×3, first 2 shown]
	s_waitcnt vmcnt(0)
	ds_write_b128 v118, v[1:4]
	s_waitcnt lgkmcnt(0)
	s_waitcnt_vscnt null, 0x0
	s_barrier
	buffer_gl0_inv
	s_and_saveexec_b32 s6, s4
	s_cbranch_execz .LBB119_267
; %bb.260:
	ds_read_b128 v[1:4], v118
	s_andn2_b32 vcc_lo, exec_lo, s64
	s_cbranch_vccnz .LBB119_262
; %bb.261:
	s_clause 0x3
	buffer_load_dword v119, v117, s[0:3], 0 offen offset:8
	buffer_load_dword v120, v117, s[0:3], 0 offen offset:12
	buffer_load_dword v121, v117, s[0:3], 0 offen
	buffer_load_dword v122, v117, s[0:3], 0 offen offset:4
	s_waitcnt vmcnt(2) lgkmcnt(0)
	v_mul_f64 v[124:125], v[3:4], v[119:120]
	v_mul_f64 v[119:120], v[1:2], v[119:120]
	s_waitcnt vmcnt(0)
	v_fma_f64 v[1:2], v[1:2], v[121:122], -v[124:125]
	v_fma_f64 v[3:4], v[3:4], v[121:122], v[119:120]
.LBB119_262:
	s_and_saveexec_b32 s8, s5
	s_cbranch_execz .LBB119_266
; %bb.263:
	v_subrev_nc_u32_e32 v119, 23, v0
	s_movk_i32 s65, 0x4f0
	s_mov_b32 s5, 0
	s_mov_b32 s66, s41
	.p2align	6
.LBB119_264:                            ; =>This Inner Loop Header: Depth=1
	v_mov_b32_e32 v122, s66
	v_add_nc_u32_e32 v119, -1, v119
	s_add_i32 s66, s66, 16
	s_clause 0x3
	buffer_load_dword v120, v122, s[0:3], 0 offen offset:8
	buffer_load_dword v121, v122, s[0:3], 0 offen offset:12
	buffer_load_dword v128, v122, s[0:3], 0 offen
	buffer_load_dword v129, v122, s[0:3], 0 offen offset:4
	v_mov_b32_e32 v122, s65
	v_cmp_eq_u32_e32 vcc_lo, 0, v119
	s_add_i32 s65, s65, 16
	ds_read_b128 v[124:127], v122
	s_or_b32 s5, vcc_lo, s5
	s_waitcnt vmcnt(2) lgkmcnt(0)
	v_mul_f64 v[130:131], v[126:127], v[120:121]
	v_mul_f64 v[120:121], v[124:125], v[120:121]
	s_waitcnt vmcnt(0)
	v_fma_f64 v[124:125], v[124:125], v[128:129], -v[130:131]
	v_fma_f64 v[120:121], v[126:127], v[128:129], v[120:121]
	v_add_f64 v[1:2], v[1:2], v[124:125]
	v_add_f64 v[3:4], v[3:4], v[120:121]
	s_andn2_b32 exec_lo, exec_lo, s5
	s_cbranch_execnz .LBB119_264
; %bb.265:
	s_or_b32 exec_lo, exec_lo, s5
.LBB119_266:
	s_or_b32 exec_lo, exec_lo, s8
	v_mov_b32_e32 v119, 0
	ds_read_b128 v[119:122], v119 offset:352
	s_waitcnt lgkmcnt(0)
	v_mul_f64 v[124:125], v[3:4], v[121:122]
	v_mul_f64 v[121:122], v[1:2], v[121:122]
	v_fma_f64 v[1:2], v[1:2], v[119:120], -v[124:125]
	v_fma_f64 v[3:4], v[3:4], v[119:120], v[121:122]
	buffer_store_dword v2, off, s[0:3], 0 offset:356
	buffer_store_dword v1, off, s[0:3], 0 offset:352
	;; [unrolled: 1-line block ×4, first 2 shown]
.LBB119_267:
	s_or_b32 exec_lo, exec_lo, s6
	v_mov_b32_e32 v4, s43
	v_cmp_lt_u32_e64 s5, 21, v0
	s_clause 0x3
	buffer_load_dword v1, v4, s[0:3], 0 offen
	buffer_load_dword v2, v4, s[0:3], 0 offen offset:4
	buffer_load_dword v3, v4, s[0:3], 0 offen offset:8
	;; [unrolled: 1-line block ×3, first 2 shown]
	s_waitcnt vmcnt(0)
	ds_write_b128 v118, v[1:4]
	s_waitcnt lgkmcnt(0)
	s_waitcnt_vscnt null, 0x0
	s_barrier
	buffer_gl0_inv
	s_and_saveexec_b32 s6, s5
	s_cbranch_execz .LBB119_275
; %bb.268:
	ds_read_b128 v[1:4], v118
	s_andn2_b32 vcc_lo, exec_lo, s64
	s_cbranch_vccnz .LBB119_270
; %bb.269:
	s_clause 0x3
	buffer_load_dword v119, v117, s[0:3], 0 offen offset:8
	buffer_load_dword v120, v117, s[0:3], 0 offen offset:12
	buffer_load_dword v121, v117, s[0:3], 0 offen
	buffer_load_dword v122, v117, s[0:3], 0 offen offset:4
	s_waitcnt vmcnt(2) lgkmcnt(0)
	v_mul_f64 v[124:125], v[3:4], v[119:120]
	v_mul_f64 v[119:120], v[1:2], v[119:120]
	s_waitcnt vmcnt(0)
	v_fma_f64 v[1:2], v[1:2], v[121:122], -v[124:125]
	v_fma_f64 v[3:4], v[3:4], v[121:122], v[119:120]
.LBB119_270:
	s_and_saveexec_b32 s8, s4
	s_cbranch_execz .LBB119_274
; %bb.271:
	v_subrev_nc_u32_e32 v119, 22, v0
	s_movk_i32 s65, 0x4e0
	s_mov_b32 s4, 0
	s_mov_b32 s66, s42
	.p2align	6
.LBB119_272:                            ; =>This Inner Loop Header: Depth=1
	v_mov_b32_e32 v122, s66
	v_add_nc_u32_e32 v119, -1, v119
	s_add_i32 s66, s66, 16
	s_clause 0x3
	buffer_load_dword v120, v122, s[0:3], 0 offen offset:8
	buffer_load_dword v121, v122, s[0:3], 0 offen offset:12
	buffer_load_dword v128, v122, s[0:3], 0 offen
	buffer_load_dword v129, v122, s[0:3], 0 offen offset:4
	v_mov_b32_e32 v122, s65
	v_cmp_eq_u32_e32 vcc_lo, 0, v119
	s_add_i32 s65, s65, 16
	ds_read_b128 v[124:127], v122
	s_or_b32 s4, vcc_lo, s4
	s_waitcnt vmcnt(2) lgkmcnt(0)
	v_mul_f64 v[130:131], v[126:127], v[120:121]
	v_mul_f64 v[120:121], v[124:125], v[120:121]
	s_waitcnt vmcnt(0)
	v_fma_f64 v[124:125], v[124:125], v[128:129], -v[130:131]
	v_fma_f64 v[120:121], v[126:127], v[128:129], v[120:121]
	v_add_f64 v[1:2], v[1:2], v[124:125]
	v_add_f64 v[3:4], v[3:4], v[120:121]
	s_andn2_b32 exec_lo, exec_lo, s4
	s_cbranch_execnz .LBB119_272
; %bb.273:
	s_or_b32 exec_lo, exec_lo, s4
.LBB119_274:
	s_or_b32 exec_lo, exec_lo, s8
	v_mov_b32_e32 v119, 0
	ds_read_b128 v[119:122], v119 offset:336
	s_waitcnt lgkmcnt(0)
	v_mul_f64 v[124:125], v[3:4], v[121:122]
	v_mul_f64 v[121:122], v[1:2], v[121:122]
	v_fma_f64 v[1:2], v[1:2], v[119:120], -v[124:125]
	v_fma_f64 v[3:4], v[3:4], v[119:120], v[121:122]
	buffer_store_dword v2, off, s[0:3], 0 offset:340
	buffer_store_dword v1, off, s[0:3], 0 offset:336
	;; [unrolled: 1-line block ×4, first 2 shown]
.LBB119_275:
	s_or_b32 exec_lo, exec_lo, s6
	v_mov_b32_e32 v4, s44
	v_cmp_lt_u32_e64 s4, 20, v0
	s_clause 0x3
	buffer_load_dword v1, v4, s[0:3], 0 offen
	buffer_load_dword v2, v4, s[0:3], 0 offen offset:4
	buffer_load_dword v3, v4, s[0:3], 0 offen offset:8
	;; [unrolled: 1-line block ×3, first 2 shown]
	s_waitcnt vmcnt(0)
	ds_write_b128 v118, v[1:4]
	s_waitcnt lgkmcnt(0)
	s_waitcnt_vscnt null, 0x0
	s_barrier
	buffer_gl0_inv
	s_and_saveexec_b32 s6, s4
	s_cbranch_execz .LBB119_283
; %bb.276:
	ds_read_b128 v[1:4], v118
	s_andn2_b32 vcc_lo, exec_lo, s64
	s_cbranch_vccnz .LBB119_278
; %bb.277:
	s_clause 0x3
	buffer_load_dword v119, v117, s[0:3], 0 offen offset:8
	buffer_load_dword v120, v117, s[0:3], 0 offen offset:12
	buffer_load_dword v121, v117, s[0:3], 0 offen
	buffer_load_dword v122, v117, s[0:3], 0 offen offset:4
	s_waitcnt vmcnt(2) lgkmcnt(0)
	v_mul_f64 v[124:125], v[3:4], v[119:120]
	v_mul_f64 v[119:120], v[1:2], v[119:120]
	s_waitcnt vmcnt(0)
	v_fma_f64 v[1:2], v[1:2], v[121:122], -v[124:125]
	v_fma_f64 v[3:4], v[3:4], v[121:122], v[119:120]
.LBB119_278:
	s_and_saveexec_b32 s8, s5
	s_cbranch_execz .LBB119_282
; %bb.279:
	v_subrev_nc_u32_e32 v119, 21, v0
	s_movk_i32 s65, 0x4d0
	s_mov_b32 s5, 0
	s_mov_b32 s66, s43
	.p2align	6
.LBB119_280:                            ; =>This Inner Loop Header: Depth=1
	v_mov_b32_e32 v122, s66
	v_add_nc_u32_e32 v119, -1, v119
	s_add_i32 s66, s66, 16
	s_clause 0x3
	buffer_load_dword v120, v122, s[0:3], 0 offen offset:8
	buffer_load_dword v121, v122, s[0:3], 0 offen offset:12
	buffer_load_dword v128, v122, s[0:3], 0 offen
	buffer_load_dword v129, v122, s[0:3], 0 offen offset:4
	v_mov_b32_e32 v122, s65
	v_cmp_eq_u32_e32 vcc_lo, 0, v119
	s_add_i32 s65, s65, 16
	ds_read_b128 v[124:127], v122
	s_or_b32 s5, vcc_lo, s5
	s_waitcnt vmcnt(2) lgkmcnt(0)
	v_mul_f64 v[130:131], v[126:127], v[120:121]
	v_mul_f64 v[120:121], v[124:125], v[120:121]
	s_waitcnt vmcnt(0)
	v_fma_f64 v[124:125], v[124:125], v[128:129], -v[130:131]
	v_fma_f64 v[120:121], v[126:127], v[128:129], v[120:121]
	v_add_f64 v[1:2], v[1:2], v[124:125]
	v_add_f64 v[3:4], v[3:4], v[120:121]
	s_andn2_b32 exec_lo, exec_lo, s5
	s_cbranch_execnz .LBB119_280
; %bb.281:
	s_or_b32 exec_lo, exec_lo, s5
.LBB119_282:
	s_or_b32 exec_lo, exec_lo, s8
	v_mov_b32_e32 v119, 0
	ds_read_b128 v[119:122], v119 offset:320
	s_waitcnt lgkmcnt(0)
	v_mul_f64 v[124:125], v[3:4], v[121:122]
	v_mul_f64 v[121:122], v[1:2], v[121:122]
	v_fma_f64 v[1:2], v[1:2], v[119:120], -v[124:125]
	v_fma_f64 v[3:4], v[3:4], v[119:120], v[121:122]
	buffer_store_dword v2, off, s[0:3], 0 offset:324
	buffer_store_dword v1, off, s[0:3], 0 offset:320
	;; [unrolled: 1-line block ×4, first 2 shown]
.LBB119_283:
	s_or_b32 exec_lo, exec_lo, s6
	v_mov_b32_e32 v4, s45
	v_cmp_lt_u32_e64 s5, 19, v0
	s_clause 0x3
	buffer_load_dword v1, v4, s[0:3], 0 offen
	buffer_load_dword v2, v4, s[0:3], 0 offen offset:4
	buffer_load_dword v3, v4, s[0:3], 0 offen offset:8
	;; [unrolled: 1-line block ×3, first 2 shown]
	s_waitcnt vmcnt(0)
	ds_write_b128 v118, v[1:4]
	s_waitcnt lgkmcnt(0)
	s_waitcnt_vscnt null, 0x0
	s_barrier
	buffer_gl0_inv
	s_and_saveexec_b32 s6, s5
	s_cbranch_execz .LBB119_291
; %bb.284:
	ds_read_b128 v[1:4], v118
	s_andn2_b32 vcc_lo, exec_lo, s64
	s_cbranch_vccnz .LBB119_286
; %bb.285:
	s_clause 0x3
	buffer_load_dword v119, v117, s[0:3], 0 offen offset:8
	buffer_load_dword v120, v117, s[0:3], 0 offen offset:12
	buffer_load_dword v121, v117, s[0:3], 0 offen
	buffer_load_dword v122, v117, s[0:3], 0 offen offset:4
	s_waitcnt vmcnt(2) lgkmcnt(0)
	v_mul_f64 v[124:125], v[3:4], v[119:120]
	v_mul_f64 v[119:120], v[1:2], v[119:120]
	s_waitcnt vmcnt(0)
	v_fma_f64 v[1:2], v[1:2], v[121:122], -v[124:125]
	v_fma_f64 v[3:4], v[3:4], v[121:122], v[119:120]
.LBB119_286:
	s_and_saveexec_b32 s8, s4
	s_cbranch_execz .LBB119_290
; %bb.287:
	v_subrev_nc_u32_e32 v119, 20, v0
	s_movk_i32 s65, 0x4c0
	s_mov_b32 s4, 0
	s_mov_b32 s66, s44
	.p2align	6
.LBB119_288:                            ; =>This Inner Loop Header: Depth=1
	v_mov_b32_e32 v122, s66
	v_add_nc_u32_e32 v119, -1, v119
	s_add_i32 s66, s66, 16
	s_clause 0x3
	buffer_load_dword v120, v122, s[0:3], 0 offen offset:8
	buffer_load_dword v121, v122, s[0:3], 0 offen offset:12
	buffer_load_dword v128, v122, s[0:3], 0 offen
	buffer_load_dword v129, v122, s[0:3], 0 offen offset:4
	v_mov_b32_e32 v122, s65
	v_cmp_eq_u32_e32 vcc_lo, 0, v119
	s_add_i32 s65, s65, 16
	ds_read_b128 v[124:127], v122
	s_or_b32 s4, vcc_lo, s4
	s_waitcnt vmcnt(2) lgkmcnt(0)
	v_mul_f64 v[130:131], v[126:127], v[120:121]
	v_mul_f64 v[120:121], v[124:125], v[120:121]
	s_waitcnt vmcnt(0)
	v_fma_f64 v[124:125], v[124:125], v[128:129], -v[130:131]
	v_fma_f64 v[120:121], v[126:127], v[128:129], v[120:121]
	v_add_f64 v[1:2], v[1:2], v[124:125]
	v_add_f64 v[3:4], v[3:4], v[120:121]
	s_andn2_b32 exec_lo, exec_lo, s4
	s_cbranch_execnz .LBB119_288
; %bb.289:
	s_or_b32 exec_lo, exec_lo, s4
.LBB119_290:
	s_or_b32 exec_lo, exec_lo, s8
	v_mov_b32_e32 v119, 0
	ds_read_b128 v[119:122], v119 offset:304
	s_waitcnt lgkmcnt(0)
	v_mul_f64 v[124:125], v[3:4], v[121:122]
	v_mul_f64 v[121:122], v[1:2], v[121:122]
	v_fma_f64 v[1:2], v[1:2], v[119:120], -v[124:125]
	v_fma_f64 v[3:4], v[3:4], v[119:120], v[121:122]
	buffer_store_dword v2, off, s[0:3], 0 offset:308
	buffer_store_dword v1, off, s[0:3], 0 offset:304
	;; [unrolled: 1-line block ×4, first 2 shown]
.LBB119_291:
	s_or_b32 exec_lo, exec_lo, s6
	v_mov_b32_e32 v4, s46
	v_cmp_lt_u32_e64 s4, 18, v0
	s_clause 0x3
	buffer_load_dword v1, v4, s[0:3], 0 offen
	buffer_load_dword v2, v4, s[0:3], 0 offen offset:4
	buffer_load_dword v3, v4, s[0:3], 0 offen offset:8
	;; [unrolled: 1-line block ×3, first 2 shown]
	s_waitcnt vmcnt(0)
	ds_write_b128 v118, v[1:4]
	s_waitcnt lgkmcnt(0)
	s_waitcnt_vscnt null, 0x0
	s_barrier
	buffer_gl0_inv
	s_and_saveexec_b32 s6, s4
	s_cbranch_execz .LBB119_299
; %bb.292:
	ds_read_b128 v[1:4], v118
	s_andn2_b32 vcc_lo, exec_lo, s64
	s_cbranch_vccnz .LBB119_294
; %bb.293:
	s_clause 0x3
	buffer_load_dword v119, v117, s[0:3], 0 offen offset:8
	buffer_load_dword v120, v117, s[0:3], 0 offen offset:12
	buffer_load_dword v121, v117, s[0:3], 0 offen
	buffer_load_dword v122, v117, s[0:3], 0 offen offset:4
	s_waitcnt vmcnt(2) lgkmcnt(0)
	v_mul_f64 v[124:125], v[3:4], v[119:120]
	v_mul_f64 v[119:120], v[1:2], v[119:120]
	s_waitcnt vmcnt(0)
	v_fma_f64 v[1:2], v[1:2], v[121:122], -v[124:125]
	v_fma_f64 v[3:4], v[3:4], v[121:122], v[119:120]
.LBB119_294:
	s_and_saveexec_b32 s8, s5
	s_cbranch_execz .LBB119_298
; %bb.295:
	v_subrev_nc_u32_e32 v119, 19, v0
	s_movk_i32 s65, 0x4b0
	s_mov_b32 s5, 0
	s_mov_b32 s66, s45
	.p2align	6
.LBB119_296:                            ; =>This Inner Loop Header: Depth=1
	v_mov_b32_e32 v122, s66
	v_add_nc_u32_e32 v119, -1, v119
	s_add_i32 s66, s66, 16
	s_clause 0x3
	buffer_load_dword v120, v122, s[0:3], 0 offen offset:8
	buffer_load_dword v121, v122, s[0:3], 0 offen offset:12
	buffer_load_dword v128, v122, s[0:3], 0 offen
	buffer_load_dword v129, v122, s[0:3], 0 offen offset:4
	v_mov_b32_e32 v122, s65
	v_cmp_eq_u32_e32 vcc_lo, 0, v119
	s_add_i32 s65, s65, 16
	ds_read_b128 v[124:127], v122
	s_or_b32 s5, vcc_lo, s5
	s_waitcnt vmcnt(2) lgkmcnt(0)
	v_mul_f64 v[130:131], v[126:127], v[120:121]
	v_mul_f64 v[120:121], v[124:125], v[120:121]
	s_waitcnt vmcnt(0)
	v_fma_f64 v[124:125], v[124:125], v[128:129], -v[130:131]
	v_fma_f64 v[120:121], v[126:127], v[128:129], v[120:121]
	v_add_f64 v[1:2], v[1:2], v[124:125]
	v_add_f64 v[3:4], v[3:4], v[120:121]
	s_andn2_b32 exec_lo, exec_lo, s5
	s_cbranch_execnz .LBB119_296
; %bb.297:
	s_or_b32 exec_lo, exec_lo, s5
.LBB119_298:
	s_or_b32 exec_lo, exec_lo, s8
	v_mov_b32_e32 v119, 0
	ds_read_b128 v[119:122], v119 offset:288
	s_waitcnt lgkmcnt(0)
	v_mul_f64 v[124:125], v[3:4], v[121:122]
	v_mul_f64 v[121:122], v[1:2], v[121:122]
	v_fma_f64 v[1:2], v[1:2], v[119:120], -v[124:125]
	v_fma_f64 v[3:4], v[3:4], v[119:120], v[121:122]
	buffer_store_dword v2, off, s[0:3], 0 offset:292
	buffer_store_dword v1, off, s[0:3], 0 offset:288
	;; [unrolled: 1-line block ×4, first 2 shown]
.LBB119_299:
	s_or_b32 exec_lo, exec_lo, s6
	v_mov_b32_e32 v4, s47
	v_cmp_lt_u32_e64 s5, 17, v0
	s_clause 0x3
	buffer_load_dword v1, v4, s[0:3], 0 offen
	buffer_load_dword v2, v4, s[0:3], 0 offen offset:4
	buffer_load_dword v3, v4, s[0:3], 0 offen offset:8
	;; [unrolled: 1-line block ×3, first 2 shown]
	s_waitcnt vmcnt(0)
	ds_write_b128 v118, v[1:4]
	s_waitcnt lgkmcnt(0)
	s_waitcnt_vscnt null, 0x0
	s_barrier
	buffer_gl0_inv
	s_and_saveexec_b32 s6, s5
	s_cbranch_execz .LBB119_307
; %bb.300:
	ds_read_b128 v[1:4], v118
	s_andn2_b32 vcc_lo, exec_lo, s64
	s_cbranch_vccnz .LBB119_302
; %bb.301:
	s_clause 0x3
	buffer_load_dword v119, v117, s[0:3], 0 offen offset:8
	buffer_load_dword v120, v117, s[0:3], 0 offen offset:12
	buffer_load_dword v121, v117, s[0:3], 0 offen
	buffer_load_dword v122, v117, s[0:3], 0 offen offset:4
	s_waitcnt vmcnt(2) lgkmcnt(0)
	v_mul_f64 v[124:125], v[3:4], v[119:120]
	v_mul_f64 v[119:120], v[1:2], v[119:120]
	s_waitcnt vmcnt(0)
	v_fma_f64 v[1:2], v[1:2], v[121:122], -v[124:125]
	v_fma_f64 v[3:4], v[3:4], v[121:122], v[119:120]
.LBB119_302:
	s_and_saveexec_b32 s8, s4
	s_cbranch_execz .LBB119_306
; %bb.303:
	v_subrev_nc_u32_e32 v119, 18, v0
	s_movk_i32 s65, 0x4a0
	s_mov_b32 s4, 0
	s_mov_b32 s66, s46
	.p2align	6
.LBB119_304:                            ; =>This Inner Loop Header: Depth=1
	v_mov_b32_e32 v122, s66
	v_add_nc_u32_e32 v119, -1, v119
	s_add_i32 s66, s66, 16
	s_clause 0x3
	buffer_load_dword v120, v122, s[0:3], 0 offen offset:8
	buffer_load_dword v121, v122, s[0:3], 0 offen offset:12
	buffer_load_dword v128, v122, s[0:3], 0 offen
	buffer_load_dword v129, v122, s[0:3], 0 offen offset:4
	v_mov_b32_e32 v122, s65
	v_cmp_eq_u32_e32 vcc_lo, 0, v119
	s_add_i32 s65, s65, 16
	ds_read_b128 v[124:127], v122
	s_or_b32 s4, vcc_lo, s4
	s_waitcnt vmcnt(2) lgkmcnt(0)
	v_mul_f64 v[130:131], v[126:127], v[120:121]
	v_mul_f64 v[120:121], v[124:125], v[120:121]
	s_waitcnt vmcnt(0)
	v_fma_f64 v[124:125], v[124:125], v[128:129], -v[130:131]
	v_fma_f64 v[120:121], v[126:127], v[128:129], v[120:121]
	v_add_f64 v[1:2], v[1:2], v[124:125]
	v_add_f64 v[3:4], v[3:4], v[120:121]
	s_andn2_b32 exec_lo, exec_lo, s4
	s_cbranch_execnz .LBB119_304
; %bb.305:
	s_or_b32 exec_lo, exec_lo, s4
.LBB119_306:
	s_or_b32 exec_lo, exec_lo, s8
	v_mov_b32_e32 v119, 0
	ds_read_b128 v[119:122], v119 offset:272
	s_waitcnt lgkmcnt(0)
	v_mul_f64 v[124:125], v[3:4], v[121:122]
	v_mul_f64 v[121:122], v[1:2], v[121:122]
	v_fma_f64 v[1:2], v[1:2], v[119:120], -v[124:125]
	v_fma_f64 v[3:4], v[3:4], v[119:120], v[121:122]
	buffer_store_dword v2, off, s[0:3], 0 offset:276
	buffer_store_dword v1, off, s[0:3], 0 offset:272
	;; [unrolled: 1-line block ×4, first 2 shown]
.LBB119_307:
	s_or_b32 exec_lo, exec_lo, s6
	v_mov_b32_e32 v4, s48
	v_cmp_lt_u32_e64 s4, 16, v0
	s_clause 0x3
	buffer_load_dword v1, v4, s[0:3], 0 offen
	buffer_load_dword v2, v4, s[0:3], 0 offen offset:4
	buffer_load_dword v3, v4, s[0:3], 0 offen offset:8
	;; [unrolled: 1-line block ×3, first 2 shown]
	s_waitcnt vmcnt(0)
	ds_write_b128 v118, v[1:4]
	s_waitcnt lgkmcnt(0)
	s_waitcnt_vscnt null, 0x0
	s_barrier
	buffer_gl0_inv
	s_and_saveexec_b32 s6, s4
	s_cbranch_execz .LBB119_315
; %bb.308:
	ds_read_b128 v[1:4], v118
	s_andn2_b32 vcc_lo, exec_lo, s64
	s_cbranch_vccnz .LBB119_310
; %bb.309:
	s_clause 0x3
	buffer_load_dword v119, v117, s[0:3], 0 offen offset:8
	buffer_load_dword v120, v117, s[0:3], 0 offen offset:12
	buffer_load_dword v121, v117, s[0:3], 0 offen
	buffer_load_dword v122, v117, s[0:3], 0 offen offset:4
	s_waitcnt vmcnt(2) lgkmcnt(0)
	v_mul_f64 v[124:125], v[3:4], v[119:120]
	v_mul_f64 v[119:120], v[1:2], v[119:120]
	s_waitcnt vmcnt(0)
	v_fma_f64 v[1:2], v[1:2], v[121:122], -v[124:125]
	v_fma_f64 v[3:4], v[3:4], v[121:122], v[119:120]
.LBB119_310:
	s_and_saveexec_b32 s8, s5
	s_cbranch_execz .LBB119_314
; %bb.311:
	v_subrev_nc_u32_e32 v119, 17, v0
	s_movk_i32 s65, 0x490
	s_mov_b32 s5, 0
	s_mov_b32 s66, s47
	.p2align	6
.LBB119_312:                            ; =>This Inner Loop Header: Depth=1
	v_mov_b32_e32 v122, s66
	v_add_nc_u32_e32 v119, -1, v119
	s_add_i32 s66, s66, 16
	s_clause 0x3
	buffer_load_dword v120, v122, s[0:3], 0 offen offset:8
	buffer_load_dword v121, v122, s[0:3], 0 offen offset:12
	buffer_load_dword v128, v122, s[0:3], 0 offen
	buffer_load_dword v129, v122, s[0:3], 0 offen offset:4
	v_mov_b32_e32 v122, s65
	v_cmp_eq_u32_e32 vcc_lo, 0, v119
	s_add_i32 s65, s65, 16
	ds_read_b128 v[124:127], v122
	s_or_b32 s5, vcc_lo, s5
	s_waitcnt vmcnt(2) lgkmcnt(0)
	v_mul_f64 v[130:131], v[126:127], v[120:121]
	v_mul_f64 v[120:121], v[124:125], v[120:121]
	s_waitcnt vmcnt(0)
	v_fma_f64 v[124:125], v[124:125], v[128:129], -v[130:131]
	v_fma_f64 v[120:121], v[126:127], v[128:129], v[120:121]
	v_add_f64 v[1:2], v[1:2], v[124:125]
	v_add_f64 v[3:4], v[3:4], v[120:121]
	s_andn2_b32 exec_lo, exec_lo, s5
	s_cbranch_execnz .LBB119_312
; %bb.313:
	s_or_b32 exec_lo, exec_lo, s5
.LBB119_314:
	s_or_b32 exec_lo, exec_lo, s8
	v_mov_b32_e32 v119, 0
	ds_read_b128 v[119:122], v119 offset:256
	s_waitcnt lgkmcnt(0)
	v_mul_f64 v[124:125], v[3:4], v[121:122]
	v_mul_f64 v[121:122], v[1:2], v[121:122]
	v_fma_f64 v[1:2], v[1:2], v[119:120], -v[124:125]
	v_fma_f64 v[3:4], v[3:4], v[119:120], v[121:122]
	buffer_store_dword v2, off, s[0:3], 0 offset:260
	buffer_store_dword v1, off, s[0:3], 0 offset:256
	;; [unrolled: 1-line block ×4, first 2 shown]
.LBB119_315:
	s_or_b32 exec_lo, exec_lo, s6
	v_mov_b32_e32 v4, s49
	v_cmp_lt_u32_e64 s5, 15, v0
	s_clause 0x3
	buffer_load_dword v1, v4, s[0:3], 0 offen
	buffer_load_dword v2, v4, s[0:3], 0 offen offset:4
	buffer_load_dword v3, v4, s[0:3], 0 offen offset:8
	;; [unrolled: 1-line block ×3, first 2 shown]
	s_waitcnt vmcnt(0)
	ds_write_b128 v118, v[1:4]
	s_waitcnt lgkmcnt(0)
	s_waitcnt_vscnt null, 0x0
	s_barrier
	buffer_gl0_inv
	s_and_saveexec_b32 s6, s5
	s_cbranch_execz .LBB119_323
; %bb.316:
	ds_read_b128 v[1:4], v118
	s_andn2_b32 vcc_lo, exec_lo, s64
	s_cbranch_vccnz .LBB119_318
; %bb.317:
	s_clause 0x3
	buffer_load_dword v119, v117, s[0:3], 0 offen offset:8
	buffer_load_dword v120, v117, s[0:3], 0 offen offset:12
	buffer_load_dword v121, v117, s[0:3], 0 offen
	buffer_load_dword v122, v117, s[0:3], 0 offen offset:4
	s_waitcnt vmcnt(2) lgkmcnt(0)
	v_mul_f64 v[124:125], v[3:4], v[119:120]
	v_mul_f64 v[119:120], v[1:2], v[119:120]
	s_waitcnt vmcnt(0)
	v_fma_f64 v[1:2], v[1:2], v[121:122], -v[124:125]
	v_fma_f64 v[3:4], v[3:4], v[121:122], v[119:120]
.LBB119_318:
	s_and_saveexec_b32 s8, s4
	s_cbranch_execz .LBB119_322
; %bb.319:
	v_add_nc_u32_e32 v119, -16, v0
	s_movk_i32 s65, 0x480
	s_mov_b32 s4, 0
	s_mov_b32 s66, s48
	.p2align	6
.LBB119_320:                            ; =>This Inner Loop Header: Depth=1
	v_mov_b32_e32 v122, s66
	v_add_nc_u32_e32 v119, -1, v119
	s_add_i32 s66, s66, 16
	s_clause 0x3
	buffer_load_dword v120, v122, s[0:3], 0 offen offset:8
	buffer_load_dword v121, v122, s[0:3], 0 offen offset:12
	buffer_load_dword v128, v122, s[0:3], 0 offen
	buffer_load_dword v129, v122, s[0:3], 0 offen offset:4
	v_mov_b32_e32 v122, s65
	v_cmp_eq_u32_e32 vcc_lo, 0, v119
	s_add_i32 s65, s65, 16
	ds_read_b128 v[124:127], v122
	s_or_b32 s4, vcc_lo, s4
	s_waitcnt vmcnt(2) lgkmcnt(0)
	v_mul_f64 v[130:131], v[126:127], v[120:121]
	v_mul_f64 v[120:121], v[124:125], v[120:121]
	s_waitcnt vmcnt(0)
	v_fma_f64 v[124:125], v[124:125], v[128:129], -v[130:131]
	v_fma_f64 v[120:121], v[126:127], v[128:129], v[120:121]
	v_add_f64 v[1:2], v[1:2], v[124:125]
	v_add_f64 v[3:4], v[3:4], v[120:121]
	s_andn2_b32 exec_lo, exec_lo, s4
	s_cbranch_execnz .LBB119_320
; %bb.321:
	s_or_b32 exec_lo, exec_lo, s4
.LBB119_322:
	s_or_b32 exec_lo, exec_lo, s8
	v_mov_b32_e32 v119, 0
	ds_read_b128 v[119:122], v119 offset:240
	s_waitcnt lgkmcnt(0)
	v_mul_f64 v[124:125], v[3:4], v[121:122]
	v_mul_f64 v[121:122], v[1:2], v[121:122]
	v_fma_f64 v[1:2], v[1:2], v[119:120], -v[124:125]
	v_fma_f64 v[3:4], v[3:4], v[119:120], v[121:122]
	buffer_store_dword v2, off, s[0:3], 0 offset:244
	buffer_store_dword v1, off, s[0:3], 0 offset:240
	;; [unrolled: 1-line block ×4, first 2 shown]
.LBB119_323:
	s_or_b32 exec_lo, exec_lo, s6
	v_mov_b32_e32 v4, s50
	v_cmp_lt_u32_e64 s4, 14, v0
	s_clause 0x3
	buffer_load_dword v1, v4, s[0:3], 0 offen
	buffer_load_dword v2, v4, s[0:3], 0 offen offset:4
	buffer_load_dword v3, v4, s[0:3], 0 offen offset:8
	;; [unrolled: 1-line block ×3, first 2 shown]
	s_waitcnt vmcnt(0)
	ds_write_b128 v118, v[1:4]
	s_waitcnt lgkmcnt(0)
	s_waitcnt_vscnt null, 0x0
	s_barrier
	buffer_gl0_inv
	s_and_saveexec_b32 s6, s4
	s_cbranch_execz .LBB119_331
; %bb.324:
	ds_read_b128 v[1:4], v118
	s_andn2_b32 vcc_lo, exec_lo, s64
	s_cbranch_vccnz .LBB119_326
; %bb.325:
	s_clause 0x3
	buffer_load_dword v119, v117, s[0:3], 0 offen offset:8
	buffer_load_dword v120, v117, s[0:3], 0 offen offset:12
	buffer_load_dword v121, v117, s[0:3], 0 offen
	buffer_load_dword v122, v117, s[0:3], 0 offen offset:4
	s_waitcnt vmcnt(2) lgkmcnt(0)
	v_mul_f64 v[124:125], v[3:4], v[119:120]
	v_mul_f64 v[119:120], v[1:2], v[119:120]
	s_waitcnt vmcnt(0)
	v_fma_f64 v[1:2], v[1:2], v[121:122], -v[124:125]
	v_fma_f64 v[3:4], v[3:4], v[121:122], v[119:120]
.LBB119_326:
	s_and_saveexec_b32 s8, s5
	s_cbranch_execz .LBB119_330
; %bb.327:
	v_add_nc_u32_e32 v119, -15, v0
	s_movk_i32 s65, 0x470
	s_mov_b32 s5, 0
	s_mov_b32 s66, s49
	.p2align	6
.LBB119_328:                            ; =>This Inner Loop Header: Depth=1
	v_mov_b32_e32 v122, s66
	v_add_nc_u32_e32 v119, -1, v119
	s_add_i32 s66, s66, 16
	s_clause 0x3
	buffer_load_dword v120, v122, s[0:3], 0 offen offset:8
	buffer_load_dword v121, v122, s[0:3], 0 offen offset:12
	buffer_load_dword v128, v122, s[0:3], 0 offen
	buffer_load_dword v129, v122, s[0:3], 0 offen offset:4
	v_mov_b32_e32 v122, s65
	v_cmp_eq_u32_e32 vcc_lo, 0, v119
	s_add_i32 s65, s65, 16
	ds_read_b128 v[124:127], v122
	s_or_b32 s5, vcc_lo, s5
	s_waitcnt vmcnt(2) lgkmcnt(0)
	v_mul_f64 v[130:131], v[126:127], v[120:121]
	v_mul_f64 v[120:121], v[124:125], v[120:121]
	s_waitcnt vmcnt(0)
	v_fma_f64 v[124:125], v[124:125], v[128:129], -v[130:131]
	v_fma_f64 v[120:121], v[126:127], v[128:129], v[120:121]
	v_add_f64 v[1:2], v[1:2], v[124:125]
	v_add_f64 v[3:4], v[3:4], v[120:121]
	s_andn2_b32 exec_lo, exec_lo, s5
	s_cbranch_execnz .LBB119_328
; %bb.329:
	s_or_b32 exec_lo, exec_lo, s5
.LBB119_330:
	s_or_b32 exec_lo, exec_lo, s8
	v_mov_b32_e32 v119, 0
	ds_read_b128 v[119:122], v119 offset:224
	s_waitcnt lgkmcnt(0)
	v_mul_f64 v[124:125], v[3:4], v[121:122]
	v_mul_f64 v[121:122], v[1:2], v[121:122]
	v_fma_f64 v[1:2], v[1:2], v[119:120], -v[124:125]
	v_fma_f64 v[3:4], v[3:4], v[119:120], v[121:122]
	buffer_store_dword v2, off, s[0:3], 0 offset:228
	buffer_store_dword v1, off, s[0:3], 0 offset:224
	;; [unrolled: 1-line block ×4, first 2 shown]
.LBB119_331:
	s_or_b32 exec_lo, exec_lo, s6
	v_mov_b32_e32 v4, s51
	v_cmp_lt_u32_e64 s5, 13, v0
	s_clause 0x3
	buffer_load_dword v1, v4, s[0:3], 0 offen
	buffer_load_dword v2, v4, s[0:3], 0 offen offset:4
	buffer_load_dword v3, v4, s[0:3], 0 offen offset:8
	;; [unrolled: 1-line block ×3, first 2 shown]
	s_waitcnt vmcnt(0)
	ds_write_b128 v118, v[1:4]
	s_waitcnt lgkmcnt(0)
	s_waitcnt_vscnt null, 0x0
	s_barrier
	buffer_gl0_inv
	s_and_saveexec_b32 s6, s5
	s_cbranch_execz .LBB119_339
; %bb.332:
	ds_read_b128 v[1:4], v118
	s_andn2_b32 vcc_lo, exec_lo, s64
	s_cbranch_vccnz .LBB119_334
; %bb.333:
	s_clause 0x3
	buffer_load_dword v119, v117, s[0:3], 0 offen offset:8
	buffer_load_dword v120, v117, s[0:3], 0 offen offset:12
	buffer_load_dword v121, v117, s[0:3], 0 offen
	buffer_load_dword v122, v117, s[0:3], 0 offen offset:4
	s_waitcnt vmcnt(2) lgkmcnt(0)
	v_mul_f64 v[124:125], v[3:4], v[119:120]
	v_mul_f64 v[119:120], v[1:2], v[119:120]
	s_waitcnt vmcnt(0)
	v_fma_f64 v[1:2], v[1:2], v[121:122], -v[124:125]
	v_fma_f64 v[3:4], v[3:4], v[121:122], v[119:120]
.LBB119_334:
	s_and_saveexec_b32 s8, s4
	s_cbranch_execz .LBB119_338
; %bb.335:
	v_add_nc_u32_e32 v119, -14, v0
	s_movk_i32 s65, 0x460
	s_mov_b32 s4, 0
	s_mov_b32 s66, s50
	.p2align	6
.LBB119_336:                            ; =>This Inner Loop Header: Depth=1
	v_mov_b32_e32 v122, s66
	v_add_nc_u32_e32 v119, -1, v119
	s_add_i32 s66, s66, 16
	s_clause 0x3
	buffer_load_dword v120, v122, s[0:3], 0 offen offset:8
	buffer_load_dword v121, v122, s[0:3], 0 offen offset:12
	buffer_load_dword v128, v122, s[0:3], 0 offen
	buffer_load_dword v129, v122, s[0:3], 0 offen offset:4
	v_mov_b32_e32 v122, s65
	v_cmp_eq_u32_e32 vcc_lo, 0, v119
	s_add_i32 s65, s65, 16
	ds_read_b128 v[124:127], v122
	s_or_b32 s4, vcc_lo, s4
	s_waitcnt vmcnt(2) lgkmcnt(0)
	v_mul_f64 v[130:131], v[126:127], v[120:121]
	v_mul_f64 v[120:121], v[124:125], v[120:121]
	s_waitcnt vmcnt(0)
	v_fma_f64 v[124:125], v[124:125], v[128:129], -v[130:131]
	v_fma_f64 v[120:121], v[126:127], v[128:129], v[120:121]
	v_add_f64 v[1:2], v[1:2], v[124:125]
	v_add_f64 v[3:4], v[3:4], v[120:121]
	s_andn2_b32 exec_lo, exec_lo, s4
	s_cbranch_execnz .LBB119_336
; %bb.337:
	s_or_b32 exec_lo, exec_lo, s4
.LBB119_338:
	s_or_b32 exec_lo, exec_lo, s8
	v_mov_b32_e32 v119, 0
	ds_read_b128 v[119:122], v119 offset:208
	s_waitcnt lgkmcnt(0)
	v_mul_f64 v[124:125], v[3:4], v[121:122]
	v_mul_f64 v[121:122], v[1:2], v[121:122]
	v_fma_f64 v[1:2], v[1:2], v[119:120], -v[124:125]
	v_fma_f64 v[3:4], v[3:4], v[119:120], v[121:122]
	buffer_store_dword v2, off, s[0:3], 0 offset:212
	buffer_store_dword v1, off, s[0:3], 0 offset:208
	;; [unrolled: 1-line block ×4, first 2 shown]
.LBB119_339:
	s_or_b32 exec_lo, exec_lo, s6
	v_mov_b32_e32 v4, s52
	v_cmp_lt_u32_e64 s4, 12, v0
	s_clause 0x3
	buffer_load_dword v1, v4, s[0:3], 0 offen
	buffer_load_dword v2, v4, s[0:3], 0 offen offset:4
	buffer_load_dword v3, v4, s[0:3], 0 offen offset:8
	;; [unrolled: 1-line block ×3, first 2 shown]
	s_waitcnt vmcnt(0)
	ds_write_b128 v118, v[1:4]
	s_waitcnt lgkmcnt(0)
	s_waitcnt_vscnt null, 0x0
	s_barrier
	buffer_gl0_inv
	s_and_saveexec_b32 s6, s4
	s_cbranch_execz .LBB119_347
; %bb.340:
	ds_read_b128 v[1:4], v118
	s_andn2_b32 vcc_lo, exec_lo, s64
	s_cbranch_vccnz .LBB119_342
; %bb.341:
	s_clause 0x3
	buffer_load_dword v119, v117, s[0:3], 0 offen offset:8
	buffer_load_dword v120, v117, s[0:3], 0 offen offset:12
	buffer_load_dword v121, v117, s[0:3], 0 offen
	buffer_load_dword v122, v117, s[0:3], 0 offen offset:4
	s_waitcnt vmcnt(2) lgkmcnt(0)
	v_mul_f64 v[124:125], v[3:4], v[119:120]
	v_mul_f64 v[119:120], v[1:2], v[119:120]
	s_waitcnt vmcnt(0)
	v_fma_f64 v[1:2], v[1:2], v[121:122], -v[124:125]
	v_fma_f64 v[3:4], v[3:4], v[121:122], v[119:120]
.LBB119_342:
	s_and_saveexec_b32 s8, s5
	s_cbranch_execz .LBB119_346
; %bb.343:
	v_add_nc_u32_e32 v119, -13, v0
	s_movk_i32 s65, 0x450
	s_mov_b32 s5, 0
	s_mov_b32 s66, s51
	.p2align	6
.LBB119_344:                            ; =>This Inner Loop Header: Depth=1
	v_mov_b32_e32 v122, s66
	v_add_nc_u32_e32 v119, -1, v119
	s_add_i32 s66, s66, 16
	s_clause 0x3
	buffer_load_dword v120, v122, s[0:3], 0 offen offset:8
	buffer_load_dword v121, v122, s[0:3], 0 offen offset:12
	buffer_load_dword v128, v122, s[0:3], 0 offen
	buffer_load_dword v129, v122, s[0:3], 0 offen offset:4
	v_mov_b32_e32 v122, s65
	v_cmp_eq_u32_e32 vcc_lo, 0, v119
	s_add_i32 s65, s65, 16
	ds_read_b128 v[124:127], v122
	s_or_b32 s5, vcc_lo, s5
	s_waitcnt vmcnt(2) lgkmcnt(0)
	v_mul_f64 v[130:131], v[126:127], v[120:121]
	v_mul_f64 v[120:121], v[124:125], v[120:121]
	s_waitcnt vmcnt(0)
	v_fma_f64 v[124:125], v[124:125], v[128:129], -v[130:131]
	v_fma_f64 v[120:121], v[126:127], v[128:129], v[120:121]
	v_add_f64 v[1:2], v[1:2], v[124:125]
	v_add_f64 v[3:4], v[3:4], v[120:121]
	s_andn2_b32 exec_lo, exec_lo, s5
	s_cbranch_execnz .LBB119_344
; %bb.345:
	s_or_b32 exec_lo, exec_lo, s5
.LBB119_346:
	s_or_b32 exec_lo, exec_lo, s8
	v_mov_b32_e32 v119, 0
	ds_read_b128 v[119:122], v119 offset:192
	s_waitcnt lgkmcnt(0)
	v_mul_f64 v[124:125], v[3:4], v[121:122]
	v_mul_f64 v[121:122], v[1:2], v[121:122]
	v_fma_f64 v[1:2], v[1:2], v[119:120], -v[124:125]
	v_fma_f64 v[3:4], v[3:4], v[119:120], v[121:122]
	buffer_store_dword v2, off, s[0:3], 0 offset:196
	buffer_store_dword v1, off, s[0:3], 0 offset:192
	;; [unrolled: 1-line block ×4, first 2 shown]
.LBB119_347:
	s_or_b32 exec_lo, exec_lo, s6
	v_mov_b32_e32 v4, s53
	v_cmp_lt_u32_e64 s5, 11, v0
	s_clause 0x3
	buffer_load_dword v1, v4, s[0:3], 0 offen
	buffer_load_dword v2, v4, s[0:3], 0 offen offset:4
	buffer_load_dword v3, v4, s[0:3], 0 offen offset:8
	;; [unrolled: 1-line block ×3, first 2 shown]
	s_waitcnt vmcnt(0)
	ds_write_b128 v118, v[1:4]
	s_waitcnt lgkmcnt(0)
	s_waitcnt_vscnt null, 0x0
	s_barrier
	buffer_gl0_inv
	s_and_saveexec_b32 s6, s5
	s_cbranch_execz .LBB119_355
; %bb.348:
	ds_read_b128 v[1:4], v118
	s_andn2_b32 vcc_lo, exec_lo, s64
	s_cbranch_vccnz .LBB119_350
; %bb.349:
	s_clause 0x3
	buffer_load_dword v119, v117, s[0:3], 0 offen offset:8
	buffer_load_dword v120, v117, s[0:3], 0 offen offset:12
	buffer_load_dword v121, v117, s[0:3], 0 offen
	buffer_load_dword v122, v117, s[0:3], 0 offen offset:4
	s_waitcnt vmcnt(2) lgkmcnt(0)
	v_mul_f64 v[124:125], v[3:4], v[119:120]
	v_mul_f64 v[119:120], v[1:2], v[119:120]
	s_waitcnt vmcnt(0)
	v_fma_f64 v[1:2], v[1:2], v[121:122], -v[124:125]
	v_fma_f64 v[3:4], v[3:4], v[121:122], v[119:120]
.LBB119_350:
	s_and_saveexec_b32 s8, s4
	s_cbranch_execz .LBB119_354
; %bb.351:
	v_add_nc_u32_e32 v119, -12, v0
	s_movk_i32 s65, 0x440
	s_mov_b32 s4, 0
	s_mov_b32 s66, s52
	.p2align	6
.LBB119_352:                            ; =>This Inner Loop Header: Depth=1
	v_mov_b32_e32 v122, s66
	v_add_nc_u32_e32 v119, -1, v119
	s_add_i32 s66, s66, 16
	s_clause 0x3
	buffer_load_dword v120, v122, s[0:3], 0 offen offset:8
	buffer_load_dword v121, v122, s[0:3], 0 offen offset:12
	buffer_load_dword v128, v122, s[0:3], 0 offen
	buffer_load_dword v129, v122, s[0:3], 0 offen offset:4
	v_mov_b32_e32 v122, s65
	v_cmp_eq_u32_e32 vcc_lo, 0, v119
	s_add_i32 s65, s65, 16
	ds_read_b128 v[124:127], v122
	s_or_b32 s4, vcc_lo, s4
	s_waitcnt vmcnt(2) lgkmcnt(0)
	v_mul_f64 v[130:131], v[126:127], v[120:121]
	v_mul_f64 v[120:121], v[124:125], v[120:121]
	s_waitcnt vmcnt(0)
	v_fma_f64 v[124:125], v[124:125], v[128:129], -v[130:131]
	v_fma_f64 v[120:121], v[126:127], v[128:129], v[120:121]
	v_add_f64 v[1:2], v[1:2], v[124:125]
	v_add_f64 v[3:4], v[3:4], v[120:121]
	s_andn2_b32 exec_lo, exec_lo, s4
	s_cbranch_execnz .LBB119_352
; %bb.353:
	s_or_b32 exec_lo, exec_lo, s4
.LBB119_354:
	s_or_b32 exec_lo, exec_lo, s8
	v_mov_b32_e32 v119, 0
	ds_read_b128 v[119:122], v119 offset:176
	s_waitcnt lgkmcnt(0)
	v_mul_f64 v[124:125], v[3:4], v[121:122]
	v_mul_f64 v[121:122], v[1:2], v[121:122]
	v_fma_f64 v[1:2], v[1:2], v[119:120], -v[124:125]
	v_fma_f64 v[3:4], v[3:4], v[119:120], v[121:122]
	buffer_store_dword v2, off, s[0:3], 0 offset:180
	buffer_store_dword v1, off, s[0:3], 0 offset:176
	;; [unrolled: 1-line block ×4, first 2 shown]
.LBB119_355:
	s_or_b32 exec_lo, exec_lo, s6
	v_mov_b32_e32 v4, s54
	v_cmp_lt_u32_e64 s4, 10, v0
	s_clause 0x3
	buffer_load_dword v1, v4, s[0:3], 0 offen
	buffer_load_dword v2, v4, s[0:3], 0 offen offset:4
	buffer_load_dword v3, v4, s[0:3], 0 offen offset:8
	;; [unrolled: 1-line block ×3, first 2 shown]
	s_waitcnt vmcnt(0)
	ds_write_b128 v118, v[1:4]
	s_waitcnt lgkmcnt(0)
	s_waitcnt_vscnt null, 0x0
	s_barrier
	buffer_gl0_inv
	s_and_saveexec_b32 s6, s4
	s_cbranch_execz .LBB119_363
; %bb.356:
	ds_read_b128 v[1:4], v118
	s_andn2_b32 vcc_lo, exec_lo, s64
	s_cbranch_vccnz .LBB119_358
; %bb.357:
	s_clause 0x3
	buffer_load_dword v119, v117, s[0:3], 0 offen offset:8
	buffer_load_dword v120, v117, s[0:3], 0 offen offset:12
	buffer_load_dword v121, v117, s[0:3], 0 offen
	buffer_load_dword v122, v117, s[0:3], 0 offen offset:4
	s_waitcnt vmcnt(2) lgkmcnt(0)
	v_mul_f64 v[124:125], v[3:4], v[119:120]
	v_mul_f64 v[119:120], v[1:2], v[119:120]
	s_waitcnt vmcnt(0)
	v_fma_f64 v[1:2], v[1:2], v[121:122], -v[124:125]
	v_fma_f64 v[3:4], v[3:4], v[121:122], v[119:120]
.LBB119_358:
	s_and_saveexec_b32 s8, s5
	s_cbranch_execz .LBB119_362
; %bb.359:
	v_add_nc_u32_e32 v119, -11, v0
	s_movk_i32 s65, 0x430
	s_mov_b32 s5, 0
	s_mov_b32 s66, s53
	.p2align	6
.LBB119_360:                            ; =>This Inner Loop Header: Depth=1
	v_mov_b32_e32 v122, s66
	v_add_nc_u32_e32 v119, -1, v119
	s_add_i32 s66, s66, 16
	s_clause 0x3
	buffer_load_dword v120, v122, s[0:3], 0 offen offset:8
	buffer_load_dword v121, v122, s[0:3], 0 offen offset:12
	buffer_load_dword v128, v122, s[0:3], 0 offen
	buffer_load_dword v129, v122, s[0:3], 0 offen offset:4
	v_mov_b32_e32 v122, s65
	v_cmp_eq_u32_e32 vcc_lo, 0, v119
	s_add_i32 s65, s65, 16
	ds_read_b128 v[124:127], v122
	s_or_b32 s5, vcc_lo, s5
	s_waitcnt vmcnt(2) lgkmcnt(0)
	v_mul_f64 v[130:131], v[126:127], v[120:121]
	v_mul_f64 v[120:121], v[124:125], v[120:121]
	s_waitcnt vmcnt(0)
	v_fma_f64 v[124:125], v[124:125], v[128:129], -v[130:131]
	v_fma_f64 v[120:121], v[126:127], v[128:129], v[120:121]
	v_add_f64 v[1:2], v[1:2], v[124:125]
	v_add_f64 v[3:4], v[3:4], v[120:121]
	s_andn2_b32 exec_lo, exec_lo, s5
	s_cbranch_execnz .LBB119_360
; %bb.361:
	s_or_b32 exec_lo, exec_lo, s5
.LBB119_362:
	s_or_b32 exec_lo, exec_lo, s8
	v_mov_b32_e32 v119, 0
	ds_read_b128 v[119:122], v119 offset:160
	s_waitcnt lgkmcnt(0)
	v_mul_f64 v[124:125], v[3:4], v[121:122]
	v_mul_f64 v[121:122], v[1:2], v[121:122]
	v_fma_f64 v[1:2], v[1:2], v[119:120], -v[124:125]
	v_fma_f64 v[3:4], v[3:4], v[119:120], v[121:122]
	buffer_store_dword v2, off, s[0:3], 0 offset:164
	buffer_store_dword v1, off, s[0:3], 0 offset:160
	;; [unrolled: 1-line block ×4, first 2 shown]
.LBB119_363:
	s_or_b32 exec_lo, exec_lo, s6
	v_mov_b32_e32 v4, s55
	v_cmp_lt_u32_e64 s5, 9, v0
	s_clause 0x3
	buffer_load_dword v1, v4, s[0:3], 0 offen
	buffer_load_dword v2, v4, s[0:3], 0 offen offset:4
	buffer_load_dword v3, v4, s[0:3], 0 offen offset:8
	;; [unrolled: 1-line block ×3, first 2 shown]
	s_waitcnt vmcnt(0)
	ds_write_b128 v118, v[1:4]
	s_waitcnt lgkmcnt(0)
	s_waitcnt_vscnt null, 0x0
	s_barrier
	buffer_gl0_inv
	s_and_saveexec_b32 s6, s5
	s_cbranch_execz .LBB119_371
; %bb.364:
	ds_read_b128 v[1:4], v118
	s_andn2_b32 vcc_lo, exec_lo, s64
	s_cbranch_vccnz .LBB119_366
; %bb.365:
	s_clause 0x3
	buffer_load_dword v119, v117, s[0:3], 0 offen offset:8
	buffer_load_dword v120, v117, s[0:3], 0 offen offset:12
	buffer_load_dword v121, v117, s[0:3], 0 offen
	buffer_load_dword v122, v117, s[0:3], 0 offen offset:4
	s_waitcnt vmcnt(2) lgkmcnt(0)
	v_mul_f64 v[124:125], v[3:4], v[119:120]
	v_mul_f64 v[119:120], v[1:2], v[119:120]
	s_waitcnt vmcnt(0)
	v_fma_f64 v[1:2], v[1:2], v[121:122], -v[124:125]
	v_fma_f64 v[3:4], v[3:4], v[121:122], v[119:120]
.LBB119_366:
	s_and_saveexec_b32 s8, s4
	s_cbranch_execz .LBB119_370
; %bb.367:
	v_add_nc_u32_e32 v119, -10, v0
	s_movk_i32 s65, 0x420
	s_mov_b32 s4, 0
	s_mov_b32 s66, s54
	.p2align	6
.LBB119_368:                            ; =>This Inner Loop Header: Depth=1
	v_mov_b32_e32 v122, s66
	v_add_nc_u32_e32 v119, -1, v119
	s_add_i32 s66, s66, 16
	s_clause 0x3
	buffer_load_dword v120, v122, s[0:3], 0 offen offset:8
	buffer_load_dword v121, v122, s[0:3], 0 offen offset:12
	buffer_load_dword v128, v122, s[0:3], 0 offen
	buffer_load_dword v129, v122, s[0:3], 0 offen offset:4
	v_mov_b32_e32 v122, s65
	v_cmp_eq_u32_e32 vcc_lo, 0, v119
	s_add_i32 s65, s65, 16
	ds_read_b128 v[124:127], v122
	s_or_b32 s4, vcc_lo, s4
	s_waitcnt vmcnt(2) lgkmcnt(0)
	v_mul_f64 v[130:131], v[126:127], v[120:121]
	v_mul_f64 v[120:121], v[124:125], v[120:121]
	s_waitcnt vmcnt(0)
	v_fma_f64 v[124:125], v[124:125], v[128:129], -v[130:131]
	v_fma_f64 v[120:121], v[126:127], v[128:129], v[120:121]
	v_add_f64 v[1:2], v[1:2], v[124:125]
	v_add_f64 v[3:4], v[3:4], v[120:121]
	s_andn2_b32 exec_lo, exec_lo, s4
	s_cbranch_execnz .LBB119_368
; %bb.369:
	s_or_b32 exec_lo, exec_lo, s4
.LBB119_370:
	s_or_b32 exec_lo, exec_lo, s8
	v_mov_b32_e32 v119, 0
	ds_read_b128 v[119:122], v119 offset:144
	s_waitcnt lgkmcnt(0)
	v_mul_f64 v[124:125], v[3:4], v[121:122]
	v_mul_f64 v[121:122], v[1:2], v[121:122]
	v_fma_f64 v[1:2], v[1:2], v[119:120], -v[124:125]
	v_fma_f64 v[3:4], v[3:4], v[119:120], v[121:122]
	buffer_store_dword v2, off, s[0:3], 0 offset:148
	buffer_store_dword v1, off, s[0:3], 0 offset:144
	;; [unrolled: 1-line block ×4, first 2 shown]
.LBB119_371:
	s_or_b32 exec_lo, exec_lo, s6
	v_mov_b32_e32 v4, s56
	v_cmp_lt_u32_e64 s4, 8, v0
	s_clause 0x3
	buffer_load_dword v1, v4, s[0:3], 0 offen
	buffer_load_dword v2, v4, s[0:3], 0 offen offset:4
	buffer_load_dword v3, v4, s[0:3], 0 offen offset:8
	;; [unrolled: 1-line block ×3, first 2 shown]
	s_waitcnt vmcnt(0)
	ds_write_b128 v118, v[1:4]
	s_waitcnt lgkmcnt(0)
	s_waitcnt_vscnt null, 0x0
	s_barrier
	buffer_gl0_inv
	s_and_saveexec_b32 s6, s4
	s_cbranch_execz .LBB119_379
; %bb.372:
	ds_read_b128 v[1:4], v118
	s_andn2_b32 vcc_lo, exec_lo, s64
	s_cbranch_vccnz .LBB119_374
; %bb.373:
	s_clause 0x3
	buffer_load_dword v119, v117, s[0:3], 0 offen offset:8
	buffer_load_dword v120, v117, s[0:3], 0 offen offset:12
	buffer_load_dword v121, v117, s[0:3], 0 offen
	buffer_load_dword v122, v117, s[0:3], 0 offen offset:4
	s_waitcnt vmcnt(2) lgkmcnt(0)
	v_mul_f64 v[124:125], v[3:4], v[119:120]
	v_mul_f64 v[119:120], v[1:2], v[119:120]
	s_waitcnt vmcnt(0)
	v_fma_f64 v[1:2], v[1:2], v[121:122], -v[124:125]
	v_fma_f64 v[3:4], v[3:4], v[121:122], v[119:120]
.LBB119_374:
	s_and_saveexec_b32 s8, s5
	s_cbranch_execz .LBB119_378
; %bb.375:
	v_add_nc_u32_e32 v119, -9, v0
	s_movk_i32 s65, 0x410
	s_mov_b32 s5, 0
	s_mov_b32 s66, s55
	.p2align	6
.LBB119_376:                            ; =>This Inner Loop Header: Depth=1
	v_mov_b32_e32 v122, s66
	v_add_nc_u32_e32 v119, -1, v119
	s_add_i32 s66, s66, 16
	s_clause 0x3
	buffer_load_dword v120, v122, s[0:3], 0 offen offset:8
	buffer_load_dword v121, v122, s[0:3], 0 offen offset:12
	buffer_load_dword v128, v122, s[0:3], 0 offen
	buffer_load_dword v129, v122, s[0:3], 0 offen offset:4
	v_mov_b32_e32 v122, s65
	v_cmp_eq_u32_e32 vcc_lo, 0, v119
	s_add_i32 s65, s65, 16
	ds_read_b128 v[124:127], v122
	s_or_b32 s5, vcc_lo, s5
	s_waitcnt vmcnt(2) lgkmcnt(0)
	v_mul_f64 v[130:131], v[126:127], v[120:121]
	v_mul_f64 v[120:121], v[124:125], v[120:121]
	s_waitcnt vmcnt(0)
	v_fma_f64 v[124:125], v[124:125], v[128:129], -v[130:131]
	v_fma_f64 v[120:121], v[126:127], v[128:129], v[120:121]
	v_add_f64 v[1:2], v[1:2], v[124:125]
	v_add_f64 v[3:4], v[3:4], v[120:121]
	s_andn2_b32 exec_lo, exec_lo, s5
	s_cbranch_execnz .LBB119_376
; %bb.377:
	s_or_b32 exec_lo, exec_lo, s5
.LBB119_378:
	s_or_b32 exec_lo, exec_lo, s8
	v_mov_b32_e32 v119, 0
	ds_read_b128 v[119:122], v119 offset:128
	s_waitcnt lgkmcnt(0)
	v_mul_f64 v[124:125], v[3:4], v[121:122]
	v_mul_f64 v[121:122], v[1:2], v[121:122]
	v_fma_f64 v[1:2], v[1:2], v[119:120], -v[124:125]
	v_fma_f64 v[3:4], v[3:4], v[119:120], v[121:122]
	buffer_store_dword v2, off, s[0:3], 0 offset:132
	buffer_store_dword v1, off, s[0:3], 0 offset:128
	;; [unrolled: 1-line block ×4, first 2 shown]
.LBB119_379:
	s_or_b32 exec_lo, exec_lo, s6
	v_mov_b32_e32 v4, s57
	v_cmp_lt_u32_e64 s5, 7, v0
	s_clause 0x3
	buffer_load_dword v1, v4, s[0:3], 0 offen
	buffer_load_dword v2, v4, s[0:3], 0 offen offset:4
	buffer_load_dword v3, v4, s[0:3], 0 offen offset:8
	;; [unrolled: 1-line block ×3, first 2 shown]
	s_waitcnt vmcnt(0)
	ds_write_b128 v118, v[1:4]
	s_waitcnt lgkmcnt(0)
	s_waitcnt_vscnt null, 0x0
	s_barrier
	buffer_gl0_inv
	s_and_saveexec_b32 s6, s5
	s_cbranch_execz .LBB119_387
; %bb.380:
	ds_read_b128 v[1:4], v118
	s_andn2_b32 vcc_lo, exec_lo, s64
	s_cbranch_vccnz .LBB119_382
; %bb.381:
	s_clause 0x3
	buffer_load_dword v119, v117, s[0:3], 0 offen offset:8
	buffer_load_dword v120, v117, s[0:3], 0 offen offset:12
	buffer_load_dword v121, v117, s[0:3], 0 offen
	buffer_load_dword v122, v117, s[0:3], 0 offen offset:4
	s_waitcnt vmcnt(2) lgkmcnt(0)
	v_mul_f64 v[124:125], v[3:4], v[119:120]
	v_mul_f64 v[119:120], v[1:2], v[119:120]
	s_waitcnt vmcnt(0)
	v_fma_f64 v[1:2], v[1:2], v[121:122], -v[124:125]
	v_fma_f64 v[3:4], v[3:4], v[121:122], v[119:120]
.LBB119_382:
	s_and_saveexec_b32 s8, s4
	s_cbranch_execz .LBB119_386
; %bb.383:
	v_add_nc_u32_e32 v119, -8, v0
	s_movk_i32 s65, 0x400
	s_mov_b32 s4, 0
	s_mov_b32 s66, s56
	.p2align	6
.LBB119_384:                            ; =>This Inner Loop Header: Depth=1
	v_mov_b32_e32 v122, s66
	v_add_nc_u32_e32 v119, -1, v119
	s_add_i32 s66, s66, 16
	s_clause 0x3
	buffer_load_dword v120, v122, s[0:3], 0 offen offset:8
	buffer_load_dword v121, v122, s[0:3], 0 offen offset:12
	buffer_load_dword v128, v122, s[0:3], 0 offen
	buffer_load_dword v129, v122, s[0:3], 0 offen offset:4
	v_mov_b32_e32 v122, s65
	v_cmp_eq_u32_e32 vcc_lo, 0, v119
	s_add_i32 s65, s65, 16
	ds_read_b128 v[124:127], v122
	s_or_b32 s4, vcc_lo, s4
	s_waitcnt vmcnt(2) lgkmcnt(0)
	v_mul_f64 v[130:131], v[126:127], v[120:121]
	v_mul_f64 v[120:121], v[124:125], v[120:121]
	s_waitcnt vmcnt(0)
	v_fma_f64 v[124:125], v[124:125], v[128:129], -v[130:131]
	v_fma_f64 v[120:121], v[126:127], v[128:129], v[120:121]
	v_add_f64 v[1:2], v[1:2], v[124:125]
	v_add_f64 v[3:4], v[3:4], v[120:121]
	s_andn2_b32 exec_lo, exec_lo, s4
	s_cbranch_execnz .LBB119_384
; %bb.385:
	s_or_b32 exec_lo, exec_lo, s4
.LBB119_386:
	s_or_b32 exec_lo, exec_lo, s8
	v_mov_b32_e32 v119, 0
	ds_read_b128 v[119:122], v119 offset:112
	s_waitcnt lgkmcnt(0)
	v_mul_f64 v[124:125], v[3:4], v[121:122]
	v_mul_f64 v[121:122], v[1:2], v[121:122]
	v_fma_f64 v[1:2], v[1:2], v[119:120], -v[124:125]
	v_fma_f64 v[3:4], v[3:4], v[119:120], v[121:122]
	buffer_store_dword v2, off, s[0:3], 0 offset:116
	buffer_store_dword v1, off, s[0:3], 0 offset:112
	;; [unrolled: 1-line block ×4, first 2 shown]
.LBB119_387:
	s_or_b32 exec_lo, exec_lo, s6
	v_mov_b32_e32 v4, s58
	v_cmp_lt_u32_e64 s4, 6, v0
	s_clause 0x3
	buffer_load_dword v1, v4, s[0:3], 0 offen
	buffer_load_dword v2, v4, s[0:3], 0 offen offset:4
	buffer_load_dword v3, v4, s[0:3], 0 offen offset:8
	;; [unrolled: 1-line block ×3, first 2 shown]
	s_waitcnt vmcnt(0)
	ds_write_b128 v118, v[1:4]
	s_waitcnt lgkmcnt(0)
	s_waitcnt_vscnt null, 0x0
	s_barrier
	buffer_gl0_inv
	s_and_saveexec_b32 s6, s4
	s_cbranch_execz .LBB119_395
; %bb.388:
	ds_read_b128 v[1:4], v118
	s_andn2_b32 vcc_lo, exec_lo, s64
	s_cbranch_vccnz .LBB119_390
; %bb.389:
	s_clause 0x3
	buffer_load_dword v119, v117, s[0:3], 0 offen offset:8
	buffer_load_dword v120, v117, s[0:3], 0 offen offset:12
	buffer_load_dword v121, v117, s[0:3], 0 offen
	buffer_load_dword v122, v117, s[0:3], 0 offen offset:4
	s_waitcnt vmcnt(2) lgkmcnt(0)
	v_mul_f64 v[124:125], v[3:4], v[119:120]
	v_mul_f64 v[119:120], v[1:2], v[119:120]
	s_waitcnt vmcnt(0)
	v_fma_f64 v[1:2], v[1:2], v[121:122], -v[124:125]
	v_fma_f64 v[3:4], v[3:4], v[121:122], v[119:120]
.LBB119_390:
	s_and_saveexec_b32 s8, s5
	s_cbranch_execz .LBB119_394
; %bb.391:
	v_add_nc_u32_e32 v119, -7, v0
	s_movk_i32 s65, 0x3f0
	s_mov_b32 s5, 0
	s_mov_b32 s66, s57
	.p2align	6
.LBB119_392:                            ; =>This Inner Loop Header: Depth=1
	v_mov_b32_e32 v122, s66
	v_add_nc_u32_e32 v119, -1, v119
	s_add_i32 s66, s66, 16
	s_clause 0x3
	buffer_load_dword v120, v122, s[0:3], 0 offen offset:8
	buffer_load_dword v121, v122, s[0:3], 0 offen offset:12
	buffer_load_dword v128, v122, s[0:3], 0 offen
	buffer_load_dword v129, v122, s[0:3], 0 offen offset:4
	v_mov_b32_e32 v122, s65
	v_cmp_eq_u32_e32 vcc_lo, 0, v119
	s_add_i32 s65, s65, 16
	ds_read_b128 v[124:127], v122
	s_or_b32 s5, vcc_lo, s5
	s_waitcnt vmcnt(2) lgkmcnt(0)
	v_mul_f64 v[130:131], v[126:127], v[120:121]
	v_mul_f64 v[120:121], v[124:125], v[120:121]
	s_waitcnt vmcnt(0)
	v_fma_f64 v[124:125], v[124:125], v[128:129], -v[130:131]
	v_fma_f64 v[120:121], v[126:127], v[128:129], v[120:121]
	v_add_f64 v[1:2], v[1:2], v[124:125]
	v_add_f64 v[3:4], v[3:4], v[120:121]
	s_andn2_b32 exec_lo, exec_lo, s5
	s_cbranch_execnz .LBB119_392
; %bb.393:
	s_or_b32 exec_lo, exec_lo, s5
.LBB119_394:
	s_or_b32 exec_lo, exec_lo, s8
	v_mov_b32_e32 v119, 0
	ds_read_b128 v[119:122], v119 offset:96
	s_waitcnt lgkmcnt(0)
	v_mul_f64 v[124:125], v[3:4], v[121:122]
	v_mul_f64 v[121:122], v[1:2], v[121:122]
	v_fma_f64 v[1:2], v[1:2], v[119:120], -v[124:125]
	v_fma_f64 v[3:4], v[3:4], v[119:120], v[121:122]
	buffer_store_dword v2, off, s[0:3], 0 offset:100
	buffer_store_dword v1, off, s[0:3], 0 offset:96
	;; [unrolled: 1-line block ×4, first 2 shown]
.LBB119_395:
	s_or_b32 exec_lo, exec_lo, s6
	v_mov_b32_e32 v4, s59
	v_cmp_lt_u32_e64 s5, 5, v0
	s_clause 0x3
	buffer_load_dword v1, v4, s[0:3], 0 offen
	buffer_load_dword v2, v4, s[0:3], 0 offen offset:4
	buffer_load_dword v3, v4, s[0:3], 0 offen offset:8
	;; [unrolled: 1-line block ×3, first 2 shown]
	s_waitcnt vmcnt(0)
	ds_write_b128 v118, v[1:4]
	s_waitcnt lgkmcnt(0)
	s_waitcnt_vscnt null, 0x0
	s_barrier
	buffer_gl0_inv
	s_and_saveexec_b32 s6, s5
	s_cbranch_execz .LBB119_403
; %bb.396:
	ds_read_b128 v[1:4], v118
	s_andn2_b32 vcc_lo, exec_lo, s64
	s_cbranch_vccnz .LBB119_398
; %bb.397:
	s_clause 0x3
	buffer_load_dword v119, v117, s[0:3], 0 offen offset:8
	buffer_load_dword v120, v117, s[0:3], 0 offen offset:12
	buffer_load_dword v121, v117, s[0:3], 0 offen
	buffer_load_dword v122, v117, s[0:3], 0 offen offset:4
	s_waitcnt vmcnt(2) lgkmcnt(0)
	v_mul_f64 v[124:125], v[3:4], v[119:120]
	v_mul_f64 v[119:120], v[1:2], v[119:120]
	s_waitcnt vmcnt(0)
	v_fma_f64 v[1:2], v[1:2], v[121:122], -v[124:125]
	v_fma_f64 v[3:4], v[3:4], v[121:122], v[119:120]
.LBB119_398:
	s_and_saveexec_b32 s8, s4
	s_cbranch_execz .LBB119_402
; %bb.399:
	v_add_nc_u32_e32 v119, -6, v0
	s_movk_i32 s65, 0x3e0
	s_mov_b32 s4, 0
	s_mov_b32 s66, s58
	.p2align	6
.LBB119_400:                            ; =>This Inner Loop Header: Depth=1
	v_mov_b32_e32 v122, s66
	v_add_nc_u32_e32 v119, -1, v119
	s_add_i32 s66, s66, 16
	s_clause 0x3
	buffer_load_dword v120, v122, s[0:3], 0 offen offset:8
	buffer_load_dword v121, v122, s[0:3], 0 offen offset:12
	buffer_load_dword v128, v122, s[0:3], 0 offen
	buffer_load_dword v129, v122, s[0:3], 0 offen offset:4
	v_mov_b32_e32 v122, s65
	v_cmp_eq_u32_e32 vcc_lo, 0, v119
	s_add_i32 s65, s65, 16
	ds_read_b128 v[124:127], v122
	s_or_b32 s4, vcc_lo, s4
	s_waitcnt vmcnt(2) lgkmcnt(0)
	v_mul_f64 v[130:131], v[126:127], v[120:121]
	v_mul_f64 v[120:121], v[124:125], v[120:121]
	s_waitcnt vmcnt(0)
	v_fma_f64 v[124:125], v[124:125], v[128:129], -v[130:131]
	v_fma_f64 v[120:121], v[126:127], v[128:129], v[120:121]
	v_add_f64 v[1:2], v[1:2], v[124:125]
	v_add_f64 v[3:4], v[3:4], v[120:121]
	s_andn2_b32 exec_lo, exec_lo, s4
	s_cbranch_execnz .LBB119_400
; %bb.401:
	s_or_b32 exec_lo, exec_lo, s4
.LBB119_402:
	s_or_b32 exec_lo, exec_lo, s8
	v_mov_b32_e32 v119, 0
	ds_read_b128 v[119:122], v119 offset:80
	s_waitcnt lgkmcnt(0)
	v_mul_f64 v[124:125], v[3:4], v[121:122]
	v_mul_f64 v[121:122], v[1:2], v[121:122]
	v_fma_f64 v[1:2], v[1:2], v[119:120], -v[124:125]
	v_fma_f64 v[3:4], v[3:4], v[119:120], v[121:122]
	buffer_store_dword v2, off, s[0:3], 0 offset:84
	buffer_store_dword v1, off, s[0:3], 0 offset:80
	;; [unrolled: 1-line block ×4, first 2 shown]
.LBB119_403:
	s_or_b32 exec_lo, exec_lo, s6
	v_mov_b32_e32 v4, s60
	v_cmp_lt_u32_e64 s4, 4, v0
	s_clause 0x3
	buffer_load_dword v1, v4, s[0:3], 0 offen
	buffer_load_dword v2, v4, s[0:3], 0 offen offset:4
	buffer_load_dword v3, v4, s[0:3], 0 offen offset:8
	;; [unrolled: 1-line block ×3, first 2 shown]
	s_waitcnt vmcnt(0)
	ds_write_b128 v118, v[1:4]
	s_waitcnt lgkmcnt(0)
	s_waitcnt_vscnt null, 0x0
	s_barrier
	buffer_gl0_inv
	s_and_saveexec_b32 s6, s4
	s_cbranch_execz .LBB119_411
; %bb.404:
	ds_read_b128 v[1:4], v118
	s_andn2_b32 vcc_lo, exec_lo, s64
	s_cbranch_vccnz .LBB119_406
; %bb.405:
	s_clause 0x3
	buffer_load_dword v119, v117, s[0:3], 0 offen offset:8
	buffer_load_dword v120, v117, s[0:3], 0 offen offset:12
	buffer_load_dword v121, v117, s[0:3], 0 offen
	buffer_load_dword v122, v117, s[0:3], 0 offen offset:4
	s_waitcnt vmcnt(2) lgkmcnt(0)
	v_mul_f64 v[124:125], v[3:4], v[119:120]
	v_mul_f64 v[119:120], v[1:2], v[119:120]
	s_waitcnt vmcnt(0)
	v_fma_f64 v[1:2], v[1:2], v[121:122], -v[124:125]
	v_fma_f64 v[3:4], v[3:4], v[121:122], v[119:120]
.LBB119_406:
	s_and_saveexec_b32 s8, s5
	s_cbranch_execz .LBB119_410
; %bb.407:
	v_add_nc_u32_e32 v119, -5, v0
	s_movk_i32 s65, 0x3d0
	s_mov_b32 s5, 0
	s_mov_b32 s66, s59
	.p2align	6
.LBB119_408:                            ; =>This Inner Loop Header: Depth=1
	v_mov_b32_e32 v122, s66
	v_add_nc_u32_e32 v119, -1, v119
	s_add_i32 s66, s66, 16
	s_clause 0x3
	buffer_load_dword v120, v122, s[0:3], 0 offen offset:8
	buffer_load_dword v121, v122, s[0:3], 0 offen offset:12
	buffer_load_dword v128, v122, s[0:3], 0 offen
	buffer_load_dword v129, v122, s[0:3], 0 offen offset:4
	v_mov_b32_e32 v122, s65
	v_cmp_eq_u32_e32 vcc_lo, 0, v119
	s_add_i32 s65, s65, 16
	ds_read_b128 v[124:127], v122
	s_or_b32 s5, vcc_lo, s5
	s_waitcnt vmcnt(2) lgkmcnt(0)
	v_mul_f64 v[130:131], v[126:127], v[120:121]
	v_mul_f64 v[120:121], v[124:125], v[120:121]
	s_waitcnt vmcnt(0)
	v_fma_f64 v[124:125], v[124:125], v[128:129], -v[130:131]
	v_fma_f64 v[120:121], v[126:127], v[128:129], v[120:121]
	v_add_f64 v[1:2], v[1:2], v[124:125]
	v_add_f64 v[3:4], v[3:4], v[120:121]
	s_andn2_b32 exec_lo, exec_lo, s5
	s_cbranch_execnz .LBB119_408
; %bb.409:
	s_or_b32 exec_lo, exec_lo, s5
.LBB119_410:
	s_or_b32 exec_lo, exec_lo, s8
	v_mov_b32_e32 v119, 0
	ds_read_b128 v[119:122], v119 offset:64
	s_waitcnt lgkmcnt(0)
	v_mul_f64 v[124:125], v[3:4], v[121:122]
	v_mul_f64 v[121:122], v[1:2], v[121:122]
	v_fma_f64 v[1:2], v[1:2], v[119:120], -v[124:125]
	v_fma_f64 v[3:4], v[3:4], v[119:120], v[121:122]
	buffer_store_dword v2, off, s[0:3], 0 offset:68
	buffer_store_dword v1, off, s[0:3], 0 offset:64
	;; [unrolled: 1-line block ×4, first 2 shown]
.LBB119_411:
	s_or_b32 exec_lo, exec_lo, s6
	v_mov_b32_e32 v4, s61
	v_cmp_lt_u32_e64 s5, 3, v0
	s_clause 0x3
	buffer_load_dword v1, v4, s[0:3], 0 offen
	buffer_load_dword v2, v4, s[0:3], 0 offen offset:4
	buffer_load_dword v3, v4, s[0:3], 0 offen offset:8
	buffer_load_dword v4, v4, s[0:3], 0 offen offset:12
	s_waitcnt vmcnt(0)
	ds_write_b128 v118, v[1:4]
	s_waitcnt lgkmcnt(0)
	s_waitcnt_vscnt null, 0x0
	s_barrier
	buffer_gl0_inv
	s_and_saveexec_b32 s6, s5
	s_cbranch_execz .LBB119_419
; %bb.412:
	ds_read_b128 v[1:4], v118
	s_andn2_b32 vcc_lo, exec_lo, s64
	s_cbranch_vccnz .LBB119_414
; %bb.413:
	s_clause 0x3
	buffer_load_dword v119, v117, s[0:3], 0 offen offset:8
	buffer_load_dword v120, v117, s[0:3], 0 offen offset:12
	buffer_load_dword v121, v117, s[0:3], 0 offen
	buffer_load_dword v122, v117, s[0:3], 0 offen offset:4
	s_waitcnt vmcnt(2) lgkmcnt(0)
	v_mul_f64 v[124:125], v[3:4], v[119:120]
	v_mul_f64 v[119:120], v[1:2], v[119:120]
	s_waitcnt vmcnt(0)
	v_fma_f64 v[1:2], v[1:2], v[121:122], -v[124:125]
	v_fma_f64 v[3:4], v[3:4], v[121:122], v[119:120]
.LBB119_414:
	s_and_saveexec_b32 s8, s4
	s_cbranch_execz .LBB119_418
; %bb.415:
	v_add_nc_u32_e32 v119, -4, v0
	s_movk_i32 s65, 0x3c0
	s_mov_b32 s4, 0
	s_mov_b32 s66, s60
	.p2align	6
.LBB119_416:                            ; =>This Inner Loop Header: Depth=1
	v_mov_b32_e32 v122, s66
	v_add_nc_u32_e32 v119, -1, v119
	s_add_i32 s66, s66, 16
	s_clause 0x3
	buffer_load_dword v120, v122, s[0:3], 0 offen offset:8
	buffer_load_dword v121, v122, s[0:3], 0 offen offset:12
	buffer_load_dword v128, v122, s[0:3], 0 offen
	buffer_load_dword v129, v122, s[0:3], 0 offen offset:4
	v_mov_b32_e32 v122, s65
	v_cmp_eq_u32_e32 vcc_lo, 0, v119
	s_add_i32 s65, s65, 16
	ds_read_b128 v[124:127], v122
	s_or_b32 s4, vcc_lo, s4
	s_waitcnt vmcnt(2) lgkmcnt(0)
	v_mul_f64 v[130:131], v[126:127], v[120:121]
	v_mul_f64 v[120:121], v[124:125], v[120:121]
	s_waitcnt vmcnt(0)
	v_fma_f64 v[124:125], v[124:125], v[128:129], -v[130:131]
	v_fma_f64 v[120:121], v[126:127], v[128:129], v[120:121]
	v_add_f64 v[1:2], v[1:2], v[124:125]
	v_add_f64 v[3:4], v[3:4], v[120:121]
	s_andn2_b32 exec_lo, exec_lo, s4
	s_cbranch_execnz .LBB119_416
; %bb.417:
	s_or_b32 exec_lo, exec_lo, s4
.LBB119_418:
	s_or_b32 exec_lo, exec_lo, s8
	v_mov_b32_e32 v119, 0
	ds_read_b128 v[119:122], v119 offset:48
	s_waitcnt lgkmcnt(0)
	v_mul_f64 v[124:125], v[3:4], v[121:122]
	v_mul_f64 v[121:122], v[1:2], v[121:122]
	v_fma_f64 v[1:2], v[1:2], v[119:120], -v[124:125]
	v_fma_f64 v[3:4], v[3:4], v[119:120], v[121:122]
	buffer_store_dword v2, off, s[0:3], 0 offset:52
	buffer_store_dword v1, off, s[0:3], 0 offset:48
	;; [unrolled: 1-line block ×4, first 2 shown]
.LBB119_419:
	s_or_b32 exec_lo, exec_lo, s6
	v_mov_b32_e32 v4, s62
	v_cmp_lt_u32_e64 s6, 2, v0
	s_clause 0x3
	buffer_load_dword v1, v4, s[0:3], 0 offen
	buffer_load_dword v2, v4, s[0:3], 0 offen offset:4
	buffer_load_dword v3, v4, s[0:3], 0 offen offset:8
	;; [unrolled: 1-line block ×3, first 2 shown]
	s_waitcnt vmcnt(0)
	ds_write_b128 v118, v[1:4]
	s_waitcnt lgkmcnt(0)
	s_waitcnt_vscnt null, 0x0
	s_barrier
	buffer_gl0_inv
	s_and_saveexec_b32 s4, s6
	s_cbranch_execz .LBB119_427
; %bb.420:
	ds_read_b128 v[1:4], v118
	s_andn2_b32 vcc_lo, exec_lo, s64
	s_cbranch_vccnz .LBB119_422
; %bb.421:
	s_clause 0x3
	buffer_load_dword v119, v117, s[0:3], 0 offen offset:8
	buffer_load_dword v120, v117, s[0:3], 0 offen offset:12
	buffer_load_dword v121, v117, s[0:3], 0 offen
	buffer_load_dword v122, v117, s[0:3], 0 offen offset:4
	s_waitcnt vmcnt(2) lgkmcnt(0)
	v_mul_f64 v[124:125], v[3:4], v[119:120]
	v_mul_f64 v[119:120], v[1:2], v[119:120]
	s_waitcnt vmcnt(0)
	v_fma_f64 v[1:2], v[1:2], v[121:122], -v[124:125]
	v_fma_f64 v[3:4], v[3:4], v[121:122], v[119:120]
.LBB119_422:
	s_and_saveexec_b32 s8, s5
	s_cbranch_execz .LBB119_426
; %bb.423:
	v_add_nc_u32_e32 v119, -3, v0
	s_movk_i32 s65, 0x3b0
	s_mov_b32 s5, 0
	s_mov_b32 s66, s61
	.p2align	6
.LBB119_424:                            ; =>This Inner Loop Header: Depth=1
	v_mov_b32_e32 v122, s66
	v_add_nc_u32_e32 v119, -1, v119
	s_add_i32 s66, s66, 16
	s_clause 0x3
	buffer_load_dword v120, v122, s[0:3], 0 offen offset:8
	buffer_load_dword v121, v122, s[0:3], 0 offen offset:12
	buffer_load_dword v128, v122, s[0:3], 0 offen
	buffer_load_dword v129, v122, s[0:3], 0 offen offset:4
	v_mov_b32_e32 v122, s65
	v_cmp_eq_u32_e32 vcc_lo, 0, v119
	s_add_i32 s65, s65, 16
	ds_read_b128 v[124:127], v122
	s_or_b32 s5, vcc_lo, s5
	s_waitcnt vmcnt(2) lgkmcnt(0)
	v_mul_f64 v[130:131], v[126:127], v[120:121]
	v_mul_f64 v[120:121], v[124:125], v[120:121]
	s_waitcnt vmcnt(0)
	v_fma_f64 v[124:125], v[124:125], v[128:129], -v[130:131]
	v_fma_f64 v[120:121], v[126:127], v[128:129], v[120:121]
	v_add_f64 v[1:2], v[1:2], v[124:125]
	v_add_f64 v[3:4], v[3:4], v[120:121]
	s_andn2_b32 exec_lo, exec_lo, s5
	s_cbranch_execnz .LBB119_424
; %bb.425:
	s_or_b32 exec_lo, exec_lo, s5
.LBB119_426:
	s_or_b32 exec_lo, exec_lo, s8
	v_mov_b32_e32 v119, 0
	ds_read_b128 v[119:122], v119 offset:32
	s_waitcnt lgkmcnt(0)
	v_mul_f64 v[124:125], v[3:4], v[121:122]
	v_mul_f64 v[121:122], v[1:2], v[121:122]
	v_fma_f64 v[1:2], v[1:2], v[119:120], -v[124:125]
	v_fma_f64 v[3:4], v[3:4], v[119:120], v[121:122]
	buffer_store_dword v2, off, s[0:3], 0 offset:36
	buffer_store_dword v1, off, s[0:3], 0 offset:32
	;; [unrolled: 1-line block ×4, first 2 shown]
.LBB119_427:
	s_or_b32 exec_lo, exec_lo, s4
	v_mov_b32_e32 v4, s63
	v_cmp_lt_u32_e64 s4, 1, v0
	s_clause 0x3
	buffer_load_dword v1, v4, s[0:3], 0 offen
	buffer_load_dword v2, v4, s[0:3], 0 offen offset:4
	buffer_load_dword v3, v4, s[0:3], 0 offen offset:8
	;; [unrolled: 1-line block ×3, first 2 shown]
	s_waitcnt vmcnt(0)
	ds_write_b128 v118, v[1:4]
	s_waitcnt lgkmcnt(0)
	s_waitcnt_vscnt null, 0x0
	s_barrier
	buffer_gl0_inv
	s_and_saveexec_b32 s5, s4
	s_cbranch_execz .LBB119_435
; %bb.428:
	ds_read_b128 v[1:4], v118
	s_andn2_b32 vcc_lo, exec_lo, s64
	s_cbranch_vccnz .LBB119_430
; %bb.429:
	s_clause 0x3
	buffer_load_dword v119, v117, s[0:3], 0 offen offset:8
	buffer_load_dword v120, v117, s[0:3], 0 offen offset:12
	buffer_load_dword v121, v117, s[0:3], 0 offen
	buffer_load_dword v122, v117, s[0:3], 0 offen offset:4
	s_waitcnt vmcnt(2) lgkmcnt(0)
	v_mul_f64 v[124:125], v[3:4], v[119:120]
	v_mul_f64 v[119:120], v[1:2], v[119:120]
	s_waitcnt vmcnt(0)
	v_fma_f64 v[1:2], v[1:2], v[121:122], -v[124:125]
	v_fma_f64 v[3:4], v[3:4], v[121:122], v[119:120]
.LBB119_430:
	s_and_saveexec_b32 s8, s6
	s_cbranch_execz .LBB119_434
; %bb.431:
	v_add_nc_u32_e32 v119, -2, v0
	s_movk_i32 s65, 0x3a0
	s_mov_b32 s6, 0
	s_mov_b32 s66, s62
	.p2align	6
.LBB119_432:                            ; =>This Inner Loop Header: Depth=1
	v_mov_b32_e32 v122, s66
	v_add_nc_u32_e32 v119, -1, v119
	s_add_i32 s66, s66, 16
	s_clause 0x3
	buffer_load_dword v120, v122, s[0:3], 0 offen offset:8
	buffer_load_dword v121, v122, s[0:3], 0 offen offset:12
	buffer_load_dword v128, v122, s[0:3], 0 offen
	buffer_load_dword v129, v122, s[0:3], 0 offen offset:4
	v_mov_b32_e32 v122, s65
	v_cmp_eq_u32_e32 vcc_lo, 0, v119
	s_add_i32 s65, s65, 16
	ds_read_b128 v[124:127], v122
	s_or_b32 s6, vcc_lo, s6
	s_waitcnt vmcnt(2) lgkmcnt(0)
	v_mul_f64 v[130:131], v[126:127], v[120:121]
	v_mul_f64 v[120:121], v[124:125], v[120:121]
	s_waitcnt vmcnt(0)
	v_fma_f64 v[124:125], v[124:125], v[128:129], -v[130:131]
	v_fma_f64 v[120:121], v[126:127], v[128:129], v[120:121]
	v_add_f64 v[1:2], v[1:2], v[124:125]
	v_add_f64 v[3:4], v[3:4], v[120:121]
	s_andn2_b32 exec_lo, exec_lo, s6
	s_cbranch_execnz .LBB119_432
; %bb.433:
	s_or_b32 exec_lo, exec_lo, s6
.LBB119_434:
	s_or_b32 exec_lo, exec_lo, s8
	v_mov_b32_e32 v119, 0
	ds_read_b128 v[119:122], v119 offset:16
	s_waitcnt lgkmcnt(0)
	v_mul_f64 v[124:125], v[3:4], v[121:122]
	v_mul_f64 v[121:122], v[1:2], v[121:122]
	v_fma_f64 v[1:2], v[1:2], v[119:120], -v[124:125]
	v_fma_f64 v[3:4], v[3:4], v[119:120], v[121:122]
	buffer_store_dword v2, off, s[0:3], 0 offset:20
	buffer_store_dword v1, off, s[0:3], 0 offset:16
	;; [unrolled: 1-line block ×4, first 2 shown]
.LBB119_435:
	s_or_b32 exec_lo, exec_lo, s5
	s_clause 0x3
	buffer_load_dword v1, off, s[0:3], 0
	buffer_load_dword v2, off, s[0:3], 0 offset:4
	buffer_load_dword v3, off, s[0:3], 0 offset:8
	;; [unrolled: 1-line block ×3, first 2 shown]
	s_mov_b32 s6, 0
	s_mov_b32 s5, 0
	s_mov_b32 s8, exec_lo
                                        ; implicit-def: $sgpr65
	s_waitcnt vmcnt(0)
	ds_write_b128 v118, v[1:4]
	s_waitcnt lgkmcnt(0)
	s_waitcnt_vscnt null, 0x0
	s_barrier
	buffer_gl0_inv
                                        ; implicit-def: $vgpr1_vgpr2
	v_cmpx_ne_u32_e32 0, v0
	s_cbranch_execz .LBB119_443
; %bb.436:
	ds_read_b128 v[1:4], v118
	s_andn2_b32 vcc_lo, exec_lo, s64
	s_cbranch_vccnz .LBB119_438
; %bb.437:
	s_clause 0x3
	buffer_load_dword v119, v117, s[0:3], 0 offen offset:8
	buffer_load_dword v120, v117, s[0:3], 0 offen offset:12
	buffer_load_dword v121, v117, s[0:3], 0 offen
	buffer_load_dword v122, v117, s[0:3], 0 offen offset:4
	s_waitcnt vmcnt(2) lgkmcnt(0)
	v_mul_f64 v[124:125], v[3:4], v[119:120]
	v_mul_f64 v[119:120], v[1:2], v[119:120]
	s_waitcnt vmcnt(0)
	v_fma_f64 v[1:2], v[1:2], v[121:122], -v[124:125]
	v_fma_f64 v[3:4], v[3:4], v[121:122], v[119:120]
.LBB119_438:
	s_and_saveexec_b32 s5, s4
	s_cbranch_execz .LBB119_442
; %bb.439:
	v_add_nc_u32_e32 v119, -1, v0
	s_movk_i32 s65, 0x390
	s_mov_b32 s4, 0
	s_mov_b32 s66, s63
	.p2align	6
.LBB119_440:                            ; =>This Inner Loop Header: Depth=1
	v_mov_b32_e32 v122, s66
	v_add_nc_u32_e32 v119, -1, v119
	s_add_i32 s66, s66, 16
	s_clause 0x3
	buffer_load_dword v120, v122, s[0:3], 0 offen offset:8
	buffer_load_dword v121, v122, s[0:3], 0 offen offset:12
	buffer_load_dword v128, v122, s[0:3], 0 offen
	buffer_load_dword v129, v122, s[0:3], 0 offen offset:4
	v_mov_b32_e32 v122, s65
	v_cmp_eq_u32_e32 vcc_lo, 0, v119
	s_add_i32 s65, s65, 16
	ds_read_b128 v[124:127], v122
	s_or_b32 s4, vcc_lo, s4
	s_waitcnt vmcnt(2) lgkmcnt(0)
	v_mul_f64 v[130:131], v[126:127], v[120:121]
	v_mul_f64 v[120:121], v[124:125], v[120:121]
	s_waitcnt vmcnt(0)
	v_fma_f64 v[124:125], v[124:125], v[128:129], -v[130:131]
	v_fma_f64 v[120:121], v[126:127], v[128:129], v[120:121]
	v_add_f64 v[1:2], v[1:2], v[124:125]
	v_add_f64 v[3:4], v[3:4], v[120:121]
	s_andn2_b32 exec_lo, exec_lo, s4
	s_cbranch_execnz .LBB119_440
; %bb.441:
	s_or_b32 exec_lo, exec_lo, s4
.LBB119_442:
	s_or_b32 exec_lo, exec_lo, s5
	v_mov_b32_e32 v119, 0
	s_mov_b32 s5, exec_lo
	s_or_b32 s65, 0, 8
	ds_read_b128 v[119:122], v119
	s_waitcnt lgkmcnt(0)
	v_mul_f64 v[124:125], v[3:4], v[121:122]
	v_mul_f64 v[121:122], v[1:2], v[121:122]
	v_fma_f64 v[124:125], v[1:2], v[119:120], -v[124:125]
	v_fma_f64 v[1:2], v[3:4], v[119:120], v[121:122]
	buffer_store_dword v125, off, s[0:3], 0 offset:4
	buffer_store_dword v124, off, s[0:3], 0
.LBB119_443:
	s_or_b32 exec_lo, exec_lo, s8
	s_and_b32 vcc_lo, exec_lo, s6
	s_cbranch_vccnz .LBB119_445
	s_branch .LBB119_880
.LBB119_444:
	s_mov_b32 s5, 0
                                        ; implicit-def: $vgpr1_vgpr2
                                        ; implicit-def: $sgpr65
	s_cbranch_execz .LBB119_880
.LBB119_445:
	v_mov_b32_e32 v4, s63
	v_cmp_eq_u32_e64 s4, 0, v0
	v_cndmask_b32_e64 v119, 0, 1, s64
	s_clause 0x3
	buffer_load_dword v1, v4, s[0:3], 0 offen
	buffer_load_dword v2, v4, s[0:3], 0 offen offset:4
	buffer_load_dword v3, v4, s[0:3], 0 offen offset:8
	;; [unrolled: 1-line block ×3, first 2 shown]
	s_waitcnt vmcnt(0)
	ds_write_b128 v118, v[1:4]
	s_waitcnt lgkmcnt(0)
	s_waitcnt_vscnt null, 0x0
	s_barrier
	buffer_gl0_inv
	s_and_saveexec_b32 s6, s4
	s_cbranch_execz .LBB119_449
; %bb.446:
	ds_read_b128 v[1:4], v118
	s_andn2_b32 vcc_lo, exec_lo, s64
	s_cbranch_vccnz .LBB119_448
; %bb.447:
	s_clause 0x3
	buffer_load_dword v120, v117, s[0:3], 0 offen offset:8
	buffer_load_dword v121, v117, s[0:3], 0 offen offset:12
	buffer_load_dword v124, v117, s[0:3], 0 offen
	buffer_load_dword v125, v117, s[0:3], 0 offen offset:4
	s_waitcnt vmcnt(2) lgkmcnt(0)
	v_mul_f64 v[126:127], v[3:4], v[120:121]
	v_mul_f64 v[120:121], v[1:2], v[120:121]
	s_waitcnt vmcnt(0)
	v_fma_f64 v[1:2], v[1:2], v[124:125], -v[126:127]
	v_fma_f64 v[3:4], v[3:4], v[124:125], v[120:121]
.LBB119_448:
	v_mov_b32_e32 v120, 0
	ds_read_b128 v[124:127], v120 offset:16
	s_waitcnt lgkmcnt(0)
	v_mul_f64 v[120:121], v[3:4], v[126:127]
	v_mul_f64 v[126:127], v[1:2], v[126:127]
	v_fma_f64 v[1:2], v[1:2], v[124:125], -v[120:121]
	v_fma_f64 v[3:4], v[3:4], v[124:125], v[126:127]
	buffer_store_dword v2, off, s[0:3], 0 offset:20
	buffer_store_dword v1, off, s[0:3], 0 offset:16
	;; [unrolled: 1-line block ×4, first 2 shown]
.LBB119_449:
	s_or_b32 exec_lo, exec_lo, s6
	v_mov_b32_e32 v4, s62
	s_mov_b32 s6, exec_lo
	s_clause 0x3
	buffer_load_dword v1, v4, s[0:3], 0 offen
	buffer_load_dword v2, v4, s[0:3], 0 offen offset:4
	buffer_load_dword v3, v4, s[0:3], 0 offen offset:8
	;; [unrolled: 1-line block ×3, first 2 shown]
	s_waitcnt vmcnt(0)
	ds_write_b128 v118, v[1:4]
	s_waitcnt lgkmcnt(0)
	s_waitcnt_vscnt null, 0x0
	s_barrier
	buffer_gl0_inv
	v_cmpx_gt_u32_e32 2, v0
	s_cbranch_execz .LBB119_455
; %bb.450:
	ds_read_b128 v[1:4], v118
	v_cmp_ne_u32_e32 vcc_lo, 1, v119
	s_cbranch_vccnz .LBB119_452
; %bb.451:
	s_clause 0x3
	buffer_load_dword v120, v117, s[0:3], 0 offen offset:8
	buffer_load_dword v121, v117, s[0:3], 0 offen offset:12
	buffer_load_dword v124, v117, s[0:3], 0 offen
	buffer_load_dword v125, v117, s[0:3], 0 offen offset:4
	s_waitcnt vmcnt(2) lgkmcnt(0)
	v_mul_f64 v[126:127], v[3:4], v[120:121]
	v_mul_f64 v[120:121], v[1:2], v[120:121]
	s_waitcnt vmcnt(0)
	v_fma_f64 v[1:2], v[1:2], v[124:125], -v[126:127]
	v_fma_f64 v[3:4], v[3:4], v[124:125], v[120:121]
.LBB119_452:
	s_and_saveexec_b32 s8, s4
	s_cbranch_execz .LBB119_454
; %bb.453:
	s_clause 0x3
	buffer_load_dword v120, off, s[0:3], 0 offset:24
	buffer_load_dword v121, off, s[0:3], 0 offset:28
	;; [unrolled: 1-line block ×4, first 2 shown]
	v_mov_b32_e32 v122, 0
	ds_read_b128 v[124:127], v122 offset:912
	s_waitcnt vmcnt(2) lgkmcnt(0)
	v_mul_f64 v[130:131], v[126:127], v[120:121]
	v_mul_f64 v[120:121], v[124:125], v[120:121]
	s_waitcnt vmcnt(0)
	v_fma_f64 v[124:125], v[124:125], v[128:129], -v[130:131]
	v_fma_f64 v[120:121], v[126:127], v[128:129], v[120:121]
	v_add_f64 v[1:2], v[1:2], v[124:125]
	v_add_f64 v[3:4], v[3:4], v[120:121]
.LBB119_454:
	s_or_b32 exec_lo, exec_lo, s8
	v_mov_b32_e32 v120, 0
	ds_read_b128 v[124:127], v120 offset:32
	s_waitcnt lgkmcnt(0)
	v_mul_f64 v[120:121], v[3:4], v[126:127]
	v_mul_f64 v[126:127], v[1:2], v[126:127]
	v_fma_f64 v[1:2], v[1:2], v[124:125], -v[120:121]
	v_fma_f64 v[3:4], v[3:4], v[124:125], v[126:127]
	buffer_store_dword v2, off, s[0:3], 0 offset:36
	buffer_store_dword v1, off, s[0:3], 0 offset:32
	;; [unrolled: 1-line block ×4, first 2 shown]
.LBB119_455:
	s_or_b32 exec_lo, exec_lo, s6
	v_mov_b32_e32 v4, s61
	s_mov_b32 s6, exec_lo
	s_clause 0x3
	buffer_load_dword v1, v4, s[0:3], 0 offen
	buffer_load_dword v2, v4, s[0:3], 0 offen offset:4
	buffer_load_dword v3, v4, s[0:3], 0 offen offset:8
	;; [unrolled: 1-line block ×3, first 2 shown]
	s_waitcnt vmcnt(0)
	ds_write_b128 v118, v[1:4]
	s_waitcnt lgkmcnt(0)
	s_waitcnt_vscnt null, 0x0
	s_barrier
	buffer_gl0_inv
	v_cmpx_gt_u32_e32 3, v0
	s_cbranch_execz .LBB119_463
; %bb.456:
	ds_read_b128 v[1:4], v118
	v_cmp_ne_u32_e32 vcc_lo, 1, v119
	s_cbranch_vccnz .LBB119_458
; %bb.457:
	s_clause 0x3
	buffer_load_dword v120, v117, s[0:3], 0 offen offset:8
	buffer_load_dword v121, v117, s[0:3], 0 offen offset:12
	buffer_load_dword v124, v117, s[0:3], 0 offen
	buffer_load_dword v125, v117, s[0:3], 0 offen offset:4
	s_waitcnt vmcnt(2) lgkmcnt(0)
	v_mul_f64 v[126:127], v[3:4], v[120:121]
	v_mul_f64 v[120:121], v[1:2], v[120:121]
	s_waitcnt vmcnt(0)
	v_fma_f64 v[1:2], v[1:2], v[124:125], -v[126:127]
	v_fma_f64 v[3:4], v[3:4], v[124:125], v[120:121]
.LBB119_458:
	s_mov_b32 s8, exec_lo
	v_cmpx_ne_u32_e32 2, v0
	s_cbranch_execz .LBB119_462
; %bb.459:
	s_clause 0x3
	buffer_load_dword v120, v117, s[0:3], 0 offen offset:24
	buffer_load_dword v121, v117, s[0:3], 0 offen offset:28
	;; [unrolled: 1-line block ×4, first 2 shown]
	ds_read_b128 v[124:127], v118 offset:16
	s_waitcnt vmcnt(2) lgkmcnt(0)
	v_mul_f64 v[130:131], v[126:127], v[120:121]
	v_mul_f64 v[120:121], v[124:125], v[120:121]
	s_waitcnt vmcnt(0)
	v_fma_f64 v[124:125], v[124:125], v[128:129], -v[130:131]
	v_fma_f64 v[120:121], v[126:127], v[128:129], v[120:121]
	v_add_f64 v[1:2], v[1:2], v[124:125]
	v_add_f64 v[3:4], v[3:4], v[120:121]
	s_and_saveexec_b32 s64, s4
	s_cbranch_execz .LBB119_461
; %bb.460:
	s_clause 0x3
	buffer_load_dword v120, off, s[0:3], 0 offset:40
	buffer_load_dword v121, off, s[0:3], 0 offset:44
	;; [unrolled: 1-line block ×4, first 2 shown]
	v_mov_b32_e32 v122, 0
	ds_read_b128 v[124:127], v122 offset:928
	s_waitcnt vmcnt(2) lgkmcnt(0)
	v_mul_f64 v[130:131], v[124:125], v[120:121]
	v_mul_f64 v[120:121], v[126:127], v[120:121]
	s_waitcnt vmcnt(0)
	v_fma_f64 v[126:127], v[126:127], v[128:129], v[130:131]
	v_fma_f64 v[120:121], v[124:125], v[128:129], -v[120:121]
	v_add_f64 v[3:4], v[3:4], v[126:127]
	v_add_f64 v[1:2], v[1:2], v[120:121]
.LBB119_461:
	s_or_b32 exec_lo, exec_lo, s64
.LBB119_462:
	s_or_b32 exec_lo, exec_lo, s8
	v_mov_b32_e32 v120, 0
	ds_read_b128 v[124:127], v120 offset:48
	s_waitcnt lgkmcnt(0)
	v_mul_f64 v[120:121], v[3:4], v[126:127]
	v_mul_f64 v[126:127], v[1:2], v[126:127]
	v_fma_f64 v[1:2], v[1:2], v[124:125], -v[120:121]
	v_fma_f64 v[3:4], v[3:4], v[124:125], v[126:127]
	buffer_store_dword v2, off, s[0:3], 0 offset:52
	buffer_store_dword v1, off, s[0:3], 0 offset:48
	buffer_store_dword v4, off, s[0:3], 0 offset:60
	buffer_store_dword v3, off, s[0:3], 0 offset:56
.LBB119_463:
	s_or_b32 exec_lo, exec_lo, s6
	v_mov_b32_e32 v4, s60
	s_mov_b32 s4, exec_lo
	s_clause 0x3
	buffer_load_dword v1, v4, s[0:3], 0 offen
	buffer_load_dword v2, v4, s[0:3], 0 offen offset:4
	buffer_load_dword v3, v4, s[0:3], 0 offen offset:8
	;; [unrolled: 1-line block ×3, first 2 shown]
	s_waitcnt vmcnt(0)
	ds_write_b128 v118, v[1:4]
	s_waitcnt lgkmcnt(0)
	s_waitcnt_vscnt null, 0x0
	s_barrier
	buffer_gl0_inv
	v_cmpx_gt_u32_e32 4, v0
	s_cbranch_execz .LBB119_471
; %bb.464:
	ds_read_b128 v[1:4], v118
	v_cmp_ne_u32_e32 vcc_lo, 1, v119
	s_cbranch_vccnz .LBB119_466
; %bb.465:
	s_clause 0x3
	buffer_load_dword v120, v117, s[0:3], 0 offen offset:8
	buffer_load_dword v121, v117, s[0:3], 0 offen offset:12
	buffer_load_dword v124, v117, s[0:3], 0 offen
	buffer_load_dword v125, v117, s[0:3], 0 offen offset:4
	s_waitcnt vmcnt(2) lgkmcnt(0)
	v_mul_f64 v[126:127], v[3:4], v[120:121]
	v_mul_f64 v[120:121], v[1:2], v[120:121]
	s_waitcnt vmcnt(0)
	v_fma_f64 v[1:2], v[1:2], v[124:125], -v[126:127]
	v_fma_f64 v[3:4], v[3:4], v[124:125], v[120:121]
.LBB119_466:
	s_mov_b32 s6, exec_lo
	v_cmpx_ne_u32_e32 3, v0
	s_cbranch_execz .LBB119_470
; %bb.467:
	v_add_nc_u32_e32 v120, 0x390, v123
	v_add3_u32 v121, 0, v123, 16
	v_mov_b32_e32 v122, v0
	s_mov_b32 s8, 0
	.p2align	6
.LBB119_468:                            ; =>This Inner Loop Header: Depth=1
	s_clause 0x3
	buffer_load_dword v128, v121, s[0:3], 0 offen offset:8
	buffer_load_dword v129, v121, s[0:3], 0 offen offset:12
	buffer_load_dword v130, v121, s[0:3], 0 offen
	buffer_load_dword v131, v121, s[0:3], 0 offen offset:4
	ds_read_b128 v[124:127], v120
	v_add_nc_u32_e32 v122, 1, v122
	v_add_nc_u32_e32 v120, 16, v120
	;; [unrolled: 1-line block ×3, first 2 shown]
	v_cmp_lt_u32_e32 vcc_lo, 2, v122
	s_or_b32 s8, vcc_lo, s8
	s_waitcnt vmcnt(2) lgkmcnt(0)
	v_mul_f64 v[132:133], v[126:127], v[128:129]
	v_mul_f64 v[128:129], v[124:125], v[128:129]
	s_waitcnt vmcnt(0)
	v_fma_f64 v[124:125], v[124:125], v[130:131], -v[132:133]
	v_fma_f64 v[126:127], v[126:127], v[130:131], v[128:129]
	v_add_f64 v[1:2], v[1:2], v[124:125]
	v_add_f64 v[3:4], v[3:4], v[126:127]
	s_andn2_b32 exec_lo, exec_lo, s8
	s_cbranch_execnz .LBB119_468
; %bb.469:
	s_or_b32 exec_lo, exec_lo, s8
.LBB119_470:
	s_or_b32 exec_lo, exec_lo, s6
	v_mov_b32_e32 v120, 0
	ds_read_b128 v[124:127], v120 offset:64
	s_waitcnt lgkmcnt(0)
	v_mul_f64 v[120:121], v[3:4], v[126:127]
	v_mul_f64 v[126:127], v[1:2], v[126:127]
	v_fma_f64 v[1:2], v[1:2], v[124:125], -v[120:121]
	v_fma_f64 v[3:4], v[3:4], v[124:125], v[126:127]
	buffer_store_dword v2, off, s[0:3], 0 offset:68
	buffer_store_dword v1, off, s[0:3], 0 offset:64
	;; [unrolled: 1-line block ×4, first 2 shown]
.LBB119_471:
	s_or_b32 exec_lo, exec_lo, s4
	v_mov_b32_e32 v4, s59
	s_mov_b32 s4, exec_lo
	s_clause 0x3
	buffer_load_dword v1, v4, s[0:3], 0 offen
	buffer_load_dword v2, v4, s[0:3], 0 offen offset:4
	buffer_load_dword v3, v4, s[0:3], 0 offen offset:8
	;; [unrolled: 1-line block ×3, first 2 shown]
	s_waitcnt vmcnt(0)
	ds_write_b128 v118, v[1:4]
	s_waitcnt lgkmcnt(0)
	s_waitcnt_vscnt null, 0x0
	s_barrier
	buffer_gl0_inv
	v_cmpx_gt_u32_e32 5, v0
	s_cbranch_execz .LBB119_479
; %bb.472:
	ds_read_b128 v[1:4], v118
	v_cmp_ne_u32_e32 vcc_lo, 1, v119
	s_cbranch_vccnz .LBB119_474
; %bb.473:
	s_clause 0x3
	buffer_load_dword v120, v117, s[0:3], 0 offen offset:8
	buffer_load_dword v121, v117, s[0:3], 0 offen offset:12
	buffer_load_dword v124, v117, s[0:3], 0 offen
	buffer_load_dword v125, v117, s[0:3], 0 offen offset:4
	s_waitcnt vmcnt(2) lgkmcnt(0)
	v_mul_f64 v[126:127], v[3:4], v[120:121]
	v_mul_f64 v[120:121], v[1:2], v[120:121]
	s_waitcnt vmcnt(0)
	v_fma_f64 v[1:2], v[1:2], v[124:125], -v[126:127]
	v_fma_f64 v[3:4], v[3:4], v[124:125], v[120:121]
.LBB119_474:
	s_mov_b32 s6, exec_lo
	v_cmpx_ne_u32_e32 4, v0
	s_cbranch_execz .LBB119_478
; %bb.475:
	v_add_nc_u32_e32 v120, 0x390, v123
	v_add3_u32 v121, 0, v123, 16
	v_mov_b32_e32 v122, v0
	s_mov_b32 s8, 0
	.p2align	6
.LBB119_476:                            ; =>This Inner Loop Header: Depth=1
	s_clause 0x3
	buffer_load_dword v128, v121, s[0:3], 0 offen offset:8
	buffer_load_dword v129, v121, s[0:3], 0 offen offset:12
	buffer_load_dword v130, v121, s[0:3], 0 offen
	buffer_load_dword v131, v121, s[0:3], 0 offen offset:4
	ds_read_b128 v[124:127], v120
	v_add_nc_u32_e32 v122, 1, v122
	v_add_nc_u32_e32 v120, 16, v120
	;; [unrolled: 1-line block ×3, first 2 shown]
	v_cmp_lt_u32_e32 vcc_lo, 3, v122
	s_or_b32 s8, vcc_lo, s8
	s_waitcnt vmcnt(2) lgkmcnt(0)
	v_mul_f64 v[132:133], v[126:127], v[128:129]
	v_mul_f64 v[128:129], v[124:125], v[128:129]
	s_waitcnt vmcnt(0)
	v_fma_f64 v[124:125], v[124:125], v[130:131], -v[132:133]
	v_fma_f64 v[126:127], v[126:127], v[130:131], v[128:129]
	v_add_f64 v[1:2], v[1:2], v[124:125]
	v_add_f64 v[3:4], v[3:4], v[126:127]
	s_andn2_b32 exec_lo, exec_lo, s8
	s_cbranch_execnz .LBB119_476
; %bb.477:
	s_or_b32 exec_lo, exec_lo, s8
.LBB119_478:
	s_or_b32 exec_lo, exec_lo, s6
	v_mov_b32_e32 v120, 0
	ds_read_b128 v[124:127], v120 offset:80
	s_waitcnt lgkmcnt(0)
	v_mul_f64 v[120:121], v[3:4], v[126:127]
	v_mul_f64 v[126:127], v[1:2], v[126:127]
	v_fma_f64 v[1:2], v[1:2], v[124:125], -v[120:121]
	v_fma_f64 v[3:4], v[3:4], v[124:125], v[126:127]
	buffer_store_dword v2, off, s[0:3], 0 offset:84
	buffer_store_dword v1, off, s[0:3], 0 offset:80
	;; [unrolled: 1-line block ×4, first 2 shown]
.LBB119_479:
	s_or_b32 exec_lo, exec_lo, s4
	v_mov_b32_e32 v4, s58
	s_mov_b32 s4, exec_lo
	s_clause 0x3
	buffer_load_dword v1, v4, s[0:3], 0 offen
	buffer_load_dword v2, v4, s[0:3], 0 offen offset:4
	buffer_load_dword v3, v4, s[0:3], 0 offen offset:8
	;; [unrolled: 1-line block ×3, first 2 shown]
	s_waitcnt vmcnt(0)
	ds_write_b128 v118, v[1:4]
	s_waitcnt lgkmcnt(0)
	s_waitcnt_vscnt null, 0x0
	s_barrier
	buffer_gl0_inv
	v_cmpx_gt_u32_e32 6, v0
	s_cbranch_execz .LBB119_487
; %bb.480:
	ds_read_b128 v[1:4], v118
	v_cmp_ne_u32_e32 vcc_lo, 1, v119
	s_cbranch_vccnz .LBB119_482
; %bb.481:
	s_clause 0x3
	buffer_load_dword v120, v117, s[0:3], 0 offen offset:8
	buffer_load_dword v121, v117, s[0:3], 0 offen offset:12
	buffer_load_dword v124, v117, s[0:3], 0 offen
	buffer_load_dword v125, v117, s[0:3], 0 offen offset:4
	s_waitcnt vmcnt(2) lgkmcnt(0)
	v_mul_f64 v[126:127], v[3:4], v[120:121]
	v_mul_f64 v[120:121], v[1:2], v[120:121]
	s_waitcnt vmcnt(0)
	v_fma_f64 v[1:2], v[1:2], v[124:125], -v[126:127]
	v_fma_f64 v[3:4], v[3:4], v[124:125], v[120:121]
.LBB119_482:
	s_mov_b32 s6, exec_lo
	v_cmpx_ne_u32_e32 5, v0
	s_cbranch_execz .LBB119_486
; %bb.483:
	v_add_nc_u32_e32 v120, 0x390, v123
	v_add3_u32 v121, 0, v123, 16
	v_mov_b32_e32 v122, v0
	s_mov_b32 s8, 0
	.p2align	6
.LBB119_484:                            ; =>This Inner Loop Header: Depth=1
	s_clause 0x3
	buffer_load_dword v128, v121, s[0:3], 0 offen offset:8
	buffer_load_dword v129, v121, s[0:3], 0 offen offset:12
	buffer_load_dword v130, v121, s[0:3], 0 offen
	buffer_load_dword v131, v121, s[0:3], 0 offen offset:4
	ds_read_b128 v[124:127], v120
	v_add_nc_u32_e32 v122, 1, v122
	v_add_nc_u32_e32 v120, 16, v120
	;; [unrolled: 1-line block ×3, first 2 shown]
	v_cmp_lt_u32_e32 vcc_lo, 4, v122
	s_or_b32 s8, vcc_lo, s8
	s_waitcnt vmcnt(2) lgkmcnt(0)
	v_mul_f64 v[132:133], v[126:127], v[128:129]
	v_mul_f64 v[128:129], v[124:125], v[128:129]
	s_waitcnt vmcnt(0)
	v_fma_f64 v[124:125], v[124:125], v[130:131], -v[132:133]
	v_fma_f64 v[126:127], v[126:127], v[130:131], v[128:129]
	v_add_f64 v[1:2], v[1:2], v[124:125]
	v_add_f64 v[3:4], v[3:4], v[126:127]
	s_andn2_b32 exec_lo, exec_lo, s8
	s_cbranch_execnz .LBB119_484
; %bb.485:
	s_or_b32 exec_lo, exec_lo, s8
.LBB119_486:
	s_or_b32 exec_lo, exec_lo, s6
	v_mov_b32_e32 v120, 0
	ds_read_b128 v[124:127], v120 offset:96
	s_waitcnt lgkmcnt(0)
	v_mul_f64 v[120:121], v[3:4], v[126:127]
	v_mul_f64 v[126:127], v[1:2], v[126:127]
	v_fma_f64 v[1:2], v[1:2], v[124:125], -v[120:121]
	v_fma_f64 v[3:4], v[3:4], v[124:125], v[126:127]
	buffer_store_dword v2, off, s[0:3], 0 offset:100
	buffer_store_dword v1, off, s[0:3], 0 offset:96
	;; [unrolled: 1-line block ×4, first 2 shown]
.LBB119_487:
	s_or_b32 exec_lo, exec_lo, s4
	v_mov_b32_e32 v4, s57
	s_mov_b32 s4, exec_lo
	s_clause 0x3
	buffer_load_dword v1, v4, s[0:3], 0 offen
	buffer_load_dword v2, v4, s[0:3], 0 offen offset:4
	buffer_load_dword v3, v4, s[0:3], 0 offen offset:8
	;; [unrolled: 1-line block ×3, first 2 shown]
	s_waitcnt vmcnt(0)
	ds_write_b128 v118, v[1:4]
	s_waitcnt lgkmcnt(0)
	s_waitcnt_vscnt null, 0x0
	s_barrier
	buffer_gl0_inv
	v_cmpx_gt_u32_e32 7, v0
	s_cbranch_execz .LBB119_495
; %bb.488:
	ds_read_b128 v[1:4], v118
	v_cmp_ne_u32_e32 vcc_lo, 1, v119
	s_cbranch_vccnz .LBB119_490
; %bb.489:
	s_clause 0x3
	buffer_load_dword v120, v117, s[0:3], 0 offen offset:8
	buffer_load_dword v121, v117, s[0:3], 0 offen offset:12
	buffer_load_dword v124, v117, s[0:3], 0 offen
	buffer_load_dword v125, v117, s[0:3], 0 offen offset:4
	s_waitcnt vmcnt(2) lgkmcnt(0)
	v_mul_f64 v[126:127], v[3:4], v[120:121]
	v_mul_f64 v[120:121], v[1:2], v[120:121]
	s_waitcnt vmcnt(0)
	v_fma_f64 v[1:2], v[1:2], v[124:125], -v[126:127]
	v_fma_f64 v[3:4], v[3:4], v[124:125], v[120:121]
.LBB119_490:
	s_mov_b32 s6, exec_lo
	v_cmpx_ne_u32_e32 6, v0
	s_cbranch_execz .LBB119_494
; %bb.491:
	v_add_nc_u32_e32 v120, 0x390, v123
	v_add3_u32 v121, 0, v123, 16
	v_mov_b32_e32 v122, v0
	s_mov_b32 s8, 0
	.p2align	6
.LBB119_492:                            ; =>This Inner Loop Header: Depth=1
	s_clause 0x3
	buffer_load_dword v128, v121, s[0:3], 0 offen offset:8
	buffer_load_dword v129, v121, s[0:3], 0 offen offset:12
	buffer_load_dword v130, v121, s[0:3], 0 offen
	buffer_load_dword v131, v121, s[0:3], 0 offen offset:4
	ds_read_b128 v[124:127], v120
	v_add_nc_u32_e32 v122, 1, v122
	v_add_nc_u32_e32 v120, 16, v120
	;; [unrolled: 1-line block ×3, first 2 shown]
	v_cmp_lt_u32_e32 vcc_lo, 5, v122
	s_or_b32 s8, vcc_lo, s8
	s_waitcnt vmcnt(2) lgkmcnt(0)
	v_mul_f64 v[132:133], v[126:127], v[128:129]
	v_mul_f64 v[128:129], v[124:125], v[128:129]
	s_waitcnt vmcnt(0)
	v_fma_f64 v[124:125], v[124:125], v[130:131], -v[132:133]
	v_fma_f64 v[126:127], v[126:127], v[130:131], v[128:129]
	v_add_f64 v[1:2], v[1:2], v[124:125]
	v_add_f64 v[3:4], v[3:4], v[126:127]
	s_andn2_b32 exec_lo, exec_lo, s8
	s_cbranch_execnz .LBB119_492
; %bb.493:
	s_or_b32 exec_lo, exec_lo, s8
.LBB119_494:
	s_or_b32 exec_lo, exec_lo, s6
	v_mov_b32_e32 v120, 0
	ds_read_b128 v[124:127], v120 offset:112
	s_waitcnt lgkmcnt(0)
	v_mul_f64 v[120:121], v[3:4], v[126:127]
	v_mul_f64 v[126:127], v[1:2], v[126:127]
	v_fma_f64 v[1:2], v[1:2], v[124:125], -v[120:121]
	v_fma_f64 v[3:4], v[3:4], v[124:125], v[126:127]
	buffer_store_dword v2, off, s[0:3], 0 offset:116
	buffer_store_dword v1, off, s[0:3], 0 offset:112
	;; [unrolled: 1-line block ×4, first 2 shown]
.LBB119_495:
	s_or_b32 exec_lo, exec_lo, s4
	v_mov_b32_e32 v4, s56
	s_mov_b32 s4, exec_lo
	s_clause 0x3
	buffer_load_dword v1, v4, s[0:3], 0 offen
	buffer_load_dword v2, v4, s[0:3], 0 offen offset:4
	buffer_load_dword v3, v4, s[0:3], 0 offen offset:8
	;; [unrolled: 1-line block ×3, first 2 shown]
	s_waitcnt vmcnt(0)
	ds_write_b128 v118, v[1:4]
	s_waitcnt lgkmcnt(0)
	s_waitcnt_vscnt null, 0x0
	s_barrier
	buffer_gl0_inv
	v_cmpx_gt_u32_e32 8, v0
	s_cbranch_execz .LBB119_503
; %bb.496:
	ds_read_b128 v[1:4], v118
	v_cmp_ne_u32_e32 vcc_lo, 1, v119
	s_cbranch_vccnz .LBB119_498
; %bb.497:
	s_clause 0x3
	buffer_load_dword v120, v117, s[0:3], 0 offen offset:8
	buffer_load_dword v121, v117, s[0:3], 0 offen offset:12
	buffer_load_dword v124, v117, s[0:3], 0 offen
	buffer_load_dword v125, v117, s[0:3], 0 offen offset:4
	s_waitcnt vmcnt(2) lgkmcnt(0)
	v_mul_f64 v[126:127], v[3:4], v[120:121]
	v_mul_f64 v[120:121], v[1:2], v[120:121]
	s_waitcnt vmcnt(0)
	v_fma_f64 v[1:2], v[1:2], v[124:125], -v[126:127]
	v_fma_f64 v[3:4], v[3:4], v[124:125], v[120:121]
.LBB119_498:
	s_mov_b32 s6, exec_lo
	v_cmpx_ne_u32_e32 7, v0
	s_cbranch_execz .LBB119_502
; %bb.499:
	v_add_nc_u32_e32 v120, 0x390, v123
	v_add3_u32 v121, 0, v123, 16
	v_mov_b32_e32 v122, v0
	s_mov_b32 s8, 0
	.p2align	6
.LBB119_500:                            ; =>This Inner Loop Header: Depth=1
	s_clause 0x3
	buffer_load_dword v128, v121, s[0:3], 0 offen offset:8
	buffer_load_dword v129, v121, s[0:3], 0 offen offset:12
	buffer_load_dword v130, v121, s[0:3], 0 offen
	buffer_load_dword v131, v121, s[0:3], 0 offen offset:4
	ds_read_b128 v[124:127], v120
	v_add_nc_u32_e32 v122, 1, v122
	v_add_nc_u32_e32 v120, 16, v120
	;; [unrolled: 1-line block ×3, first 2 shown]
	v_cmp_lt_u32_e32 vcc_lo, 6, v122
	s_or_b32 s8, vcc_lo, s8
	s_waitcnt vmcnt(2) lgkmcnt(0)
	v_mul_f64 v[132:133], v[126:127], v[128:129]
	v_mul_f64 v[128:129], v[124:125], v[128:129]
	s_waitcnt vmcnt(0)
	v_fma_f64 v[124:125], v[124:125], v[130:131], -v[132:133]
	v_fma_f64 v[126:127], v[126:127], v[130:131], v[128:129]
	v_add_f64 v[1:2], v[1:2], v[124:125]
	v_add_f64 v[3:4], v[3:4], v[126:127]
	s_andn2_b32 exec_lo, exec_lo, s8
	s_cbranch_execnz .LBB119_500
; %bb.501:
	s_or_b32 exec_lo, exec_lo, s8
.LBB119_502:
	s_or_b32 exec_lo, exec_lo, s6
	v_mov_b32_e32 v120, 0
	ds_read_b128 v[124:127], v120 offset:128
	s_waitcnt lgkmcnt(0)
	v_mul_f64 v[120:121], v[3:4], v[126:127]
	v_mul_f64 v[126:127], v[1:2], v[126:127]
	v_fma_f64 v[1:2], v[1:2], v[124:125], -v[120:121]
	v_fma_f64 v[3:4], v[3:4], v[124:125], v[126:127]
	buffer_store_dword v2, off, s[0:3], 0 offset:132
	buffer_store_dword v1, off, s[0:3], 0 offset:128
	;; [unrolled: 1-line block ×4, first 2 shown]
.LBB119_503:
	s_or_b32 exec_lo, exec_lo, s4
	v_mov_b32_e32 v4, s55
	s_mov_b32 s4, exec_lo
	s_clause 0x3
	buffer_load_dword v1, v4, s[0:3], 0 offen
	buffer_load_dword v2, v4, s[0:3], 0 offen offset:4
	buffer_load_dword v3, v4, s[0:3], 0 offen offset:8
	;; [unrolled: 1-line block ×3, first 2 shown]
	s_waitcnt vmcnt(0)
	ds_write_b128 v118, v[1:4]
	s_waitcnt lgkmcnt(0)
	s_waitcnt_vscnt null, 0x0
	s_barrier
	buffer_gl0_inv
	v_cmpx_gt_u32_e32 9, v0
	s_cbranch_execz .LBB119_511
; %bb.504:
	ds_read_b128 v[1:4], v118
	v_cmp_ne_u32_e32 vcc_lo, 1, v119
	s_cbranch_vccnz .LBB119_506
; %bb.505:
	s_clause 0x3
	buffer_load_dword v120, v117, s[0:3], 0 offen offset:8
	buffer_load_dword v121, v117, s[0:3], 0 offen offset:12
	buffer_load_dword v124, v117, s[0:3], 0 offen
	buffer_load_dword v125, v117, s[0:3], 0 offen offset:4
	s_waitcnt vmcnt(2) lgkmcnt(0)
	v_mul_f64 v[126:127], v[3:4], v[120:121]
	v_mul_f64 v[120:121], v[1:2], v[120:121]
	s_waitcnt vmcnt(0)
	v_fma_f64 v[1:2], v[1:2], v[124:125], -v[126:127]
	v_fma_f64 v[3:4], v[3:4], v[124:125], v[120:121]
.LBB119_506:
	s_mov_b32 s6, exec_lo
	v_cmpx_ne_u32_e32 8, v0
	s_cbranch_execz .LBB119_510
; %bb.507:
	v_add_nc_u32_e32 v120, 0x390, v123
	v_add3_u32 v121, 0, v123, 16
	v_mov_b32_e32 v122, v0
	s_mov_b32 s8, 0
	.p2align	6
.LBB119_508:                            ; =>This Inner Loop Header: Depth=1
	s_clause 0x3
	buffer_load_dword v128, v121, s[0:3], 0 offen offset:8
	buffer_load_dword v129, v121, s[0:3], 0 offen offset:12
	buffer_load_dword v130, v121, s[0:3], 0 offen
	buffer_load_dword v131, v121, s[0:3], 0 offen offset:4
	ds_read_b128 v[124:127], v120
	v_add_nc_u32_e32 v122, 1, v122
	v_add_nc_u32_e32 v120, 16, v120
	;; [unrolled: 1-line block ×3, first 2 shown]
	v_cmp_lt_u32_e32 vcc_lo, 7, v122
	s_or_b32 s8, vcc_lo, s8
	s_waitcnt vmcnt(2) lgkmcnt(0)
	v_mul_f64 v[132:133], v[126:127], v[128:129]
	v_mul_f64 v[128:129], v[124:125], v[128:129]
	s_waitcnt vmcnt(0)
	v_fma_f64 v[124:125], v[124:125], v[130:131], -v[132:133]
	v_fma_f64 v[126:127], v[126:127], v[130:131], v[128:129]
	v_add_f64 v[1:2], v[1:2], v[124:125]
	v_add_f64 v[3:4], v[3:4], v[126:127]
	s_andn2_b32 exec_lo, exec_lo, s8
	s_cbranch_execnz .LBB119_508
; %bb.509:
	s_or_b32 exec_lo, exec_lo, s8
.LBB119_510:
	s_or_b32 exec_lo, exec_lo, s6
	v_mov_b32_e32 v120, 0
	ds_read_b128 v[124:127], v120 offset:144
	s_waitcnt lgkmcnt(0)
	v_mul_f64 v[120:121], v[3:4], v[126:127]
	v_mul_f64 v[126:127], v[1:2], v[126:127]
	v_fma_f64 v[1:2], v[1:2], v[124:125], -v[120:121]
	v_fma_f64 v[3:4], v[3:4], v[124:125], v[126:127]
	buffer_store_dword v2, off, s[0:3], 0 offset:148
	buffer_store_dword v1, off, s[0:3], 0 offset:144
	;; [unrolled: 1-line block ×4, first 2 shown]
.LBB119_511:
	s_or_b32 exec_lo, exec_lo, s4
	v_mov_b32_e32 v4, s54
	s_mov_b32 s4, exec_lo
	s_clause 0x3
	buffer_load_dword v1, v4, s[0:3], 0 offen
	buffer_load_dword v2, v4, s[0:3], 0 offen offset:4
	buffer_load_dword v3, v4, s[0:3], 0 offen offset:8
	;; [unrolled: 1-line block ×3, first 2 shown]
	s_waitcnt vmcnt(0)
	ds_write_b128 v118, v[1:4]
	s_waitcnt lgkmcnt(0)
	s_waitcnt_vscnt null, 0x0
	s_barrier
	buffer_gl0_inv
	v_cmpx_gt_u32_e32 10, v0
	s_cbranch_execz .LBB119_519
; %bb.512:
	ds_read_b128 v[1:4], v118
	v_cmp_ne_u32_e32 vcc_lo, 1, v119
	s_cbranch_vccnz .LBB119_514
; %bb.513:
	s_clause 0x3
	buffer_load_dword v120, v117, s[0:3], 0 offen offset:8
	buffer_load_dword v121, v117, s[0:3], 0 offen offset:12
	buffer_load_dword v124, v117, s[0:3], 0 offen
	buffer_load_dword v125, v117, s[0:3], 0 offen offset:4
	s_waitcnt vmcnt(2) lgkmcnt(0)
	v_mul_f64 v[126:127], v[3:4], v[120:121]
	v_mul_f64 v[120:121], v[1:2], v[120:121]
	s_waitcnt vmcnt(0)
	v_fma_f64 v[1:2], v[1:2], v[124:125], -v[126:127]
	v_fma_f64 v[3:4], v[3:4], v[124:125], v[120:121]
.LBB119_514:
	s_mov_b32 s6, exec_lo
	v_cmpx_ne_u32_e32 9, v0
	s_cbranch_execz .LBB119_518
; %bb.515:
	v_add_nc_u32_e32 v120, 0x390, v123
	v_add3_u32 v121, 0, v123, 16
	v_mov_b32_e32 v122, v0
	s_mov_b32 s8, 0
	.p2align	6
.LBB119_516:                            ; =>This Inner Loop Header: Depth=1
	s_clause 0x3
	buffer_load_dword v128, v121, s[0:3], 0 offen offset:8
	buffer_load_dword v129, v121, s[0:3], 0 offen offset:12
	buffer_load_dword v130, v121, s[0:3], 0 offen
	buffer_load_dword v131, v121, s[0:3], 0 offen offset:4
	ds_read_b128 v[124:127], v120
	v_add_nc_u32_e32 v122, 1, v122
	v_add_nc_u32_e32 v120, 16, v120
	;; [unrolled: 1-line block ×3, first 2 shown]
	v_cmp_lt_u32_e32 vcc_lo, 8, v122
	s_or_b32 s8, vcc_lo, s8
	s_waitcnt vmcnt(2) lgkmcnt(0)
	v_mul_f64 v[132:133], v[126:127], v[128:129]
	v_mul_f64 v[128:129], v[124:125], v[128:129]
	s_waitcnt vmcnt(0)
	v_fma_f64 v[124:125], v[124:125], v[130:131], -v[132:133]
	v_fma_f64 v[126:127], v[126:127], v[130:131], v[128:129]
	v_add_f64 v[1:2], v[1:2], v[124:125]
	v_add_f64 v[3:4], v[3:4], v[126:127]
	s_andn2_b32 exec_lo, exec_lo, s8
	s_cbranch_execnz .LBB119_516
; %bb.517:
	s_or_b32 exec_lo, exec_lo, s8
.LBB119_518:
	s_or_b32 exec_lo, exec_lo, s6
	v_mov_b32_e32 v120, 0
	ds_read_b128 v[124:127], v120 offset:160
	s_waitcnt lgkmcnt(0)
	v_mul_f64 v[120:121], v[3:4], v[126:127]
	v_mul_f64 v[126:127], v[1:2], v[126:127]
	v_fma_f64 v[1:2], v[1:2], v[124:125], -v[120:121]
	v_fma_f64 v[3:4], v[3:4], v[124:125], v[126:127]
	buffer_store_dword v2, off, s[0:3], 0 offset:164
	buffer_store_dword v1, off, s[0:3], 0 offset:160
	;; [unrolled: 1-line block ×4, first 2 shown]
.LBB119_519:
	s_or_b32 exec_lo, exec_lo, s4
	v_mov_b32_e32 v4, s53
	s_mov_b32 s4, exec_lo
	s_clause 0x3
	buffer_load_dword v1, v4, s[0:3], 0 offen
	buffer_load_dword v2, v4, s[0:3], 0 offen offset:4
	buffer_load_dword v3, v4, s[0:3], 0 offen offset:8
	;; [unrolled: 1-line block ×3, first 2 shown]
	s_waitcnt vmcnt(0)
	ds_write_b128 v118, v[1:4]
	s_waitcnt lgkmcnt(0)
	s_waitcnt_vscnt null, 0x0
	s_barrier
	buffer_gl0_inv
	v_cmpx_gt_u32_e32 11, v0
	s_cbranch_execz .LBB119_527
; %bb.520:
	ds_read_b128 v[1:4], v118
	v_cmp_ne_u32_e32 vcc_lo, 1, v119
	s_cbranch_vccnz .LBB119_522
; %bb.521:
	s_clause 0x3
	buffer_load_dword v120, v117, s[0:3], 0 offen offset:8
	buffer_load_dword v121, v117, s[0:3], 0 offen offset:12
	buffer_load_dword v124, v117, s[0:3], 0 offen
	buffer_load_dword v125, v117, s[0:3], 0 offen offset:4
	s_waitcnt vmcnt(2) lgkmcnt(0)
	v_mul_f64 v[126:127], v[3:4], v[120:121]
	v_mul_f64 v[120:121], v[1:2], v[120:121]
	s_waitcnt vmcnt(0)
	v_fma_f64 v[1:2], v[1:2], v[124:125], -v[126:127]
	v_fma_f64 v[3:4], v[3:4], v[124:125], v[120:121]
.LBB119_522:
	s_mov_b32 s6, exec_lo
	v_cmpx_ne_u32_e32 10, v0
	s_cbranch_execz .LBB119_526
; %bb.523:
	v_add_nc_u32_e32 v120, 0x390, v123
	v_add3_u32 v121, 0, v123, 16
	v_mov_b32_e32 v122, v0
	s_mov_b32 s8, 0
	.p2align	6
.LBB119_524:                            ; =>This Inner Loop Header: Depth=1
	s_clause 0x3
	buffer_load_dword v128, v121, s[0:3], 0 offen offset:8
	buffer_load_dword v129, v121, s[0:3], 0 offen offset:12
	buffer_load_dword v130, v121, s[0:3], 0 offen
	buffer_load_dword v131, v121, s[0:3], 0 offen offset:4
	ds_read_b128 v[124:127], v120
	v_add_nc_u32_e32 v122, 1, v122
	v_add_nc_u32_e32 v120, 16, v120
	;; [unrolled: 1-line block ×3, first 2 shown]
	v_cmp_lt_u32_e32 vcc_lo, 9, v122
	s_or_b32 s8, vcc_lo, s8
	s_waitcnt vmcnt(2) lgkmcnt(0)
	v_mul_f64 v[132:133], v[126:127], v[128:129]
	v_mul_f64 v[128:129], v[124:125], v[128:129]
	s_waitcnt vmcnt(0)
	v_fma_f64 v[124:125], v[124:125], v[130:131], -v[132:133]
	v_fma_f64 v[126:127], v[126:127], v[130:131], v[128:129]
	v_add_f64 v[1:2], v[1:2], v[124:125]
	v_add_f64 v[3:4], v[3:4], v[126:127]
	s_andn2_b32 exec_lo, exec_lo, s8
	s_cbranch_execnz .LBB119_524
; %bb.525:
	s_or_b32 exec_lo, exec_lo, s8
.LBB119_526:
	s_or_b32 exec_lo, exec_lo, s6
	v_mov_b32_e32 v120, 0
	ds_read_b128 v[124:127], v120 offset:176
	s_waitcnt lgkmcnt(0)
	v_mul_f64 v[120:121], v[3:4], v[126:127]
	v_mul_f64 v[126:127], v[1:2], v[126:127]
	v_fma_f64 v[1:2], v[1:2], v[124:125], -v[120:121]
	v_fma_f64 v[3:4], v[3:4], v[124:125], v[126:127]
	buffer_store_dword v2, off, s[0:3], 0 offset:180
	buffer_store_dword v1, off, s[0:3], 0 offset:176
	;; [unrolled: 1-line block ×4, first 2 shown]
.LBB119_527:
	s_or_b32 exec_lo, exec_lo, s4
	v_mov_b32_e32 v4, s52
	s_mov_b32 s4, exec_lo
	s_clause 0x3
	buffer_load_dword v1, v4, s[0:3], 0 offen
	buffer_load_dword v2, v4, s[0:3], 0 offen offset:4
	buffer_load_dword v3, v4, s[0:3], 0 offen offset:8
	;; [unrolled: 1-line block ×3, first 2 shown]
	s_waitcnt vmcnt(0)
	ds_write_b128 v118, v[1:4]
	s_waitcnt lgkmcnt(0)
	s_waitcnt_vscnt null, 0x0
	s_barrier
	buffer_gl0_inv
	v_cmpx_gt_u32_e32 12, v0
	s_cbranch_execz .LBB119_535
; %bb.528:
	ds_read_b128 v[1:4], v118
	v_cmp_ne_u32_e32 vcc_lo, 1, v119
	s_cbranch_vccnz .LBB119_530
; %bb.529:
	s_clause 0x3
	buffer_load_dword v120, v117, s[0:3], 0 offen offset:8
	buffer_load_dword v121, v117, s[0:3], 0 offen offset:12
	buffer_load_dword v124, v117, s[0:3], 0 offen
	buffer_load_dword v125, v117, s[0:3], 0 offen offset:4
	s_waitcnt vmcnt(2) lgkmcnt(0)
	v_mul_f64 v[126:127], v[3:4], v[120:121]
	v_mul_f64 v[120:121], v[1:2], v[120:121]
	s_waitcnt vmcnt(0)
	v_fma_f64 v[1:2], v[1:2], v[124:125], -v[126:127]
	v_fma_f64 v[3:4], v[3:4], v[124:125], v[120:121]
.LBB119_530:
	s_mov_b32 s6, exec_lo
	v_cmpx_ne_u32_e32 11, v0
	s_cbranch_execz .LBB119_534
; %bb.531:
	v_add_nc_u32_e32 v120, 0x390, v123
	v_add3_u32 v121, 0, v123, 16
	v_mov_b32_e32 v122, v0
	s_mov_b32 s8, 0
	.p2align	6
.LBB119_532:                            ; =>This Inner Loop Header: Depth=1
	s_clause 0x3
	buffer_load_dword v128, v121, s[0:3], 0 offen offset:8
	buffer_load_dword v129, v121, s[0:3], 0 offen offset:12
	buffer_load_dword v130, v121, s[0:3], 0 offen
	buffer_load_dword v131, v121, s[0:3], 0 offen offset:4
	ds_read_b128 v[124:127], v120
	v_add_nc_u32_e32 v122, 1, v122
	v_add_nc_u32_e32 v120, 16, v120
	;; [unrolled: 1-line block ×3, first 2 shown]
	v_cmp_lt_u32_e32 vcc_lo, 10, v122
	s_or_b32 s8, vcc_lo, s8
	s_waitcnt vmcnt(2) lgkmcnt(0)
	v_mul_f64 v[132:133], v[126:127], v[128:129]
	v_mul_f64 v[128:129], v[124:125], v[128:129]
	s_waitcnt vmcnt(0)
	v_fma_f64 v[124:125], v[124:125], v[130:131], -v[132:133]
	v_fma_f64 v[126:127], v[126:127], v[130:131], v[128:129]
	v_add_f64 v[1:2], v[1:2], v[124:125]
	v_add_f64 v[3:4], v[3:4], v[126:127]
	s_andn2_b32 exec_lo, exec_lo, s8
	s_cbranch_execnz .LBB119_532
; %bb.533:
	s_or_b32 exec_lo, exec_lo, s8
.LBB119_534:
	s_or_b32 exec_lo, exec_lo, s6
	v_mov_b32_e32 v120, 0
	ds_read_b128 v[124:127], v120 offset:192
	s_waitcnt lgkmcnt(0)
	v_mul_f64 v[120:121], v[3:4], v[126:127]
	v_mul_f64 v[126:127], v[1:2], v[126:127]
	v_fma_f64 v[1:2], v[1:2], v[124:125], -v[120:121]
	v_fma_f64 v[3:4], v[3:4], v[124:125], v[126:127]
	buffer_store_dword v2, off, s[0:3], 0 offset:196
	buffer_store_dword v1, off, s[0:3], 0 offset:192
	;; [unrolled: 1-line block ×4, first 2 shown]
.LBB119_535:
	s_or_b32 exec_lo, exec_lo, s4
	v_mov_b32_e32 v4, s51
	s_mov_b32 s4, exec_lo
	s_clause 0x3
	buffer_load_dword v1, v4, s[0:3], 0 offen
	buffer_load_dword v2, v4, s[0:3], 0 offen offset:4
	buffer_load_dword v3, v4, s[0:3], 0 offen offset:8
	;; [unrolled: 1-line block ×3, first 2 shown]
	s_waitcnt vmcnt(0)
	ds_write_b128 v118, v[1:4]
	s_waitcnt lgkmcnt(0)
	s_waitcnt_vscnt null, 0x0
	s_barrier
	buffer_gl0_inv
	v_cmpx_gt_u32_e32 13, v0
	s_cbranch_execz .LBB119_543
; %bb.536:
	ds_read_b128 v[1:4], v118
	v_cmp_ne_u32_e32 vcc_lo, 1, v119
	s_cbranch_vccnz .LBB119_538
; %bb.537:
	s_clause 0x3
	buffer_load_dword v120, v117, s[0:3], 0 offen offset:8
	buffer_load_dword v121, v117, s[0:3], 0 offen offset:12
	buffer_load_dword v124, v117, s[0:3], 0 offen
	buffer_load_dword v125, v117, s[0:3], 0 offen offset:4
	s_waitcnt vmcnt(2) lgkmcnt(0)
	v_mul_f64 v[126:127], v[3:4], v[120:121]
	v_mul_f64 v[120:121], v[1:2], v[120:121]
	s_waitcnt vmcnt(0)
	v_fma_f64 v[1:2], v[1:2], v[124:125], -v[126:127]
	v_fma_f64 v[3:4], v[3:4], v[124:125], v[120:121]
.LBB119_538:
	s_mov_b32 s6, exec_lo
	v_cmpx_ne_u32_e32 12, v0
	s_cbranch_execz .LBB119_542
; %bb.539:
	v_add_nc_u32_e32 v120, 0x390, v123
	v_add3_u32 v121, 0, v123, 16
	v_mov_b32_e32 v122, v0
	s_mov_b32 s8, 0
	.p2align	6
.LBB119_540:                            ; =>This Inner Loop Header: Depth=1
	s_clause 0x3
	buffer_load_dword v128, v121, s[0:3], 0 offen offset:8
	buffer_load_dword v129, v121, s[0:3], 0 offen offset:12
	buffer_load_dword v130, v121, s[0:3], 0 offen
	buffer_load_dword v131, v121, s[0:3], 0 offen offset:4
	ds_read_b128 v[124:127], v120
	v_add_nc_u32_e32 v122, 1, v122
	v_add_nc_u32_e32 v120, 16, v120
	;; [unrolled: 1-line block ×3, first 2 shown]
	v_cmp_lt_u32_e32 vcc_lo, 11, v122
	s_or_b32 s8, vcc_lo, s8
	s_waitcnt vmcnt(2) lgkmcnt(0)
	v_mul_f64 v[132:133], v[126:127], v[128:129]
	v_mul_f64 v[128:129], v[124:125], v[128:129]
	s_waitcnt vmcnt(0)
	v_fma_f64 v[124:125], v[124:125], v[130:131], -v[132:133]
	v_fma_f64 v[126:127], v[126:127], v[130:131], v[128:129]
	v_add_f64 v[1:2], v[1:2], v[124:125]
	v_add_f64 v[3:4], v[3:4], v[126:127]
	s_andn2_b32 exec_lo, exec_lo, s8
	s_cbranch_execnz .LBB119_540
; %bb.541:
	s_or_b32 exec_lo, exec_lo, s8
.LBB119_542:
	s_or_b32 exec_lo, exec_lo, s6
	v_mov_b32_e32 v120, 0
	ds_read_b128 v[124:127], v120 offset:208
	s_waitcnt lgkmcnt(0)
	v_mul_f64 v[120:121], v[3:4], v[126:127]
	v_mul_f64 v[126:127], v[1:2], v[126:127]
	v_fma_f64 v[1:2], v[1:2], v[124:125], -v[120:121]
	v_fma_f64 v[3:4], v[3:4], v[124:125], v[126:127]
	buffer_store_dword v2, off, s[0:3], 0 offset:212
	buffer_store_dword v1, off, s[0:3], 0 offset:208
	;; [unrolled: 1-line block ×4, first 2 shown]
.LBB119_543:
	s_or_b32 exec_lo, exec_lo, s4
	v_mov_b32_e32 v4, s50
	s_mov_b32 s4, exec_lo
	s_clause 0x3
	buffer_load_dword v1, v4, s[0:3], 0 offen
	buffer_load_dword v2, v4, s[0:3], 0 offen offset:4
	buffer_load_dword v3, v4, s[0:3], 0 offen offset:8
	;; [unrolled: 1-line block ×3, first 2 shown]
	s_waitcnt vmcnt(0)
	ds_write_b128 v118, v[1:4]
	s_waitcnt lgkmcnt(0)
	s_waitcnt_vscnt null, 0x0
	s_barrier
	buffer_gl0_inv
	v_cmpx_gt_u32_e32 14, v0
	s_cbranch_execz .LBB119_551
; %bb.544:
	ds_read_b128 v[1:4], v118
	v_cmp_ne_u32_e32 vcc_lo, 1, v119
	s_cbranch_vccnz .LBB119_546
; %bb.545:
	s_clause 0x3
	buffer_load_dword v120, v117, s[0:3], 0 offen offset:8
	buffer_load_dword v121, v117, s[0:3], 0 offen offset:12
	buffer_load_dword v124, v117, s[0:3], 0 offen
	buffer_load_dword v125, v117, s[0:3], 0 offen offset:4
	s_waitcnt vmcnt(2) lgkmcnt(0)
	v_mul_f64 v[126:127], v[3:4], v[120:121]
	v_mul_f64 v[120:121], v[1:2], v[120:121]
	s_waitcnt vmcnt(0)
	v_fma_f64 v[1:2], v[1:2], v[124:125], -v[126:127]
	v_fma_f64 v[3:4], v[3:4], v[124:125], v[120:121]
.LBB119_546:
	s_mov_b32 s6, exec_lo
	v_cmpx_ne_u32_e32 13, v0
	s_cbranch_execz .LBB119_550
; %bb.547:
	v_add_nc_u32_e32 v120, 0x390, v123
	v_add3_u32 v121, 0, v123, 16
	v_mov_b32_e32 v122, v0
	s_mov_b32 s8, 0
	.p2align	6
.LBB119_548:                            ; =>This Inner Loop Header: Depth=1
	s_clause 0x3
	buffer_load_dword v128, v121, s[0:3], 0 offen offset:8
	buffer_load_dword v129, v121, s[0:3], 0 offen offset:12
	buffer_load_dword v130, v121, s[0:3], 0 offen
	buffer_load_dword v131, v121, s[0:3], 0 offen offset:4
	ds_read_b128 v[124:127], v120
	v_add_nc_u32_e32 v122, 1, v122
	v_add_nc_u32_e32 v120, 16, v120
	;; [unrolled: 1-line block ×3, first 2 shown]
	v_cmp_lt_u32_e32 vcc_lo, 12, v122
	s_or_b32 s8, vcc_lo, s8
	s_waitcnt vmcnt(2) lgkmcnt(0)
	v_mul_f64 v[132:133], v[126:127], v[128:129]
	v_mul_f64 v[128:129], v[124:125], v[128:129]
	s_waitcnt vmcnt(0)
	v_fma_f64 v[124:125], v[124:125], v[130:131], -v[132:133]
	v_fma_f64 v[126:127], v[126:127], v[130:131], v[128:129]
	v_add_f64 v[1:2], v[1:2], v[124:125]
	v_add_f64 v[3:4], v[3:4], v[126:127]
	s_andn2_b32 exec_lo, exec_lo, s8
	s_cbranch_execnz .LBB119_548
; %bb.549:
	s_or_b32 exec_lo, exec_lo, s8
.LBB119_550:
	s_or_b32 exec_lo, exec_lo, s6
	v_mov_b32_e32 v120, 0
	ds_read_b128 v[124:127], v120 offset:224
	s_waitcnt lgkmcnt(0)
	v_mul_f64 v[120:121], v[3:4], v[126:127]
	v_mul_f64 v[126:127], v[1:2], v[126:127]
	v_fma_f64 v[1:2], v[1:2], v[124:125], -v[120:121]
	v_fma_f64 v[3:4], v[3:4], v[124:125], v[126:127]
	buffer_store_dword v2, off, s[0:3], 0 offset:228
	buffer_store_dword v1, off, s[0:3], 0 offset:224
	;; [unrolled: 1-line block ×4, first 2 shown]
.LBB119_551:
	s_or_b32 exec_lo, exec_lo, s4
	v_mov_b32_e32 v4, s49
	s_mov_b32 s4, exec_lo
	s_clause 0x3
	buffer_load_dword v1, v4, s[0:3], 0 offen
	buffer_load_dword v2, v4, s[0:3], 0 offen offset:4
	buffer_load_dword v3, v4, s[0:3], 0 offen offset:8
	;; [unrolled: 1-line block ×3, first 2 shown]
	s_waitcnt vmcnt(0)
	ds_write_b128 v118, v[1:4]
	s_waitcnt lgkmcnt(0)
	s_waitcnt_vscnt null, 0x0
	s_barrier
	buffer_gl0_inv
	v_cmpx_gt_u32_e32 15, v0
	s_cbranch_execz .LBB119_559
; %bb.552:
	ds_read_b128 v[1:4], v118
	v_cmp_ne_u32_e32 vcc_lo, 1, v119
	s_cbranch_vccnz .LBB119_554
; %bb.553:
	s_clause 0x3
	buffer_load_dword v120, v117, s[0:3], 0 offen offset:8
	buffer_load_dword v121, v117, s[0:3], 0 offen offset:12
	buffer_load_dword v124, v117, s[0:3], 0 offen
	buffer_load_dword v125, v117, s[0:3], 0 offen offset:4
	s_waitcnt vmcnt(2) lgkmcnt(0)
	v_mul_f64 v[126:127], v[3:4], v[120:121]
	v_mul_f64 v[120:121], v[1:2], v[120:121]
	s_waitcnt vmcnt(0)
	v_fma_f64 v[1:2], v[1:2], v[124:125], -v[126:127]
	v_fma_f64 v[3:4], v[3:4], v[124:125], v[120:121]
.LBB119_554:
	s_mov_b32 s6, exec_lo
	v_cmpx_ne_u32_e32 14, v0
	s_cbranch_execz .LBB119_558
; %bb.555:
	v_add_nc_u32_e32 v120, 0x390, v123
	v_add3_u32 v121, 0, v123, 16
	v_mov_b32_e32 v122, v0
	s_mov_b32 s8, 0
	.p2align	6
.LBB119_556:                            ; =>This Inner Loop Header: Depth=1
	s_clause 0x3
	buffer_load_dword v128, v121, s[0:3], 0 offen offset:8
	buffer_load_dword v129, v121, s[0:3], 0 offen offset:12
	buffer_load_dword v130, v121, s[0:3], 0 offen
	buffer_load_dword v131, v121, s[0:3], 0 offen offset:4
	ds_read_b128 v[124:127], v120
	v_add_nc_u32_e32 v122, 1, v122
	v_add_nc_u32_e32 v120, 16, v120
	;; [unrolled: 1-line block ×3, first 2 shown]
	v_cmp_lt_u32_e32 vcc_lo, 13, v122
	s_or_b32 s8, vcc_lo, s8
	s_waitcnt vmcnt(2) lgkmcnt(0)
	v_mul_f64 v[132:133], v[126:127], v[128:129]
	v_mul_f64 v[128:129], v[124:125], v[128:129]
	s_waitcnt vmcnt(0)
	v_fma_f64 v[124:125], v[124:125], v[130:131], -v[132:133]
	v_fma_f64 v[126:127], v[126:127], v[130:131], v[128:129]
	v_add_f64 v[1:2], v[1:2], v[124:125]
	v_add_f64 v[3:4], v[3:4], v[126:127]
	s_andn2_b32 exec_lo, exec_lo, s8
	s_cbranch_execnz .LBB119_556
; %bb.557:
	s_or_b32 exec_lo, exec_lo, s8
.LBB119_558:
	s_or_b32 exec_lo, exec_lo, s6
	v_mov_b32_e32 v120, 0
	ds_read_b128 v[124:127], v120 offset:240
	s_waitcnt lgkmcnt(0)
	v_mul_f64 v[120:121], v[3:4], v[126:127]
	v_mul_f64 v[126:127], v[1:2], v[126:127]
	v_fma_f64 v[1:2], v[1:2], v[124:125], -v[120:121]
	v_fma_f64 v[3:4], v[3:4], v[124:125], v[126:127]
	buffer_store_dword v2, off, s[0:3], 0 offset:244
	buffer_store_dword v1, off, s[0:3], 0 offset:240
	;; [unrolled: 1-line block ×4, first 2 shown]
.LBB119_559:
	s_or_b32 exec_lo, exec_lo, s4
	v_mov_b32_e32 v4, s48
	s_mov_b32 s4, exec_lo
	s_clause 0x3
	buffer_load_dword v1, v4, s[0:3], 0 offen
	buffer_load_dword v2, v4, s[0:3], 0 offen offset:4
	buffer_load_dword v3, v4, s[0:3], 0 offen offset:8
	;; [unrolled: 1-line block ×3, first 2 shown]
	s_waitcnt vmcnt(0)
	ds_write_b128 v118, v[1:4]
	s_waitcnt lgkmcnt(0)
	s_waitcnt_vscnt null, 0x0
	s_barrier
	buffer_gl0_inv
	v_cmpx_gt_u32_e32 16, v0
	s_cbranch_execz .LBB119_567
; %bb.560:
	ds_read_b128 v[1:4], v118
	v_cmp_ne_u32_e32 vcc_lo, 1, v119
	s_cbranch_vccnz .LBB119_562
; %bb.561:
	s_clause 0x3
	buffer_load_dword v120, v117, s[0:3], 0 offen offset:8
	buffer_load_dword v121, v117, s[0:3], 0 offen offset:12
	buffer_load_dword v124, v117, s[0:3], 0 offen
	buffer_load_dword v125, v117, s[0:3], 0 offen offset:4
	s_waitcnt vmcnt(2) lgkmcnt(0)
	v_mul_f64 v[126:127], v[3:4], v[120:121]
	v_mul_f64 v[120:121], v[1:2], v[120:121]
	s_waitcnt vmcnt(0)
	v_fma_f64 v[1:2], v[1:2], v[124:125], -v[126:127]
	v_fma_f64 v[3:4], v[3:4], v[124:125], v[120:121]
.LBB119_562:
	s_mov_b32 s6, exec_lo
	v_cmpx_ne_u32_e32 15, v0
	s_cbranch_execz .LBB119_566
; %bb.563:
	v_add_nc_u32_e32 v120, 0x390, v123
	v_add3_u32 v121, 0, v123, 16
	v_mov_b32_e32 v122, v0
	s_mov_b32 s8, 0
	.p2align	6
.LBB119_564:                            ; =>This Inner Loop Header: Depth=1
	s_clause 0x3
	buffer_load_dword v128, v121, s[0:3], 0 offen offset:8
	buffer_load_dword v129, v121, s[0:3], 0 offen offset:12
	buffer_load_dword v130, v121, s[0:3], 0 offen
	buffer_load_dword v131, v121, s[0:3], 0 offen offset:4
	ds_read_b128 v[124:127], v120
	v_add_nc_u32_e32 v122, 1, v122
	v_add_nc_u32_e32 v120, 16, v120
	;; [unrolled: 1-line block ×3, first 2 shown]
	v_cmp_lt_u32_e32 vcc_lo, 14, v122
	s_or_b32 s8, vcc_lo, s8
	s_waitcnt vmcnt(2) lgkmcnt(0)
	v_mul_f64 v[132:133], v[126:127], v[128:129]
	v_mul_f64 v[128:129], v[124:125], v[128:129]
	s_waitcnt vmcnt(0)
	v_fma_f64 v[124:125], v[124:125], v[130:131], -v[132:133]
	v_fma_f64 v[126:127], v[126:127], v[130:131], v[128:129]
	v_add_f64 v[1:2], v[1:2], v[124:125]
	v_add_f64 v[3:4], v[3:4], v[126:127]
	s_andn2_b32 exec_lo, exec_lo, s8
	s_cbranch_execnz .LBB119_564
; %bb.565:
	s_or_b32 exec_lo, exec_lo, s8
.LBB119_566:
	s_or_b32 exec_lo, exec_lo, s6
	v_mov_b32_e32 v120, 0
	ds_read_b128 v[124:127], v120 offset:256
	s_waitcnt lgkmcnt(0)
	v_mul_f64 v[120:121], v[3:4], v[126:127]
	v_mul_f64 v[126:127], v[1:2], v[126:127]
	v_fma_f64 v[1:2], v[1:2], v[124:125], -v[120:121]
	v_fma_f64 v[3:4], v[3:4], v[124:125], v[126:127]
	buffer_store_dword v2, off, s[0:3], 0 offset:260
	buffer_store_dword v1, off, s[0:3], 0 offset:256
	;; [unrolled: 1-line block ×4, first 2 shown]
.LBB119_567:
	s_or_b32 exec_lo, exec_lo, s4
	v_mov_b32_e32 v4, s47
	s_mov_b32 s4, exec_lo
	s_clause 0x3
	buffer_load_dword v1, v4, s[0:3], 0 offen
	buffer_load_dword v2, v4, s[0:3], 0 offen offset:4
	buffer_load_dword v3, v4, s[0:3], 0 offen offset:8
	;; [unrolled: 1-line block ×3, first 2 shown]
	s_waitcnt vmcnt(0)
	ds_write_b128 v118, v[1:4]
	s_waitcnt lgkmcnt(0)
	s_waitcnt_vscnt null, 0x0
	s_barrier
	buffer_gl0_inv
	v_cmpx_gt_u32_e32 17, v0
	s_cbranch_execz .LBB119_575
; %bb.568:
	ds_read_b128 v[1:4], v118
	v_cmp_ne_u32_e32 vcc_lo, 1, v119
	s_cbranch_vccnz .LBB119_570
; %bb.569:
	s_clause 0x3
	buffer_load_dword v120, v117, s[0:3], 0 offen offset:8
	buffer_load_dword v121, v117, s[0:3], 0 offen offset:12
	buffer_load_dword v124, v117, s[0:3], 0 offen
	buffer_load_dword v125, v117, s[0:3], 0 offen offset:4
	s_waitcnt vmcnt(2) lgkmcnt(0)
	v_mul_f64 v[126:127], v[3:4], v[120:121]
	v_mul_f64 v[120:121], v[1:2], v[120:121]
	s_waitcnt vmcnt(0)
	v_fma_f64 v[1:2], v[1:2], v[124:125], -v[126:127]
	v_fma_f64 v[3:4], v[3:4], v[124:125], v[120:121]
.LBB119_570:
	s_mov_b32 s6, exec_lo
	v_cmpx_ne_u32_e32 16, v0
	s_cbranch_execz .LBB119_574
; %bb.571:
	v_add_nc_u32_e32 v120, 0x390, v123
	v_add3_u32 v121, 0, v123, 16
	v_mov_b32_e32 v122, v0
	s_mov_b32 s8, 0
	.p2align	6
.LBB119_572:                            ; =>This Inner Loop Header: Depth=1
	s_clause 0x3
	buffer_load_dword v128, v121, s[0:3], 0 offen offset:8
	buffer_load_dword v129, v121, s[0:3], 0 offen offset:12
	buffer_load_dword v130, v121, s[0:3], 0 offen
	buffer_load_dword v131, v121, s[0:3], 0 offen offset:4
	ds_read_b128 v[124:127], v120
	v_add_nc_u32_e32 v122, 1, v122
	v_add_nc_u32_e32 v120, 16, v120
	;; [unrolled: 1-line block ×3, first 2 shown]
	v_cmp_lt_u32_e32 vcc_lo, 15, v122
	s_or_b32 s8, vcc_lo, s8
	s_waitcnt vmcnt(2) lgkmcnt(0)
	v_mul_f64 v[132:133], v[126:127], v[128:129]
	v_mul_f64 v[128:129], v[124:125], v[128:129]
	s_waitcnt vmcnt(0)
	v_fma_f64 v[124:125], v[124:125], v[130:131], -v[132:133]
	v_fma_f64 v[126:127], v[126:127], v[130:131], v[128:129]
	v_add_f64 v[1:2], v[1:2], v[124:125]
	v_add_f64 v[3:4], v[3:4], v[126:127]
	s_andn2_b32 exec_lo, exec_lo, s8
	s_cbranch_execnz .LBB119_572
; %bb.573:
	s_or_b32 exec_lo, exec_lo, s8
.LBB119_574:
	s_or_b32 exec_lo, exec_lo, s6
	v_mov_b32_e32 v120, 0
	ds_read_b128 v[124:127], v120 offset:272
	s_waitcnt lgkmcnt(0)
	v_mul_f64 v[120:121], v[3:4], v[126:127]
	v_mul_f64 v[126:127], v[1:2], v[126:127]
	v_fma_f64 v[1:2], v[1:2], v[124:125], -v[120:121]
	v_fma_f64 v[3:4], v[3:4], v[124:125], v[126:127]
	buffer_store_dword v2, off, s[0:3], 0 offset:276
	buffer_store_dword v1, off, s[0:3], 0 offset:272
	;; [unrolled: 1-line block ×4, first 2 shown]
.LBB119_575:
	s_or_b32 exec_lo, exec_lo, s4
	v_mov_b32_e32 v4, s46
	s_mov_b32 s4, exec_lo
	s_clause 0x3
	buffer_load_dword v1, v4, s[0:3], 0 offen
	buffer_load_dword v2, v4, s[0:3], 0 offen offset:4
	buffer_load_dword v3, v4, s[0:3], 0 offen offset:8
	;; [unrolled: 1-line block ×3, first 2 shown]
	s_waitcnt vmcnt(0)
	ds_write_b128 v118, v[1:4]
	s_waitcnt lgkmcnt(0)
	s_waitcnt_vscnt null, 0x0
	s_barrier
	buffer_gl0_inv
	v_cmpx_gt_u32_e32 18, v0
	s_cbranch_execz .LBB119_583
; %bb.576:
	ds_read_b128 v[1:4], v118
	v_cmp_ne_u32_e32 vcc_lo, 1, v119
	s_cbranch_vccnz .LBB119_578
; %bb.577:
	s_clause 0x3
	buffer_load_dword v120, v117, s[0:3], 0 offen offset:8
	buffer_load_dword v121, v117, s[0:3], 0 offen offset:12
	buffer_load_dword v124, v117, s[0:3], 0 offen
	buffer_load_dword v125, v117, s[0:3], 0 offen offset:4
	s_waitcnt vmcnt(2) lgkmcnt(0)
	v_mul_f64 v[126:127], v[3:4], v[120:121]
	v_mul_f64 v[120:121], v[1:2], v[120:121]
	s_waitcnt vmcnt(0)
	v_fma_f64 v[1:2], v[1:2], v[124:125], -v[126:127]
	v_fma_f64 v[3:4], v[3:4], v[124:125], v[120:121]
.LBB119_578:
	s_mov_b32 s6, exec_lo
	v_cmpx_ne_u32_e32 17, v0
	s_cbranch_execz .LBB119_582
; %bb.579:
	v_add_nc_u32_e32 v120, 0x390, v123
	v_add3_u32 v121, 0, v123, 16
	v_mov_b32_e32 v122, v0
	s_mov_b32 s8, 0
	.p2align	6
.LBB119_580:                            ; =>This Inner Loop Header: Depth=1
	s_clause 0x3
	buffer_load_dword v128, v121, s[0:3], 0 offen offset:8
	buffer_load_dword v129, v121, s[0:3], 0 offen offset:12
	buffer_load_dword v130, v121, s[0:3], 0 offen
	buffer_load_dword v131, v121, s[0:3], 0 offen offset:4
	ds_read_b128 v[124:127], v120
	v_add_nc_u32_e32 v122, 1, v122
	v_add_nc_u32_e32 v120, 16, v120
	;; [unrolled: 1-line block ×3, first 2 shown]
	v_cmp_lt_u32_e32 vcc_lo, 16, v122
	s_or_b32 s8, vcc_lo, s8
	s_waitcnt vmcnt(2) lgkmcnt(0)
	v_mul_f64 v[132:133], v[126:127], v[128:129]
	v_mul_f64 v[128:129], v[124:125], v[128:129]
	s_waitcnt vmcnt(0)
	v_fma_f64 v[124:125], v[124:125], v[130:131], -v[132:133]
	v_fma_f64 v[126:127], v[126:127], v[130:131], v[128:129]
	v_add_f64 v[1:2], v[1:2], v[124:125]
	v_add_f64 v[3:4], v[3:4], v[126:127]
	s_andn2_b32 exec_lo, exec_lo, s8
	s_cbranch_execnz .LBB119_580
; %bb.581:
	s_or_b32 exec_lo, exec_lo, s8
.LBB119_582:
	s_or_b32 exec_lo, exec_lo, s6
	v_mov_b32_e32 v120, 0
	ds_read_b128 v[124:127], v120 offset:288
	s_waitcnt lgkmcnt(0)
	v_mul_f64 v[120:121], v[3:4], v[126:127]
	v_mul_f64 v[126:127], v[1:2], v[126:127]
	v_fma_f64 v[1:2], v[1:2], v[124:125], -v[120:121]
	v_fma_f64 v[3:4], v[3:4], v[124:125], v[126:127]
	buffer_store_dword v2, off, s[0:3], 0 offset:292
	buffer_store_dword v1, off, s[0:3], 0 offset:288
	;; [unrolled: 1-line block ×4, first 2 shown]
.LBB119_583:
	s_or_b32 exec_lo, exec_lo, s4
	v_mov_b32_e32 v4, s45
	s_mov_b32 s4, exec_lo
	s_clause 0x3
	buffer_load_dword v1, v4, s[0:3], 0 offen
	buffer_load_dword v2, v4, s[0:3], 0 offen offset:4
	buffer_load_dword v3, v4, s[0:3], 0 offen offset:8
	;; [unrolled: 1-line block ×3, first 2 shown]
	s_waitcnt vmcnt(0)
	ds_write_b128 v118, v[1:4]
	s_waitcnt lgkmcnt(0)
	s_waitcnt_vscnt null, 0x0
	s_barrier
	buffer_gl0_inv
	v_cmpx_gt_u32_e32 19, v0
	s_cbranch_execz .LBB119_591
; %bb.584:
	ds_read_b128 v[1:4], v118
	v_cmp_ne_u32_e32 vcc_lo, 1, v119
	s_cbranch_vccnz .LBB119_586
; %bb.585:
	s_clause 0x3
	buffer_load_dword v120, v117, s[0:3], 0 offen offset:8
	buffer_load_dword v121, v117, s[0:3], 0 offen offset:12
	buffer_load_dword v124, v117, s[0:3], 0 offen
	buffer_load_dword v125, v117, s[0:3], 0 offen offset:4
	s_waitcnt vmcnt(2) lgkmcnt(0)
	v_mul_f64 v[126:127], v[3:4], v[120:121]
	v_mul_f64 v[120:121], v[1:2], v[120:121]
	s_waitcnt vmcnt(0)
	v_fma_f64 v[1:2], v[1:2], v[124:125], -v[126:127]
	v_fma_f64 v[3:4], v[3:4], v[124:125], v[120:121]
.LBB119_586:
	s_mov_b32 s6, exec_lo
	v_cmpx_ne_u32_e32 18, v0
	s_cbranch_execz .LBB119_590
; %bb.587:
	v_add_nc_u32_e32 v120, 0x390, v123
	v_add3_u32 v121, 0, v123, 16
	v_mov_b32_e32 v122, v0
	s_mov_b32 s8, 0
	.p2align	6
.LBB119_588:                            ; =>This Inner Loop Header: Depth=1
	s_clause 0x3
	buffer_load_dword v128, v121, s[0:3], 0 offen offset:8
	buffer_load_dword v129, v121, s[0:3], 0 offen offset:12
	buffer_load_dword v130, v121, s[0:3], 0 offen
	buffer_load_dword v131, v121, s[0:3], 0 offen offset:4
	ds_read_b128 v[124:127], v120
	v_add_nc_u32_e32 v122, 1, v122
	v_add_nc_u32_e32 v120, 16, v120
	;; [unrolled: 1-line block ×3, first 2 shown]
	v_cmp_lt_u32_e32 vcc_lo, 17, v122
	s_or_b32 s8, vcc_lo, s8
	s_waitcnt vmcnt(2) lgkmcnt(0)
	v_mul_f64 v[132:133], v[126:127], v[128:129]
	v_mul_f64 v[128:129], v[124:125], v[128:129]
	s_waitcnt vmcnt(0)
	v_fma_f64 v[124:125], v[124:125], v[130:131], -v[132:133]
	v_fma_f64 v[126:127], v[126:127], v[130:131], v[128:129]
	v_add_f64 v[1:2], v[1:2], v[124:125]
	v_add_f64 v[3:4], v[3:4], v[126:127]
	s_andn2_b32 exec_lo, exec_lo, s8
	s_cbranch_execnz .LBB119_588
; %bb.589:
	s_or_b32 exec_lo, exec_lo, s8
.LBB119_590:
	s_or_b32 exec_lo, exec_lo, s6
	v_mov_b32_e32 v120, 0
	ds_read_b128 v[124:127], v120 offset:304
	s_waitcnt lgkmcnt(0)
	v_mul_f64 v[120:121], v[3:4], v[126:127]
	v_mul_f64 v[126:127], v[1:2], v[126:127]
	v_fma_f64 v[1:2], v[1:2], v[124:125], -v[120:121]
	v_fma_f64 v[3:4], v[3:4], v[124:125], v[126:127]
	buffer_store_dword v2, off, s[0:3], 0 offset:308
	buffer_store_dword v1, off, s[0:3], 0 offset:304
	;; [unrolled: 1-line block ×4, first 2 shown]
.LBB119_591:
	s_or_b32 exec_lo, exec_lo, s4
	v_mov_b32_e32 v4, s44
	s_mov_b32 s4, exec_lo
	s_clause 0x3
	buffer_load_dword v1, v4, s[0:3], 0 offen
	buffer_load_dword v2, v4, s[0:3], 0 offen offset:4
	buffer_load_dword v3, v4, s[0:3], 0 offen offset:8
	;; [unrolled: 1-line block ×3, first 2 shown]
	s_waitcnt vmcnt(0)
	ds_write_b128 v118, v[1:4]
	s_waitcnt lgkmcnt(0)
	s_waitcnt_vscnt null, 0x0
	s_barrier
	buffer_gl0_inv
	v_cmpx_gt_u32_e32 20, v0
	s_cbranch_execz .LBB119_599
; %bb.592:
	ds_read_b128 v[1:4], v118
	v_cmp_ne_u32_e32 vcc_lo, 1, v119
	s_cbranch_vccnz .LBB119_594
; %bb.593:
	s_clause 0x3
	buffer_load_dword v120, v117, s[0:3], 0 offen offset:8
	buffer_load_dword v121, v117, s[0:3], 0 offen offset:12
	buffer_load_dword v124, v117, s[0:3], 0 offen
	buffer_load_dword v125, v117, s[0:3], 0 offen offset:4
	s_waitcnt vmcnt(2) lgkmcnt(0)
	v_mul_f64 v[126:127], v[3:4], v[120:121]
	v_mul_f64 v[120:121], v[1:2], v[120:121]
	s_waitcnt vmcnt(0)
	v_fma_f64 v[1:2], v[1:2], v[124:125], -v[126:127]
	v_fma_f64 v[3:4], v[3:4], v[124:125], v[120:121]
.LBB119_594:
	s_mov_b32 s6, exec_lo
	v_cmpx_ne_u32_e32 19, v0
	s_cbranch_execz .LBB119_598
; %bb.595:
	v_add_nc_u32_e32 v120, 0x390, v123
	v_add3_u32 v121, 0, v123, 16
	v_mov_b32_e32 v122, v0
	s_mov_b32 s8, 0
	.p2align	6
.LBB119_596:                            ; =>This Inner Loop Header: Depth=1
	s_clause 0x3
	buffer_load_dword v128, v121, s[0:3], 0 offen offset:8
	buffer_load_dword v129, v121, s[0:3], 0 offen offset:12
	buffer_load_dword v130, v121, s[0:3], 0 offen
	buffer_load_dword v131, v121, s[0:3], 0 offen offset:4
	ds_read_b128 v[124:127], v120
	v_add_nc_u32_e32 v122, 1, v122
	v_add_nc_u32_e32 v120, 16, v120
	;; [unrolled: 1-line block ×3, first 2 shown]
	v_cmp_lt_u32_e32 vcc_lo, 18, v122
	s_or_b32 s8, vcc_lo, s8
	s_waitcnt vmcnt(2) lgkmcnt(0)
	v_mul_f64 v[132:133], v[126:127], v[128:129]
	v_mul_f64 v[128:129], v[124:125], v[128:129]
	s_waitcnt vmcnt(0)
	v_fma_f64 v[124:125], v[124:125], v[130:131], -v[132:133]
	v_fma_f64 v[126:127], v[126:127], v[130:131], v[128:129]
	v_add_f64 v[1:2], v[1:2], v[124:125]
	v_add_f64 v[3:4], v[3:4], v[126:127]
	s_andn2_b32 exec_lo, exec_lo, s8
	s_cbranch_execnz .LBB119_596
; %bb.597:
	s_or_b32 exec_lo, exec_lo, s8
.LBB119_598:
	s_or_b32 exec_lo, exec_lo, s6
	v_mov_b32_e32 v120, 0
	ds_read_b128 v[124:127], v120 offset:320
	s_waitcnt lgkmcnt(0)
	v_mul_f64 v[120:121], v[3:4], v[126:127]
	v_mul_f64 v[126:127], v[1:2], v[126:127]
	v_fma_f64 v[1:2], v[1:2], v[124:125], -v[120:121]
	v_fma_f64 v[3:4], v[3:4], v[124:125], v[126:127]
	buffer_store_dword v2, off, s[0:3], 0 offset:324
	buffer_store_dword v1, off, s[0:3], 0 offset:320
	;; [unrolled: 1-line block ×4, first 2 shown]
.LBB119_599:
	s_or_b32 exec_lo, exec_lo, s4
	v_mov_b32_e32 v4, s43
	s_mov_b32 s4, exec_lo
	s_clause 0x3
	buffer_load_dword v1, v4, s[0:3], 0 offen
	buffer_load_dword v2, v4, s[0:3], 0 offen offset:4
	buffer_load_dword v3, v4, s[0:3], 0 offen offset:8
	;; [unrolled: 1-line block ×3, first 2 shown]
	s_waitcnt vmcnt(0)
	ds_write_b128 v118, v[1:4]
	s_waitcnt lgkmcnt(0)
	s_waitcnt_vscnt null, 0x0
	s_barrier
	buffer_gl0_inv
	v_cmpx_gt_u32_e32 21, v0
	s_cbranch_execz .LBB119_607
; %bb.600:
	ds_read_b128 v[1:4], v118
	v_cmp_ne_u32_e32 vcc_lo, 1, v119
	s_cbranch_vccnz .LBB119_602
; %bb.601:
	s_clause 0x3
	buffer_load_dword v120, v117, s[0:3], 0 offen offset:8
	buffer_load_dword v121, v117, s[0:3], 0 offen offset:12
	buffer_load_dword v124, v117, s[0:3], 0 offen
	buffer_load_dword v125, v117, s[0:3], 0 offen offset:4
	s_waitcnt vmcnt(2) lgkmcnt(0)
	v_mul_f64 v[126:127], v[3:4], v[120:121]
	v_mul_f64 v[120:121], v[1:2], v[120:121]
	s_waitcnt vmcnt(0)
	v_fma_f64 v[1:2], v[1:2], v[124:125], -v[126:127]
	v_fma_f64 v[3:4], v[3:4], v[124:125], v[120:121]
.LBB119_602:
	s_mov_b32 s6, exec_lo
	v_cmpx_ne_u32_e32 20, v0
	s_cbranch_execz .LBB119_606
; %bb.603:
	v_add_nc_u32_e32 v120, 0x390, v123
	v_add3_u32 v121, 0, v123, 16
	v_mov_b32_e32 v122, v0
	s_mov_b32 s8, 0
	.p2align	6
.LBB119_604:                            ; =>This Inner Loop Header: Depth=1
	s_clause 0x3
	buffer_load_dword v128, v121, s[0:3], 0 offen offset:8
	buffer_load_dword v129, v121, s[0:3], 0 offen offset:12
	buffer_load_dword v130, v121, s[0:3], 0 offen
	buffer_load_dword v131, v121, s[0:3], 0 offen offset:4
	ds_read_b128 v[124:127], v120
	v_add_nc_u32_e32 v122, 1, v122
	v_add_nc_u32_e32 v120, 16, v120
	;; [unrolled: 1-line block ×3, first 2 shown]
	v_cmp_lt_u32_e32 vcc_lo, 19, v122
	s_or_b32 s8, vcc_lo, s8
	s_waitcnt vmcnt(2) lgkmcnt(0)
	v_mul_f64 v[132:133], v[126:127], v[128:129]
	v_mul_f64 v[128:129], v[124:125], v[128:129]
	s_waitcnt vmcnt(0)
	v_fma_f64 v[124:125], v[124:125], v[130:131], -v[132:133]
	v_fma_f64 v[126:127], v[126:127], v[130:131], v[128:129]
	v_add_f64 v[1:2], v[1:2], v[124:125]
	v_add_f64 v[3:4], v[3:4], v[126:127]
	s_andn2_b32 exec_lo, exec_lo, s8
	s_cbranch_execnz .LBB119_604
; %bb.605:
	s_or_b32 exec_lo, exec_lo, s8
.LBB119_606:
	s_or_b32 exec_lo, exec_lo, s6
	v_mov_b32_e32 v120, 0
	ds_read_b128 v[124:127], v120 offset:336
	s_waitcnt lgkmcnt(0)
	v_mul_f64 v[120:121], v[3:4], v[126:127]
	v_mul_f64 v[126:127], v[1:2], v[126:127]
	v_fma_f64 v[1:2], v[1:2], v[124:125], -v[120:121]
	v_fma_f64 v[3:4], v[3:4], v[124:125], v[126:127]
	buffer_store_dword v2, off, s[0:3], 0 offset:340
	buffer_store_dword v1, off, s[0:3], 0 offset:336
	;; [unrolled: 1-line block ×4, first 2 shown]
.LBB119_607:
	s_or_b32 exec_lo, exec_lo, s4
	v_mov_b32_e32 v4, s42
	s_mov_b32 s4, exec_lo
	s_clause 0x3
	buffer_load_dword v1, v4, s[0:3], 0 offen
	buffer_load_dword v2, v4, s[0:3], 0 offen offset:4
	buffer_load_dword v3, v4, s[0:3], 0 offen offset:8
	;; [unrolled: 1-line block ×3, first 2 shown]
	s_waitcnt vmcnt(0)
	ds_write_b128 v118, v[1:4]
	s_waitcnt lgkmcnt(0)
	s_waitcnt_vscnt null, 0x0
	s_barrier
	buffer_gl0_inv
	v_cmpx_gt_u32_e32 22, v0
	s_cbranch_execz .LBB119_615
; %bb.608:
	ds_read_b128 v[1:4], v118
	v_cmp_ne_u32_e32 vcc_lo, 1, v119
	s_cbranch_vccnz .LBB119_610
; %bb.609:
	s_clause 0x3
	buffer_load_dword v120, v117, s[0:3], 0 offen offset:8
	buffer_load_dword v121, v117, s[0:3], 0 offen offset:12
	buffer_load_dword v124, v117, s[0:3], 0 offen
	buffer_load_dword v125, v117, s[0:3], 0 offen offset:4
	s_waitcnt vmcnt(2) lgkmcnt(0)
	v_mul_f64 v[126:127], v[3:4], v[120:121]
	v_mul_f64 v[120:121], v[1:2], v[120:121]
	s_waitcnt vmcnt(0)
	v_fma_f64 v[1:2], v[1:2], v[124:125], -v[126:127]
	v_fma_f64 v[3:4], v[3:4], v[124:125], v[120:121]
.LBB119_610:
	s_mov_b32 s6, exec_lo
	v_cmpx_ne_u32_e32 21, v0
	s_cbranch_execz .LBB119_614
; %bb.611:
	v_add_nc_u32_e32 v120, 0x390, v123
	v_add3_u32 v121, 0, v123, 16
	v_mov_b32_e32 v122, v0
	s_mov_b32 s8, 0
	.p2align	6
.LBB119_612:                            ; =>This Inner Loop Header: Depth=1
	s_clause 0x3
	buffer_load_dword v128, v121, s[0:3], 0 offen offset:8
	buffer_load_dword v129, v121, s[0:3], 0 offen offset:12
	buffer_load_dword v130, v121, s[0:3], 0 offen
	buffer_load_dword v131, v121, s[0:3], 0 offen offset:4
	ds_read_b128 v[124:127], v120
	v_add_nc_u32_e32 v122, 1, v122
	v_add_nc_u32_e32 v120, 16, v120
	;; [unrolled: 1-line block ×3, first 2 shown]
	v_cmp_lt_u32_e32 vcc_lo, 20, v122
	s_or_b32 s8, vcc_lo, s8
	s_waitcnt vmcnt(2) lgkmcnt(0)
	v_mul_f64 v[132:133], v[126:127], v[128:129]
	v_mul_f64 v[128:129], v[124:125], v[128:129]
	s_waitcnt vmcnt(0)
	v_fma_f64 v[124:125], v[124:125], v[130:131], -v[132:133]
	v_fma_f64 v[126:127], v[126:127], v[130:131], v[128:129]
	v_add_f64 v[1:2], v[1:2], v[124:125]
	v_add_f64 v[3:4], v[3:4], v[126:127]
	s_andn2_b32 exec_lo, exec_lo, s8
	s_cbranch_execnz .LBB119_612
; %bb.613:
	s_or_b32 exec_lo, exec_lo, s8
.LBB119_614:
	s_or_b32 exec_lo, exec_lo, s6
	v_mov_b32_e32 v120, 0
	ds_read_b128 v[124:127], v120 offset:352
	s_waitcnt lgkmcnt(0)
	v_mul_f64 v[120:121], v[3:4], v[126:127]
	v_mul_f64 v[126:127], v[1:2], v[126:127]
	v_fma_f64 v[1:2], v[1:2], v[124:125], -v[120:121]
	v_fma_f64 v[3:4], v[3:4], v[124:125], v[126:127]
	buffer_store_dword v2, off, s[0:3], 0 offset:356
	buffer_store_dword v1, off, s[0:3], 0 offset:352
	;; [unrolled: 1-line block ×4, first 2 shown]
.LBB119_615:
	s_or_b32 exec_lo, exec_lo, s4
	v_mov_b32_e32 v4, s41
	s_mov_b32 s4, exec_lo
	s_clause 0x3
	buffer_load_dword v1, v4, s[0:3], 0 offen
	buffer_load_dword v2, v4, s[0:3], 0 offen offset:4
	buffer_load_dword v3, v4, s[0:3], 0 offen offset:8
	;; [unrolled: 1-line block ×3, first 2 shown]
	s_waitcnt vmcnt(0)
	ds_write_b128 v118, v[1:4]
	s_waitcnt lgkmcnt(0)
	s_waitcnt_vscnt null, 0x0
	s_barrier
	buffer_gl0_inv
	v_cmpx_gt_u32_e32 23, v0
	s_cbranch_execz .LBB119_623
; %bb.616:
	ds_read_b128 v[1:4], v118
	v_cmp_ne_u32_e32 vcc_lo, 1, v119
	s_cbranch_vccnz .LBB119_618
; %bb.617:
	s_clause 0x3
	buffer_load_dword v120, v117, s[0:3], 0 offen offset:8
	buffer_load_dword v121, v117, s[0:3], 0 offen offset:12
	buffer_load_dword v124, v117, s[0:3], 0 offen
	buffer_load_dword v125, v117, s[0:3], 0 offen offset:4
	s_waitcnt vmcnt(2) lgkmcnt(0)
	v_mul_f64 v[126:127], v[3:4], v[120:121]
	v_mul_f64 v[120:121], v[1:2], v[120:121]
	s_waitcnt vmcnt(0)
	v_fma_f64 v[1:2], v[1:2], v[124:125], -v[126:127]
	v_fma_f64 v[3:4], v[3:4], v[124:125], v[120:121]
.LBB119_618:
	s_mov_b32 s6, exec_lo
	v_cmpx_ne_u32_e32 22, v0
	s_cbranch_execz .LBB119_622
; %bb.619:
	v_add_nc_u32_e32 v120, 0x390, v123
	v_add3_u32 v121, 0, v123, 16
	v_mov_b32_e32 v122, v0
	s_mov_b32 s8, 0
	.p2align	6
.LBB119_620:                            ; =>This Inner Loop Header: Depth=1
	s_clause 0x3
	buffer_load_dword v128, v121, s[0:3], 0 offen offset:8
	buffer_load_dword v129, v121, s[0:3], 0 offen offset:12
	buffer_load_dword v130, v121, s[0:3], 0 offen
	buffer_load_dword v131, v121, s[0:3], 0 offen offset:4
	ds_read_b128 v[124:127], v120
	v_add_nc_u32_e32 v122, 1, v122
	v_add_nc_u32_e32 v120, 16, v120
	;; [unrolled: 1-line block ×3, first 2 shown]
	v_cmp_lt_u32_e32 vcc_lo, 21, v122
	s_or_b32 s8, vcc_lo, s8
	s_waitcnt vmcnt(2) lgkmcnt(0)
	v_mul_f64 v[132:133], v[126:127], v[128:129]
	v_mul_f64 v[128:129], v[124:125], v[128:129]
	s_waitcnt vmcnt(0)
	v_fma_f64 v[124:125], v[124:125], v[130:131], -v[132:133]
	v_fma_f64 v[126:127], v[126:127], v[130:131], v[128:129]
	v_add_f64 v[1:2], v[1:2], v[124:125]
	v_add_f64 v[3:4], v[3:4], v[126:127]
	s_andn2_b32 exec_lo, exec_lo, s8
	s_cbranch_execnz .LBB119_620
; %bb.621:
	s_or_b32 exec_lo, exec_lo, s8
.LBB119_622:
	s_or_b32 exec_lo, exec_lo, s6
	v_mov_b32_e32 v120, 0
	ds_read_b128 v[124:127], v120 offset:368
	s_waitcnt lgkmcnt(0)
	v_mul_f64 v[120:121], v[3:4], v[126:127]
	v_mul_f64 v[126:127], v[1:2], v[126:127]
	v_fma_f64 v[1:2], v[1:2], v[124:125], -v[120:121]
	v_fma_f64 v[3:4], v[3:4], v[124:125], v[126:127]
	buffer_store_dword v2, off, s[0:3], 0 offset:372
	buffer_store_dword v1, off, s[0:3], 0 offset:368
	;; [unrolled: 1-line block ×4, first 2 shown]
.LBB119_623:
	s_or_b32 exec_lo, exec_lo, s4
	v_mov_b32_e32 v4, s40
	s_mov_b32 s4, exec_lo
	s_clause 0x3
	buffer_load_dword v1, v4, s[0:3], 0 offen
	buffer_load_dword v2, v4, s[0:3], 0 offen offset:4
	buffer_load_dword v3, v4, s[0:3], 0 offen offset:8
	;; [unrolled: 1-line block ×3, first 2 shown]
	s_waitcnt vmcnt(0)
	ds_write_b128 v118, v[1:4]
	s_waitcnt lgkmcnt(0)
	s_waitcnt_vscnt null, 0x0
	s_barrier
	buffer_gl0_inv
	v_cmpx_gt_u32_e32 24, v0
	s_cbranch_execz .LBB119_631
; %bb.624:
	ds_read_b128 v[1:4], v118
	v_cmp_ne_u32_e32 vcc_lo, 1, v119
	s_cbranch_vccnz .LBB119_626
; %bb.625:
	s_clause 0x3
	buffer_load_dword v120, v117, s[0:3], 0 offen offset:8
	buffer_load_dword v121, v117, s[0:3], 0 offen offset:12
	buffer_load_dword v124, v117, s[0:3], 0 offen
	buffer_load_dword v125, v117, s[0:3], 0 offen offset:4
	s_waitcnt vmcnt(2) lgkmcnt(0)
	v_mul_f64 v[126:127], v[3:4], v[120:121]
	v_mul_f64 v[120:121], v[1:2], v[120:121]
	s_waitcnt vmcnt(0)
	v_fma_f64 v[1:2], v[1:2], v[124:125], -v[126:127]
	v_fma_f64 v[3:4], v[3:4], v[124:125], v[120:121]
.LBB119_626:
	s_mov_b32 s6, exec_lo
	v_cmpx_ne_u32_e32 23, v0
	s_cbranch_execz .LBB119_630
; %bb.627:
	v_add_nc_u32_e32 v120, 0x390, v123
	v_add3_u32 v121, 0, v123, 16
	v_mov_b32_e32 v122, v0
	s_mov_b32 s8, 0
	.p2align	6
.LBB119_628:                            ; =>This Inner Loop Header: Depth=1
	s_clause 0x3
	buffer_load_dword v128, v121, s[0:3], 0 offen offset:8
	buffer_load_dword v129, v121, s[0:3], 0 offen offset:12
	buffer_load_dword v130, v121, s[0:3], 0 offen
	buffer_load_dword v131, v121, s[0:3], 0 offen offset:4
	ds_read_b128 v[124:127], v120
	v_add_nc_u32_e32 v122, 1, v122
	v_add_nc_u32_e32 v120, 16, v120
	;; [unrolled: 1-line block ×3, first 2 shown]
	v_cmp_lt_u32_e32 vcc_lo, 22, v122
	s_or_b32 s8, vcc_lo, s8
	s_waitcnt vmcnt(2) lgkmcnt(0)
	v_mul_f64 v[132:133], v[126:127], v[128:129]
	v_mul_f64 v[128:129], v[124:125], v[128:129]
	s_waitcnt vmcnt(0)
	v_fma_f64 v[124:125], v[124:125], v[130:131], -v[132:133]
	v_fma_f64 v[126:127], v[126:127], v[130:131], v[128:129]
	v_add_f64 v[1:2], v[1:2], v[124:125]
	v_add_f64 v[3:4], v[3:4], v[126:127]
	s_andn2_b32 exec_lo, exec_lo, s8
	s_cbranch_execnz .LBB119_628
; %bb.629:
	s_or_b32 exec_lo, exec_lo, s8
.LBB119_630:
	s_or_b32 exec_lo, exec_lo, s6
	v_mov_b32_e32 v120, 0
	ds_read_b128 v[124:127], v120 offset:384
	s_waitcnt lgkmcnt(0)
	v_mul_f64 v[120:121], v[3:4], v[126:127]
	v_mul_f64 v[126:127], v[1:2], v[126:127]
	v_fma_f64 v[1:2], v[1:2], v[124:125], -v[120:121]
	v_fma_f64 v[3:4], v[3:4], v[124:125], v[126:127]
	buffer_store_dword v2, off, s[0:3], 0 offset:388
	buffer_store_dword v1, off, s[0:3], 0 offset:384
	;; [unrolled: 1-line block ×4, first 2 shown]
.LBB119_631:
	s_or_b32 exec_lo, exec_lo, s4
	v_mov_b32_e32 v4, s39
	s_mov_b32 s4, exec_lo
	s_clause 0x3
	buffer_load_dword v1, v4, s[0:3], 0 offen
	buffer_load_dword v2, v4, s[0:3], 0 offen offset:4
	buffer_load_dword v3, v4, s[0:3], 0 offen offset:8
	;; [unrolled: 1-line block ×3, first 2 shown]
	s_waitcnt vmcnt(0)
	ds_write_b128 v118, v[1:4]
	s_waitcnt lgkmcnt(0)
	s_waitcnt_vscnt null, 0x0
	s_barrier
	buffer_gl0_inv
	v_cmpx_gt_u32_e32 25, v0
	s_cbranch_execz .LBB119_639
; %bb.632:
	ds_read_b128 v[1:4], v118
	v_cmp_ne_u32_e32 vcc_lo, 1, v119
	s_cbranch_vccnz .LBB119_634
; %bb.633:
	s_clause 0x3
	buffer_load_dword v120, v117, s[0:3], 0 offen offset:8
	buffer_load_dword v121, v117, s[0:3], 0 offen offset:12
	buffer_load_dword v124, v117, s[0:3], 0 offen
	buffer_load_dword v125, v117, s[0:3], 0 offen offset:4
	s_waitcnt vmcnt(2) lgkmcnt(0)
	v_mul_f64 v[126:127], v[3:4], v[120:121]
	v_mul_f64 v[120:121], v[1:2], v[120:121]
	s_waitcnt vmcnt(0)
	v_fma_f64 v[1:2], v[1:2], v[124:125], -v[126:127]
	v_fma_f64 v[3:4], v[3:4], v[124:125], v[120:121]
.LBB119_634:
	s_mov_b32 s6, exec_lo
	v_cmpx_ne_u32_e32 24, v0
	s_cbranch_execz .LBB119_638
; %bb.635:
	v_add_nc_u32_e32 v120, 0x390, v123
	v_add3_u32 v121, 0, v123, 16
	v_mov_b32_e32 v122, v0
	s_mov_b32 s8, 0
	.p2align	6
.LBB119_636:                            ; =>This Inner Loop Header: Depth=1
	s_clause 0x3
	buffer_load_dword v128, v121, s[0:3], 0 offen offset:8
	buffer_load_dword v129, v121, s[0:3], 0 offen offset:12
	buffer_load_dword v130, v121, s[0:3], 0 offen
	buffer_load_dword v131, v121, s[0:3], 0 offen offset:4
	ds_read_b128 v[124:127], v120
	v_add_nc_u32_e32 v122, 1, v122
	v_add_nc_u32_e32 v120, 16, v120
	;; [unrolled: 1-line block ×3, first 2 shown]
	v_cmp_lt_u32_e32 vcc_lo, 23, v122
	s_or_b32 s8, vcc_lo, s8
	s_waitcnt vmcnt(2) lgkmcnt(0)
	v_mul_f64 v[132:133], v[126:127], v[128:129]
	v_mul_f64 v[128:129], v[124:125], v[128:129]
	s_waitcnt vmcnt(0)
	v_fma_f64 v[124:125], v[124:125], v[130:131], -v[132:133]
	v_fma_f64 v[126:127], v[126:127], v[130:131], v[128:129]
	v_add_f64 v[1:2], v[1:2], v[124:125]
	v_add_f64 v[3:4], v[3:4], v[126:127]
	s_andn2_b32 exec_lo, exec_lo, s8
	s_cbranch_execnz .LBB119_636
; %bb.637:
	s_or_b32 exec_lo, exec_lo, s8
.LBB119_638:
	s_or_b32 exec_lo, exec_lo, s6
	v_mov_b32_e32 v120, 0
	ds_read_b128 v[124:127], v120 offset:400
	s_waitcnt lgkmcnt(0)
	v_mul_f64 v[120:121], v[3:4], v[126:127]
	v_mul_f64 v[126:127], v[1:2], v[126:127]
	v_fma_f64 v[1:2], v[1:2], v[124:125], -v[120:121]
	v_fma_f64 v[3:4], v[3:4], v[124:125], v[126:127]
	buffer_store_dword v2, off, s[0:3], 0 offset:404
	buffer_store_dword v1, off, s[0:3], 0 offset:400
	;; [unrolled: 1-line block ×4, first 2 shown]
.LBB119_639:
	s_or_b32 exec_lo, exec_lo, s4
	v_mov_b32_e32 v4, s38
	s_mov_b32 s4, exec_lo
	s_clause 0x3
	buffer_load_dword v1, v4, s[0:3], 0 offen
	buffer_load_dword v2, v4, s[0:3], 0 offen offset:4
	buffer_load_dword v3, v4, s[0:3], 0 offen offset:8
	;; [unrolled: 1-line block ×3, first 2 shown]
	s_waitcnt vmcnt(0)
	ds_write_b128 v118, v[1:4]
	s_waitcnt lgkmcnt(0)
	s_waitcnt_vscnt null, 0x0
	s_barrier
	buffer_gl0_inv
	v_cmpx_gt_u32_e32 26, v0
	s_cbranch_execz .LBB119_647
; %bb.640:
	ds_read_b128 v[1:4], v118
	v_cmp_ne_u32_e32 vcc_lo, 1, v119
	s_cbranch_vccnz .LBB119_642
; %bb.641:
	s_clause 0x3
	buffer_load_dword v120, v117, s[0:3], 0 offen offset:8
	buffer_load_dword v121, v117, s[0:3], 0 offen offset:12
	buffer_load_dword v124, v117, s[0:3], 0 offen
	buffer_load_dword v125, v117, s[0:3], 0 offen offset:4
	s_waitcnt vmcnt(2) lgkmcnt(0)
	v_mul_f64 v[126:127], v[3:4], v[120:121]
	v_mul_f64 v[120:121], v[1:2], v[120:121]
	s_waitcnt vmcnt(0)
	v_fma_f64 v[1:2], v[1:2], v[124:125], -v[126:127]
	v_fma_f64 v[3:4], v[3:4], v[124:125], v[120:121]
.LBB119_642:
	s_mov_b32 s6, exec_lo
	v_cmpx_ne_u32_e32 25, v0
	s_cbranch_execz .LBB119_646
; %bb.643:
	v_add_nc_u32_e32 v120, 0x390, v123
	v_add3_u32 v121, 0, v123, 16
	v_mov_b32_e32 v122, v0
	s_mov_b32 s8, 0
	.p2align	6
.LBB119_644:                            ; =>This Inner Loop Header: Depth=1
	s_clause 0x3
	buffer_load_dword v128, v121, s[0:3], 0 offen offset:8
	buffer_load_dword v129, v121, s[0:3], 0 offen offset:12
	buffer_load_dword v130, v121, s[0:3], 0 offen
	buffer_load_dword v131, v121, s[0:3], 0 offen offset:4
	ds_read_b128 v[124:127], v120
	v_add_nc_u32_e32 v122, 1, v122
	v_add_nc_u32_e32 v120, 16, v120
	v_add_nc_u32_e32 v121, 16, v121
	v_cmp_lt_u32_e32 vcc_lo, 24, v122
	s_or_b32 s8, vcc_lo, s8
	s_waitcnt vmcnt(2) lgkmcnt(0)
	v_mul_f64 v[132:133], v[126:127], v[128:129]
	v_mul_f64 v[128:129], v[124:125], v[128:129]
	s_waitcnt vmcnt(0)
	v_fma_f64 v[124:125], v[124:125], v[130:131], -v[132:133]
	v_fma_f64 v[126:127], v[126:127], v[130:131], v[128:129]
	v_add_f64 v[1:2], v[1:2], v[124:125]
	v_add_f64 v[3:4], v[3:4], v[126:127]
	s_andn2_b32 exec_lo, exec_lo, s8
	s_cbranch_execnz .LBB119_644
; %bb.645:
	s_or_b32 exec_lo, exec_lo, s8
.LBB119_646:
	s_or_b32 exec_lo, exec_lo, s6
	v_mov_b32_e32 v120, 0
	ds_read_b128 v[124:127], v120 offset:416
	s_waitcnt lgkmcnt(0)
	v_mul_f64 v[120:121], v[3:4], v[126:127]
	v_mul_f64 v[126:127], v[1:2], v[126:127]
	v_fma_f64 v[1:2], v[1:2], v[124:125], -v[120:121]
	v_fma_f64 v[3:4], v[3:4], v[124:125], v[126:127]
	buffer_store_dword v2, off, s[0:3], 0 offset:420
	buffer_store_dword v1, off, s[0:3], 0 offset:416
	;; [unrolled: 1-line block ×4, first 2 shown]
.LBB119_647:
	s_or_b32 exec_lo, exec_lo, s4
	v_mov_b32_e32 v4, s37
	s_mov_b32 s4, exec_lo
	s_clause 0x3
	buffer_load_dword v1, v4, s[0:3], 0 offen
	buffer_load_dword v2, v4, s[0:3], 0 offen offset:4
	buffer_load_dword v3, v4, s[0:3], 0 offen offset:8
	;; [unrolled: 1-line block ×3, first 2 shown]
	s_waitcnt vmcnt(0)
	ds_write_b128 v118, v[1:4]
	s_waitcnt lgkmcnt(0)
	s_waitcnt_vscnt null, 0x0
	s_barrier
	buffer_gl0_inv
	v_cmpx_gt_u32_e32 27, v0
	s_cbranch_execz .LBB119_655
; %bb.648:
	ds_read_b128 v[1:4], v118
	v_cmp_ne_u32_e32 vcc_lo, 1, v119
	s_cbranch_vccnz .LBB119_650
; %bb.649:
	s_clause 0x3
	buffer_load_dword v120, v117, s[0:3], 0 offen offset:8
	buffer_load_dword v121, v117, s[0:3], 0 offen offset:12
	buffer_load_dword v124, v117, s[0:3], 0 offen
	buffer_load_dword v125, v117, s[0:3], 0 offen offset:4
	s_waitcnt vmcnt(2) lgkmcnt(0)
	v_mul_f64 v[126:127], v[3:4], v[120:121]
	v_mul_f64 v[120:121], v[1:2], v[120:121]
	s_waitcnt vmcnt(0)
	v_fma_f64 v[1:2], v[1:2], v[124:125], -v[126:127]
	v_fma_f64 v[3:4], v[3:4], v[124:125], v[120:121]
.LBB119_650:
	s_mov_b32 s6, exec_lo
	v_cmpx_ne_u32_e32 26, v0
	s_cbranch_execz .LBB119_654
; %bb.651:
	v_add_nc_u32_e32 v120, 0x390, v123
	v_add3_u32 v121, 0, v123, 16
	v_mov_b32_e32 v122, v0
	s_mov_b32 s8, 0
	.p2align	6
.LBB119_652:                            ; =>This Inner Loop Header: Depth=1
	s_clause 0x3
	buffer_load_dword v128, v121, s[0:3], 0 offen offset:8
	buffer_load_dword v129, v121, s[0:3], 0 offen offset:12
	buffer_load_dword v130, v121, s[0:3], 0 offen
	buffer_load_dword v131, v121, s[0:3], 0 offen offset:4
	ds_read_b128 v[124:127], v120
	v_add_nc_u32_e32 v122, 1, v122
	v_add_nc_u32_e32 v120, 16, v120
	v_add_nc_u32_e32 v121, 16, v121
	v_cmp_lt_u32_e32 vcc_lo, 25, v122
	s_or_b32 s8, vcc_lo, s8
	s_waitcnt vmcnt(2) lgkmcnt(0)
	v_mul_f64 v[132:133], v[126:127], v[128:129]
	v_mul_f64 v[128:129], v[124:125], v[128:129]
	s_waitcnt vmcnt(0)
	v_fma_f64 v[124:125], v[124:125], v[130:131], -v[132:133]
	v_fma_f64 v[126:127], v[126:127], v[130:131], v[128:129]
	v_add_f64 v[1:2], v[1:2], v[124:125]
	v_add_f64 v[3:4], v[3:4], v[126:127]
	s_andn2_b32 exec_lo, exec_lo, s8
	s_cbranch_execnz .LBB119_652
; %bb.653:
	s_or_b32 exec_lo, exec_lo, s8
.LBB119_654:
	s_or_b32 exec_lo, exec_lo, s6
	v_mov_b32_e32 v120, 0
	ds_read_b128 v[124:127], v120 offset:432
	s_waitcnt lgkmcnt(0)
	v_mul_f64 v[120:121], v[3:4], v[126:127]
	v_mul_f64 v[126:127], v[1:2], v[126:127]
	v_fma_f64 v[1:2], v[1:2], v[124:125], -v[120:121]
	v_fma_f64 v[3:4], v[3:4], v[124:125], v[126:127]
	buffer_store_dword v2, off, s[0:3], 0 offset:436
	buffer_store_dword v1, off, s[0:3], 0 offset:432
	;; [unrolled: 1-line block ×4, first 2 shown]
.LBB119_655:
	s_or_b32 exec_lo, exec_lo, s4
	v_mov_b32_e32 v4, s36
	s_mov_b32 s4, exec_lo
	s_clause 0x3
	buffer_load_dword v1, v4, s[0:3], 0 offen
	buffer_load_dword v2, v4, s[0:3], 0 offen offset:4
	buffer_load_dword v3, v4, s[0:3], 0 offen offset:8
	;; [unrolled: 1-line block ×3, first 2 shown]
	s_waitcnt vmcnt(0)
	ds_write_b128 v118, v[1:4]
	s_waitcnt lgkmcnt(0)
	s_waitcnt_vscnt null, 0x0
	s_barrier
	buffer_gl0_inv
	v_cmpx_gt_u32_e32 28, v0
	s_cbranch_execz .LBB119_663
; %bb.656:
	ds_read_b128 v[1:4], v118
	v_cmp_ne_u32_e32 vcc_lo, 1, v119
	s_cbranch_vccnz .LBB119_658
; %bb.657:
	s_clause 0x3
	buffer_load_dword v120, v117, s[0:3], 0 offen offset:8
	buffer_load_dword v121, v117, s[0:3], 0 offen offset:12
	buffer_load_dword v124, v117, s[0:3], 0 offen
	buffer_load_dword v125, v117, s[0:3], 0 offen offset:4
	s_waitcnt vmcnt(2) lgkmcnt(0)
	v_mul_f64 v[126:127], v[3:4], v[120:121]
	v_mul_f64 v[120:121], v[1:2], v[120:121]
	s_waitcnt vmcnt(0)
	v_fma_f64 v[1:2], v[1:2], v[124:125], -v[126:127]
	v_fma_f64 v[3:4], v[3:4], v[124:125], v[120:121]
.LBB119_658:
	s_mov_b32 s6, exec_lo
	v_cmpx_ne_u32_e32 27, v0
	s_cbranch_execz .LBB119_662
; %bb.659:
	v_add_nc_u32_e32 v120, 0x390, v123
	v_add3_u32 v121, 0, v123, 16
	v_mov_b32_e32 v122, v0
	s_mov_b32 s8, 0
	.p2align	6
.LBB119_660:                            ; =>This Inner Loop Header: Depth=1
	s_clause 0x3
	buffer_load_dword v128, v121, s[0:3], 0 offen offset:8
	buffer_load_dword v129, v121, s[0:3], 0 offen offset:12
	buffer_load_dword v130, v121, s[0:3], 0 offen
	buffer_load_dword v131, v121, s[0:3], 0 offen offset:4
	ds_read_b128 v[124:127], v120
	v_add_nc_u32_e32 v122, 1, v122
	v_add_nc_u32_e32 v120, 16, v120
	v_add_nc_u32_e32 v121, 16, v121
	v_cmp_lt_u32_e32 vcc_lo, 26, v122
	s_or_b32 s8, vcc_lo, s8
	s_waitcnt vmcnt(2) lgkmcnt(0)
	v_mul_f64 v[132:133], v[126:127], v[128:129]
	v_mul_f64 v[128:129], v[124:125], v[128:129]
	s_waitcnt vmcnt(0)
	v_fma_f64 v[124:125], v[124:125], v[130:131], -v[132:133]
	v_fma_f64 v[126:127], v[126:127], v[130:131], v[128:129]
	v_add_f64 v[1:2], v[1:2], v[124:125]
	v_add_f64 v[3:4], v[3:4], v[126:127]
	s_andn2_b32 exec_lo, exec_lo, s8
	s_cbranch_execnz .LBB119_660
; %bb.661:
	s_or_b32 exec_lo, exec_lo, s8
.LBB119_662:
	s_or_b32 exec_lo, exec_lo, s6
	v_mov_b32_e32 v120, 0
	ds_read_b128 v[124:127], v120 offset:448
	s_waitcnt lgkmcnt(0)
	v_mul_f64 v[120:121], v[3:4], v[126:127]
	v_mul_f64 v[126:127], v[1:2], v[126:127]
	v_fma_f64 v[1:2], v[1:2], v[124:125], -v[120:121]
	v_fma_f64 v[3:4], v[3:4], v[124:125], v[126:127]
	buffer_store_dword v2, off, s[0:3], 0 offset:452
	buffer_store_dword v1, off, s[0:3], 0 offset:448
	buffer_store_dword v4, off, s[0:3], 0 offset:460
	buffer_store_dword v3, off, s[0:3], 0 offset:456
.LBB119_663:
	s_or_b32 exec_lo, exec_lo, s4
	v_mov_b32_e32 v4, s35
	s_mov_b32 s4, exec_lo
	s_clause 0x3
	buffer_load_dword v1, v4, s[0:3], 0 offen
	buffer_load_dword v2, v4, s[0:3], 0 offen offset:4
	buffer_load_dword v3, v4, s[0:3], 0 offen offset:8
	;; [unrolled: 1-line block ×3, first 2 shown]
	s_waitcnt vmcnt(0)
	ds_write_b128 v118, v[1:4]
	s_waitcnt lgkmcnt(0)
	s_waitcnt_vscnt null, 0x0
	s_barrier
	buffer_gl0_inv
	v_cmpx_gt_u32_e32 29, v0
	s_cbranch_execz .LBB119_671
; %bb.664:
	ds_read_b128 v[1:4], v118
	v_cmp_ne_u32_e32 vcc_lo, 1, v119
	s_cbranch_vccnz .LBB119_666
; %bb.665:
	s_clause 0x3
	buffer_load_dword v120, v117, s[0:3], 0 offen offset:8
	buffer_load_dword v121, v117, s[0:3], 0 offen offset:12
	buffer_load_dword v124, v117, s[0:3], 0 offen
	buffer_load_dword v125, v117, s[0:3], 0 offen offset:4
	s_waitcnt vmcnt(2) lgkmcnt(0)
	v_mul_f64 v[126:127], v[3:4], v[120:121]
	v_mul_f64 v[120:121], v[1:2], v[120:121]
	s_waitcnt vmcnt(0)
	v_fma_f64 v[1:2], v[1:2], v[124:125], -v[126:127]
	v_fma_f64 v[3:4], v[3:4], v[124:125], v[120:121]
.LBB119_666:
	s_mov_b32 s6, exec_lo
	v_cmpx_ne_u32_e32 28, v0
	s_cbranch_execz .LBB119_670
; %bb.667:
	v_add_nc_u32_e32 v120, 0x390, v123
	v_add3_u32 v121, 0, v123, 16
	v_mov_b32_e32 v122, v0
	s_mov_b32 s8, 0
	.p2align	6
.LBB119_668:                            ; =>This Inner Loop Header: Depth=1
	s_clause 0x3
	buffer_load_dword v128, v121, s[0:3], 0 offen offset:8
	buffer_load_dword v129, v121, s[0:3], 0 offen offset:12
	buffer_load_dword v130, v121, s[0:3], 0 offen
	buffer_load_dword v131, v121, s[0:3], 0 offen offset:4
	ds_read_b128 v[124:127], v120
	v_add_nc_u32_e32 v122, 1, v122
	v_add_nc_u32_e32 v120, 16, v120
	;; [unrolled: 1-line block ×3, first 2 shown]
	v_cmp_lt_u32_e32 vcc_lo, 27, v122
	s_or_b32 s8, vcc_lo, s8
	s_waitcnt vmcnt(2) lgkmcnt(0)
	v_mul_f64 v[132:133], v[126:127], v[128:129]
	v_mul_f64 v[128:129], v[124:125], v[128:129]
	s_waitcnt vmcnt(0)
	v_fma_f64 v[124:125], v[124:125], v[130:131], -v[132:133]
	v_fma_f64 v[126:127], v[126:127], v[130:131], v[128:129]
	v_add_f64 v[1:2], v[1:2], v[124:125]
	v_add_f64 v[3:4], v[3:4], v[126:127]
	s_andn2_b32 exec_lo, exec_lo, s8
	s_cbranch_execnz .LBB119_668
; %bb.669:
	s_or_b32 exec_lo, exec_lo, s8
.LBB119_670:
	s_or_b32 exec_lo, exec_lo, s6
	v_mov_b32_e32 v120, 0
	ds_read_b128 v[124:127], v120 offset:464
	s_waitcnt lgkmcnt(0)
	v_mul_f64 v[120:121], v[3:4], v[126:127]
	v_mul_f64 v[126:127], v[1:2], v[126:127]
	v_fma_f64 v[1:2], v[1:2], v[124:125], -v[120:121]
	v_fma_f64 v[3:4], v[3:4], v[124:125], v[126:127]
	buffer_store_dword v2, off, s[0:3], 0 offset:468
	buffer_store_dword v1, off, s[0:3], 0 offset:464
	;; [unrolled: 1-line block ×4, first 2 shown]
.LBB119_671:
	s_or_b32 exec_lo, exec_lo, s4
	v_mov_b32_e32 v4, s34
	s_mov_b32 s4, exec_lo
	s_clause 0x3
	buffer_load_dword v1, v4, s[0:3], 0 offen
	buffer_load_dword v2, v4, s[0:3], 0 offen offset:4
	buffer_load_dword v3, v4, s[0:3], 0 offen offset:8
	buffer_load_dword v4, v4, s[0:3], 0 offen offset:12
	s_waitcnt vmcnt(0)
	ds_write_b128 v118, v[1:4]
	s_waitcnt lgkmcnt(0)
	s_waitcnt_vscnt null, 0x0
	s_barrier
	buffer_gl0_inv
	v_cmpx_gt_u32_e32 30, v0
	s_cbranch_execz .LBB119_679
; %bb.672:
	ds_read_b128 v[1:4], v118
	v_cmp_ne_u32_e32 vcc_lo, 1, v119
	s_cbranch_vccnz .LBB119_674
; %bb.673:
	s_clause 0x3
	buffer_load_dword v120, v117, s[0:3], 0 offen offset:8
	buffer_load_dword v121, v117, s[0:3], 0 offen offset:12
	buffer_load_dword v124, v117, s[0:3], 0 offen
	buffer_load_dword v125, v117, s[0:3], 0 offen offset:4
	s_waitcnt vmcnt(2) lgkmcnt(0)
	v_mul_f64 v[126:127], v[3:4], v[120:121]
	v_mul_f64 v[120:121], v[1:2], v[120:121]
	s_waitcnt vmcnt(0)
	v_fma_f64 v[1:2], v[1:2], v[124:125], -v[126:127]
	v_fma_f64 v[3:4], v[3:4], v[124:125], v[120:121]
.LBB119_674:
	s_mov_b32 s6, exec_lo
	v_cmpx_ne_u32_e32 29, v0
	s_cbranch_execz .LBB119_678
; %bb.675:
	v_add_nc_u32_e32 v120, 0x390, v123
	v_add3_u32 v121, 0, v123, 16
	v_mov_b32_e32 v122, v0
	s_mov_b32 s8, 0
	.p2align	6
.LBB119_676:                            ; =>This Inner Loop Header: Depth=1
	s_clause 0x3
	buffer_load_dword v128, v121, s[0:3], 0 offen offset:8
	buffer_load_dword v129, v121, s[0:3], 0 offen offset:12
	buffer_load_dword v130, v121, s[0:3], 0 offen
	buffer_load_dword v131, v121, s[0:3], 0 offen offset:4
	ds_read_b128 v[124:127], v120
	v_add_nc_u32_e32 v122, 1, v122
	v_add_nc_u32_e32 v120, 16, v120
	;; [unrolled: 1-line block ×3, first 2 shown]
	v_cmp_lt_u32_e32 vcc_lo, 28, v122
	s_or_b32 s8, vcc_lo, s8
	s_waitcnt vmcnt(2) lgkmcnt(0)
	v_mul_f64 v[132:133], v[126:127], v[128:129]
	v_mul_f64 v[128:129], v[124:125], v[128:129]
	s_waitcnt vmcnt(0)
	v_fma_f64 v[124:125], v[124:125], v[130:131], -v[132:133]
	v_fma_f64 v[126:127], v[126:127], v[130:131], v[128:129]
	v_add_f64 v[1:2], v[1:2], v[124:125]
	v_add_f64 v[3:4], v[3:4], v[126:127]
	s_andn2_b32 exec_lo, exec_lo, s8
	s_cbranch_execnz .LBB119_676
; %bb.677:
	s_or_b32 exec_lo, exec_lo, s8
.LBB119_678:
	s_or_b32 exec_lo, exec_lo, s6
	v_mov_b32_e32 v120, 0
	ds_read_b128 v[124:127], v120 offset:480
	s_waitcnt lgkmcnt(0)
	v_mul_f64 v[120:121], v[3:4], v[126:127]
	v_mul_f64 v[126:127], v[1:2], v[126:127]
	v_fma_f64 v[1:2], v[1:2], v[124:125], -v[120:121]
	v_fma_f64 v[3:4], v[3:4], v[124:125], v[126:127]
	buffer_store_dword v2, off, s[0:3], 0 offset:484
	buffer_store_dword v1, off, s[0:3], 0 offset:480
	;; [unrolled: 1-line block ×4, first 2 shown]
.LBB119_679:
	s_or_b32 exec_lo, exec_lo, s4
	v_mov_b32_e32 v4, s33
	s_mov_b32 s4, exec_lo
	s_clause 0x3
	buffer_load_dword v1, v4, s[0:3], 0 offen
	buffer_load_dword v2, v4, s[0:3], 0 offen offset:4
	buffer_load_dword v3, v4, s[0:3], 0 offen offset:8
	;; [unrolled: 1-line block ×3, first 2 shown]
	s_waitcnt vmcnt(0)
	ds_write_b128 v118, v[1:4]
	s_waitcnt lgkmcnt(0)
	s_waitcnt_vscnt null, 0x0
	s_barrier
	buffer_gl0_inv
	v_cmpx_gt_u32_e32 31, v0
	s_cbranch_execz .LBB119_687
; %bb.680:
	ds_read_b128 v[1:4], v118
	v_cmp_ne_u32_e32 vcc_lo, 1, v119
	s_cbranch_vccnz .LBB119_682
; %bb.681:
	s_clause 0x3
	buffer_load_dword v120, v117, s[0:3], 0 offen offset:8
	buffer_load_dword v121, v117, s[0:3], 0 offen offset:12
	buffer_load_dword v124, v117, s[0:3], 0 offen
	buffer_load_dword v125, v117, s[0:3], 0 offen offset:4
	s_waitcnt vmcnt(2) lgkmcnt(0)
	v_mul_f64 v[126:127], v[3:4], v[120:121]
	v_mul_f64 v[120:121], v[1:2], v[120:121]
	s_waitcnt vmcnt(0)
	v_fma_f64 v[1:2], v[1:2], v[124:125], -v[126:127]
	v_fma_f64 v[3:4], v[3:4], v[124:125], v[120:121]
.LBB119_682:
	s_mov_b32 s6, exec_lo
	v_cmpx_ne_u32_e32 30, v0
	s_cbranch_execz .LBB119_686
; %bb.683:
	v_add_nc_u32_e32 v120, 0x390, v123
	v_add3_u32 v121, 0, v123, 16
	v_mov_b32_e32 v122, v0
	s_mov_b32 s8, 0
	.p2align	6
.LBB119_684:                            ; =>This Inner Loop Header: Depth=1
	s_clause 0x3
	buffer_load_dword v128, v121, s[0:3], 0 offen offset:8
	buffer_load_dword v129, v121, s[0:3], 0 offen offset:12
	buffer_load_dword v130, v121, s[0:3], 0 offen
	buffer_load_dword v131, v121, s[0:3], 0 offen offset:4
	ds_read_b128 v[124:127], v120
	v_add_nc_u32_e32 v122, 1, v122
	v_add_nc_u32_e32 v120, 16, v120
	;; [unrolled: 1-line block ×3, first 2 shown]
	v_cmp_lt_u32_e32 vcc_lo, 29, v122
	s_or_b32 s8, vcc_lo, s8
	s_waitcnt vmcnt(2) lgkmcnt(0)
	v_mul_f64 v[132:133], v[126:127], v[128:129]
	v_mul_f64 v[128:129], v[124:125], v[128:129]
	s_waitcnt vmcnt(0)
	v_fma_f64 v[124:125], v[124:125], v[130:131], -v[132:133]
	v_fma_f64 v[126:127], v[126:127], v[130:131], v[128:129]
	v_add_f64 v[1:2], v[1:2], v[124:125]
	v_add_f64 v[3:4], v[3:4], v[126:127]
	s_andn2_b32 exec_lo, exec_lo, s8
	s_cbranch_execnz .LBB119_684
; %bb.685:
	s_or_b32 exec_lo, exec_lo, s8
.LBB119_686:
	s_or_b32 exec_lo, exec_lo, s6
	v_mov_b32_e32 v120, 0
	ds_read_b128 v[124:127], v120 offset:496
	s_waitcnt lgkmcnt(0)
	v_mul_f64 v[120:121], v[3:4], v[126:127]
	v_mul_f64 v[126:127], v[1:2], v[126:127]
	v_fma_f64 v[1:2], v[1:2], v[124:125], -v[120:121]
	v_fma_f64 v[3:4], v[3:4], v[124:125], v[126:127]
	buffer_store_dword v2, off, s[0:3], 0 offset:500
	buffer_store_dword v1, off, s[0:3], 0 offset:496
	;; [unrolled: 1-line block ×4, first 2 shown]
.LBB119_687:
	s_or_b32 exec_lo, exec_lo, s4
	v_mov_b32_e32 v4, s31
	s_mov_b32 s4, exec_lo
	s_clause 0x3
	buffer_load_dword v1, v4, s[0:3], 0 offen
	buffer_load_dword v2, v4, s[0:3], 0 offen offset:4
	buffer_load_dword v3, v4, s[0:3], 0 offen offset:8
	;; [unrolled: 1-line block ×3, first 2 shown]
	s_waitcnt vmcnt(0)
	ds_write_b128 v118, v[1:4]
	s_waitcnt lgkmcnt(0)
	s_waitcnt_vscnt null, 0x0
	s_barrier
	buffer_gl0_inv
	v_cmpx_gt_u32_e32 32, v0
	s_cbranch_execz .LBB119_695
; %bb.688:
	ds_read_b128 v[1:4], v118
	v_cmp_ne_u32_e32 vcc_lo, 1, v119
	s_cbranch_vccnz .LBB119_690
; %bb.689:
	s_clause 0x3
	buffer_load_dword v120, v117, s[0:3], 0 offen offset:8
	buffer_load_dword v121, v117, s[0:3], 0 offen offset:12
	buffer_load_dword v124, v117, s[0:3], 0 offen
	buffer_load_dword v125, v117, s[0:3], 0 offen offset:4
	s_waitcnt vmcnt(2) lgkmcnt(0)
	v_mul_f64 v[126:127], v[3:4], v[120:121]
	v_mul_f64 v[120:121], v[1:2], v[120:121]
	s_waitcnt vmcnt(0)
	v_fma_f64 v[1:2], v[1:2], v[124:125], -v[126:127]
	v_fma_f64 v[3:4], v[3:4], v[124:125], v[120:121]
.LBB119_690:
	s_mov_b32 s6, exec_lo
	v_cmpx_ne_u32_e32 31, v0
	s_cbranch_execz .LBB119_694
; %bb.691:
	v_add_nc_u32_e32 v120, 0x390, v123
	v_add3_u32 v121, 0, v123, 16
	v_mov_b32_e32 v122, v0
	s_mov_b32 s8, 0
	.p2align	6
.LBB119_692:                            ; =>This Inner Loop Header: Depth=1
	s_clause 0x3
	buffer_load_dword v128, v121, s[0:3], 0 offen offset:8
	buffer_load_dword v129, v121, s[0:3], 0 offen offset:12
	buffer_load_dword v130, v121, s[0:3], 0 offen
	buffer_load_dword v131, v121, s[0:3], 0 offen offset:4
	ds_read_b128 v[124:127], v120
	v_add_nc_u32_e32 v122, 1, v122
	v_add_nc_u32_e32 v120, 16, v120
	;; [unrolled: 1-line block ×3, first 2 shown]
	v_cmp_lt_u32_e32 vcc_lo, 30, v122
	s_or_b32 s8, vcc_lo, s8
	s_waitcnt vmcnt(2) lgkmcnt(0)
	v_mul_f64 v[132:133], v[126:127], v[128:129]
	v_mul_f64 v[128:129], v[124:125], v[128:129]
	s_waitcnt vmcnt(0)
	v_fma_f64 v[124:125], v[124:125], v[130:131], -v[132:133]
	v_fma_f64 v[126:127], v[126:127], v[130:131], v[128:129]
	v_add_f64 v[1:2], v[1:2], v[124:125]
	v_add_f64 v[3:4], v[3:4], v[126:127]
	s_andn2_b32 exec_lo, exec_lo, s8
	s_cbranch_execnz .LBB119_692
; %bb.693:
	s_or_b32 exec_lo, exec_lo, s8
.LBB119_694:
	s_or_b32 exec_lo, exec_lo, s6
	v_mov_b32_e32 v120, 0
	ds_read_b128 v[124:127], v120 offset:512
	s_waitcnt lgkmcnt(0)
	v_mul_f64 v[120:121], v[3:4], v[126:127]
	v_mul_f64 v[126:127], v[1:2], v[126:127]
	v_fma_f64 v[1:2], v[1:2], v[124:125], -v[120:121]
	v_fma_f64 v[3:4], v[3:4], v[124:125], v[126:127]
	buffer_store_dword v2, off, s[0:3], 0 offset:516
	buffer_store_dword v1, off, s[0:3], 0 offset:512
	;; [unrolled: 1-line block ×4, first 2 shown]
.LBB119_695:
	s_or_b32 exec_lo, exec_lo, s4
	v_mov_b32_e32 v4, s30
	s_mov_b32 s4, exec_lo
	s_clause 0x3
	buffer_load_dword v1, v4, s[0:3], 0 offen
	buffer_load_dword v2, v4, s[0:3], 0 offen offset:4
	buffer_load_dword v3, v4, s[0:3], 0 offen offset:8
	;; [unrolled: 1-line block ×3, first 2 shown]
	s_waitcnt vmcnt(0)
	ds_write_b128 v118, v[1:4]
	s_waitcnt lgkmcnt(0)
	s_waitcnt_vscnt null, 0x0
	s_barrier
	buffer_gl0_inv
	v_cmpx_gt_u32_e32 33, v0
	s_cbranch_execz .LBB119_703
; %bb.696:
	ds_read_b128 v[1:4], v118
	v_cmp_ne_u32_e32 vcc_lo, 1, v119
	s_cbranch_vccnz .LBB119_698
; %bb.697:
	s_clause 0x3
	buffer_load_dword v120, v117, s[0:3], 0 offen offset:8
	buffer_load_dword v121, v117, s[0:3], 0 offen offset:12
	buffer_load_dword v124, v117, s[0:3], 0 offen
	buffer_load_dword v125, v117, s[0:3], 0 offen offset:4
	s_waitcnt vmcnt(2) lgkmcnt(0)
	v_mul_f64 v[126:127], v[3:4], v[120:121]
	v_mul_f64 v[120:121], v[1:2], v[120:121]
	s_waitcnt vmcnt(0)
	v_fma_f64 v[1:2], v[1:2], v[124:125], -v[126:127]
	v_fma_f64 v[3:4], v[3:4], v[124:125], v[120:121]
.LBB119_698:
	s_mov_b32 s6, exec_lo
	v_cmpx_ne_u32_e32 32, v0
	s_cbranch_execz .LBB119_702
; %bb.699:
	v_add_nc_u32_e32 v120, 0x390, v123
	v_add3_u32 v121, 0, v123, 16
	v_mov_b32_e32 v122, v0
	s_mov_b32 s8, 0
	.p2align	6
.LBB119_700:                            ; =>This Inner Loop Header: Depth=1
	s_clause 0x3
	buffer_load_dword v128, v121, s[0:3], 0 offen offset:8
	buffer_load_dword v129, v121, s[0:3], 0 offen offset:12
	buffer_load_dword v130, v121, s[0:3], 0 offen
	buffer_load_dword v131, v121, s[0:3], 0 offen offset:4
	ds_read_b128 v[124:127], v120
	v_add_nc_u32_e32 v122, 1, v122
	v_add_nc_u32_e32 v120, 16, v120
	;; [unrolled: 1-line block ×3, first 2 shown]
	v_cmp_lt_u32_e32 vcc_lo, 31, v122
	s_or_b32 s8, vcc_lo, s8
	s_waitcnt vmcnt(2) lgkmcnt(0)
	v_mul_f64 v[132:133], v[126:127], v[128:129]
	v_mul_f64 v[128:129], v[124:125], v[128:129]
	s_waitcnt vmcnt(0)
	v_fma_f64 v[124:125], v[124:125], v[130:131], -v[132:133]
	v_fma_f64 v[126:127], v[126:127], v[130:131], v[128:129]
	v_add_f64 v[1:2], v[1:2], v[124:125]
	v_add_f64 v[3:4], v[3:4], v[126:127]
	s_andn2_b32 exec_lo, exec_lo, s8
	s_cbranch_execnz .LBB119_700
; %bb.701:
	s_or_b32 exec_lo, exec_lo, s8
.LBB119_702:
	s_or_b32 exec_lo, exec_lo, s6
	v_mov_b32_e32 v120, 0
	ds_read_b128 v[124:127], v120 offset:528
	s_waitcnt lgkmcnt(0)
	v_mul_f64 v[120:121], v[3:4], v[126:127]
	v_mul_f64 v[126:127], v[1:2], v[126:127]
	v_fma_f64 v[1:2], v[1:2], v[124:125], -v[120:121]
	v_fma_f64 v[3:4], v[3:4], v[124:125], v[126:127]
	buffer_store_dword v2, off, s[0:3], 0 offset:532
	buffer_store_dword v1, off, s[0:3], 0 offset:528
	;; [unrolled: 1-line block ×4, first 2 shown]
.LBB119_703:
	s_or_b32 exec_lo, exec_lo, s4
	v_mov_b32_e32 v4, s29
	s_mov_b32 s4, exec_lo
	s_clause 0x3
	buffer_load_dword v1, v4, s[0:3], 0 offen
	buffer_load_dword v2, v4, s[0:3], 0 offen offset:4
	buffer_load_dword v3, v4, s[0:3], 0 offen offset:8
	;; [unrolled: 1-line block ×3, first 2 shown]
	s_waitcnt vmcnt(0)
	ds_write_b128 v118, v[1:4]
	s_waitcnt lgkmcnt(0)
	s_waitcnt_vscnt null, 0x0
	s_barrier
	buffer_gl0_inv
	v_cmpx_gt_u32_e32 34, v0
	s_cbranch_execz .LBB119_711
; %bb.704:
	ds_read_b128 v[1:4], v118
	v_cmp_ne_u32_e32 vcc_lo, 1, v119
	s_cbranch_vccnz .LBB119_706
; %bb.705:
	s_clause 0x3
	buffer_load_dword v120, v117, s[0:3], 0 offen offset:8
	buffer_load_dword v121, v117, s[0:3], 0 offen offset:12
	buffer_load_dword v124, v117, s[0:3], 0 offen
	buffer_load_dword v125, v117, s[0:3], 0 offen offset:4
	s_waitcnt vmcnt(2) lgkmcnt(0)
	v_mul_f64 v[126:127], v[3:4], v[120:121]
	v_mul_f64 v[120:121], v[1:2], v[120:121]
	s_waitcnt vmcnt(0)
	v_fma_f64 v[1:2], v[1:2], v[124:125], -v[126:127]
	v_fma_f64 v[3:4], v[3:4], v[124:125], v[120:121]
.LBB119_706:
	s_mov_b32 s6, exec_lo
	v_cmpx_ne_u32_e32 33, v0
	s_cbranch_execz .LBB119_710
; %bb.707:
	v_add_nc_u32_e32 v120, 0x390, v123
	v_add3_u32 v121, 0, v123, 16
	v_mov_b32_e32 v122, v0
	s_mov_b32 s8, 0
	.p2align	6
.LBB119_708:                            ; =>This Inner Loop Header: Depth=1
	s_clause 0x3
	buffer_load_dword v128, v121, s[0:3], 0 offen offset:8
	buffer_load_dword v129, v121, s[0:3], 0 offen offset:12
	buffer_load_dword v130, v121, s[0:3], 0 offen
	buffer_load_dword v131, v121, s[0:3], 0 offen offset:4
	ds_read_b128 v[124:127], v120
	v_add_nc_u32_e32 v122, 1, v122
	v_add_nc_u32_e32 v120, 16, v120
	;; [unrolled: 1-line block ×3, first 2 shown]
	v_cmp_lt_u32_e32 vcc_lo, 32, v122
	s_or_b32 s8, vcc_lo, s8
	s_waitcnt vmcnt(2) lgkmcnt(0)
	v_mul_f64 v[132:133], v[126:127], v[128:129]
	v_mul_f64 v[128:129], v[124:125], v[128:129]
	s_waitcnt vmcnt(0)
	v_fma_f64 v[124:125], v[124:125], v[130:131], -v[132:133]
	v_fma_f64 v[126:127], v[126:127], v[130:131], v[128:129]
	v_add_f64 v[1:2], v[1:2], v[124:125]
	v_add_f64 v[3:4], v[3:4], v[126:127]
	s_andn2_b32 exec_lo, exec_lo, s8
	s_cbranch_execnz .LBB119_708
; %bb.709:
	s_or_b32 exec_lo, exec_lo, s8
.LBB119_710:
	s_or_b32 exec_lo, exec_lo, s6
	v_mov_b32_e32 v120, 0
	ds_read_b128 v[124:127], v120 offset:544
	s_waitcnt lgkmcnt(0)
	v_mul_f64 v[120:121], v[3:4], v[126:127]
	v_mul_f64 v[126:127], v[1:2], v[126:127]
	v_fma_f64 v[1:2], v[1:2], v[124:125], -v[120:121]
	v_fma_f64 v[3:4], v[3:4], v[124:125], v[126:127]
	buffer_store_dword v2, off, s[0:3], 0 offset:548
	buffer_store_dword v1, off, s[0:3], 0 offset:544
	;; [unrolled: 1-line block ×4, first 2 shown]
.LBB119_711:
	s_or_b32 exec_lo, exec_lo, s4
	v_mov_b32_e32 v4, s28
	s_mov_b32 s4, exec_lo
	s_clause 0x3
	buffer_load_dword v1, v4, s[0:3], 0 offen
	buffer_load_dword v2, v4, s[0:3], 0 offen offset:4
	buffer_load_dword v3, v4, s[0:3], 0 offen offset:8
	;; [unrolled: 1-line block ×3, first 2 shown]
	s_waitcnt vmcnt(0)
	ds_write_b128 v118, v[1:4]
	s_waitcnt lgkmcnt(0)
	s_waitcnt_vscnt null, 0x0
	s_barrier
	buffer_gl0_inv
	v_cmpx_gt_u32_e32 35, v0
	s_cbranch_execz .LBB119_719
; %bb.712:
	ds_read_b128 v[1:4], v118
	v_cmp_ne_u32_e32 vcc_lo, 1, v119
	s_cbranch_vccnz .LBB119_714
; %bb.713:
	s_clause 0x3
	buffer_load_dword v120, v117, s[0:3], 0 offen offset:8
	buffer_load_dword v121, v117, s[0:3], 0 offen offset:12
	buffer_load_dword v124, v117, s[0:3], 0 offen
	buffer_load_dword v125, v117, s[0:3], 0 offen offset:4
	s_waitcnt vmcnt(2) lgkmcnt(0)
	v_mul_f64 v[126:127], v[3:4], v[120:121]
	v_mul_f64 v[120:121], v[1:2], v[120:121]
	s_waitcnt vmcnt(0)
	v_fma_f64 v[1:2], v[1:2], v[124:125], -v[126:127]
	v_fma_f64 v[3:4], v[3:4], v[124:125], v[120:121]
.LBB119_714:
	s_mov_b32 s6, exec_lo
	v_cmpx_ne_u32_e32 34, v0
	s_cbranch_execz .LBB119_718
; %bb.715:
	v_add_nc_u32_e32 v120, 0x390, v123
	v_add3_u32 v121, 0, v123, 16
	v_mov_b32_e32 v122, v0
	s_mov_b32 s8, 0
	.p2align	6
.LBB119_716:                            ; =>This Inner Loop Header: Depth=1
	s_clause 0x3
	buffer_load_dword v128, v121, s[0:3], 0 offen offset:8
	buffer_load_dword v129, v121, s[0:3], 0 offen offset:12
	buffer_load_dword v130, v121, s[0:3], 0 offen
	buffer_load_dword v131, v121, s[0:3], 0 offen offset:4
	ds_read_b128 v[124:127], v120
	v_add_nc_u32_e32 v122, 1, v122
	v_add_nc_u32_e32 v120, 16, v120
	;; [unrolled: 1-line block ×3, first 2 shown]
	v_cmp_lt_u32_e32 vcc_lo, 33, v122
	s_or_b32 s8, vcc_lo, s8
	s_waitcnt vmcnt(2) lgkmcnt(0)
	v_mul_f64 v[132:133], v[126:127], v[128:129]
	v_mul_f64 v[128:129], v[124:125], v[128:129]
	s_waitcnt vmcnt(0)
	v_fma_f64 v[124:125], v[124:125], v[130:131], -v[132:133]
	v_fma_f64 v[126:127], v[126:127], v[130:131], v[128:129]
	v_add_f64 v[1:2], v[1:2], v[124:125]
	v_add_f64 v[3:4], v[3:4], v[126:127]
	s_andn2_b32 exec_lo, exec_lo, s8
	s_cbranch_execnz .LBB119_716
; %bb.717:
	s_or_b32 exec_lo, exec_lo, s8
.LBB119_718:
	s_or_b32 exec_lo, exec_lo, s6
	v_mov_b32_e32 v120, 0
	ds_read_b128 v[124:127], v120 offset:560
	s_waitcnt lgkmcnt(0)
	v_mul_f64 v[120:121], v[3:4], v[126:127]
	v_mul_f64 v[126:127], v[1:2], v[126:127]
	v_fma_f64 v[1:2], v[1:2], v[124:125], -v[120:121]
	v_fma_f64 v[3:4], v[3:4], v[124:125], v[126:127]
	buffer_store_dword v2, off, s[0:3], 0 offset:564
	buffer_store_dword v1, off, s[0:3], 0 offset:560
	;; [unrolled: 1-line block ×4, first 2 shown]
.LBB119_719:
	s_or_b32 exec_lo, exec_lo, s4
	v_mov_b32_e32 v4, s27
	s_mov_b32 s4, exec_lo
	s_clause 0x3
	buffer_load_dword v1, v4, s[0:3], 0 offen
	buffer_load_dword v2, v4, s[0:3], 0 offen offset:4
	buffer_load_dword v3, v4, s[0:3], 0 offen offset:8
	;; [unrolled: 1-line block ×3, first 2 shown]
	s_waitcnt vmcnt(0)
	ds_write_b128 v118, v[1:4]
	s_waitcnt lgkmcnt(0)
	s_waitcnt_vscnt null, 0x0
	s_barrier
	buffer_gl0_inv
	v_cmpx_gt_u32_e32 36, v0
	s_cbranch_execz .LBB119_727
; %bb.720:
	ds_read_b128 v[1:4], v118
	v_cmp_ne_u32_e32 vcc_lo, 1, v119
	s_cbranch_vccnz .LBB119_722
; %bb.721:
	s_clause 0x3
	buffer_load_dword v120, v117, s[0:3], 0 offen offset:8
	buffer_load_dword v121, v117, s[0:3], 0 offen offset:12
	buffer_load_dword v124, v117, s[0:3], 0 offen
	buffer_load_dword v125, v117, s[0:3], 0 offen offset:4
	s_waitcnt vmcnt(2) lgkmcnt(0)
	v_mul_f64 v[126:127], v[3:4], v[120:121]
	v_mul_f64 v[120:121], v[1:2], v[120:121]
	s_waitcnt vmcnt(0)
	v_fma_f64 v[1:2], v[1:2], v[124:125], -v[126:127]
	v_fma_f64 v[3:4], v[3:4], v[124:125], v[120:121]
.LBB119_722:
	s_mov_b32 s6, exec_lo
	v_cmpx_ne_u32_e32 35, v0
	s_cbranch_execz .LBB119_726
; %bb.723:
	v_add_nc_u32_e32 v120, 0x390, v123
	v_add3_u32 v121, 0, v123, 16
	v_mov_b32_e32 v122, v0
	s_mov_b32 s8, 0
	.p2align	6
.LBB119_724:                            ; =>This Inner Loop Header: Depth=1
	s_clause 0x3
	buffer_load_dword v128, v121, s[0:3], 0 offen offset:8
	buffer_load_dword v129, v121, s[0:3], 0 offen offset:12
	buffer_load_dword v130, v121, s[0:3], 0 offen
	buffer_load_dword v131, v121, s[0:3], 0 offen offset:4
	ds_read_b128 v[124:127], v120
	v_add_nc_u32_e32 v122, 1, v122
	v_add_nc_u32_e32 v120, 16, v120
	;; [unrolled: 1-line block ×3, first 2 shown]
	v_cmp_lt_u32_e32 vcc_lo, 34, v122
	s_or_b32 s8, vcc_lo, s8
	s_waitcnt vmcnt(2) lgkmcnt(0)
	v_mul_f64 v[132:133], v[126:127], v[128:129]
	v_mul_f64 v[128:129], v[124:125], v[128:129]
	s_waitcnt vmcnt(0)
	v_fma_f64 v[124:125], v[124:125], v[130:131], -v[132:133]
	v_fma_f64 v[126:127], v[126:127], v[130:131], v[128:129]
	v_add_f64 v[1:2], v[1:2], v[124:125]
	v_add_f64 v[3:4], v[3:4], v[126:127]
	s_andn2_b32 exec_lo, exec_lo, s8
	s_cbranch_execnz .LBB119_724
; %bb.725:
	s_or_b32 exec_lo, exec_lo, s8
.LBB119_726:
	s_or_b32 exec_lo, exec_lo, s6
	v_mov_b32_e32 v120, 0
	ds_read_b128 v[124:127], v120 offset:576
	s_waitcnt lgkmcnt(0)
	v_mul_f64 v[120:121], v[3:4], v[126:127]
	v_mul_f64 v[126:127], v[1:2], v[126:127]
	v_fma_f64 v[1:2], v[1:2], v[124:125], -v[120:121]
	v_fma_f64 v[3:4], v[3:4], v[124:125], v[126:127]
	buffer_store_dword v2, off, s[0:3], 0 offset:580
	buffer_store_dword v1, off, s[0:3], 0 offset:576
	;; [unrolled: 1-line block ×4, first 2 shown]
.LBB119_727:
	s_or_b32 exec_lo, exec_lo, s4
	v_mov_b32_e32 v4, s26
	s_mov_b32 s4, exec_lo
	s_clause 0x3
	buffer_load_dword v1, v4, s[0:3], 0 offen
	buffer_load_dword v2, v4, s[0:3], 0 offen offset:4
	buffer_load_dword v3, v4, s[0:3], 0 offen offset:8
	;; [unrolled: 1-line block ×3, first 2 shown]
	s_waitcnt vmcnt(0)
	ds_write_b128 v118, v[1:4]
	s_waitcnt lgkmcnt(0)
	s_waitcnt_vscnt null, 0x0
	s_barrier
	buffer_gl0_inv
	v_cmpx_gt_u32_e32 37, v0
	s_cbranch_execz .LBB119_735
; %bb.728:
	ds_read_b128 v[1:4], v118
	v_cmp_ne_u32_e32 vcc_lo, 1, v119
	s_cbranch_vccnz .LBB119_730
; %bb.729:
	s_clause 0x3
	buffer_load_dword v120, v117, s[0:3], 0 offen offset:8
	buffer_load_dword v121, v117, s[0:3], 0 offen offset:12
	buffer_load_dword v124, v117, s[0:3], 0 offen
	buffer_load_dword v125, v117, s[0:3], 0 offen offset:4
	s_waitcnt vmcnt(2) lgkmcnt(0)
	v_mul_f64 v[126:127], v[3:4], v[120:121]
	v_mul_f64 v[120:121], v[1:2], v[120:121]
	s_waitcnt vmcnt(0)
	v_fma_f64 v[1:2], v[1:2], v[124:125], -v[126:127]
	v_fma_f64 v[3:4], v[3:4], v[124:125], v[120:121]
.LBB119_730:
	s_mov_b32 s6, exec_lo
	v_cmpx_ne_u32_e32 36, v0
	s_cbranch_execz .LBB119_734
; %bb.731:
	v_add_nc_u32_e32 v120, 0x390, v123
	v_add3_u32 v121, 0, v123, 16
	v_mov_b32_e32 v122, v0
	s_mov_b32 s8, 0
	.p2align	6
.LBB119_732:                            ; =>This Inner Loop Header: Depth=1
	s_clause 0x3
	buffer_load_dword v128, v121, s[0:3], 0 offen offset:8
	buffer_load_dword v129, v121, s[0:3], 0 offen offset:12
	buffer_load_dword v130, v121, s[0:3], 0 offen
	buffer_load_dword v131, v121, s[0:3], 0 offen offset:4
	ds_read_b128 v[124:127], v120
	v_add_nc_u32_e32 v122, 1, v122
	v_add_nc_u32_e32 v120, 16, v120
	;; [unrolled: 1-line block ×3, first 2 shown]
	v_cmp_lt_u32_e32 vcc_lo, 35, v122
	s_or_b32 s8, vcc_lo, s8
	s_waitcnt vmcnt(2) lgkmcnt(0)
	v_mul_f64 v[132:133], v[126:127], v[128:129]
	v_mul_f64 v[128:129], v[124:125], v[128:129]
	s_waitcnt vmcnt(0)
	v_fma_f64 v[124:125], v[124:125], v[130:131], -v[132:133]
	v_fma_f64 v[126:127], v[126:127], v[130:131], v[128:129]
	v_add_f64 v[1:2], v[1:2], v[124:125]
	v_add_f64 v[3:4], v[3:4], v[126:127]
	s_andn2_b32 exec_lo, exec_lo, s8
	s_cbranch_execnz .LBB119_732
; %bb.733:
	s_or_b32 exec_lo, exec_lo, s8
.LBB119_734:
	s_or_b32 exec_lo, exec_lo, s6
	v_mov_b32_e32 v120, 0
	ds_read_b128 v[124:127], v120 offset:592
	s_waitcnt lgkmcnt(0)
	v_mul_f64 v[120:121], v[3:4], v[126:127]
	v_mul_f64 v[126:127], v[1:2], v[126:127]
	v_fma_f64 v[1:2], v[1:2], v[124:125], -v[120:121]
	v_fma_f64 v[3:4], v[3:4], v[124:125], v[126:127]
	buffer_store_dword v2, off, s[0:3], 0 offset:596
	buffer_store_dword v1, off, s[0:3], 0 offset:592
	;; [unrolled: 1-line block ×4, first 2 shown]
.LBB119_735:
	s_or_b32 exec_lo, exec_lo, s4
	v_mov_b32_e32 v4, s25
	s_mov_b32 s4, exec_lo
	s_clause 0x3
	buffer_load_dword v1, v4, s[0:3], 0 offen
	buffer_load_dword v2, v4, s[0:3], 0 offen offset:4
	buffer_load_dword v3, v4, s[0:3], 0 offen offset:8
	;; [unrolled: 1-line block ×3, first 2 shown]
	s_waitcnt vmcnt(0)
	ds_write_b128 v118, v[1:4]
	s_waitcnt lgkmcnt(0)
	s_waitcnt_vscnt null, 0x0
	s_barrier
	buffer_gl0_inv
	v_cmpx_gt_u32_e32 38, v0
	s_cbranch_execz .LBB119_743
; %bb.736:
	ds_read_b128 v[1:4], v118
	v_cmp_ne_u32_e32 vcc_lo, 1, v119
	s_cbranch_vccnz .LBB119_738
; %bb.737:
	s_clause 0x3
	buffer_load_dword v120, v117, s[0:3], 0 offen offset:8
	buffer_load_dword v121, v117, s[0:3], 0 offen offset:12
	buffer_load_dword v124, v117, s[0:3], 0 offen
	buffer_load_dword v125, v117, s[0:3], 0 offen offset:4
	s_waitcnt vmcnt(2) lgkmcnt(0)
	v_mul_f64 v[126:127], v[3:4], v[120:121]
	v_mul_f64 v[120:121], v[1:2], v[120:121]
	s_waitcnt vmcnt(0)
	v_fma_f64 v[1:2], v[1:2], v[124:125], -v[126:127]
	v_fma_f64 v[3:4], v[3:4], v[124:125], v[120:121]
.LBB119_738:
	s_mov_b32 s6, exec_lo
	v_cmpx_ne_u32_e32 37, v0
	s_cbranch_execz .LBB119_742
; %bb.739:
	v_add_nc_u32_e32 v120, 0x390, v123
	v_add3_u32 v121, 0, v123, 16
	v_mov_b32_e32 v122, v0
	s_mov_b32 s8, 0
	.p2align	6
.LBB119_740:                            ; =>This Inner Loop Header: Depth=1
	s_clause 0x3
	buffer_load_dword v128, v121, s[0:3], 0 offen offset:8
	buffer_load_dword v129, v121, s[0:3], 0 offen offset:12
	buffer_load_dword v130, v121, s[0:3], 0 offen
	buffer_load_dword v131, v121, s[0:3], 0 offen offset:4
	ds_read_b128 v[124:127], v120
	v_add_nc_u32_e32 v122, 1, v122
	v_add_nc_u32_e32 v120, 16, v120
	;; [unrolled: 1-line block ×3, first 2 shown]
	v_cmp_lt_u32_e32 vcc_lo, 36, v122
	s_or_b32 s8, vcc_lo, s8
	s_waitcnt vmcnt(2) lgkmcnt(0)
	v_mul_f64 v[132:133], v[126:127], v[128:129]
	v_mul_f64 v[128:129], v[124:125], v[128:129]
	s_waitcnt vmcnt(0)
	v_fma_f64 v[124:125], v[124:125], v[130:131], -v[132:133]
	v_fma_f64 v[126:127], v[126:127], v[130:131], v[128:129]
	v_add_f64 v[1:2], v[1:2], v[124:125]
	v_add_f64 v[3:4], v[3:4], v[126:127]
	s_andn2_b32 exec_lo, exec_lo, s8
	s_cbranch_execnz .LBB119_740
; %bb.741:
	s_or_b32 exec_lo, exec_lo, s8
.LBB119_742:
	s_or_b32 exec_lo, exec_lo, s6
	v_mov_b32_e32 v120, 0
	ds_read_b128 v[124:127], v120 offset:608
	s_waitcnt lgkmcnt(0)
	v_mul_f64 v[120:121], v[3:4], v[126:127]
	v_mul_f64 v[126:127], v[1:2], v[126:127]
	v_fma_f64 v[1:2], v[1:2], v[124:125], -v[120:121]
	v_fma_f64 v[3:4], v[3:4], v[124:125], v[126:127]
	buffer_store_dword v2, off, s[0:3], 0 offset:612
	buffer_store_dword v1, off, s[0:3], 0 offset:608
	;; [unrolled: 1-line block ×4, first 2 shown]
.LBB119_743:
	s_or_b32 exec_lo, exec_lo, s4
	v_mov_b32_e32 v4, s24
	s_mov_b32 s4, exec_lo
	s_clause 0x3
	buffer_load_dword v1, v4, s[0:3], 0 offen
	buffer_load_dword v2, v4, s[0:3], 0 offen offset:4
	buffer_load_dword v3, v4, s[0:3], 0 offen offset:8
	;; [unrolled: 1-line block ×3, first 2 shown]
	s_waitcnt vmcnt(0)
	ds_write_b128 v118, v[1:4]
	s_waitcnt lgkmcnt(0)
	s_waitcnt_vscnt null, 0x0
	s_barrier
	buffer_gl0_inv
	v_cmpx_gt_u32_e32 39, v0
	s_cbranch_execz .LBB119_751
; %bb.744:
	ds_read_b128 v[1:4], v118
	v_cmp_ne_u32_e32 vcc_lo, 1, v119
	s_cbranch_vccnz .LBB119_746
; %bb.745:
	s_clause 0x3
	buffer_load_dword v120, v117, s[0:3], 0 offen offset:8
	buffer_load_dword v121, v117, s[0:3], 0 offen offset:12
	buffer_load_dword v124, v117, s[0:3], 0 offen
	buffer_load_dword v125, v117, s[0:3], 0 offen offset:4
	s_waitcnt vmcnt(2) lgkmcnt(0)
	v_mul_f64 v[126:127], v[3:4], v[120:121]
	v_mul_f64 v[120:121], v[1:2], v[120:121]
	s_waitcnt vmcnt(0)
	v_fma_f64 v[1:2], v[1:2], v[124:125], -v[126:127]
	v_fma_f64 v[3:4], v[3:4], v[124:125], v[120:121]
.LBB119_746:
	s_mov_b32 s6, exec_lo
	v_cmpx_ne_u32_e32 38, v0
	s_cbranch_execz .LBB119_750
; %bb.747:
	v_add_nc_u32_e32 v120, 0x390, v123
	v_add3_u32 v121, 0, v123, 16
	v_mov_b32_e32 v122, v0
	s_mov_b32 s8, 0
	.p2align	6
.LBB119_748:                            ; =>This Inner Loop Header: Depth=1
	s_clause 0x3
	buffer_load_dword v128, v121, s[0:3], 0 offen offset:8
	buffer_load_dword v129, v121, s[0:3], 0 offen offset:12
	buffer_load_dword v130, v121, s[0:3], 0 offen
	buffer_load_dword v131, v121, s[0:3], 0 offen offset:4
	ds_read_b128 v[124:127], v120
	v_add_nc_u32_e32 v122, 1, v122
	v_add_nc_u32_e32 v120, 16, v120
	;; [unrolled: 1-line block ×3, first 2 shown]
	v_cmp_lt_u32_e32 vcc_lo, 37, v122
	s_or_b32 s8, vcc_lo, s8
	s_waitcnt vmcnt(2) lgkmcnt(0)
	v_mul_f64 v[132:133], v[126:127], v[128:129]
	v_mul_f64 v[128:129], v[124:125], v[128:129]
	s_waitcnt vmcnt(0)
	v_fma_f64 v[124:125], v[124:125], v[130:131], -v[132:133]
	v_fma_f64 v[126:127], v[126:127], v[130:131], v[128:129]
	v_add_f64 v[1:2], v[1:2], v[124:125]
	v_add_f64 v[3:4], v[3:4], v[126:127]
	s_andn2_b32 exec_lo, exec_lo, s8
	s_cbranch_execnz .LBB119_748
; %bb.749:
	s_or_b32 exec_lo, exec_lo, s8
.LBB119_750:
	s_or_b32 exec_lo, exec_lo, s6
	v_mov_b32_e32 v120, 0
	ds_read_b128 v[124:127], v120 offset:624
	s_waitcnt lgkmcnt(0)
	v_mul_f64 v[120:121], v[3:4], v[126:127]
	v_mul_f64 v[126:127], v[1:2], v[126:127]
	v_fma_f64 v[1:2], v[1:2], v[124:125], -v[120:121]
	v_fma_f64 v[3:4], v[3:4], v[124:125], v[126:127]
	buffer_store_dword v2, off, s[0:3], 0 offset:628
	buffer_store_dword v1, off, s[0:3], 0 offset:624
	;; [unrolled: 1-line block ×4, first 2 shown]
.LBB119_751:
	s_or_b32 exec_lo, exec_lo, s4
	v_mov_b32_e32 v4, s23
	s_mov_b32 s4, exec_lo
	s_clause 0x3
	buffer_load_dword v1, v4, s[0:3], 0 offen
	buffer_load_dword v2, v4, s[0:3], 0 offen offset:4
	buffer_load_dword v3, v4, s[0:3], 0 offen offset:8
	buffer_load_dword v4, v4, s[0:3], 0 offen offset:12
	s_waitcnt vmcnt(0)
	ds_write_b128 v118, v[1:4]
	s_waitcnt lgkmcnt(0)
	s_waitcnt_vscnt null, 0x0
	s_barrier
	buffer_gl0_inv
	v_cmpx_gt_u32_e32 40, v0
	s_cbranch_execz .LBB119_759
; %bb.752:
	ds_read_b128 v[1:4], v118
	v_cmp_ne_u32_e32 vcc_lo, 1, v119
	s_cbranch_vccnz .LBB119_754
; %bb.753:
	s_clause 0x3
	buffer_load_dword v120, v117, s[0:3], 0 offen offset:8
	buffer_load_dword v121, v117, s[0:3], 0 offen offset:12
	buffer_load_dword v124, v117, s[0:3], 0 offen
	buffer_load_dword v125, v117, s[0:3], 0 offen offset:4
	s_waitcnt vmcnt(2) lgkmcnt(0)
	v_mul_f64 v[126:127], v[3:4], v[120:121]
	v_mul_f64 v[120:121], v[1:2], v[120:121]
	s_waitcnt vmcnt(0)
	v_fma_f64 v[1:2], v[1:2], v[124:125], -v[126:127]
	v_fma_f64 v[3:4], v[3:4], v[124:125], v[120:121]
.LBB119_754:
	s_mov_b32 s6, exec_lo
	v_cmpx_ne_u32_e32 39, v0
	s_cbranch_execz .LBB119_758
; %bb.755:
	v_add_nc_u32_e32 v120, 0x390, v123
	v_add3_u32 v121, 0, v123, 16
	v_mov_b32_e32 v122, v0
	s_mov_b32 s8, 0
	.p2align	6
.LBB119_756:                            ; =>This Inner Loop Header: Depth=1
	s_clause 0x3
	buffer_load_dword v128, v121, s[0:3], 0 offen offset:8
	buffer_load_dword v129, v121, s[0:3], 0 offen offset:12
	buffer_load_dword v130, v121, s[0:3], 0 offen
	buffer_load_dword v131, v121, s[0:3], 0 offen offset:4
	ds_read_b128 v[124:127], v120
	v_add_nc_u32_e32 v122, 1, v122
	v_add_nc_u32_e32 v120, 16, v120
	;; [unrolled: 1-line block ×3, first 2 shown]
	v_cmp_lt_u32_e32 vcc_lo, 38, v122
	s_or_b32 s8, vcc_lo, s8
	s_waitcnt vmcnt(2) lgkmcnt(0)
	v_mul_f64 v[132:133], v[126:127], v[128:129]
	v_mul_f64 v[128:129], v[124:125], v[128:129]
	s_waitcnt vmcnt(0)
	v_fma_f64 v[124:125], v[124:125], v[130:131], -v[132:133]
	v_fma_f64 v[126:127], v[126:127], v[130:131], v[128:129]
	v_add_f64 v[1:2], v[1:2], v[124:125]
	v_add_f64 v[3:4], v[3:4], v[126:127]
	s_andn2_b32 exec_lo, exec_lo, s8
	s_cbranch_execnz .LBB119_756
; %bb.757:
	s_or_b32 exec_lo, exec_lo, s8
.LBB119_758:
	s_or_b32 exec_lo, exec_lo, s6
	v_mov_b32_e32 v120, 0
	ds_read_b128 v[124:127], v120 offset:640
	s_waitcnt lgkmcnt(0)
	v_mul_f64 v[120:121], v[3:4], v[126:127]
	v_mul_f64 v[126:127], v[1:2], v[126:127]
	v_fma_f64 v[1:2], v[1:2], v[124:125], -v[120:121]
	v_fma_f64 v[3:4], v[3:4], v[124:125], v[126:127]
	buffer_store_dword v2, off, s[0:3], 0 offset:644
	buffer_store_dword v1, off, s[0:3], 0 offset:640
	;; [unrolled: 1-line block ×4, first 2 shown]
.LBB119_759:
	s_or_b32 exec_lo, exec_lo, s4
	v_mov_b32_e32 v4, s22
	s_mov_b32 s4, exec_lo
	s_clause 0x3
	buffer_load_dword v1, v4, s[0:3], 0 offen
	buffer_load_dword v2, v4, s[0:3], 0 offen offset:4
	buffer_load_dword v3, v4, s[0:3], 0 offen offset:8
	;; [unrolled: 1-line block ×3, first 2 shown]
	s_waitcnt vmcnt(0)
	ds_write_b128 v118, v[1:4]
	s_waitcnt lgkmcnt(0)
	s_waitcnt_vscnt null, 0x0
	s_barrier
	buffer_gl0_inv
	v_cmpx_gt_u32_e32 41, v0
	s_cbranch_execz .LBB119_767
; %bb.760:
	ds_read_b128 v[1:4], v118
	v_cmp_ne_u32_e32 vcc_lo, 1, v119
	s_cbranch_vccnz .LBB119_762
; %bb.761:
	s_clause 0x3
	buffer_load_dword v120, v117, s[0:3], 0 offen offset:8
	buffer_load_dword v121, v117, s[0:3], 0 offen offset:12
	buffer_load_dword v124, v117, s[0:3], 0 offen
	buffer_load_dword v125, v117, s[0:3], 0 offen offset:4
	s_waitcnt vmcnt(2) lgkmcnt(0)
	v_mul_f64 v[126:127], v[3:4], v[120:121]
	v_mul_f64 v[120:121], v[1:2], v[120:121]
	s_waitcnt vmcnt(0)
	v_fma_f64 v[1:2], v[1:2], v[124:125], -v[126:127]
	v_fma_f64 v[3:4], v[3:4], v[124:125], v[120:121]
.LBB119_762:
	s_mov_b32 s6, exec_lo
	v_cmpx_ne_u32_e32 40, v0
	s_cbranch_execz .LBB119_766
; %bb.763:
	v_add_nc_u32_e32 v120, 0x390, v123
	v_add3_u32 v121, 0, v123, 16
	v_mov_b32_e32 v122, v0
	s_mov_b32 s8, 0
	.p2align	6
.LBB119_764:                            ; =>This Inner Loop Header: Depth=1
	s_clause 0x3
	buffer_load_dword v128, v121, s[0:3], 0 offen offset:8
	buffer_load_dword v129, v121, s[0:3], 0 offen offset:12
	buffer_load_dword v130, v121, s[0:3], 0 offen
	buffer_load_dword v131, v121, s[0:3], 0 offen offset:4
	ds_read_b128 v[124:127], v120
	v_add_nc_u32_e32 v122, 1, v122
	v_add_nc_u32_e32 v120, 16, v120
	;; [unrolled: 1-line block ×3, first 2 shown]
	v_cmp_lt_u32_e32 vcc_lo, 39, v122
	s_or_b32 s8, vcc_lo, s8
	s_waitcnt vmcnt(2) lgkmcnt(0)
	v_mul_f64 v[132:133], v[126:127], v[128:129]
	v_mul_f64 v[128:129], v[124:125], v[128:129]
	s_waitcnt vmcnt(0)
	v_fma_f64 v[124:125], v[124:125], v[130:131], -v[132:133]
	v_fma_f64 v[126:127], v[126:127], v[130:131], v[128:129]
	v_add_f64 v[1:2], v[1:2], v[124:125]
	v_add_f64 v[3:4], v[3:4], v[126:127]
	s_andn2_b32 exec_lo, exec_lo, s8
	s_cbranch_execnz .LBB119_764
; %bb.765:
	s_or_b32 exec_lo, exec_lo, s8
.LBB119_766:
	s_or_b32 exec_lo, exec_lo, s6
	v_mov_b32_e32 v120, 0
	ds_read_b128 v[124:127], v120 offset:656
	s_waitcnt lgkmcnt(0)
	v_mul_f64 v[120:121], v[3:4], v[126:127]
	v_mul_f64 v[126:127], v[1:2], v[126:127]
	v_fma_f64 v[1:2], v[1:2], v[124:125], -v[120:121]
	v_fma_f64 v[3:4], v[3:4], v[124:125], v[126:127]
	buffer_store_dword v2, off, s[0:3], 0 offset:660
	buffer_store_dword v1, off, s[0:3], 0 offset:656
	;; [unrolled: 1-line block ×4, first 2 shown]
.LBB119_767:
	s_or_b32 exec_lo, exec_lo, s4
	v_mov_b32_e32 v4, s21
	s_mov_b32 s4, exec_lo
	s_clause 0x3
	buffer_load_dword v1, v4, s[0:3], 0 offen
	buffer_load_dword v2, v4, s[0:3], 0 offen offset:4
	buffer_load_dword v3, v4, s[0:3], 0 offen offset:8
	buffer_load_dword v4, v4, s[0:3], 0 offen offset:12
	s_waitcnt vmcnt(0)
	ds_write_b128 v118, v[1:4]
	s_waitcnt lgkmcnt(0)
	s_waitcnt_vscnt null, 0x0
	s_barrier
	buffer_gl0_inv
	v_cmpx_gt_u32_e32 42, v0
	s_cbranch_execz .LBB119_775
; %bb.768:
	ds_read_b128 v[1:4], v118
	v_cmp_ne_u32_e32 vcc_lo, 1, v119
	s_cbranch_vccnz .LBB119_770
; %bb.769:
	s_clause 0x3
	buffer_load_dword v120, v117, s[0:3], 0 offen offset:8
	buffer_load_dword v121, v117, s[0:3], 0 offen offset:12
	buffer_load_dword v124, v117, s[0:3], 0 offen
	buffer_load_dword v125, v117, s[0:3], 0 offen offset:4
	s_waitcnt vmcnt(2) lgkmcnt(0)
	v_mul_f64 v[126:127], v[3:4], v[120:121]
	v_mul_f64 v[120:121], v[1:2], v[120:121]
	s_waitcnt vmcnt(0)
	v_fma_f64 v[1:2], v[1:2], v[124:125], -v[126:127]
	v_fma_f64 v[3:4], v[3:4], v[124:125], v[120:121]
.LBB119_770:
	s_mov_b32 s6, exec_lo
	v_cmpx_ne_u32_e32 41, v0
	s_cbranch_execz .LBB119_774
; %bb.771:
	v_add_nc_u32_e32 v120, 0x390, v123
	v_add3_u32 v121, 0, v123, 16
	v_mov_b32_e32 v122, v0
	s_mov_b32 s8, 0
	.p2align	6
.LBB119_772:                            ; =>This Inner Loop Header: Depth=1
	s_clause 0x3
	buffer_load_dword v128, v121, s[0:3], 0 offen offset:8
	buffer_load_dword v129, v121, s[0:3], 0 offen offset:12
	buffer_load_dword v130, v121, s[0:3], 0 offen
	buffer_load_dword v131, v121, s[0:3], 0 offen offset:4
	ds_read_b128 v[124:127], v120
	v_add_nc_u32_e32 v122, 1, v122
	v_add_nc_u32_e32 v120, 16, v120
	;; [unrolled: 1-line block ×3, first 2 shown]
	v_cmp_lt_u32_e32 vcc_lo, 40, v122
	s_or_b32 s8, vcc_lo, s8
	s_waitcnt vmcnt(2) lgkmcnt(0)
	v_mul_f64 v[132:133], v[126:127], v[128:129]
	v_mul_f64 v[128:129], v[124:125], v[128:129]
	s_waitcnt vmcnt(0)
	v_fma_f64 v[124:125], v[124:125], v[130:131], -v[132:133]
	v_fma_f64 v[126:127], v[126:127], v[130:131], v[128:129]
	v_add_f64 v[1:2], v[1:2], v[124:125]
	v_add_f64 v[3:4], v[3:4], v[126:127]
	s_andn2_b32 exec_lo, exec_lo, s8
	s_cbranch_execnz .LBB119_772
; %bb.773:
	s_or_b32 exec_lo, exec_lo, s8
.LBB119_774:
	s_or_b32 exec_lo, exec_lo, s6
	v_mov_b32_e32 v120, 0
	ds_read_b128 v[124:127], v120 offset:672
	s_waitcnt lgkmcnt(0)
	v_mul_f64 v[120:121], v[3:4], v[126:127]
	v_mul_f64 v[126:127], v[1:2], v[126:127]
	v_fma_f64 v[1:2], v[1:2], v[124:125], -v[120:121]
	v_fma_f64 v[3:4], v[3:4], v[124:125], v[126:127]
	buffer_store_dword v2, off, s[0:3], 0 offset:676
	buffer_store_dword v1, off, s[0:3], 0 offset:672
	buffer_store_dword v4, off, s[0:3], 0 offset:684
	buffer_store_dword v3, off, s[0:3], 0 offset:680
.LBB119_775:
	s_or_b32 exec_lo, exec_lo, s4
	v_mov_b32_e32 v4, s20
	s_mov_b32 s4, exec_lo
	s_clause 0x3
	buffer_load_dword v1, v4, s[0:3], 0 offen
	buffer_load_dword v2, v4, s[0:3], 0 offen offset:4
	buffer_load_dword v3, v4, s[0:3], 0 offen offset:8
	;; [unrolled: 1-line block ×3, first 2 shown]
	s_waitcnt vmcnt(0)
	ds_write_b128 v118, v[1:4]
	s_waitcnt lgkmcnt(0)
	s_waitcnt_vscnt null, 0x0
	s_barrier
	buffer_gl0_inv
	v_cmpx_gt_u32_e32 43, v0
	s_cbranch_execz .LBB119_783
; %bb.776:
	ds_read_b128 v[1:4], v118
	v_cmp_ne_u32_e32 vcc_lo, 1, v119
	s_cbranch_vccnz .LBB119_778
; %bb.777:
	s_clause 0x3
	buffer_load_dword v120, v117, s[0:3], 0 offen offset:8
	buffer_load_dword v121, v117, s[0:3], 0 offen offset:12
	buffer_load_dword v124, v117, s[0:3], 0 offen
	buffer_load_dword v125, v117, s[0:3], 0 offen offset:4
	s_waitcnt vmcnt(2) lgkmcnt(0)
	v_mul_f64 v[126:127], v[3:4], v[120:121]
	v_mul_f64 v[120:121], v[1:2], v[120:121]
	s_waitcnt vmcnt(0)
	v_fma_f64 v[1:2], v[1:2], v[124:125], -v[126:127]
	v_fma_f64 v[3:4], v[3:4], v[124:125], v[120:121]
.LBB119_778:
	s_mov_b32 s6, exec_lo
	v_cmpx_ne_u32_e32 42, v0
	s_cbranch_execz .LBB119_782
; %bb.779:
	v_add_nc_u32_e32 v120, 0x390, v123
	v_add3_u32 v121, 0, v123, 16
	v_mov_b32_e32 v122, v0
	s_mov_b32 s8, 0
	.p2align	6
.LBB119_780:                            ; =>This Inner Loop Header: Depth=1
	s_clause 0x3
	buffer_load_dword v128, v121, s[0:3], 0 offen offset:8
	buffer_load_dword v129, v121, s[0:3], 0 offen offset:12
	buffer_load_dword v130, v121, s[0:3], 0 offen
	buffer_load_dword v131, v121, s[0:3], 0 offen offset:4
	ds_read_b128 v[124:127], v120
	v_add_nc_u32_e32 v122, 1, v122
	v_add_nc_u32_e32 v120, 16, v120
	v_add_nc_u32_e32 v121, 16, v121
	v_cmp_lt_u32_e32 vcc_lo, 41, v122
	s_or_b32 s8, vcc_lo, s8
	s_waitcnt vmcnt(2) lgkmcnt(0)
	v_mul_f64 v[132:133], v[126:127], v[128:129]
	v_mul_f64 v[128:129], v[124:125], v[128:129]
	s_waitcnt vmcnt(0)
	v_fma_f64 v[124:125], v[124:125], v[130:131], -v[132:133]
	v_fma_f64 v[126:127], v[126:127], v[130:131], v[128:129]
	v_add_f64 v[1:2], v[1:2], v[124:125]
	v_add_f64 v[3:4], v[3:4], v[126:127]
	s_andn2_b32 exec_lo, exec_lo, s8
	s_cbranch_execnz .LBB119_780
; %bb.781:
	s_or_b32 exec_lo, exec_lo, s8
.LBB119_782:
	s_or_b32 exec_lo, exec_lo, s6
	v_mov_b32_e32 v120, 0
	ds_read_b128 v[124:127], v120 offset:688
	s_waitcnt lgkmcnt(0)
	v_mul_f64 v[120:121], v[3:4], v[126:127]
	v_mul_f64 v[126:127], v[1:2], v[126:127]
	v_fma_f64 v[1:2], v[1:2], v[124:125], -v[120:121]
	v_fma_f64 v[3:4], v[3:4], v[124:125], v[126:127]
	buffer_store_dword v2, off, s[0:3], 0 offset:692
	buffer_store_dword v1, off, s[0:3], 0 offset:688
	;; [unrolled: 1-line block ×4, first 2 shown]
.LBB119_783:
	s_or_b32 exec_lo, exec_lo, s4
	v_mov_b32_e32 v4, s19
	s_mov_b32 s4, exec_lo
	s_clause 0x3
	buffer_load_dword v1, v4, s[0:3], 0 offen
	buffer_load_dword v2, v4, s[0:3], 0 offen offset:4
	buffer_load_dword v3, v4, s[0:3], 0 offen offset:8
	;; [unrolled: 1-line block ×3, first 2 shown]
	s_waitcnt vmcnt(0)
	ds_write_b128 v118, v[1:4]
	s_waitcnt lgkmcnt(0)
	s_waitcnt_vscnt null, 0x0
	s_barrier
	buffer_gl0_inv
	v_cmpx_gt_u32_e32 44, v0
	s_cbranch_execz .LBB119_791
; %bb.784:
	ds_read_b128 v[1:4], v118
	v_cmp_ne_u32_e32 vcc_lo, 1, v119
	s_cbranch_vccnz .LBB119_786
; %bb.785:
	s_clause 0x3
	buffer_load_dword v120, v117, s[0:3], 0 offen offset:8
	buffer_load_dword v121, v117, s[0:3], 0 offen offset:12
	buffer_load_dword v124, v117, s[0:3], 0 offen
	buffer_load_dword v125, v117, s[0:3], 0 offen offset:4
	s_waitcnt vmcnt(2) lgkmcnt(0)
	v_mul_f64 v[126:127], v[3:4], v[120:121]
	v_mul_f64 v[120:121], v[1:2], v[120:121]
	s_waitcnt vmcnt(0)
	v_fma_f64 v[1:2], v[1:2], v[124:125], -v[126:127]
	v_fma_f64 v[3:4], v[3:4], v[124:125], v[120:121]
.LBB119_786:
	s_mov_b32 s6, exec_lo
	v_cmpx_ne_u32_e32 43, v0
	s_cbranch_execz .LBB119_790
; %bb.787:
	v_add_nc_u32_e32 v120, 0x390, v123
	v_add3_u32 v121, 0, v123, 16
	v_mov_b32_e32 v122, v0
	s_mov_b32 s8, 0
	.p2align	6
.LBB119_788:                            ; =>This Inner Loop Header: Depth=1
	s_clause 0x3
	buffer_load_dword v128, v121, s[0:3], 0 offen offset:8
	buffer_load_dword v129, v121, s[0:3], 0 offen offset:12
	buffer_load_dword v130, v121, s[0:3], 0 offen
	buffer_load_dword v131, v121, s[0:3], 0 offen offset:4
	ds_read_b128 v[124:127], v120
	v_add_nc_u32_e32 v122, 1, v122
	v_add_nc_u32_e32 v120, 16, v120
	;; [unrolled: 1-line block ×3, first 2 shown]
	v_cmp_lt_u32_e32 vcc_lo, 42, v122
	s_or_b32 s8, vcc_lo, s8
	s_waitcnt vmcnt(2) lgkmcnt(0)
	v_mul_f64 v[132:133], v[126:127], v[128:129]
	v_mul_f64 v[128:129], v[124:125], v[128:129]
	s_waitcnt vmcnt(0)
	v_fma_f64 v[124:125], v[124:125], v[130:131], -v[132:133]
	v_fma_f64 v[126:127], v[126:127], v[130:131], v[128:129]
	v_add_f64 v[1:2], v[1:2], v[124:125]
	v_add_f64 v[3:4], v[3:4], v[126:127]
	s_andn2_b32 exec_lo, exec_lo, s8
	s_cbranch_execnz .LBB119_788
; %bb.789:
	s_or_b32 exec_lo, exec_lo, s8
.LBB119_790:
	s_or_b32 exec_lo, exec_lo, s6
	v_mov_b32_e32 v120, 0
	ds_read_b128 v[124:127], v120 offset:704
	s_waitcnt lgkmcnt(0)
	v_mul_f64 v[120:121], v[3:4], v[126:127]
	v_mul_f64 v[126:127], v[1:2], v[126:127]
	v_fma_f64 v[1:2], v[1:2], v[124:125], -v[120:121]
	v_fma_f64 v[3:4], v[3:4], v[124:125], v[126:127]
	buffer_store_dword v2, off, s[0:3], 0 offset:708
	buffer_store_dword v1, off, s[0:3], 0 offset:704
	;; [unrolled: 1-line block ×4, first 2 shown]
.LBB119_791:
	s_or_b32 exec_lo, exec_lo, s4
	v_mov_b32_e32 v4, s18
	s_mov_b32 s4, exec_lo
	s_clause 0x3
	buffer_load_dword v1, v4, s[0:3], 0 offen
	buffer_load_dword v2, v4, s[0:3], 0 offen offset:4
	buffer_load_dword v3, v4, s[0:3], 0 offen offset:8
	;; [unrolled: 1-line block ×3, first 2 shown]
	s_waitcnt vmcnt(0)
	ds_write_b128 v118, v[1:4]
	s_waitcnt lgkmcnt(0)
	s_waitcnt_vscnt null, 0x0
	s_barrier
	buffer_gl0_inv
	v_cmpx_gt_u32_e32 45, v0
	s_cbranch_execz .LBB119_799
; %bb.792:
	ds_read_b128 v[1:4], v118
	v_cmp_ne_u32_e32 vcc_lo, 1, v119
	s_cbranch_vccnz .LBB119_794
; %bb.793:
	s_clause 0x3
	buffer_load_dword v120, v117, s[0:3], 0 offen offset:8
	buffer_load_dword v121, v117, s[0:3], 0 offen offset:12
	buffer_load_dword v124, v117, s[0:3], 0 offen
	buffer_load_dword v125, v117, s[0:3], 0 offen offset:4
	s_waitcnt vmcnt(2) lgkmcnt(0)
	v_mul_f64 v[126:127], v[3:4], v[120:121]
	v_mul_f64 v[120:121], v[1:2], v[120:121]
	s_waitcnt vmcnt(0)
	v_fma_f64 v[1:2], v[1:2], v[124:125], -v[126:127]
	v_fma_f64 v[3:4], v[3:4], v[124:125], v[120:121]
.LBB119_794:
	s_mov_b32 s6, exec_lo
	v_cmpx_ne_u32_e32 44, v0
	s_cbranch_execz .LBB119_798
; %bb.795:
	v_add_nc_u32_e32 v120, 0x390, v123
	v_add3_u32 v121, 0, v123, 16
	v_mov_b32_e32 v122, v0
	s_mov_b32 s8, 0
	.p2align	6
.LBB119_796:                            ; =>This Inner Loop Header: Depth=1
	s_clause 0x3
	buffer_load_dword v128, v121, s[0:3], 0 offen offset:8
	buffer_load_dword v129, v121, s[0:3], 0 offen offset:12
	buffer_load_dword v130, v121, s[0:3], 0 offen
	buffer_load_dword v131, v121, s[0:3], 0 offen offset:4
	ds_read_b128 v[124:127], v120
	v_add_nc_u32_e32 v122, 1, v122
	v_add_nc_u32_e32 v120, 16, v120
	;; [unrolled: 1-line block ×3, first 2 shown]
	v_cmp_lt_u32_e32 vcc_lo, 43, v122
	s_or_b32 s8, vcc_lo, s8
	s_waitcnt vmcnt(2) lgkmcnt(0)
	v_mul_f64 v[132:133], v[126:127], v[128:129]
	v_mul_f64 v[128:129], v[124:125], v[128:129]
	s_waitcnt vmcnt(0)
	v_fma_f64 v[124:125], v[124:125], v[130:131], -v[132:133]
	v_fma_f64 v[126:127], v[126:127], v[130:131], v[128:129]
	v_add_f64 v[1:2], v[1:2], v[124:125]
	v_add_f64 v[3:4], v[3:4], v[126:127]
	s_andn2_b32 exec_lo, exec_lo, s8
	s_cbranch_execnz .LBB119_796
; %bb.797:
	s_or_b32 exec_lo, exec_lo, s8
.LBB119_798:
	s_or_b32 exec_lo, exec_lo, s6
	v_mov_b32_e32 v120, 0
	ds_read_b128 v[124:127], v120 offset:720
	s_waitcnt lgkmcnt(0)
	v_mul_f64 v[120:121], v[3:4], v[126:127]
	v_mul_f64 v[126:127], v[1:2], v[126:127]
	v_fma_f64 v[1:2], v[1:2], v[124:125], -v[120:121]
	v_fma_f64 v[3:4], v[3:4], v[124:125], v[126:127]
	buffer_store_dword v2, off, s[0:3], 0 offset:724
	buffer_store_dword v1, off, s[0:3], 0 offset:720
	buffer_store_dword v4, off, s[0:3], 0 offset:732
	buffer_store_dword v3, off, s[0:3], 0 offset:728
.LBB119_799:
	s_or_b32 exec_lo, exec_lo, s4
	v_mov_b32_e32 v4, s17
	s_mov_b32 s4, exec_lo
	s_clause 0x3
	buffer_load_dword v1, v4, s[0:3], 0 offen
	buffer_load_dword v2, v4, s[0:3], 0 offen offset:4
	buffer_load_dword v3, v4, s[0:3], 0 offen offset:8
	buffer_load_dword v4, v4, s[0:3], 0 offen offset:12
	s_waitcnt vmcnt(0)
	ds_write_b128 v118, v[1:4]
	s_waitcnt lgkmcnt(0)
	s_waitcnt_vscnt null, 0x0
	s_barrier
	buffer_gl0_inv
	v_cmpx_gt_u32_e32 46, v0
	s_cbranch_execz .LBB119_807
; %bb.800:
	ds_read_b128 v[1:4], v118
	v_cmp_ne_u32_e32 vcc_lo, 1, v119
	s_cbranch_vccnz .LBB119_802
; %bb.801:
	s_clause 0x3
	buffer_load_dword v120, v117, s[0:3], 0 offen offset:8
	buffer_load_dword v121, v117, s[0:3], 0 offen offset:12
	buffer_load_dword v124, v117, s[0:3], 0 offen
	buffer_load_dword v125, v117, s[0:3], 0 offen offset:4
	s_waitcnt vmcnt(2) lgkmcnt(0)
	v_mul_f64 v[126:127], v[3:4], v[120:121]
	v_mul_f64 v[120:121], v[1:2], v[120:121]
	s_waitcnt vmcnt(0)
	v_fma_f64 v[1:2], v[1:2], v[124:125], -v[126:127]
	v_fma_f64 v[3:4], v[3:4], v[124:125], v[120:121]
.LBB119_802:
	s_mov_b32 s6, exec_lo
	v_cmpx_ne_u32_e32 45, v0
	s_cbranch_execz .LBB119_806
; %bb.803:
	v_add_nc_u32_e32 v120, 0x390, v123
	v_add3_u32 v121, 0, v123, 16
	v_mov_b32_e32 v122, v0
	s_mov_b32 s8, 0
	.p2align	6
.LBB119_804:                            ; =>This Inner Loop Header: Depth=1
	s_clause 0x3
	buffer_load_dword v128, v121, s[0:3], 0 offen offset:8
	buffer_load_dword v129, v121, s[0:3], 0 offen offset:12
	buffer_load_dword v130, v121, s[0:3], 0 offen
	buffer_load_dword v131, v121, s[0:3], 0 offen offset:4
	ds_read_b128 v[124:127], v120
	v_add_nc_u32_e32 v122, 1, v122
	v_add_nc_u32_e32 v120, 16, v120
	;; [unrolled: 1-line block ×3, first 2 shown]
	v_cmp_lt_u32_e32 vcc_lo, 44, v122
	s_or_b32 s8, vcc_lo, s8
	s_waitcnt vmcnt(2) lgkmcnt(0)
	v_mul_f64 v[132:133], v[126:127], v[128:129]
	v_mul_f64 v[128:129], v[124:125], v[128:129]
	s_waitcnt vmcnt(0)
	v_fma_f64 v[124:125], v[124:125], v[130:131], -v[132:133]
	v_fma_f64 v[126:127], v[126:127], v[130:131], v[128:129]
	v_add_f64 v[1:2], v[1:2], v[124:125]
	v_add_f64 v[3:4], v[3:4], v[126:127]
	s_andn2_b32 exec_lo, exec_lo, s8
	s_cbranch_execnz .LBB119_804
; %bb.805:
	s_or_b32 exec_lo, exec_lo, s8
.LBB119_806:
	s_or_b32 exec_lo, exec_lo, s6
	v_mov_b32_e32 v120, 0
	ds_read_b128 v[124:127], v120 offset:736
	s_waitcnt lgkmcnt(0)
	v_mul_f64 v[120:121], v[3:4], v[126:127]
	v_mul_f64 v[126:127], v[1:2], v[126:127]
	v_fma_f64 v[1:2], v[1:2], v[124:125], -v[120:121]
	v_fma_f64 v[3:4], v[3:4], v[124:125], v[126:127]
	buffer_store_dword v2, off, s[0:3], 0 offset:740
	buffer_store_dword v1, off, s[0:3], 0 offset:736
	;; [unrolled: 1-line block ×4, first 2 shown]
.LBB119_807:
	s_or_b32 exec_lo, exec_lo, s4
	v_mov_b32_e32 v4, s16
	s_mov_b32 s4, exec_lo
	s_clause 0x3
	buffer_load_dword v1, v4, s[0:3], 0 offen
	buffer_load_dword v2, v4, s[0:3], 0 offen offset:4
	buffer_load_dword v3, v4, s[0:3], 0 offen offset:8
	;; [unrolled: 1-line block ×3, first 2 shown]
	s_waitcnt vmcnt(0)
	ds_write_b128 v118, v[1:4]
	s_waitcnt lgkmcnt(0)
	s_waitcnt_vscnt null, 0x0
	s_barrier
	buffer_gl0_inv
	v_cmpx_gt_u32_e32 47, v0
	s_cbranch_execz .LBB119_815
; %bb.808:
	ds_read_b128 v[1:4], v118
	v_cmp_ne_u32_e32 vcc_lo, 1, v119
	s_cbranch_vccnz .LBB119_810
; %bb.809:
	s_clause 0x3
	buffer_load_dword v120, v117, s[0:3], 0 offen offset:8
	buffer_load_dword v121, v117, s[0:3], 0 offen offset:12
	buffer_load_dword v124, v117, s[0:3], 0 offen
	buffer_load_dword v125, v117, s[0:3], 0 offen offset:4
	s_waitcnt vmcnt(2) lgkmcnt(0)
	v_mul_f64 v[126:127], v[3:4], v[120:121]
	v_mul_f64 v[120:121], v[1:2], v[120:121]
	s_waitcnt vmcnt(0)
	v_fma_f64 v[1:2], v[1:2], v[124:125], -v[126:127]
	v_fma_f64 v[3:4], v[3:4], v[124:125], v[120:121]
.LBB119_810:
	s_mov_b32 s6, exec_lo
	v_cmpx_ne_u32_e32 46, v0
	s_cbranch_execz .LBB119_814
; %bb.811:
	v_add_nc_u32_e32 v120, 0x390, v123
	v_add3_u32 v121, 0, v123, 16
	v_mov_b32_e32 v122, v0
	s_mov_b32 s8, 0
	.p2align	6
.LBB119_812:                            ; =>This Inner Loop Header: Depth=1
	s_clause 0x3
	buffer_load_dword v128, v121, s[0:3], 0 offen offset:8
	buffer_load_dword v129, v121, s[0:3], 0 offen offset:12
	buffer_load_dword v130, v121, s[0:3], 0 offen
	buffer_load_dword v131, v121, s[0:3], 0 offen offset:4
	ds_read_b128 v[124:127], v120
	v_add_nc_u32_e32 v122, 1, v122
	v_add_nc_u32_e32 v120, 16, v120
	;; [unrolled: 1-line block ×3, first 2 shown]
	v_cmp_lt_u32_e32 vcc_lo, 45, v122
	s_or_b32 s8, vcc_lo, s8
	s_waitcnt vmcnt(2) lgkmcnt(0)
	v_mul_f64 v[132:133], v[126:127], v[128:129]
	v_mul_f64 v[128:129], v[124:125], v[128:129]
	s_waitcnt vmcnt(0)
	v_fma_f64 v[124:125], v[124:125], v[130:131], -v[132:133]
	v_fma_f64 v[126:127], v[126:127], v[130:131], v[128:129]
	v_add_f64 v[1:2], v[1:2], v[124:125]
	v_add_f64 v[3:4], v[3:4], v[126:127]
	s_andn2_b32 exec_lo, exec_lo, s8
	s_cbranch_execnz .LBB119_812
; %bb.813:
	s_or_b32 exec_lo, exec_lo, s8
.LBB119_814:
	s_or_b32 exec_lo, exec_lo, s6
	v_mov_b32_e32 v120, 0
	ds_read_b128 v[124:127], v120 offset:752
	s_waitcnt lgkmcnt(0)
	v_mul_f64 v[120:121], v[3:4], v[126:127]
	v_mul_f64 v[126:127], v[1:2], v[126:127]
	v_fma_f64 v[1:2], v[1:2], v[124:125], -v[120:121]
	v_fma_f64 v[3:4], v[3:4], v[124:125], v[126:127]
	buffer_store_dword v2, off, s[0:3], 0 offset:756
	buffer_store_dword v1, off, s[0:3], 0 offset:752
	;; [unrolled: 1-line block ×4, first 2 shown]
.LBB119_815:
	s_or_b32 exec_lo, exec_lo, s4
	v_mov_b32_e32 v4, s15
	s_mov_b32 s4, exec_lo
	s_clause 0x3
	buffer_load_dword v1, v4, s[0:3], 0 offen
	buffer_load_dword v2, v4, s[0:3], 0 offen offset:4
	buffer_load_dword v3, v4, s[0:3], 0 offen offset:8
	;; [unrolled: 1-line block ×3, first 2 shown]
	s_waitcnt vmcnt(0)
	ds_write_b128 v118, v[1:4]
	s_waitcnt lgkmcnt(0)
	s_waitcnt_vscnt null, 0x0
	s_barrier
	buffer_gl0_inv
	v_cmpx_gt_u32_e32 48, v0
	s_cbranch_execz .LBB119_823
; %bb.816:
	ds_read_b128 v[1:4], v118
	v_cmp_ne_u32_e32 vcc_lo, 1, v119
	s_cbranch_vccnz .LBB119_818
; %bb.817:
	s_clause 0x3
	buffer_load_dword v120, v117, s[0:3], 0 offen offset:8
	buffer_load_dword v121, v117, s[0:3], 0 offen offset:12
	buffer_load_dword v124, v117, s[0:3], 0 offen
	buffer_load_dword v125, v117, s[0:3], 0 offen offset:4
	s_waitcnt vmcnt(2) lgkmcnt(0)
	v_mul_f64 v[126:127], v[3:4], v[120:121]
	v_mul_f64 v[120:121], v[1:2], v[120:121]
	s_waitcnt vmcnt(0)
	v_fma_f64 v[1:2], v[1:2], v[124:125], -v[126:127]
	v_fma_f64 v[3:4], v[3:4], v[124:125], v[120:121]
.LBB119_818:
	s_mov_b32 s6, exec_lo
	v_cmpx_ne_u32_e32 47, v0
	s_cbranch_execz .LBB119_822
; %bb.819:
	v_add_nc_u32_e32 v120, 0x390, v123
	v_add3_u32 v121, 0, v123, 16
	v_mov_b32_e32 v122, v0
	s_mov_b32 s8, 0
	.p2align	6
.LBB119_820:                            ; =>This Inner Loop Header: Depth=1
	s_clause 0x3
	buffer_load_dword v128, v121, s[0:3], 0 offen offset:8
	buffer_load_dword v129, v121, s[0:3], 0 offen offset:12
	buffer_load_dword v130, v121, s[0:3], 0 offen
	buffer_load_dword v131, v121, s[0:3], 0 offen offset:4
	ds_read_b128 v[124:127], v120
	v_add_nc_u32_e32 v122, 1, v122
	v_add_nc_u32_e32 v120, 16, v120
	;; [unrolled: 1-line block ×3, first 2 shown]
	v_cmp_lt_u32_e32 vcc_lo, 46, v122
	s_or_b32 s8, vcc_lo, s8
	s_waitcnt vmcnt(2) lgkmcnt(0)
	v_mul_f64 v[132:133], v[126:127], v[128:129]
	v_mul_f64 v[128:129], v[124:125], v[128:129]
	s_waitcnt vmcnt(0)
	v_fma_f64 v[124:125], v[124:125], v[130:131], -v[132:133]
	v_fma_f64 v[126:127], v[126:127], v[130:131], v[128:129]
	v_add_f64 v[1:2], v[1:2], v[124:125]
	v_add_f64 v[3:4], v[3:4], v[126:127]
	s_andn2_b32 exec_lo, exec_lo, s8
	s_cbranch_execnz .LBB119_820
; %bb.821:
	s_or_b32 exec_lo, exec_lo, s8
.LBB119_822:
	s_or_b32 exec_lo, exec_lo, s6
	v_mov_b32_e32 v120, 0
	ds_read_b128 v[124:127], v120 offset:768
	s_waitcnt lgkmcnt(0)
	v_mul_f64 v[120:121], v[3:4], v[126:127]
	v_mul_f64 v[126:127], v[1:2], v[126:127]
	v_fma_f64 v[1:2], v[1:2], v[124:125], -v[120:121]
	v_fma_f64 v[3:4], v[3:4], v[124:125], v[126:127]
	buffer_store_dword v2, off, s[0:3], 0 offset:772
	buffer_store_dword v1, off, s[0:3], 0 offset:768
	;; [unrolled: 1-line block ×4, first 2 shown]
.LBB119_823:
	s_or_b32 exec_lo, exec_lo, s4
	v_mov_b32_e32 v4, s14
	s_mov_b32 s4, exec_lo
	s_clause 0x3
	buffer_load_dword v1, v4, s[0:3], 0 offen
	buffer_load_dword v2, v4, s[0:3], 0 offen offset:4
	buffer_load_dword v3, v4, s[0:3], 0 offen offset:8
	;; [unrolled: 1-line block ×3, first 2 shown]
	s_waitcnt vmcnt(0)
	ds_write_b128 v118, v[1:4]
	s_waitcnt lgkmcnt(0)
	s_waitcnt_vscnt null, 0x0
	s_barrier
	buffer_gl0_inv
	v_cmpx_gt_u32_e32 49, v0
	s_cbranch_execz .LBB119_831
; %bb.824:
	ds_read_b128 v[1:4], v118
	v_cmp_ne_u32_e32 vcc_lo, 1, v119
	s_cbranch_vccnz .LBB119_826
; %bb.825:
	s_clause 0x3
	buffer_load_dword v120, v117, s[0:3], 0 offen offset:8
	buffer_load_dword v121, v117, s[0:3], 0 offen offset:12
	buffer_load_dword v124, v117, s[0:3], 0 offen
	buffer_load_dword v125, v117, s[0:3], 0 offen offset:4
	s_waitcnt vmcnt(2) lgkmcnt(0)
	v_mul_f64 v[126:127], v[3:4], v[120:121]
	v_mul_f64 v[120:121], v[1:2], v[120:121]
	s_waitcnt vmcnt(0)
	v_fma_f64 v[1:2], v[1:2], v[124:125], -v[126:127]
	v_fma_f64 v[3:4], v[3:4], v[124:125], v[120:121]
.LBB119_826:
	s_mov_b32 s6, exec_lo
	v_cmpx_ne_u32_e32 48, v0
	s_cbranch_execz .LBB119_830
; %bb.827:
	v_add_nc_u32_e32 v120, 0x390, v123
	v_add3_u32 v121, 0, v123, 16
	v_mov_b32_e32 v122, v0
	s_mov_b32 s8, 0
	.p2align	6
.LBB119_828:                            ; =>This Inner Loop Header: Depth=1
	s_clause 0x3
	buffer_load_dword v128, v121, s[0:3], 0 offen offset:8
	buffer_load_dword v129, v121, s[0:3], 0 offen offset:12
	buffer_load_dword v130, v121, s[0:3], 0 offen
	buffer_load_dword v131, v121, s[0:3], 0 offen offset:4
	ds_read_b128 v[124:127], v120
	v_add_nc_u32_e32 v122, 1, v122
	v_add_nc_u32_e32 v120, 16, v120
	;; [unrolled: 1-line block ×3, first 2 shown]
	v_cmp_lt_u32_e32 vcc_lo, 47, v122
	s_or_b32 s8, vcc_lo, s8
	s_waitcnt vmcnt(2) lgkmcnt(0)
	v_mul_f64 v[132:133], v[126:127], v[128:129]
	v_mul_f64 v[128:129], v[124:125], v[128:129]
	s_waitcnt vmcnt(0)
	v_fma_f64 v[124:125], v[124:125], v[130:131], -v[132:133]
	v_fma_f64 v[126:127], v[126:127], v[130:131], v[128:129]
	v_add_f64 v[1:2], v[1:2], v[124:125]
	v_add_f64 v[3:4], v[3:4], v[126:127]
	s_andn2_b32 exec_lo, exec_lo, s8
	s_cbranch_execnz .LBB119_828
; %bb.829:
	s_or_b32 exec_lo, exec_lo, s8
.LBB119_830:
	s_or_b32 exec_lo, exec_lo, s6
	v_mov_b32_e32 v120, 0
	ds_read_b128 v[124:127], v120 offset:784
	s_waitcnt lgkmcnt(0)
	v_mul_f64 v[120:121], v[3:4], v[126:127]
	v_mul_f64 v[126:127], v[1:2], v[126:127]
	v_fma_f64 v[1:2], v[1:2], v[124:125], -v[120:121]
	v_fma_f64 v[3:4], v[3:4], v[124:125], v[126:127]
	buffer_store_dword v2, off, s[0:3], 0 offset:788
	buffer_store_dword v1, off, s[0:3], 0 offset:784
	buffer_store_dword v4, off, s[0:3], 0 offset:796
	buffer_store_dword v3, off, s[0:3], 0 offset:792
.LBB119_831:
	s_or_b32 exec_lo, exec_lo, s4
	v_mov_b32_e32 v4, s13
	s_mov_b32 s4, exec_lo
	s_clause 0x3
	buffer_load_dword v1, v4, s[0:3], 0 offen
	buffer_load_dword v2, v4, s[0:3], 0 offen offset:4
	buffer_load_dword v3, v4, s[0:3], 0 offen offset:8
	;; [unrolled: 1-line block ×3, first 2 shown]
	s_waitcnt vmcnt(0)
	ds_write_b128 v118, v[1:4]
	s_waitcnt lgkmcnt(0)
	s_waitcnt_vscnt null, 0x0
	s_barrier
	buffer_gl0_inv
	v_cmpx_gt_u32_e32 50, v0
	s_cbranch_execz .LBB119_839
; %bb.832:
	ds_read_b128 v[1:4], v118
	v_cmp_ne_u32_e32 vcc_lo, 1, v119
	s_cbranch_vccnz .LBB119_834
; %bb.833:
	s_clause 0x3
	buffer_load_dword v120, v117, s[0:3], 0 offen offset:8
	buffer_load_dword v121, v117, s[0:3], 0 offen offset:12
	buffer_load_dword v124, v117, s[0:3], 0 offen
	buffer_load_dword v125, v117, s[0:3], 0 offen offset:4
	s_waitcnt vmcnt(2) lgkmcnt(0)
	v_mul_f64 v[126:127], v[3:4], v[120:121]
	v_mul_f64 v[120:121], v[1:2], v[120:121]
	s_waitcnt vmcnt(0)
	v_fma_f64 v[1:2], v[1:2], v[124:125], -v[126:127]
	v_fma_f64 v[3:4], v[3:4], v[124:125], v[120:121]
.LBB119_834:
	s_mov_b32 s6, exec_lo
	v_cmpx_ne_u32_e32 49, v0
	s_cbranch_execz .LBB119_838
; %bb.835:
	v_add_nc_u32_e32 v120, 0x390, v123
	v_add3_u32 v121, 0, v123, 16
	v_mov_b32_e32 v122, v0
	s_mov_b32 s8, 0
	.p2align	6
.LBB119_836:                            ; =>This Inner Loop Header: Depth=1
	s_clause 0x3
	buffer_load_dword v128, v121, s[0:3], 0 offen offset:8
	buffer_load_dword v129, v121, s[0:3], 0 offen offset:12
	buffer_load_dword v130, v121, s[0:3], 0 offen
	buffer_load_dword v131, v121, s[0:3], 0 offen offset:4
	ds_read_b128 v[124:127], v120
	v_add_nc_u32_e32 v122, 1, v122
	v_add_nc_u32_e32 v120, 16, v120
	;; [unrolled: 1-line block ×3, first 2 shown]
	v_cmp_lt_u32_e32 vcc_lo, 48, v122
	s_or_b32 s8, vcc_lo, s8
	s_waitcnt vmcnt(2) lgkmcnt(0)
	v_mul_f64 v[132:133], v[126:127], v[128:129]
	v_mul_f64 v[128:129], v[124:125], v[128:129]
	s_waitcnt vmcnt(0)
	v_fma_f64 v[124:125], v[124:125], v[130:131], -v[132:133]
	v_fma_f64 v[126:127], v[126:127], v[130:131], v[128:129]
	v_add_f64 v[1:2], v[1:2], v[124:125]
	v_add_f64 v[3:4], v[3:4], v[126:127]
	s_andn2_b32 exec_lo, exec_lo, s8
	s_cbranch_execnz .LBB119_836
; %bb.837:
	s_or_b32 exec_lo, exec_lo, s8
.LBB119_838:
	s_or_b32 exec_lo, exec_lo, s6
	v_mov_b32_e32 v120, 0
	ds_read_b128 v[124:127], v120 offset:800
	s_waitcnt lgkmcnt(0)
	v_mul_f64 v[120:121], v[3:4], v[126:127]
	v_mul_f64 v[126:127], v[1:2], v[126:127]
	v_fma_f64 v[1:2], v[1:2], v[124:125], -v[120:121]
	v_fma_f64 v[3:4], v[3:4], v[124:125], v[126:127]
	buffer_store_dword v2, off, s[0:3], 0 offset:804
	buffer_store_dword v1, off, s[0:3], 0 offset:800
	;; [unrolled: 1-line block ×4, first 2 shown]
.LBB119_839:
	s_or_b32 exec_lo, exec_lo, s4
	v_mov_b32_e32 v4, s12
	s_mov_b32 s4, exec_lo
	s_clause 0x3
	buffer_load_dword v1, v4, s[0:3], 0 offen
	buffer_load_dword v2, v4, s[0:3], 0 offen offset:4
	buffer_load_dword v3, v4, s[0:3], 0 offen offset:8
	;; [unrolled: 1-line block ×3, first 2 shown]
	s_waitcnt vmcnt(0)
	ds_write_b128 v118, v[1:4]
	s_waitcnt lgkmcnt(0)
	s_waitcnt_vscnt null, 0x0
	s_barrier
	buffer_gl0_inv
	v_cmpx_gt_u32_e32 51, v0
	s_cbranch_execz .LBB119_847
; %bb.840:
	ds_read_b128 v[1:4], v118
	v_cmp_ne_u32_e32 vcc_lo, 1, v119
	s_cbranch_vccnz .LBB119_842
; %bb.841:
	s_clause 0x3
	buffer_load_dword v120, v117, s[0:3], 0 offen offset:8
	buffer_load_dword v121, v117, s[0:3], 0 offen offset:12
	buffer_load_dword v124, v117, s[0:3], 0 offen
	buffer_load_dword v125, v117, s[0:3], 0 offen offset:4
	s_waitcnt vmcnt(2) lgkmcnt(0)
	v_mul_f64 v[126:127], v[3:4], v[120:121]
	v_mul_f64 v[120:121], v[1:2], v[120:121]
	s_waitcnt vmcnt(0)
	v_fma_f64 v[1:2], v[1:2], v[124:125], -v[126:127]
	v_fma_f64 v[3:4], v[3:4], v[124:125], v[120:121]
.LBB119_842:
	s_mov_b32 s6, exec_lo
	v_cmpx_ne_u32_e32 50, v0
	s_cbranch_execz .LBB119_846
; %bb.843:
	v_add_nc_u32_e32 v120, 0x390, v123
	v_add3_u32 v121, 0, v123, 16
	v_mov_b32_e32 v122, v0
	s_mov_b32 s8, 0
	.p2align	6
.LBB119_844:                            ; =>This Inner Loop Header: Depth=1
	s_clause 0x3
	buffer_load_dword v128, v121, s[0:3], 0 offen offset:8
	buffer_load_dword v129, v121, s[0:3], 0 offen offset:12
	buffer_load_dword v130, v121, s[0:3], 0 offen
	buffer_load_dword v131, v121, s[0:3], 0 offen offset:4
	ds_read_b128 v[124:127], v120
	v_add_nc_u32_e32 v122, 1, v122
	v_add_nc_u32_e32 v120, 16, v120
	;; [unrolled: 1-line block ×3, first 2 shown]
	v_cmp_lt_u32_e32 vcc_lo, 49, v122
	s_or_b32 s8, vcc_lo, s8
	s_waitcnt vmcnt(2) lgkmcnt(0)
	v_mul_f64 v[132:133], v[126:127], v[128:129]
	v_mul_f64 v[128:129], v[124:125], v[128:129]
	s_waitcnt vmcnt(0)
	v_fma_f64 v[124:125], v[124:125], v[130:131], -v[132:133]
	v_fma_f64 v[126:127], v[126:127], v[130:131], v[128:129]
	v_add_f64 v[1:2], v[1:2], v[124:125]
	v_add_f64 v[3:4], v[3:4], v[126:127]
	s_andn2_b32 exec_lo, exec_lo, s8
	s_cbranch_execnz .LBB119_844
; %bb.845:
	s_or_b32 exec_lo, exec_lo, s8
.LBB119_846:
	s_or_b32 exec_lo, exec_lo, s6
	v_mov_b32_e32 v120, 0
	ds_read_b128 v[124:127], v120 offset:816
	s_waitcnt lgkmcnt(0)
	v_mul_f64 v[120:121], v[3:4], v[126:127]
	v_mul_f64 v[126:127], v[1:2], v[126:127]
	v_fma_f64 v[1:2], v[1:2], v[124:125], -v[120:121]
	v_fma_f64 v[3:4], v[3:4], v[124:125], v[126:127]
	buffer_store_dword v2, off, s[0:3], 0 offset:820
	buffer_store_dword v1, off, s[0:3], 0 offset:816
	buffer_store_dword v4, off, s[0:3], 0 offset:828
	buffer_store_dword v3, off, s[0:3], 0 offset:824
.LBB119_847:
	s_or_b32 exec_lo, exec_lo, s4
	v_mov_b32_e32 v4, s11
	s_mov_b32 s4, exec_lo
	s_clause 0x3
	buffer_load_dword v1, v4, s[0:3], 0 offen
	buffer_load_dword v2, v4, s[0:3], 0 offen offset:4
	buffer_load_dword v3, v4, s[0:3], 0 offen offset:8
	;; [unrolled: 1-line block ×3, first 2 shown]
	s_waitcnt vmcnt(0)
	ds_write_b128 v118, v[1:4]
	s_waitcnt lgkmcnt(0)
	s_waitcnt_vscnt null, 0x0
	s_barrier
	buffer_gl0_inv
	v_cmpx_gt_u32_e32 52, v0
	s_cbranch_execz .LBB119_855
; %bb.848:
	ds_read_b128 v[1:4], v118
	v_cmp_ne_u32_e32 vcc_lo, 1, v119
	s_cbranch_vccnz .LBB119_850
; %bb.849:
	s_clause 0x3
	buffer_load_dword v120, v117, s[0:3], 0 offen offset:8
	buffer_load_dword v121, v117, s[0:3], 0 offen offset:12
	buffer_load_dword v124, v117, s[0:3], 0 offen
	buffer_load_dword v125, v117, s[0:3], 0 offen offset:4
	s_waitcnt vmcnt(2) lgkmcnt(0)
	v_mul_f64 v[126:127], v[3:4], v[120:121]
	v_mul_f64 v[120:121], v[1:2], v[120:121]
	s_waitcnt vmcnt(0)
	v_fma_f64 v[1:2], v[1:2], v[124:125], -v[126:127]
	v_fma_f64 v[3:4], v[3:4], v[124:125], v[120:121]
.LBB119_850:
	s_mov_b32 s6, exec_lo
	v_cmpx_ne_u32_e32 51, v0
	s_cbranch_execz .LBB119_854
; %bb.851:
	v_add_nc_u32_e32 v120, 0x390, v123
	v_add3_u32 v121, 0, v123, 16
	v_mov_b32_e32 v122, v0
	s_mov_b32 s8, 0
	.p2align	6
.LBB119_852:                            ; =>This Inner Loop Header: Depth=1
	s_clause 0x3
	buffer_load_dword v128, v121, s[0:3], 0 offen offset:8
	buffer_load_dword v129, v121, s[0:3], 0 offen offset:12
	buffer_load_dword v130, v121, s[0:3], 0 offen
	buffer_load_dword v131, v121, s[0:3], 0 offen offset:4
	ds_read_b128 v[124:127], v120
	v_add_nc_u32_e32 v122, 1, v122
	v_add_nc_u32_e32 v120, 16, v120
	;; [unrolled: 1-line block ×3, first 2 shown]
	v_cmp_lt_u32_e32 vcc_lo, 50, v122
	s_or_b32 s8, vcc_lo, s8
	s_waitcnt vmcnt(2) lgkmcnt(0)
	v_mul_f64 v[132:133], v[126:127], v[128:129]
	v_mul_f64 v[128:129], v[124:125], v[128:129]
	s_waitcnt vmcnt(0)
	v_fma_f64 v[124:125], v[124:125], v[130:131], -v[132:133]
	v_fma_f64 v[126:127], v[126:127], v[130:131], v[128:129]
	v_add_f64 v[1:2], v[1:2], v[124:125]
	v_add_f64 v[3:4], v[3:4], v[126:127]
	s_andn2_b32 exec_lo, exec_lo, s8
	s_cbranch_execnz .LBB119_852
; %bb.853:
	s_or_b32 exec_lo, exec_lo, s8
.LBB119_854:
	s_or_b32 exec_lo, exec_lo, s6
	v_mov_b32_e32 v120, 0
	ds_read_b128 v[124:127], v120 offset:832
	s_waitcnt lgkmcnt(0)
	v_mul_f64 v[120:121], v[3:4], v[126:127]
	v_mul_f64 v[126:127], v[1:2], v[126:127]
	v_fma_f64 v[1:2], v[1:2], v[124:125], -v[120:121]
	v_fma_f64 v[3:4], v[3:4], v[124:125], v[126:127]
	buffer_store_dword v2, off, s[0:3], 0 offset:836
	buffer_store_dword v1, off, s[0:3], 0 offset:832
	;; [unrolled: 1-line block ×4, first 2 shown]
.LBB119_855:
	s_or_b32 exec_lo, exec_lo, s4
	v_mov_b32_e32 v4, s10
	s_mov_b32 s4, exec_lo
	s_clause 0x3
	buffer_load_dword v1, v4, s[0:3], 0 offen
	buffer_load_dword v2, v4, s[0:3], 0 offen offset:4
	buffer_load_dword v3, v4, s[0:3], 0 offen offset:8
	;; [unrolled: 1-line block ×3, first 2 shown]
	s_waitcnt vmcnt(0)
	ds_write_b128 v118, v[1:4]
	s_waitcnt lgkmcnt(0)
	s_waitcnt_vscnt null, 0x0
	s_barrier
	buffer_gl0_inv
	v_cmpx_gt_u32_e32 53, v0
	s_cbranch_execz .LBB119_863
; %bb.856:
	ds_read_b128 v[1:4], v118
	v_cmp_ne_u32_e32 vcc_lo, 1, v119
	s_cbranch_vccnz .LBB119_858
; %bb.857:
	s_clause 0x3
	buffer_load_dword v120, v117, s[0:3], 0 offen offset:8
	buffer_load_dword v121, v117, s[0:3], 0 offen offset:12
	buffer_load_dword v124, v117, s[0:3], 0 offen
	buffer_load_dword v125, v117, s[0:3], 0 offen offset:4
	s_waitcnt vmcnt(2) lgkmcnt(0)
	v_mul_f64 v[126:127], v[3:4], v[120:121]
	v_mul_f64 v[120:121], v[1:2], v[120:121]
	s_waitcnt vmcnt(0)
	v_fma_f64 v[1:2], v[1:2], v[124:125], -v[126:127]
	v_fma_f64 v[3:4], v[3:4], v[124:125], v[120:121]
.LBB119_858:
	s_mov_b32 s6, exec_lo
	v_cmpx_ne_u32_e32 52, v0
	s_cbranch_execz .LBB119_862
; %bb.859:
	v_add_nc_u32_e32 v120, 0x390, v123
	v_add3_u32 v121, 0, v123, 16
	v_mov_b32_e32 v122, v0
	s_mov_b32 s8, 0
	.p2align	6
.LBB119_860:                            ; =>This Inner Loop Header: Depth=1
	s_clause 0x3
	buffer_load_dword v128, v121, s[0:3], 0 offen offset:8
	buffer_load_dword v129, v121, s[0:3], 0 offen offset:12
	buffer_load_dword v130, v121, s[0:3], 0 offen
	buffer_load_dword v131, v121, s[0:3], 0 offen offset:4
	ds_read_b128 v[124:127], v120
	v_add_nc_u32_e32 v122, 1, v122
	v_add_nc_u32_e32 v120, 16, v120
	;; [unrolled: 1-line block ×3, first 2 shown]
	v_cmp_lt_u32_e32 vcc_lo, 51, v122
	s_or_b32 s8, vcc_lo, s8
	s_waitcnt vmcnt(2) lgkmcnt(0)
	v_mul_f64 v[132:133], v[126:127], v[128:129]
	v_mul_f64 v[128:129], v[124:125], v[128:129]
	s_waitcnt vmcnt(0)
	v_fma_f64 v[124:125], v[124:125], v[130:131], -v[132:133]
	v_fma_f64 v[126:127], v[126:127], v[130:131], v[128:129]
	v_add_f64 v[1:2], v[1:2], v[124:125]
	v_add_f64 v[3:4], v[3:4], v[126:127]
	s_andn2_b32 exec_lo, exec_lo, s8
	s_cbranch_execnz .LBB119_860
; %bb.861:
	s_or_b32 exec_lo, exec_lo, s8
.LBB119_862:
	s_or_b32 exec_lo, exec_lo, s6
	v_mov_b32_e32 v120, 0
	ds_read_b128 v[124:127], v120 offset:848
	s_waitcnt lgkmcnt(0)
	v_mul_f64 v[120:121], v[3:4], v[126:127]
	v_mul_f64 v[126:127], v[1:2], v[126:127]
	v_fma_f64 v[1:2], v[1:2], v[124:125], -v[120:121]
	v_fma_f64 v[3:4], v[3:4], v[124:125], v[126:127]
	buffer_store_dword v2, off, s[0:3], 0 offset:852
	buffer_store_dword v1, off, s[0:3], 0 offset:848
	;; [unrolled: 1-line block ×4, first 2 shown]
.LBB119_863:
	s_or_b32 exec_lo, exec_lo, s4
	v_mov_b32_e32 v4, s9
	v_cmp_gt_u32_e64 s4, 54, v0
	s_clause 0x3
	buffer_load_dword v1, v4, s[0:3], 0 offen
	buffer_load_dword v2, v4, s[0:3], 0 offen offset:4
	buffer_load_dword v3, v4, s[0:3], 0 offen offset:8
	;; [unrolled: 1-line block ×3, first 2 shown]
	s_waitcnt vmcnt(0)
	ds_write_b128 v118, v[1:4]
	s_waitcnt lgkmcnt(0)
	s_waitcnt_vscnt null, 0x0
	s_barrier
	buffer_gl0_inv
	s_and_saveexec_b32 s6, s4
	s_cbranch_execz .LBB119_871
; %bb.864:
	ds_read_b128 v[1:4], v118
	v_cmp_ne_u32_e32 vcc_lo, 1, v119
	s_cbranch_vccnz .LBB119_866
; %bb.865:
	s_clause 0x3
	buffer_load_dword v120, v117, s[0:3], 0 offen offset:8
	buffer_load_dword v121, v117, s[0:3], 0 offen offset:12
	buffer_load_dword v124, v117, s[0:3], 0 offen
	buffer_load_dword v125, v117, s[0:3], 0 offen offset:4
	s_waitcnt vmcnt(2) lgkmcnt(0)
	v_mul_f64 v[126:127], v[3:4], v[120:121]
	v_mul_f64 v[120:121], v[1:2], v[120:121]
	s_waitcnt vmcnt(0)
	v_fma_f64 v[1:2], v[1:2], v[124:125], -v[126:127]
	v_fma_f64 v[3:4], v[3:4], v[124:125], v[120:121]
.LBB119_866:
	s_mov_b32 s8, exec_lo
	v_cmpx_ne_u32_e32 53, v0
	s_cbranch_execz .LBB119_870
; %bb.867:
	v_add_nc_u32_e32 v120, 0x390, v123
	v_add3_u32 v121, 0, v123, 16
	v_mov_b32_e32 v122, v0
	s_mov_b32 s64, 0
	.p2align	6
.LBB119_868:                            ; =>This Inner Loop Header: Depth=1
	s_clause 0x3
	buffer_load_dword v128, v121, s[0:3], 0 offen offset:8
	buffer_load_dword v129, v121, s[0:3], 0 offen offset:12
	buffer_load_dword v130, v121, s[0:3], 0 offen
	buffer_load_dword v131, v121, s[0:3], 0 offen offset:4
	ds_read_b128 v[124:127], v120
	v_add_nc_u32_e32 v122, 1, v122
	v_add_nc_u32_e32 v120, 16, v120
	v_add_nc_u32_e32 v121, 16, v121
	v_cmp_lt_u32_e32 vcc_lo, 52, v122
	s_or_b32 s64, vcc_lo, s64
	s_waitcnt vmcnt(2) lgkmcnt(0)
	v_mul_f64 v[132:133], v[126:127], v[128:129]
	v_mul_f64 v[128:129], v[124:125], v[128:129]
	s_waitcnt vmcnt(0)
	v_fma_f64 v[124:125], v[124:125], v[130:131], -v[132:133]
	v_fma_f64 v[126:127], v[126:127], v[130:131], v[128:129]
	v_add_f64 v[1:2], v[1:2], v[124:125]
	v_add_f64 v[3:4], v[3:4], v[126:127]
	s_andn2_b32 exec_lo, exec_lo, s64
	s_cbranch_execnz .LBB119_868
; %bb.869:
	s_or_b32 exec_lo, exec_lo, s64
.LBB119_870:
	s_or_b32 exec_lo, exec_lo, s8
	v_mov_b32_e32 v120, 0
	ds_read_b128 v[124:127], v120 offset:864
	s_waitcnt lgkmcnt(0)
	v_mul_f64 v[120:121], v[3:4], v[126:127]
	v_mul_f64 v[126:127], v[1:2], v[126:127]
	v_fma_f64 v[1:2], v[1:2], v[124:125], -v[120:121]
	v_fma_f64 v[3:4], v[3:4], v[124:125], v[126:127]
	buffer_store_dword v2, off, s[0:3], 0 offset:868
	buffer_store_dword v1, off, s[0:3], 0 offset:864
	buffer_store_dword v4, off, s[0:3], 0 offset:876
	buffer_store_dword v3, off, s[0:3], 0 offset:872
.LBB119_871:
	s_or_b32 exec_lo, exec_lo, s6
	v_mov_b32_e32 v4, s7
	s_mov_b32 s6, exec_lo
                                        ; implicit-def: $sgpr65
	s_clause 0x3
	buffer_load_dword v1, v4, s[0:3], 0 offen
	buffer_load_dword v2, v4, s[0:3], 0 offen offset:4
	buffer_load_dword v3, v4, s[0:3], 0 offen offset:8
	;; [unrolled: 1-line block ×3, first 2 shown]
	s_waitcnt vmcnt(0)
	ds_write_b128 v118, v[1:4]
	s_waitcnt lgkmcnt(0)
	s_waitcnt_vscnt null, 0x0
	s_barrier
	buffer_gl0_inv
                                        ; implicit-def: $vgpr1_vgpr2
	v_cmpx_ne_u32_e32 55, v0
	s_cbranch_execz .LBB119_879
; %bb.872:
	ds_read_b128 v[1:4], v118
	v_cmp_ne_u32_e32 vcc_lo, 1, v119
	s_cbranch_vccnz .LBB119_874
; %bb.873:
	s_clause 0x3
	buffer_load_dword v118, v117, s[0:3], 0 offen offset:8
	buffer_load_dword v119, v117, s[0:3], 0 offen offset:12
	buffer_load_dword v120, v117, s[0:3], 0 offen
	buffer_load_dword v121, v117, s[0:3], 0 offen offset:4
	s_waitcnt vmcnt(2) lgkmcnt(0)
	v_mul_f64 v[124:125], v[3:4], v[118:119]
	v_mul_f64 v[117:118], v[1:2], v[118:119]
	s_waitcnt vmcnt(0)
	v_fma_f64 v[1:2], v[1:2], v[120:121], -v[124:125]
	v_fma_f64 v[3:4], v[3:4], v[120:121], v[117:118]
.LBB119_874:
	s_and_saveexec_b32 s8, s4
	s_cbranch_execz .LBB119_878
; %bb.875:
	v_add_nc_u32_e32 v117, 0x390, v123
	v_add3_u32 v118, 0, v123, 16
	s_mov_b32 s4, 0
	.p2align	6
.LBB119_876:                            ; =>This Inner Loop Header: Depth=1
	s_clause 0x3
	buffer_load_dword v123, v118, s[0:3], 0 offen offset:8
	buffer_load_dword v124, v118, s[0:3], 0 offen offset:12
	buffer_load_dword v125, v118, s[0:3], 0 offen
	buffer_load_dword v126, v118, s[0:3], 0 offen offset:4
	ds_read_b128 v[119:122], v117
	v_add_nc_u32_e32 v0, 1, v0
	v_add_nc_u32_e32 v117, 16, v117
	;; [unrolled: 1-line block ×3, first 2 shown]
	v_cmp_lt_u32_e32 vcc_lo, 53, v0
	s_or_b32 s4, vcc_lo, s4
	s_waitcnt vmcnt(2) lgkmcnt(0)
	v_mul_f64 v[127:128], v[121:122], v[123:124]
	v_mul_f64 v[123:124], v[119:120], v[123:124]
	s_waitcnt vmcnt(0)
	v_fma_f64 v[119:120], v[119:120], v[125:126], -v[127:128]
	v_fma_f64 v[121:122], v[121:122], v[125:126], v[123:124]
	v_add_f64 v[1:2], v[1:2], v[119:120]
	v_add_f64 v[3:4], v[3:4], v[121:122]
	s_andn2_b32 exec_lo, exec_lo, s4
	s_cbranch_execnz .LBB119_876
; %bb.877:
	s_or_b32 exec_lo, exec_lo, s4
.LBB119_878:
	s_or_b32 exec_lo, exec_lo, s8
	v_mov_b32_e32 v0, 0
	s_movk_i32 s65, 0x378
	s_or_b32 s5, s5, exec_lo
	ds_read_b128 v[117:120], v0 offset:880
	s_waitcnt lgkmcnt(0)
	v_mul_f64 v[121:122], v[3:4], v[119:120]
	v_mul_f64 v[119:120], v[1:2], v[119:120]
	v_fma_f64 v[121:122], v[1:2], v[117:118], -v[121:122]
	v_fma_f64 v[1:2], v[3:4], v[117:118], v[119:120]
	buffer_store_dword v122, off, s[0:3], 0 offset:884
	buffer_store_dword v121, off, s[0:3], 0 offset:880
.LBB119_879:
	s_or_b32 exec_lo, exec_lo, s6
.LBB119_880:
	s_and_saveexec_b32 s4, s5
	s_cbranch_execz .LBB119_882
; %bb.881:
	v_mov_b32_e32 v0, s65
	buffer_store_dword v2, v0, s[0:3], 0 offen offset:4
	buffer_store_dword v1, v0, s[0:3], 0 offen
.LBB119_882:
	s_or_b32 exec_lo, exec_lo, s4
	s_clause 0x3
	buffer_load_dword v0, off, s[0:3], 0
	buffer_load_dword v1, off, s[0:3], 0 offset:4
	buffer_load_dword v2, off, s[0:3], 0 offset:8
	;; [unrolled: 1-line block ×3, first 2 shown]
	v_mov_b32_e32 v4, s63
	s_waitcnt vmcnt(0)
	flat_store_dwordx4 v[5:6], v[0:3]
	s_clause 0x3
	buffer_load_dword v0, v4, s[0:3], 0 offen
	buffer_load_dword v1, v4, s[0:3], 0 offen offset:4
	buffer_load_dword v2, v4, s[0:3], 0 offen offset:8
	buffer_load_dword v3, v4, s[0:3], 0 offen offset:12
	v_mov_b32_e32 v4, s62
	s_waitcnt vmcnt(0)
	flat_store_dwordx4 v[59:60], v[0:3]
	s_clause 0x3
	buffer_load_dword v0, v4, s[0:3], 0 offen
	buffer_load_dword v1, v4, s[0:3], 0 offen offset:4
	buffer_load_dword v2, v4, s[0:3], 0 offen offset:8
	buffer_load_dword v3, v4, s[0:3], 0 offen offset:12
	;; [unrolled: 8-line block ×55, first 2 shown]
	s_waitcnt vmcnt(0)
	flat_store_dwordx4 v[115:116], v[0:3]
.LBB119_883:
	s_endpgm
	.section	.rodata,"a",@progbits
	.p2align	6, 0x0
	.amdhsa_kernel _ZN9rocsolver6v33100L18trti2_kernel_smallILi56E19rocblas_complex_numIdEPKPS3_EEv13rocblas_fill_17rocblas_diagonal_T1_iil
		.amdhsa_group_segment_fixed_size 1792
		.amdhsa_private_segment_fixed_size 912
		.amdhsa_kernarg_size 32
		.amdhsa_user_sgpr_count 6
		.amdhsa_user_sgpr_private_segment_buffer 1
		.amdhsa_user_sgpr_dispatch_ptr 0
		.amdhsa_user_sgpr_queue_ptr 0
		.amdhsa_user_sgpr_kernarg_segment_ptr 1
		.amdhsa_user_sgpr_dispatch_id 0
		.amdhsa_user_sgpr_flat_scratch_init 0
		.amdhsa_user_sgpr_private_segment_size 0
		.amdhsa_wavefront_size32 1
		.amdhsa_uses_dynamic_stack 0
		.amdhsa_system_sgpr_private_segment_wavefront_offset 1
		.amdhsa_system_sgpr_workgroup_id_x 1
		.amdhsa_system_sgpr_workgroup_id_y 0
		.amdhsa_system_sgpr_workgroup_id_z 0
		.amdhsa_system_sgpr_workgroup_info 0
		.amdhsa_system_vgpr_workitem_id 0
		.amdhsa_next_free_vgpr 134
		.amdhsa_next_free_sgpr 89
		.amdhsa_reserve_vcc 1
		.amdhsa_reserve_flat_scratch 0
		.amdhsa_float_round_mode_32 0
		.amdhsa_float_round_mode_16_64 0
		.amdhsa_float_denorm_mode_32 3
		.amdhsa_float_denorm_mode_16_64 3
		.amdhsa_dx10_clamp 1
		.amdhsa_ieee_mode 1
		.amdhsa_fp16_overflow 0
		.amdhsa_workgroup_processor_mode 1
		.amdhsa_memory_ordered 1
		.amdhsa_forward_progress 1
		.amdhsa_shared_vgpr_count 0
		.amdhsa_exception_fp_ieee_invalid_op 0
		.amdhsa_exception_fp_denorm_src 0
		.amdhsa_exception_fp_ieee_div_zero 0
		.amdhsa_exception_fp_ieee_overflow 0
		.amdhsa_exception_fp_ieee_underflow 0
		.amdhsa_exception_fp_ieee_inexact 0
		.amdhsa_exception_int_div_zero 0
	.end_amdhsa_kernel
	.section	.text._ZN9rocsolver6v33100L18trti2_kernel_smallILi56E19rocblas_complex_numIdEPKPS3_EEv13rocblas_fill_17rocblas_diagonal_T1_iil,"axG",@progbits,_ZN9rocsolver6v33100L18trti2_kernel_smallILi56E19rocblas_complex_numIdEPKPS3_EEv13rocblas_fill_17rocblas_diagonal_T1_iil,comdat
.Lfunc_end119:
	.size	_ZN9rocsolver6v33100L18trti2_kernel_smallILi56E19rocblas_complex_numIdEPKPS3_EEv13rocblas_fill_17rocblas_diagonal_T1_iil, .Lfunc_end119-_ZN9rocsolver6v33100L18trti2_kernel_smallILi56E19rocblas_complex_numIdEPKPS3_EEv13rocblas_fill_17rocblas_diagonal_T1_iil
                                        ; -- End function
	.set _ZN9rocsolver6v33100L18trti2_kernel_smallILi56E19rocblas_complex_numIdEPKPS3_EEv13rocblas_fill_17rocblas_diagonal_T1_iil.num_vgpr, 134
	.set _ZN9rocsolver6v33100L18trti2_kernel_smallILi56E19rocblas_complex_numIdEPKPS3_EEv13rocblas_fill_17rocblas_diagonal_T1_iil.num_agpr, 0
	.set _ZN9rocsolver6v33100L18trti2_kernel_smallILi56E19rocblas_complex_numIdEPKPS3_EEv13rocblas_fill_17rocblas_diagonal_T1_iil.numbered_sgpr, 89
	.set _ZN9rocsolver6v33100L18trti2_kernel_smallILi56E19rocblas_complex_numIdEPKPS3_EEv13rocblas_fill_17rocblas_diagonal_T1_iil.num_named_barrier, 0
	.set _ZN9rocsolver6v33100L18trti2_kernel_smallILi56E19rocblas_complex_numIdEPKPS3_EEv13rocblas_fill_17rocblas_diagonal_T1_iil.private_seg_size, 912
	.set _ZN9rocsolver6v33100L18trti2_kernel_smallILi56E19rocblas_complex_numIdEPKPS3_EEv13rocblas_fill_17rocblas_diagonal_T1_iil.uses_vcc, 1
	.set _ZN9rocsolver6v33100L18trti2_kernel_smallILi56E19rocblas_complex_numIdEPKPS3_EEv13rocblas_fill_17rocblas_diagonal_T1_iil.uses_flat_scratch, 0
	.set _ZN9rocsolver6v33100L18trti2_kernel_smallILi56E19rocblas_complex_numIdEPKPS3_EEv13rocblas_fill_17rocblas_diagonal_T1_iil.has_dyn_sized_stack, 0
	.set _ZN9rocsolver6v33100L18trti2_kernel_smallILi56E19rocblas_complex_numIdEPKPS3_EEv13rocblas_fill_17rocblas_diagonal_T1_iil.has_recursion, 0
	.set _ZN9rocsolver6v33100L18trti2_kernel_smallILi56E19rocblas_complex_numIdEPKPS3_EEv13rocblas_fill_17rocblas_diagonal_T1_iil.has_indirect_call, 0
	.section	.AMDGPU.csdata,"",@progbits
; Kernel info:
; codeLenInByte = 57108
; TotalNumSgprs: 91
; NumVgprs: 134
; ScratchSize: 912
; MemoryBound: 0
; FloatMode: 240
; IeeeMode: 1
; LDSByteSize: 1792 bytes/workgroup (compile time only)
; SGPRBlocks: 0
; VGPRBlocks: 16
; NumSGPRsForWavesPerEU: 91
; NumVGPRsForWavesPerEU: 134
; Occupancy: 7
; WaveLimiterHint : 1
; COMPUTE_PGM_RSRC2:SCRATCH_EN: 1
; COMPUTE_PGM_RSRC2:USER_SGPR: 6
; COMPUTE_PGM_RSRC2:TRAP_HANDLER: 0
; COMPUTE_PGM_RSRC2:TGID_X_EN: 1
; COMPUTE_PGM_RSRC2:TGID_Y_EN: 0
; COMPUTE_PGM_RSRC2:TGID_Z_EN: 0
; COMPUTE_PGM_RSRC2:TIDIG_COMP_CNT: 0
	.section	.text._ZN9rocsolver6v33100L18trti2_kernel_smallILi57E19rocblas_complex_numIdEPKPS3_EEv13rocblas_fill_17rocblas_diagonal_T1_iil,"axG",@progbits,_ZN9rocsolver6v33100L18trti2_kernel_smallILi57E19rocblas_complex_numIdEPKPS3_EEv13rocblas_fill_17rocblas_diagonal_T1_iil,comdat
	.globl	_ZN9rocsolver6v33100L18trti2_kernel_smallILi57E19rocblas_complex_numIdEPKPS3_EEv13rocblas_fill_17rocblas_diagonal_T1_iil ; -- Begin function _ZN9rocsolver6v33100L18trti2_kernel_smallILi57E19rocblas_complex_numIdEPKPS3_EEv13rocblas_fill_17rocblas_diagonal_T1_iil
	.p2align	8
	.type	_ZN9rocsolver6v33100L18trti2_kernel_smallILi57E19rocblas_complex_numIdEPKPS3_EEv13rocblas_fill_17rocblas_diagonal_T1_iil,@function
_ZN9rocsolver6v33100L18trti2_kernel_smallILi57E19rocblas_complex_numIdEPKPS3_EEv13rocblas_fill_17rocblas_diagonal_T1_iil: ; @_ZN9rocsolver6v33100L18trti2_kernel_smallILi57E19rocblas_complex_numIdEPKPS3_EEv13rocblas_fill_17rocblas_diagonal_T1_iil
; %bb.0:
	s_add_u32 s0, s0, s7
	s_addc_u32 s1, s1, 0
	s_mov_b32 s7, exec_lo
	v_cmpx_gt_u32_e32 57, v0
	s_cbranch_execz .LBB120_899
; %bb.1:
	s_clause 0x1
	s_load_dwordx2 s[12:13], s[4:5], 0x10
	s_load_dwordx4 s[8:11], s[4:5], 0x0
	s_ashr_i32 s7, s6, 31
	v_lshlrev_b32_e32 v125, 4, v0
	s_lshl_b64 s[4:5], s[6:7], 3
	s_movk_i32 s14, 0xd0
	s_movk_i32 s15, 0xe0
	;; [unrolled: 1-line block ×15, first 2 shown]
	s_waitcnt lgkmcnt(0)
	s_ashr_i32 s7, s12, 31
	s_add_u32 s4, s10, s4
	s_addc_u32 s5, s11, s5
	s_mov_b32 s6, s12
	s_load_dwordx2 s[4:5], s[4:5], 0x0
	s_lshl_b64 s[6:7], s[6:7], 4
	v_add3_u32 v7, s13, s13, v0
	s_movk_i32 s10, 0x90
	s_movk_i32 s11, 0xa0
	;; [unrolled: 1-line block ×4, first 2 shown]
	v_ashrrev_i32_e32 v8, 31, v7
	s_movk_i32 s30, 0x1d0
	s_movk_i32 s31, 0x1e0
	;; [unrolled: 1-line block ×4, first 2 shown]
	v_lshlrev_b64 v[8:9], 4, v[7:8]
	v_add_nc_u32_e32 v7, s13, v7
	s_movk_i32 s66, 0x210
	s_movk_i32 s67, 0x220
	;; [unrolled: 1-line block ×6, first 2 shown]
	s_waitcnt lgkmcnt(0)
	s_add_u32 s6, s4, s6
	s_addc_u32 s7, s5, s7
	v_add_co_u32 v5, s4, s6, v125
	v_add_co_ci_u32_e64 v6, null, s7, 0, s4
	s_mov_b32 s4, s13
	s_ashr_i32 s5, s13, 31
	s_movk_i32 s72, 0x270
	flat_load_dwordx4 v[1:4], v[5:6]
	s_lshl_b64 s[4:5], s[4:5], 4
	s_cmpk_lg_i32 s9, 0x84
	v_add_co_u32 v59, vcc_lo, v5, s4
	v_add_co_ci_u32_e64 v60, null, s5, v6, vcc_lo
	v_add_co_u32 v57, vcc_lo, s6, v8
	v_add_co_ci_u32_e64 v58, null, s7, v9, vcc_lo
	v_ashrrev_i32_e32 v8, 31, v7
	s_movk_i32 s4, 0x50
	s_movk_i32 s5, 0x60
	;; [unrolled: 1-line block ×4, first 2 shown]
	v_lshlrev_b64 v[8:9], 4, v[7:8]
	v_add_nc_u32_e32 v7, s13, v7
	s_movk_i32 s75, 0x2a0
	s_movk_i32 s76, 0x2b0
	;; [unrolled: 1-line block ×4, first 2 shown]
	v_add_co_u32 v55, vcc_lo, s6, v8
	v_add_co_ci_u32_e64 v56, null, s7, v9, vcc_lo
	v_ashrrev_i32_e32 v8, 31, v7
	s_movk_i32 s79, 0x2e0
	s_movk_i32 s80, 0x2f0
	;; [unrolled: 1-line block ×4, first 2 shown]
	v_lshlrev_b64 v[8:9], 4, v[7:8]
	v_add_nc_u32_e32 v7, s13, v7
	s_movk_i32 s83, 0x320
	s_movk_i32 s84, 0x330
	;; [unrolled: 1-line block ×4, first 2 shown]
	v_add_co_u32 v53, vcc_lo, s6, v8
	v_add_co_ci_u32_e64 v54, null, s7, v9, vcc_lo
	v_ashrrev_i32_e32 v8, 31, v7
	s_movk_i32 s87, 0x360
	s_movk_i32 s88, 0x370
	s_movk_i32 s89, 0x380
	s_cselect_b32 s64, -1, 0
	v_lshlrev_b64 v[8:9], 4, v[7:8]
	v_add_nc_u32_e32 v7, s13, v7
	s_cmpk_eq_i32 s9, 0x84
	s_waitcnt vmcnt(0) lgkmcnt(0)
	buffer_store_dword v4, off, s[0:3], 0 offset:12
	buffer_store_dword v3, off, s[0:3], 0 offset:8
	;; [unrolled: 1-line block ×3, first 2 shown]
	buffer_store_dword v1, off, s[0:3], 0
	flat_load_dwordx4 v[1:4], v[59:60]
	v_add_co_u32 v49, vcc_lo, s6, v8
	v_add_co_ci_u32_e64 v50, null, s7, v9, vcc_lo
	v_ashrrev_i32_e32 v8, 31, v7
	s_waitcnt vmcnt(0) lgkmcnt(0)
	buffer_store_dword v4, off, s[0:3], 0 offset:28
	buffer_store_dword v3, off, s[0:3], 0 offset:24
	buffer_store_dword v2, off, s[0:3], 0 offset:20
	buffer_store_dword v1, off, s[0:3], 0 offset:16
	flat_load_dwordx4 v[1:4], v[57:58]
	v_lshlrev_b64 v[8:9], 4, v[7:8]
	v_add_nc_u32_e32 v7, s13, v7
	s_waitcnt vmcnt(0) lgkmcnt(0)
	buffer_store_dword v4, off, s[0:3], 0 offset:44
	buffer_store_dword v3, off, s[0:3], 0 offset:40
	buffer_store_dword v2, off, s[0:3], 0 offset:36
	buffer_store_dword v1, off, s[0:3], 0 offset:32
	flat_load_dwordx4 v[1:4], v[55:56]
	v_add_co_u32 v47, vcc_lo, s6, v8
	v_add_co_ci_u32_e64 v48, null, s7, v9, vcc_lo
	v_ashrrev_i32_e32 v8, 31, v7
	s_waitcnt vmcnt(0) lgkmcnt(0)
	buffer_store_dword v4, off, s[0:3], 0 offset:60
	buffer_store_dword v3, off, s[0:3], 0 offset:56
	buffer_store_dword v2, off, s[0:3], 0 offset:52
	buffer_store_dword v1, off, s[0:3], 0 offset:48
	flat_load_dwordx4 v[1:4], v[53:54]
	v_lshlrev_b64 v[8:9], 4, v[7:8]
	v_add_nc_u32_e32 v7, s13, v7
	s_waitcnt vmcnt(0) lgkmcnt(0)
	buffer_store_dword v4, off, s[0:3], 0 offset:76
	buffer_store_dword v3, off, s[0:3], 0 offset:72
	buffer_store_dword v2, off, s[0:3], 0 offset:68
	buffer_store_dword v1, off, s[0:3], 0 offset:64
	;; [unrolled: 17-line block ×4, first 2 shown]
	v_add_co_u32 v41, vcc_lo, s6, v8
	v_add_co_ci_u32_e64 v42, null, s7, v9, vcc_lo
	v_ashrrev_i32_e32 v8, 31, v7
	flat_load_dwordx4 v[1:4], v[41:42]
	s_waitcnt vmcnt(0) lgkmcnt(0)
	buffer_store_dword v4, off, s[0:3], 0 offset:156
	buffer_store_dword v3, off, s[0:3], 0 offset:152
	buffer_store_dword v2, off, s[0:3], 0 offset:148
	buffer_store_dword v1, off, s[0:3], 0 offset:144
	v_lshlrev_b64 v[8:9], 4, v[7:8]
	v_add_nc_u32_e32 v7, s13, v7
	v_add_co_u32 v39, vcc_lo, s6, v8
	v_add_co_ci_u32_e64 v40, null, s7, v9, vcc_lo
	v_ashrrev_i32_e32 v8, 31, v7
	flat_load_dwordx4 v[1:4], v[39:40]
	s_waitcnt vmcnt(0) lgkmcnt(0)
	buffer_store_dword v4, off, s[0:3], 0 offset:172
	buffer_store_dword v3, off, s[0:3], 0 offset:168
	buffer_store_dword v2, off, s[0:3], 0 offset:164
	buffer_store_dword v1, off, s[0:3], 0 offset:160
	v_lshlrev_b64 v[8:9], 4, v[7:8]
	v_add_nc_u32_e32 v7, s13, v7
	;; [unrolled: 11-line block ×14, first 2 shown]
	v_add_co_u32 v11, vcc_lo, s6, v8
	v_add_co_ci_u32_e64 v12, null, s7, v9, vcc_lo
	v_ashrrev_i32_e32 v8, 31, v7
	v_add_nc_u32_e32 v33, s13, v7
	flat_load_dwordx4 v[1:4], v[11:12]
	s_waitcnt vmcnt(0) lgkmcnt(0)
	buffer_store_dword v4, off, s[0:3], 0 offset:380
	buffer_store_dword v3, off, s[0:3], 0 offset:376
	;; [unrolled: 1-line block ×4, first 2 shown]
	v_lshlrev_b64 v[9:10], 4, v[7:8]
	v_ashrrev_i32_e32 v34, 31, v33
	v_add_nc_u32_e32 v51, s13, v33
	v_add_co_u32 v9, vcc_lo, s6, v9
	v_add_co_ci_u32_e64 v10, null, s7, v10, vcc_lo
	v_lshlrev_b64 v[7:8], 4, v[33:34]
	v_ashrrev_i32_e32 v52, 31, v51
	v_add_nc_u32_e32 v61, s13, v51
	flat_load_dwordx4 v[1:4], v[9:10]
	s_waitcnt vmcnt(0) lgkmcnt(0)
	buffer_store_dword v4, off, s[0:3], 0 offset:396
	buffer_store_dword v3, off, s[0:3], 0 offset:392
	buffer_store_dword v2, off, s[0:3], 0 offset:388
	buffer_store_dword v1, off, s[0:3], 0 offset:384
	v_add_co_u32 v7, vcc_lo, s6, v7
	v_add_co_ci_u32_e64 v8, null, s7, v8, vcc_lo
	v_lshlrev_b64 v[33:34], 4, v[51:52]
	v_ashrrev_i32_e32 v62, 31, v61
	v_add_nc_u32_e32 v63, s13, v61
	flat_load_dwordx4 v[1:4], v[7:8]
	s_waitcnt vmcnt(0) lgkmcnt(0)
	buffer_store_dword v4, off, s[0:3], 0 offset:412
	buffer_store_dword v3, off, s[0:3], 0 offset:408
	buffer_store_dword v2, off, s[0:3], 0 offset:404
	buffer_store_dword v1, off, s[0:3], 0 offset:400
	;; [unrolled: 11-line block ×29, first 2 shown]
	v_add_co_u32 v111, vcc_lo, s6, v111
	v_add_co_ci_u32_e64 v112, null, s7, v112, vcc_lo
	v_lshlrev_b64 v[113:114], 4, v[115:116]
	v_ashrrev_i32_e32 v118, 31, v117
	flat_load_dwordx4 v[1:4], v[111:112]
	s_waitcnt vmcnt(0) lgkmcnt(0)
	buffer_store_dword v4, off, s[0:3], 0 offset:860
	buffer_store_dword v3, off, s[0:3], 0 offset:856
	;; [unrolled: 1-line block ×4, first 2 shown]
	v_add_co_u32 v113, vcc_lo, s6, v113
	v_add_co_ci_u32_e64 v114, null, s7, v114, vcc_lo
	v_lshlrev_b64 v[115:116], 4, v[117:118]
	v_add_nc_u32_e32 v117, s13, v117
	s_movk_i32 s13, 0xc0
	flat_load_dwordx4 v[1:4], v[113:114]
	s_waitcnt vmcnt(0) lgkmcnt(0)
	buffer_store_dword v4, off, s[0:3], 0 offset:876
	buffer_store_dword v3, off, s[0:3], 0 offset:872
	buffer_store_dword v2, off, s[0:3], 0 offset:868
	buffer_store_dword v1, off, s[0:3], 0 offset:864
	v_add_co_u32 v115, vcc_lo, s6, v115
	v_add_co_ci_u32_e64 v116, null, s7, v116, vcc_lo
	v_ashrrev_i32_e32 v118, 31, v117
	flat_load_dwordx4 v[1:4], v[115:116]
	s_waitcnt vmcnt(0) lgkmcnt(0)
	buffer_store_dword v4, off, s[0:3], 0 offset:892
	buffer_store_dword v3, off, s[0:3], 0 offset:888
	;; [unrolled: 1-line block ×4, first 2 shown]
	v_lshlrev_b64 v[117:118], 4, v[117:118]
	v_add_co_u32 v117, vcc_lo, s6, v117
	v_add_co_ci_u32_e64 v118, null, s7, v118, vcc_lo
	s_movk_i32 s6, 0x70
	s_movk_i32 s7, 0x80
	flat_load_dwordx4 v[1:4], v[117:118]
	s_waitcnt vmcnt(0) lgkmcnt(0)
	buffer_store_dword v4, off, s[0:3], 0 offset:908
	buffer_store_dword v3, off, s[0:3], 0 offset:904
	buffer_store_dword v2, off, s[0:3], 0 offset:900
	buffer_store_dword v1, off, s[0:3], 0 offset:896
	s_cbranch_scc1 .LBB120_7
; %bb.2:
	v_lshl_add_u32 v126, v0, 4, 0
                                        ; implicit-def: $vgpr121_vgpr122
                                        ; implicit-def: $vgpr3_vgpr4
	s_clause 0x3
	buffer_load_dword v119, v126, s[0:3], 0 offen
	buffer_load_dword v120, v126, s[0:3], 0 offen offset:4
	buffer_load_dword v123, v126, s[0:3], 0 offen offset:8
	;; [unrolled: 1-line block ×3, first 2 shown]
	s_waitcnt vmcnt(0)
	v_cmp_ngt_f64_e64 s9, |v[119:120]|, |v[123:124]|
	s_and_saveexec_b32 s34, s9
	s_xor_b32 s9, exec_lo, s34
	s_cbranch_execz .LBB120_4
; %bb.3:
	v_div_scale_f64 v[1:2], null, v[123:124], v[123:124], v[119:120]
	v_div_scale_f64 v[127:128], vcc_lo, v[119:120], v[123:124], v[119:120]
	v_rcp_f64_e32 v[3:4], v[1:2]
	v_fma_f64 v[121:122], -v[1:2], v[3:4], 1.0
	v_fma_f64 v[3:4], v[3:4], v[121:122], v[3:4]
	v_fma_f64 v[121:122], -v[1:2], v[3:4], 1.0
	v_fma_f64 v[3:4], v[3:4], v[121:122], v[3:4]
	v_mul_f64 v[121:122], v[127:128], v[3:4]
	v_fma_f64 v[1:2], -v[1:2], v[121:122], v[127:128]
	v_div_fmas_f64 v[1:2], v[1:2], v[3:4], v[121:122]
	v_div_fixup_f64 v[1:2], v[1:2], v[123:124], v[119:120]
	v_fma_f64 v[3:4], v[119:120], v[1:2], v[123:124]
	v_div_scale_f64 v[119:120], null, v[3:4], v[3:4], 1.0
	v_div_scale_f64 v[127:128], vcc_lo, 1.0, v[3:4], 1.0
	v_rcp_f64_e32 v[121:122], v[119:120]
	v_fma_f64 v[123:124], -v[119:120], v[121:122], 1.0
	v_fma_f64 v[121:122], v[121:122], v[123:124], v[121:122]
	v_fma_f64 v[123:124], -v[119:120], v[121:122], 1.0
	v_fma_f64 v[121:122], v[121:122], v[123:124], v[121:122]
	v_mul_f64 v[123:124], v[127:128], v[121:122]
	v_fma_f64 v[119:120], -v[119:120], v[123:124], v[127:128]
	v_div_fmas_f64 v[119:120], v[119:120], v[121:122], v[123:124]
                                        ; implicit-def: $vgpr123_vgpr124
	v_div_fixup_f64 v[3:4], v[119:120], v[3:4], 1.0
                                        ; implicit-def: $vgpr119_vgpr120
	v_mul_f64 v[121:122], v[1:2], v[3:4]
	v_xor_b32_e32 v4, 0x80000000, v4
	v_xor_b32_e32 v2, 0x80000000, v122
	v_mov_b32_e32 v1, v121
.LBB120_4:
	s_andn2_saveexec_b32 s9, s9
	s_cbranch_execz .LBB120_6
; %bb.5:
	v_div_scale_f64 v[1:2], null, v[119:120], v[119:120], v[123:124]
	v_div_scale_f64 v[127:128], vcc_lo, v[123:124], v[119:120], v[123:124]
	v_rcp_f64_e32 v[3:4], v[1:2]
	v_fma_f64 v[121:122], -v[1:2], v[3:4], 1.0
	v_fma_f64 v[3:4], v[3:4], v[121:122], v[3:4]
	v_fma_f64 v[121:122], -v[1:2], v[3:4], 1.0
	v_fma_f64 v[3:4], v[3:4], v[121:122], v[3:4]
	v_mul_f64 v[121:122], v[127:128], v[3:4]
	v_fma_f64 v[1:2], -v[1:2], v[121:122], v[127:128]
	v_div_fmas_f64 v[1:2], v[1:2], v[3:4], v[121:122]
	v_div_fixup_f64 v[1:2], v[1:2], v[119:120], v[123:124]
	v_fma_f64 v[3:4], v[123:124], v[1:2], v[119:120]
	v_div_scale_f64 v[119:120], null, v[3:4], v[3:4], 1.0
	v_rcp_f64_e32 v[121:122], v[119:120]
	v_fma_f64 v[123:124], -v[119:120], v[121:122], 1.0
	v_fma_f64 v[121:122], v[121:122], v[123:124], v[121:122]
	v_fma_f64 v[123:124], -v[119:120], v[121:122], 1.0
	v_fma_f64 v[121:122], v[121:122], v[123:124], v[121:122]
	v_div_scale_f64 v[123:124], vcc_lo, 1.0, v[3:4], 1.0
	v_mul_f64 v[127:128], v[123:124], v[121:122]
	v_fma_f64 v[119:120], -v[119:120], v[127:128], v[123:124]
	v_div_fmas_f64 v[119:120], v[119:120], v[121:122], v[127:128]
	v_div_fixup_f64 v[121:122], v[119:120], v[3:4], 1.0
	v_mul_f64 v[3:4], v[1:2], -v[121:122]
	v_xor_b32_e32 v2, 0x80000000, v122
	v_mov_b32_e32 v1, v121
.LBB120_6:
	s_or_b32 exec_lo, exec_lo, s9
	buffer_store_dword v4, v126, s[0:3], 0 offen offset:12
	v_xor_b32_e32 v4, 0x80000000, v4
	buffer_store_dword v122, v126, s[0:3], 0 offen offset:4
	buffer_store_dword v121, v126, s[0:3], 0 offen
	buffer_store_dword v3, v126, s[0:3], 0 offen offset:8
	s_branch .LBB120_8
.LBB120_7:
	v_mov_b32_e32 v1, 0
	v_mov_b32_e32 v3, 0
	;; [unrolled: 1-line block ×4, first 2 shown]
.LBB120_8:
	v_add_nc_u32_e32 v120, 0x390, v125
	v_mov_b32_e32 v119, v125
	s_mov_b32 s63, 16
	s_mov_b32 s62, 32
	;; [unrolled: 1-line block ×55, first 2 shown]
	s_cmpk_eq_i32 s8, 0x79
	ds_write_b128 v125, v[1:4]
	s_cbranch_scc1 .LBB120_452
; %bb.9:
	v_mov_b32_e32 v4, s7
	v_cmp_eq_u32_e64 s4, 56, v0
	s_clause 0x3
	buffer_load_dword v1, v4, s[0:3], 0 offen
	buffer_load_dword v2, v4, s[0:3], 0 offen offset:4
	buffer_load_dword v3, v4, s[0:3], 0 offen offset:8
	;; [unrolled: 1-line block ×3, first 2 shown]
	s_waitcnt vmcnt(0)
	ds_write_b128 v120, v[1:4]
	s_waitcnt lgkmcnt(0)
	s_waitcnt_vscnt null, 0x0
	s_barrier
	buffer_gl0_inv
	s_and_saveexec_b32 s5, s4
	s_cbranch_execz .LBB120_13
; %bb.10:
	ds_read_b128 v[1:4], v120
	s_andn2_b32 vcc_lo, exec_lo, s64
	s_cbranch_vccnz .LBB120_12
; %bb.11:
	s_clause 0x3
	buffer_load_dword v121, v119, s[0:3], 0 offen offset:8
	buffer_load_dword v122, v119, s[0:3], 0 offen offset:12
	buffer_load_dword v123, v119, s[0:3], 0 offen
	buffer_load_dword v124, v119, s[0:3], 0 offen offset:4
	s_waitcnt vmcnt(2) lgkmcnt(0)
	v_mul_f64 v[126:127], v[3:4], v[121:122]
	v_mul_f64 v[121:122], v[1:2], v[121:122]
	s_waitcnt vmcnt(0)
	v_fma_f64 v[1:2], v[1:2], v[123:124], -v[126:127]
	v_fma_f64 v[3:4], v[3:4], v[123:124], v[121:122]
.LBB120_12:
	v_mov_b32_e32 v121, 0
	ds_read_b128 v[121:124], v121 offset:880
	s_waitcnt lgkmcnt(0)
	v_mul_f64 v[126:127], v[3:4], v[123:124]
	v_mul_f64 v[123:124], v[1:2], v[123:124]
	v_fma_f64 v[1:2], v[1:2], v[121:122], -v[126:127]
	v_fma_f64 v[3:4], v[3:4], v[121:122], v[123:124]
	buffer_store_dword v2, off, s[0:3], 0 offset:884
	buffer_store_dword v1, off, s[0:3], 0 offset:880
	;; [unrolled: 1-line block ×4, first 2 shown]
.LBB120_13:
	s_or_b32 exec_lo, exec_lo, s5
	v_mov_b32_e32 v4, s9
	v_cmp_lt_u32_e64 s5, 54, v0
	s_clause 0x3
	buffer_load_dword v1, v4, s[0:3], 0 offen
	buffer_load_dword v2, v4, s[0:3], 0 offen offset:4
	buffer_load_dword v3, v4, s[0:3], 0 offen offset:8
	;; [unrolled: 1-line block ×3, first 2 shown]
	s_waitcnt vmcnt(0)
	ds_write_b128 v120, v[1:4]
	s_waitcnt lgkmcnt(0)
	s_waitcnt_vscnt null, 0x0
	s_barrier
	buffer_gl0_inv
	s_and_saveexec_b32 s8, s5
	s_cbranch_execz .LBB120_19
; %bb.14:
	ds_read_b128 v[1:4], v120
	s_andn2_b32 vcc_lo, exec_lo, s64
	s_cbranch_vccnz .LBB120_16
; %bb.15:
	s_clause 0x3
	buffer_load_dword v121, v119, s[0:3], 0 offen offset:8
	buffer_load_dword v122, v119, s[0:3], 0 offen offset:12
	buffer_load_dword v123, v119, s[0:3], 0 offen
	buffer_load_dword v124, v119, s[0:3], 0 offen offset:4
	s_waitcnt vmcnt(2) lgkmcnt(0)
	v_mul_f64 v[126:127], v[3:4], v[121:122]
	v_mul_f64 v[121:122], v[1:2], v[121:122]
	s_waitcnt vmcnt(0)
	v_fma_f64 v[1:2], v[1:2], v[123:124], -v[126:127]
	v_fma_f64 v[3:4], v[3:4], v[123:124], v[121:122]
.LBB120_16:
	s_and_saveexec_b32 s65, s4
	s_cbranch_execz .LBB120_18
; %bb.17:
	s_clause 0x3
	buffer_load_dword v126, off, s[0:3], 0 offset:888
	buffer_load_dword v127, off, s[0:3], 0 offset:892
	;; [unrolled: 1-line block ×4, first 2 shown]
	v_mov_b32_e32 v121, 0
	ds_read_b128 v[121:124], v121 offset:1792
	s_waitcnt vmcnt(2) lgkmcnt(0)
	v_mul_f64 v[130:131], v[121:122], v[126:127]
	v_mul_f64 v[126:127], v[123:124], v[126:127]
	s_waitcnt vmcnt(0)
	v_fma_f64 v[123:124], v[123:124], v[128:129], v[130:131]
	v_fma_f64 v[121:122], v[121:122], v[128:129], -v[126:127]
	v_add_f64 v[3:4], v[3:4], v[123:124]
	v_add_f64 v[1:2], v[1:2], v[121:122]
.LBB120_18:
	s_or_b32 exec_lo, exec_lo, s65
	v_mov_b32_e32 v121, 0
	ds_read_b128 v[121:124], v121 offset:864
	s_waitcnt lgkmcnt(0)
	v_mul_f64 v[126:127], v[3:4], v[123:124]
	v_mul_f64 v[123:124], v[1:2], v[123:124]
	v_fma_f64 v[1:2], v[1:2], v[121:122], -v[126:127]
	v_fma_f64 v[3:4], v[3:4], v[121:122], v[123:124]
	buffer_store_dword v2, off, s[0:3], 0 offset:868
	buffer_store_dword v1, off, s[0:3], 0 offset:864
	;; [unrolled: 1-line block ×4, first 2 shown]
.LBB120_19:
	s_or_b32 exec_lo, exec_lo, s8
	v_mov_b32_e32 v4, s10
	v_cmp_lt_u32_e64 s4, 53, v0
	s_clause 0x3
	buffer_load_dword v1, v4, s[0:3], 0 offen
	buffer_load_dword v2, v4, s[0:3], 0 offen offset:4
	buffer_load_dword v3, v4, s[0:3], 0 offen offset:8
	;; [unrolled: 1-line block ×3, first 2 shown]
	s_waitcnt vmcnt(0)
	ds_write_b128 v120, v[1:4]
	s_waitcnt lgkmcnt(0)
	s_waitcnt_vscnt null, 0x0
	s_barrier
	buffer_gl0_inv
	s_and_saveexec_b32 s8, s4
	s_cbranch_execz .LBB120_27
; %bb.20:
	ds_read_b128 v[1:4], v120
	s_andn2_b32 vcc_lo, exec_lo, s64
	s_cbranch_vccnz .LBB120_22
; %bb.21:
	s_clause 0x3
	buffer_load_dword v121, v119, s[0:3], 0 offen offset:8
	buffer_load_dword v122, v119, s[0:3], 0 offen offset:12
	buffer_load_dword v123, v119, s[0:3], 0 offen
	buffer_load_dword v124, v119, s[0:3], 0 offen offset:4
	s_waitcnt vmcnt(2) lgkmcnt(0)
	v_mul_f64 v[126:127], v[3:4], v[121:122]
	v_mul_f64 v[121:122], v[1:2], v[121:122]
	s_waitcnt vmcnt(0)
	v_fma_f64 v[1:2], v[1:2], v[123:124], -v[126:127]
	v_fma_f64 v[3:4], v[3:4], v[123:124], v[121:122]
.LBB120_22:
	s_and_saveexec_b32 s65, s5
	s_cbranch_execz .LBB120_26
; %bb.23:
	v_subrev_nc_u32_e32 v121, 54, v0
	s_movk_i32 s66, 0x6f0
	s_mov_b32 s5, 0
	s_mov_b32 s67, s9
	.p2align	6
.LBB120_24:                             ; =>This Inner Loop Header: Depth=1
	v_mov_b32_e32 v124, s67
	v_add_nc_u32_e32 v121, -1, v121
	s_add_i32 s67, s67, 16
	s_clause 0x3
	buffer_load_dword v122, v124, s[0:3], 0 offen offset:8
	buffer_load_dword v123, v124, s[0:3], 0 offen offset:12
	buffer_load_dword v130, v124, s[0:3], 0 offen
	buffer_load_dword v131, v124, s[0:3], 0 offen offset:4
	v_mov_b32_e32 v124, s66
	v_cmp_eq_u32_e32 vcc_lo, 0, v121
	s_add_i32 s66, s66, 16
	ds_read_b128 v[126:129], v124
	s_or_b32 s5, vcc_lo, s5
	s_waitcnt vmcnt(2) lgkmcnt(0)
	v_mul_f64 v[132:133], v[128:129], v[122:123]
	v_mul_f64 v[122:123], v[126:127], v[122:123]
	s_waitcnt vmcnt(0)
	v_fma_f64 v[126:127], v[126:127], v[130:131], -v[132:133]
	v_fma_f64 v[122:123], v[128:129], v[130:131], v[122:123]
	v_add_f64 v[1:2], v[1:2], v[126:127]
	v_add_f64 v[3:4], v[3:4], v[122:123]
	s_andn2_b32 exec_lo, exec_lo, s5
	s_cbranch_execnz .LBB120_24
; %bb.25:
	s_or_b32 exec_lo, exec_lo, s5
.LBB120_26:
	s_or_b32 exec_lo, exec_lo, s65
	v_mov_b32_e32 v121, 0
	ds_read_b128 v[121:124], v121 offset:848
	s_waitcnt lgkmcnt(0)
	v_mul_f64 v[126:127], v[3:4], v[123:124]
	v_mul_f64 v[123:124], v[1:2], v[123:124]
	v_fma_f64 v[1:2], v[1:2], v[121:122], -v[126:127]
	v_fma_f64 v[3:4], v[3:4], v[121:122], v[123:124]
	buffer_store_dword v2, off, s[0:3], 0 offset:852
	buffer_store_dword v1, off, s[0:3], 0 offset:848
	;; [unrolled: 1-line block ×4, first 2 shown]
.LBB120_27:
	s_or_b32 exec_lo, exec_lo, s8
	v_mov_b32_e32 v4, s11
	v_cmp_lt_u32_e64 s5, 52, v0
	s_clause 0x3
	buffer_load_dword v1, v4, s[0:3], 0 offen
	buffer_load_dword v2, v4, s[0:3], 0 offen offset:4
	buffer_load_dword v3, v4, s[0:3], 0 offen offset:8
	;; [unrolled: 1-line block ×3, first 2 shown]
	s_waitcnt vmcnt(0)
	ds_write_b128 v120, v[1:4]
	s_waitcnt lgkmcnt(0)
	s_waitcnt_vscnt null, 0x0
	s_barrier
	buffer_gl0_inv
	s_and_saveexec_b32 s8, s5
	s_cbranch_execz .LBB120_35
; %bb.28:
	ds_read_b128 v[1:4], v120
	s_andn2_b32 vcc_lo, exec_lo, s64
	s_cbranch_vccnz .LBB120_30
; %bb.29:
	s_clause 0x3
	buffer_load_dword v121, v119, s[0:3], 0 offen offset:8
	buffer_load_dword v122, v119, s[0:3], 0 offen offset:12
	buffer_load_dword v123, v119, s[0:3], 0 offen
	buffer_load_dword v124, v119, s[0:3], 0 offen offset:4
	s_waitcnt vmcnt(2) lgkmcnt(0)
	v_mul_f64 v[126:127], v[3:4], v[121:122]
	v_mul_f64 v[121:122], v[1:2], v[121:122]
	s_waitcnt vmcnt(0)
	v_fma_f64 v[1:2], v[1:2], v[123:124], -v[126:127]
	v_fma_f64 v[3:4], v[3:4], v[123:124], v[121:122]
.LBB120_30:
	s_and_saveexec_b32 s65, s4
	s_cbranch_execz .LBB120_34
; %bb.31:
	v_subrev_nc_u32_e32 v121, 53, v0
	s_movk_i32 s66, 0x6e0
	s_mov_b32 s4, 0
	s_mov_b32 s67, s10
	.p2align	6
.LBB120_32:                             ; =>This Inner Loop Header: Depth=1
	v_mov_b32_e32 v124, s67
	v_add_nc_u32_e32 v121, -1, v121
	s_add_i32 s67, s67, 16
	s_clause 0x3
	buffer_load_dword v122, v124, s[0:3], 0 offen offset:8
	buffer_load_dword v123, v124, s[0:3], 0 offen offset:12
	buffer_load_dword v130, v124, s[0:3], 0 offen
	buffer_load_dword v131, v124, s[0:3], 0 offen offset:4
	v_mov_b32_e32 v124, s66
	v_cmp_eq_u32_e32 vcc_lo, 0, v121
	s_add_i32 s66, s66, 16
	ds_read_b128 v[126:129], v124
	s_or_b32 s4, vcc_lo, s4
	s_waitcnt vmcnt(2) lgkmcnt(0)
	v_mul_f64 v[132:133], v[128:129], v[122:123]
	v_mul_f64 v[122:123], v[126:127], v[122:123]
	s_waitcnt vmcnt(0)
	v_fma_f64 v[126:127], v[126:127], v[130:131], -v[132:133]
	v_fma_f64 v[122:123], v[128:129], v[130:131], v[122:123]
	v_add_f64 v[1:2], v[1:2], v[126:127]
	v_add_f64 v[3:4], v[3:4], v[122:123]
	s_andn2_b32 exec_lo, exec_lo, s4
	s_cbranch_execnz .LBB120_32
; %bb.33:
	s_or_b32 exec_lo, exec_lo, s4
.LBB120_34:
	s_or_b32 exec_lo, exec_lo, s65
	v_mov_b32_e32 v121, 0
	ds_read_b128 v[121:124], v121 offset:832
	s_waitcnt lgkmcnt(0)
	v_mul_f64 v[126:127], v[3:4], v[123:124]
	v_mul_f64 v[123:124], v[1:2], v[123:124]
	v_fma_f64 v[1:2], v[1:2], v[121:122], -v[126:127]
	v_fma_f64 v[3:4], v[3:4], v[121:122], v[123:124]
	buffer_store_dword v2, off, s[0:3], 0 offset:836
	buffer_store_dword v1, off, s[0:3], 0 offset:832
	;; [unrolled: 1-line block ×4, first 2 shown]
.LBB120_35:
	s_or_b32 exec_lo, exec_lo, s8
	v_mov_b32_e32 v4, s12
	v_cmp_lt_u32_e64 s4, 51, v0
	s_clause 0x3
	buffer_load_dword v1, v4, s[0:3], 0 offen
	buffer_load_dword v2, v4, s[0:3], 0 offen offset:4
	buffer_load_dword v3, v4, s[0:3], 0 offen offset:8
	;; [unrolled: 1-line block ×3, first 2 shown]
	s_waitcnt vmcnt(0)
	ds_write_b128 v120, v[1:4]
	s_waitcnt lgkmcnt(0)
	s_waitcnt_vscnt null, 0x0
	s_barrier
	buffer_gl0_inv
	s_and_saveexec_b32 s8, s4
	s_cbranch_execz .LBB120_43
; %bb.36:
	ds_read_b128 v[1:4], v120
	s_andn2_b32 vcc_lo, exec_lo, s64
	s_cbranch_vccnz .LBB120_38
; %bb.37:
	s_clause 0x3
	buffer_load_dword v121, v119, s[0:3], 0 offen offset:8
	buffer_load_dword v122, v119, s[0:3], 0 offen offset:12
	buffer_load_dword v123, v119, s[0:3], 0 offen
	buffer_load_dword v124, v119, s[0:3], 0 offen offset:4
	s_waitcnt vmcnt(2) lgkmcnt(0)
	v_mul_f64 v[126:127], v[3:4], v[121:122]
	v_mul_f64 v[121:122], v[1:2], v[121:122]
	s_waitcnt vmcnt(0)
	v_fma_f64 v[1:2], v[1:2], v[123:124], -v[126:127]
	v_fma_f64 v[3:4], v[3:4], v[123:124], v[121:122]
.LBB120_38:
	s_and_saveexec_b32 s65, s5
	s_cbranch_execz .LBB120_42
; %bb.39:
	v_subrev_nc_u32_e32 v121, 52, v0
	s_movk_i32 s66, 0x6d0
	s_mov_b32 s5, 0
	s_mov_b32 s67, s11
	.p2align	6
.LBB120_40:                             ; =>This Inner Loop Header: Depth=1
	v_mov_b32_e32 v124, s67
	v_add_nc_u32_e32 v121, -1, v121
	s_add_i32 s67, s67, 16
	s_clause 0x3
	buffer_load_dword v122, v124, s[0:3], 0 offen offset:8
	buffer_load_dword v123, v124, s[0:3], 0 offen offset:12
	buffer_load_dword v130, v124, s[0:3], 0 offen
	buffer_load_dword v131, v124, s[0:3], 0 offen offset:4
	v_mov_b32_e32 v124, s66
	v_cmp_eq_u32_e32 vcc_lo, 0, v121
	s_add_i32 s66, s66, 16
	ds_read_b128 v[126:129], v124
	s_or_b32 s5, vcc_lo, s5
	s_waitcnt vmcnt(2) lgkmcnt(0)
	v_mul_f64 v[132:133], v[128:129], v[122:123]
	v_mul_f64 v[122:123], v[126:127], v[122:123]
	s_waitcnt vmcnt(0)
	v_fma_f64 v[126:127], v[126:127], v[130:131], -v[132:133]
	v_fma_f64 v[122:123], v[128:129], v[130:131], v[122:123]
	v_add_f64 v[1:2], v[1:2], v[126:127]
	v_add_f64 v[3:4], v[3:4], v[122:123]
	s_andn2_b32 exec_lo, exec_lo, s5
	s_cbranch_execnz .LBB120_40
; %bb.41:
	s_or_b32 exec_lo, exec_lo, s5
.LBB120_42:
	s_or_b32 exec_lo, exec_lo, s65
	v_mov_b32_e32 v121, 0
	ds_read_b128 v[121:124], v121 offset:816
	s_waitcnt lgkmcnt(0)
	v_mul_f64 v[126:127], v[3:4], v[123:124]
	v_mul_f64 v[123:124], v[1:2], v[123:124]
	v_fma_f64 v[1:2], v[1:2], v[121:122], -v[126:127]
	v_fma_f64 v[3:4], v[3:4], v[121:122], v[123:124]
	buffer_store_dword v2, off, s[0:3], 0 offset:820
	buffer_store_dword v1, off, s[0:3], 0 offset:816
	;; [unrolled: 1-line block ×4, first 2 shown]
.LBB120_43:
	s_or_b32 exec_lo, exec_lo, s8
	v_mov_b32_e32 v4, s13
	v_cmp_lt_u32_e64 s5, 50, v0
	s_clause 0x3
	buffer_load_dword v1, v4, s[0:3], 0 offen
	buffer_load_dword v2, v4, s[0:3], 0 offen offset:4
	buffer_load_dword v3, v4, s[0:3], 0 offen offset:8
	;; [unrolled: 1-line block ×3, first 2 shown]
	s_waitcnt vmcnt(0)
	ds_write_b128 v120, v[1:4]
	s_waitcnt lgkmcnt(0)
	s_waitcnt_vscnt null, 0x0
	s_barrier
	buffer_gl0_inv
	s_and_saveexec_b32 s8, s5
	s_cbranch_execz .LBB120_51
; %bb.44:
	ds_read_b128 v[1:4], v120
	s_andn2_b32 vcc_lo, exec_lo, s64
	s_cbranch_vccnz .LBB120_46
; %bb.45:
	s_clause 0x3
	buffer_load_dword v121, v119, s[0:3], 0 offen offset:8
	buffer_load_dword v122, v119, s[0:3], 0 offen offset:12
	buffer_load_dword v123, v119, s[0:3], 0 offen
	buffer_load_dword v124, v119, s[0:3], 0 offen offset:4
	s_waitcnt vmcnt(2) lgkmcnt(0)
	v_mul_f64 v[126:127], v[3:4], v[121:122]
	v_mul_f64 v[121:122], v[1:2], v[121:122]
	s_waitcnt vmcnt(0)
	v_fma_f64 v[1:2], v[1:2], v[123:124], -v[126:127]
	v_fma_f64 v[3:4], v[3:4], v[123:124], v[121:122]
.LBB120_46:
	s_and_saveexec_b32 s65, s4
	s_cbranch_execz .LBB120_50
; %bb.47:
	v_subrev_nc_u32_e32 v121, 51, v0
	s_movk_i32 s66, 0x6c0
	s_mov_b32 s4, 0
	s_mov_b32 s67, s12
	.p2align	6
.LBB120_48:                             ; =>This Inner Loop Header: Depth=1
	v_mov_b32_e32 v124, s67
	v_add_nc_u32_e32 v121, -1, v121
	s_add_i32 s67, s67, 16
	s_clause 0x3
	buffer_load_dword v122, v124, s[0:3], 0 offen offset:8
	buffer_load_dword v123, v124, s[0:3], 0 offen offset:12
	buffer_load_dword v130, v124, s[0:3], 0 offen
	buffer_load_dword v131, v124, s[0:3], 0 offen offset:4
	v_mov_b32_e32 v124, s66
	v_cmp_eq_u32_e32 vcc_lo, 0, v121
	s_add_i32 s66, s66, 16
	ds_read_b128 v[126:129], v124
	s_or_b32 s4, vcc_lo, s4
	s_waitcnt vmcnt(2) lgkmcnt(0)
	v_mul_f64 v[132:133], v[128:129], v[122:123]
	v_mul_f64 v[122:123], v[126:127], v[122:123]
	s_waitcnt vmcnt(0)
	v_fma_f64 v[126:127], v[126:127], v[130:131], -v[132:133]
	v_fma_f64 v[122:123], v[128:129], v[130:131], v[122:123]
	v_add_f64 v[1:2], v[1:2], v[126:127]
	v_add_f64 v[3:4], v[3:4], v[122:123]
	s_andn2_b32 exec_lo, exec_lo, s4
	s_cbranch_execnz .LBB120_48
; %bb.49:
	s_or_b32 exec_lo, exec_lo, s4
.LBB120_50:
	s_or_b32 exec_lo, exec_lo, s65
	v_mov_b32_e32 v121, 0
	ds_read_b128 v[121:124], v121 offset:800
	s_waitcnt lgkmcnt(0)
	v_mul_f64 v[126:127], v[3:4], v[123:124]
	v_mul_f64 v[123:124], v[1:2], v[123:124]
	v_fma_f64 v[1:2], v[1:2], v[121:122], -v[126:127]
	v_fma_f64 v[3:4], v[3:4], v[121:122], v[123:124]
	buffer_store_dword v2, off, s[0:3], 0 offset:804
	buffer_store_dword v1, off, s[0:3], 0 offset:800
	;; [unrolled: 1-line block ×4, first 2 shown]
.LBB120_51:
	s_or_b32 exec_lo, exec_lo, s8
	v_mov_b32_e32 v4, s14
	v_cmp_lt_u32_e64 s4, 49, v0
	s_clause 0x3
	buffer_load_dword v1, v4, s[0:3], 0 offen
	buffer_load_dword v2, v4, s[0:3], 0 offen offset:4
	buffer_load_dword v3, v4, s[0:3], 0 offen offset:8
	;; [unrolled: 1-line block ×3, first 2 shown]
	s_waitcnt vmcnt(0)
	ds_write_b128 v120, v[1:4]
	s_waitcnt lgkmcnt(0)
	s_waitcnt_vscnt null, 0x0
	s_barrier
	buffer_gl0_inv
	s_and_saveexec_b32 s8, s4
	s_cbranch_execz .LBB120_59
; %bb.52:
	ds_read_b128 v[1:4], v120
	s_andn2_b32 vcc_lo, exec_lo, s64
	s_cbranch_vccnz .LBB120_54
; %bb.53:
	s_clause 0x3
	buffer_load_dword v121, v119, s[0:3], 0 offen offset:8
	buffer_load_dword v122, v119, s[0:3], 0 offen offset:12
	buffer_load_dword v123, v119, s[0:3], 0 offen
	buffer_load_dword v124, v119, s[0:3], 0 offen offset:4
	s_waitcnt vmcnt(2) lgkmcnt(0)
	v_mul_f64 v[126:127], v[3:4], v[121:122]
	v_mul_f64 v[121:122], v[1:2], v[121:122]
	s_waitcnt vmcnt(0)
	v_fma_f64 v[1:2], v[1:2], v[123:124], -v[126:127]
	v_fma_f64 v[3:4], v[3:4], v[123:124], v[121:122]
.LBB120_54:
	s_and_saveexec_b32 s65, s5
	s_cbranch_execz .LBB120_58
; %bb.55:
	v_subrev_nc_u32_e32 v121, 50, v0
	s_movk_i32 s66, 0x6b0
	s_mov_b32 s5, 0
	s_mov_b32 s67, s13
	.p2align	6
.LBB120_56:                             ; =>This Inner Loop Header: Depth=1
	v_mov_b32_e32 v124, s67
	v_add_nc_u32_e32 v121, -1, v121
	s_add_i32 s67, s67, 16
	s_clause 0x3
	buffer_load_dword v122, v124, s[0:3], 0 offen offset:8
	buffer_load_dword v123, v124, s[0:3], 0 offen offset:12
	buffer_load_dword v130, v124, s[0:3], 0 offen
	buffer_load_dword v131, v124, s[0:3], 0 offen offset:4
	v_mov_b32_e32 v124, s66
	v_cmp_eq_u32_e32 vcc_lo, 0, v121
	s_add_i32 s66, s66, 16
	ds_read_b128 v[126:129], v124
	s_or_b32 s5, vcc_lo, s5
	s_waitcnt vmcnt(2) lgkmcnt(0)
	v_mul_f64 v[132:133], v[128:129], v[122:123]
	v_mul_f64 v[122:123], v[126:127], v[122:123]
	s_waitcnt vmcnt(0)
	v_fma_f64 v[126:127], v[126:127], v[130:131], -v[132:133]
	v_fma_f64 v[122:123], v[128:129], v[130:131], v[122:123]
	v_add_f64 v[1:2], v[1:2], v[126:127]
	v_add_f64 v[3:4], v[3:4], v[122:123]
	s_andn2_b32 exec_lo, exec_lo, s5
	s_cbranch_execnz .LBB120_56
; %bb.57:
	s_or_b32 exec_lo, exec_lo, s5
.LBB120_58:
	s_or_b32 exec_lo, exec_lo, s65
	v_mov_b32_e32 v121, 0
	ds_read_b128 v[121:124], v121 offset:784
	s_waitcnt lgkmcnt(0)
	v_mul_f64 v[126:127], v[3:4], v[123:124]
	v_mul_f64 v[123:124], v[1:2], v[123:124]
	v_fma_f64 v[1:2], v[1:2], v[121:122], -v[126:127]
	v_fma_f64 v[3:4], v[3:4], v[121:122], v[123:124]
	buffer_store_dword v2, off, s[0:3], 0 offset:788
	buffer_store_dword v1, off, s[0:3], 0 offset:784
	;; [unrolled: 1-line block ×4, first 2 shown]
.LBB120_59:
	s_or_b32 exec_lo, exec_lo, s8
	v_mov_b32_e32 v4, s15
	v_cmp_lt_u32_e64 s5, 48, v0
	s_clause 0x3
	buffer_load_dword v1, v4, s[0:3], 0 offen
	buffer_load_dword v2, v4, s[0:3], 0 offen offset:4
	buffer_load_dword v3, v4, s[0:3], 0 offen offset:8
	;; [unrolled: 1-line block ×3, first 2 shown]
	s_waitcnt vmcnt(0)
	ds_write_b128 v120, v[1:4]
	s_waitcnt lgkmcnt(0)
	s_waitcnt_vscnt null, 0x0
	s_barrier
	buffer_gl0_inv
	s_and_saveexec_b32 s8, s5
	s_cbranch_execz .LBB120_67
; %bb.60:
	ds_read_b128 v[1:4], v120
	s_andn2_b32 vcc_lo, exec_lo, s64
	s_cbranch_vccnz .LBB120_62
; %bb.61:
	s_clause 0x3
	buffer_load_dword v121, v119, s[0:3], 0 offen offset:8
	buffer_load_dword v122, v119, s[0:3], 0 offen offset:12
	buffer_load_dword v123, v119, s[0:3], 0 offen
	buffer_load_dword v124, v119, s[0:3], 0 offen offset:4
	s_waitcnt vmcnt(2) lgkmcnt(0)
	v_mul_f64 v[126:127], v[3:4], v[121:122]
	v_mul_f64 v[121:122], v[1:2], v[121:122]
	s_waitcnt vmcnt(0)
	v_fma_f64 v[1:2], v[1:2], v[123:124], -v[126:127]
	v_fma_f64 v[3:4], v[3:4], v[123:124], v[121:122]
.LBB120_62:
	s_and_saveexec_b32 s65, s4
	s_cbranch_execz .LBB120_66
; %bb.63:
	v_subrev_nc_u32_e32 v121, 49, v0
	s_movk_i32 s66, 0x6a0
	s_mov_b32 s4, 0
	s_mov_b32 s67, s14
	.p2align	6
.LBB120_64:                             ; =>This Inner Loop Header: Depth=1
	v_mov_b32_e32 v124, s67
	v_add_nc_u32_e32 v121, -1, v121
	s_add_i32 s67, s67, 16
	s_clause 0x3
	buffer_load_dword v122, v124, s[0:3], 0 offen offset:8
	buffer_load_dword v123, v124, s[0:3], 0 offen offset:12
	buffer_load_dword v130, v124, s[0:3], 0 offen
	buffer_load_dword v131, v124, s[0:3], 0 offen offset:4
	v_mov_b32_e32 v124, s66
	v_cmp_eq_u32_e32 vcc_lo, 0, v121
	s_add_i32 s66, s66, 16
	ds_read_b128 v[126:129], v124
	s_or_b32 s4, vcc_lo, s4
	s_waitcnt vmcnt(2) lgkmcnt(0)
	v_mul_f64 v[132:133], v[128:129], v[122:123]
	v_mul_f64 v[122:123], v[126:127], v[122:123]
	s_waitcnt vmcnt(0)
	v_fma_f64 v[126:127], v[126:127], v[130:131], -v[132:133]
	v_fma_f64 v[122:123], v[128:129], v[130:131], v[122:123]
	v_add_f64 v[1:2], v[1:2], v[126:127]
	v_add_f64 v[3:4], v[3:4], v[122:123]
	s_andn2_b32 exec_lo, exec_lo, s4
	s_cbranch_execnz .LBB120_64
; %bb.65:
	s_or_b32 exec_lo, exec_lo, s4
.LBB120_66:
	s_or_b32 exec_lo, exec_lo, s65
	v_mov_b32_e32 v121, 0
	ds_read_b128 v[121:124], v121 offset:768
	s_waitcnt lgkmcnt(0)
	v_mul_f64 v[126:127], v[3:4], v[123:124]
	v_mul_f64 v[123:124], v[1:2], v[123:124]
	v_fma_f64 v[1:2], v[1:2], v[121:122], -v[126:127]
	v_fma_f64 v[3:4], v[3:4], v[121:122], v[123:124]
	buffer_store_dword v2, off, s[0:3], 0 offset:772
	buffer_store_dword v1, off, s[0:3], 0 offset:768
	;; [unrolled: 1-line block ×4, first 2 shown]
.LBB120_67:
	s_or_b32 exec_lo, exec_lo, s8
	v_mov_b32_e32 v4, s16
	v_cmp_lt_u32_e64 s4, 47, v0
	s_clause 0x3
	buffer_load_dword v1, v4, s[0:3], 0 offen
	buffer_load_dword v2, v4, s[0:3], 0 offen offset:4
	buffer_load_dword v3, v4, s[0:3], 0 offen offset:8
	;; [unrolled: 1-line block ×3, first 2 shown]
	s_waitcnt vmcnt(0)
	ds_write_b128 v120, v[1:4]
	s_waitcnt lgkmcnt(0)
	s_waitcnt_vscnt null, 0x0
	s_barrier
	buffer_gl0_inv
	s_and_saveexec_b32 s8, s4
	s_cbranch_execz .LBB120_75
; %bb.68:
	ds_read_b128 v[1:4], v120
	s_andn2_b32 vcc_lo, exec_lo, s64
	s_cbranch_vccnz .LBB120_70
; %bb.69:
	s_clause 0x3
	buffer_load_dword v121, v119, s[0:3], 0 offen offset:8
	buffer_load_dword v122, v119, s[0:3], 0 offen offset:12
	buffer_load_dword v123, v119, s[0:3], 0 offen
	buffer_load_dword v124, v119, s[0:3], 0 offen offset:4
	s_waitcnt vmcnt(2) lgkmcnt(0)
	v_mul_f64 v[126:127], v[3:4], v[121:122]
	v_mul_f64 v[121:122], v[1:2], v[121:122]
	s_waitcnt vmcnt(0)
	v_fma_f64 v[1:2], v[1:2], v[123:124], -v[126:127]
	v_fma_f64 v[3:4], v[3:4], v[123:124], v[121:122]
.LBB120_70:
	s_and_saveexec_b32 s65, s5
	s_cbranch_execz .LBB120_74
; %bb.71:
	v_subrev_nc_u32_e32 v121, 48, v0
	s_movk_i32 s66, 0x690
	s_mov_b32 s5, 0
	s_mov_b32 s67, s15
	.p2align	6
.LBB120_72:                             ; =>This Inner Loop Header: Depth=1
	v_mov_b32_e32 v124, s67
	v_add_nc_u32_e32 v121, -1, v121
	s_add_i32 s67, s67, 16
	s_clause 0x3
	buffer_load_dword v122, v124, s[0:3], 0 offen offset:8
	buffer_load_dword v123, v124, s[0:3], 0 offen offset:12
	buffer_load_dword v130, v124, s[0:3], 0 offen
	buffer_load_dword v131, v124, s[0:3], 0 offen offset:4
	v_mov_b32_e32 v124, s66
	v_cmp_eq_u32_e32 vcc_lo, 0, v121
	s_add_i32 s66, s66, 16
	ds_read_b128 v[126:129], v124
	s_or_b32 s5, vcc_lo, s5
	s_waitcnt vmcnt(2) lgkmcnt(0)
	v_mul_f64 v[132:133], v[128:129], v[122:123]
	v_mul_f64 v[122:123], v[126:127], v[122:123]
	s_waitcnt vmcnt(0)
	v_fma_f64 v[126:127], v[126:127], v[130:131], -v[132:133]
	v_fma_f64 v[122:123], v[128:129], v[130:131], v[122:123]
	v_add_f64 v[1:2], v[1:2], v[126:127]
	v_add_f64 v[3:4], v[3:4], v[122:123]
	s_andn2_b32 exec_lo, exec_lo, s5
	s_cbranch_execnz .LBB120_72
; %bb.73:
	s_or_b32 exec_lo, exec_lo, s5
.LBB120_74:
	s_or_b32 exec_lo, exec_lo, s65
	v_mov_b32_e32 v121, 0
	ds_read_b128 v[121:124], v121 offset:752
	s_waitcnt lgkmcnt(0)
	v_mul_f64 v[126:127], v[3:4], v[123:124]
	v_mul_f64 v[123:124], v[1:2], v[123:124]
	v_fma_f64 v[1:2], v[1:2], v[121:122], -v[126:127]
	v_fma_f64 v[3:4], v[3:4], v[121:122], v[123:124]
	buffer_store_dword v2, off, s[0:3], 0 offset:756
	buffer_store_dword v1, off, s[0:3], 0 offset:752
	;; [unrolled: 1-line block ×4, first 2 shown]
.LBB120_75:
	s_or_b32 exec_lo, exec_lo, s8
	v_mov_b32_e32 v4, s17
	v_cmp_lt_u32_e64 s5, 46, v0
	s_clause 0x3
	buffer_load_dword v1, v4, s[0:3], 0 offen
	buffer_load_dword v2, v4, s[0:3], 0 offen offset:4
	buffer_load_dword v3, v4, s[0:3], 0 offen offset:8
	;; [unrolled: 1-line block ×3, first 2 shown]
	s_waitcnt vmcnt(0)
	ds_write_b128 v120, v[1:4]
	s_waitcnt lgkmcnt(0)
	s_waitcnt_vscnt null, 0x0
	s_barrier
	buffer_gl0_inv
	s_and_saveexec_b32 s8, s5
	s_cbranch_execz .LBB120_83
; %bb.76:
	ds_read_b128 v[1:4], v120
	s_andn2_b32 vcc_lo, exec_lo, s64
	s_cbranch_vccnz .LBB120_78
; %bb.77:
	s_clause 0x3
	buffer_load_dword v121, v119, s[0:3], 0 offen offset:8
	buffer_load_dword v122, v119, s[0:3], 0 offen offset:12
	buffer_load_dword v123, v119, s[0:3], 0 offen
	buffer_load_dword v124, v119, s[0:3], 0 offen offset:4
	s_waitcnt vmcnt(2) lgkmcnt(0)
	v_mul_f64 v[126:127], v[3:4], v[121:122]
	v_mul_f64 v[121:122], v[1:2], v[121:122]
	s_waitcnt vmcnt(0)
	v_fma_f64 v[1:2], v[1:2], v[123:124], -v[126:127]
	v_fma_f64 v[3:4], v[3:4], v[123:124], v[121:122]
.LBB120_78:
	s_and_saveexec_b32 s65, s4
	s_cbranch_execz .LBB120_82
; %bb.79:
	v_subrev_nc_u32_e32 v121, 47, v0
	s_movk_i32 s66, 0x680
	s_mov_b32 s4, 0
	s_mov_b32 s67, s16
	.p2align	6
.LBB120_80:                             ; =>This Inner Loop Header: Depth=1
	v_mov_b32_e32 v124, s67
	v_add_nc_u32_e32 v121, -1, v121
	s_add_i32 s67, s67, 16
	s_clause 0x3
	buffer_load_dword v122, v124, s[0:3], 0 offen offset:8
	buffer_load_dword v123, v124, s[0:3], 0 offen offset:12
	buffer_load_dword v130, v124, s[0:3], 0 offen
	buffer_load_dword v131, v124, s[0:3], 0 offen offset:4
	v_mov_b32_e32 v124, s66
	v_cmp_eq_u32_e32 vcc_lo, 0, v121
	s_add_i32 s66, s66, 16
	ds_read_b128 v[126:129], v124
	s_or_b32 s4, vcc_lo, s4
	s_waitcnt vmcnt(2) lgkmcnt(0)
	v_mul_f64 v[132:133], v[128:129], v[122:123]
	v_mul_f64 v[122:123], v[126:127], v[122:123]
	s_waitcnt vmcnt(0)
	v_fma_f64 v[126:127], v[126:127], v[130:131], -v[132:133]
	v_fma_f64 v[122:123], v[128:129], v[130:131], v[122:123]
	v_add_f64 v[1:2], v[1:2], v[126:127]
	v_add_f64 v[3:4], v[3:4], v[122:123]
	s_andn2_b32 exec_lo, exec_lo, s4
	s_cbranch_execnz .LBB120_80
; %bb.81:
	s_or_b32 exec_lo, exec_lo, s4
.LBB120_82:
	s_or_b32 exec_lo, exec_lo, s65
	v_mov_b32_e32 v121, 0
	ds_read_b128 v[121:124], v121 offset:736
	s_waitcnt lgkmcnt(0)
	v_mul_f64 v[126:127], v[3:4], v[123:124]
	v_mul_f64 v[123:124], v[1:2], v[123:124]
	v_fma_f64 v[1:2], v[1:2], v[121:122], -v[126:127]
	v_fma_f64 v[3:4], v[3:4], v[121:122], v[123:124]
	buffer_store_dword v2, off, s[0:3], 0 offset:740
	buffer_store_dword v1, off, s[0:3], 0 offset:736
	;; [unrolled: 1-line block ×4, first 2 shown]
.LBB120_83:
	s_or_b32 exec_lo, exec_lo, s8
	v_mov_b32_e32 v4, s18
	v_cmp_lt_u32_e64 s4, 45, v0
	s_clause 0x3
	buffer_load_dword v1, v4, s[0:3], 0 offen
	buffer_load_dword v2, v4, s[0:3], 0 offen offset:4
	buffer_load_dword v3, v4, s[0:3], 0 offen offset:8
	;; [unrolled: 1-line block ×3, first 2 shown]
	s_waitcnt vmcnt(0)
	ds_write_b128 v120, v[1:4]
	s_waitcnt lgkmcnt(0)
	s_waitcnt_vscnt null, 0x0
	s_barrier
	buffer_gl0_inv
	s_and_saveexec_b32 s8, s4
	s_cbranch_execz .LBB120_91
; %bb.84:
	ds_read_b128 v[1:4], v120
	s_andn2_b32 vcc_lo, exec_lo, s64
	s_cbranch_vccnz .LBB120_86
; %bb.85:
	s_clause 0x3
	buffer_load_dword v121, v119, s[0:3], 0 offen offset:8
	buffer_load_dword v122, v119, s[0:3], 0 offen offset:12
	buffer_load_dword v123, v119, s[0:3], 0 offen
	buffer_load_dword v124, v119, s[0:3], 0 offen offset:4
	s_waitcnt vmcnt(2) lgkmcnt(0)
	v_mul_f64 v[126:127], v[3:4], v[121:122]
	v_mul_f64 v[121:122], v[1:2], v[121:122]
	s_waitcnt vmcnt(0)
	v_fma_f64 v[1:2], v[1:2], v[123:124], -v[126:127]
	v_fma_f64 v[3:4], v[3:4], v[123:124], v[121:122]
.LBB120_86:
	s_and_saveexec_b32 s65, s5
	s_cbranch_execz .LBB120_90
; %bb.87:
	v_subrev_nc_u32_e32 v121, 46, v0
	s_movk_i32 s66, 0x670
	s_mov_b32 s5, 0
	s_mov_b32 s67, s17
	.p2align	6
.LBB120_88:                             ; =>This Inner Loop Header: Depth=1
	v_mov_b32_e32 v124, s67
	v_add_nc_u32_e32 v121, -1, v121
	s_add_i32 s67, s67, 16
	s_clause 0x3
	buffer_load_dword v122, v124, s[0:3], 0 offen offset:8
	buffer_load_dword v123, v124, s[0:3], 0 offen offset:12
	buffer_load_dword v130, v124, s[0:3], 0 offen
	buffer_load_dword v131, v124, s[0:3], 0 offen offset:4
	v_mov_b32_e32 v124, s66
	v_cmp_eq_u32_e32 vcc_lo, 0, v121
	s_add_i32 s66, s66, 16
	ds_read_b128 v[126:129], v124
	s_or_b32 s5, vcc_lo, s5
	s_waitcnt vmcnt(2) lgkmcnt(0)
	v_mul_f64 v[132:133], v[128:129], v[122:123]
	v_mul_f64 v[122:123], v[126:127], v[122:123]
	s_waitcnt vmcnt(0)
	v_fma_f64 v[126:127], v[126:127], v[130:131], -v[132:133]
	v_fma_f64 v[122:123], v[128:129], v[130:131], v[122:123]
	v_add_f64 v[1:2], v[1:2], v[126:127]
	v_add_f64 v[3:4], v[3:4], v[122:123]
	s_andn2_b32 exec_lo, exec_lo, s5
	s_cbranch_execnz .LBB120_88
; %bb.89:
	s_or_b32 exec_lo, exec_lo, s5
.LBB120_90:
	s_or_b32 exec_lo, exec_lo, s65
	v_mov_b32_e32 v121, 0
	ds_read_b128 v[121:124], v121 offset:720
	s_waitcnt lgkmcnt(0)
	v_mul_f64 v[126:127], v[3:4], v[123:124]
	v_mul_f64 v[123:124], v[1:2], v[123:124]
	v_fma_f64 v[1:2], v[1:2], v[121:122], -v[126:127]
	v_fma_f64 v[3:4], v[3:4], v[121:122], v[123:124]
	buffer_store_dword v2, off, s[0:3], 0 offset:724
	buffer_store_dword v1, off, s[0:3], 0 offset:720
	;; [unrolled: 1-line block ×4, first 2 shown]
.LBB120_91:
	s_or_b32 exec_lo, exec_lo, s8
	v_mov_b32_e32 v4, s19
	v_cmp_lt_u32_e64 s5, 44, v0
	s_clause 0x3
	buffer_load_dword v1, v4, s[0:3], 0 offen
	buffer_load_dword v2, v4, s[0:3], 0 offen offset:4
	buffer_load_dword v3, v4, s[0:3], 0 offen offset:8
	;; [unrolled: 1-line block ×3, first 2 shown]
	s_waitcnt vmcnt(0)
	ds_write_b128 v120, v[1:4]
	s_waitcnt lgkmcnt(0)
	s_waitcnt_vscnt null, 0x0
	s_barrier
	buffer_gl0_inv
	s_and_saveexec_b32 s8, s5
	s_cbranch_execz .LBB120_99
; %bb.92:
	ds_read_b128 v[1:4], v120
	s_andn2_b32 vcc_lo, exec_lo, s64
	s_cbranch_vccnz .LBB120_94
; %bb.93:
	s_clause 0x3
	buffer_load_dword v121, v119, s[0:3], 0 offen offset:8
	buffer_load_dword v122, v119, s[0:3], 0 offen offset:12
	buffer_load_dword v123, v119, s[0:3], 0 offen
	buffer_load_dword v124, v119, s[0:3], 0 offen offset:4
	s_waitcnt vmcnt(2) lgkmcnt(0)
	v_mul_f64 v[126:127], v[3:4], v[121:122]
	v_mul_f64 v[121:122], v[1:2], v[121:122]
	s_waitcnt vmcnt(0)
	v_fma_f64 v[1:2], v[1:2], v[123:124], -v[126:127]
	v_fma_f64 v[3:4], v[3:4], v[123:124], v[121:122]
.LBB120_94:
	s_and_saveexec_b32 s65, s4
	s_cbranch_execz .LBB120_98
; %bb.95:
	v_subrev_nc_u32_e32 v121, 45, v0
	s_movk_i32 s66, 0x660
	s_mov_b32 s4, 0
	s_mov_b32 s67, s18
	.p2align	6
.LBB120_96:                             ; =>This Inner Loop Header: Depth=1
	v_mov_b32_e32 v124, s67
	v_add_nc_u32_e32 v121, -1, v121
	s_add_i32 s67, s67, 16
	s_clause 0x3
	buffer_load_dword v122, v124, s[0:3], 0 offen offset:8
	buffer_load_dword v123, v124, s[0:3], 0 offen offset:12
	buffer_load_dword v130, v124, s[0:3], 0 offen
	buffer_load_dword v131, v124, s[0:3], 0 offen offset:4
	v_mov_b32_e32 v124, s66
	v_cmp_eq_u32_e32 vcc_lo, 0, v121
	s_add_i32 s66, s66, 16
	ds_read_b128 v[126:129], v124
	s_or_b32 s4, vcc_lo, s4
	s_waitcnt vmcnt(2) lgkmcnt(0)
	v_mul_f64 v[132:133], v[128:129], v[122:123]
	v_mul_f64 v[122:123], v[126:127], v[122:123]
	s_waitcnt vmcnt(0)
	v_fma_f64 v[126:127], v[126:127], v[130:131], -v[132:133]
	v_fma_f64 v[122:123], v[128:129], v[130:131], v[122:123]
	v_add_f64 v[1:2], v[1:2], v[126:127]
	v_add_f64 v[3:4], v[3:4], v[122:123]
	s_andn2_b32 exec_lo, exec_lo, s4
	s_cbranch_execnz .LBB120_96
; %bb.97:
	s_or_b32 exec_lo, exec_lo, s4
.LBB120_98:
	s_or_b32 exec_lo, exec_lo, s65
	v_mov_b32_e32 v121, 0
	ds_read_b128 v[121:124], v121 offset:704
	s_waitcnt lgkmcnt(0)
	v_mul_f64 v[126:127], v[3:4], v[123:124]
	v_mul_f64 v[123:124], v[1:2], v[123:124]
	v_fma_f64 v[1:2], v[1:2], v[121:122], -v[126:127]
	v_fma_f64 v[3:4], v[3:4], v[121:122], v[123:124]
	buffer_store_dword v2, off, s[0:3], 0 offset:708
	buffer_store_dword v1, off, s[0:3], 0 offset:704
	;; [unrolled: 1-line block ×4, first 2 shown]
.LBB120_99:
	s_or_b32 exec_lo, exec_lo, s8
	v_mov_b32_e32 v4, s20
	v_cmp_lt_u32_e64 s4, 43, v0
	s_clause 0x3
	buffer_load_dword v1, v4, s[0:3], 0 offen
	buffer_load_dword v2, v4, s[0:3], 0 offen offset:4
	buffer_load_dword v3, v4, s[0:3], 0 offen offset:8
	;; [unrolled: 1-line block ×3, first 2 shown]
	s_waitcnt vmcnt(0)
	ds_write_b128 v120, v[1:4]
	s_waitcnt lgkmcnt(0)
	s_waitcnt_vscnt null, 0x0
	s_barrier
	buffer_gl0_inv
	s_and_saveexec_b32 s8, s4
	s_cbranch_execz .LBB120_107
; %bb.100:
	ds_read_b128 v[1:4], v120
	s_andn2_b32 vcc_lo, exec_lo, s64
	s_cbranch_vccnz .LBB120_102
; %bb.101:
	s_clause 0x3
	buffer_load_dword v121, v119, s[0:3], 0 offen offset:8
	buffer_load_dword v122, v119, s[0:3], 0 offen offset:12
	buffer_load_dword v123, v119, s[0:3], 0 offen
	buffer_load_dword v124, v119, s[0:3], 0 offen offset:4
	s_waitcnt vmcnt(2) lgkmcnt(0)
	v_mul_f64 v[126:127], v[3:4], v[121:122]
	v_mul_f64 v[121:122], v[1:2], v[121:122]
	s_waitcnt vmcnt(0)
	v_fma_f64 v[1:2], v[1:2], v[123:124], -v[126:127]
	v_fma_f64 v[3:4], v[3:4], v[123:124], v[121:122]
.LBB120_102:
	s_and_saveexec_b32 s65, s5
	s_cbranch_execz .LBB120_106
; %bb.103:
	v_subrev_nc_u32_e32 v121, 44, v0
	s_movk_i32 s66, 0x650
	s_mov_b32 s5, 0
	s_mov_b32 s67, s19
	.p2align	6
.LBB120_104:                            ; =>This Inner Loop Header: Depth=1
	v_mov_b32_e32 v124, s67
	v_add_nc_u32_e32 v121, -1, v121
	s_add_i32 s67, s67, 16
	s_clause 0x3
	buffer_load_dword v122, v124, s[0:3], 0 offen offset:8
	buffer_load_dword v123, v124, s[0:3], 0 offen offset:12
	buffer_load_dword v130, v124, s[0:3], 0 offen
	buffer_load_dword v131, v124, s[0:3], 0 offen offset:4
	v_mov_b32_e32 v124, s66
	v_cmp_eq_u32_e32 vcc_lo, 0, v121
	s_add_i32 s66, s66, 16
	ds_read_b128 v[126:129], v124
	s_or_b32 s5, vcc_lo, s5
	s_waitcnt vmcnt(2) lgkmcnt(0)
	v_mul_f64 v[132:133], v[128:129], v[122:123]
	v_mul_f64 v[122:123], v[126:127], v[122:123]
	s_waitcnt vmcnt(0)
	v_fma_f64 v[126:127], v[126:127], v[130:131], -v[132:133]
	v_fma_f64 v[122:123], v[128:129], v[130:131], v[122:123]
	v_add_f64 v[1:2], v[1:2], v[126:127]
	v_add_f64 v[3:4], v[3:4], v[122:123]
	s_andn2_b32 exec_lo, exec_lo, s5
	s_cbranch_execnz .LBB120_104
; %bb.105:
	s_or_b32 exec_lo, exec_lo, s5
.LBB120_106:
	s_or_b32 exec_lo, exec_lo, s65
	v_mov_b32_e32 v121, 0
	ds_read_b128 v[121:124], v121 offset:688
	s_waitcnt lgkmcnt(0)
	v_mul_f64 v[126:127], v[3:4], v[123:124]
	v_mul_f64 v[123:124], v[1:2], v[123:124]
	v_fma_f64 v[1:2], v[1:2], v[121:122], -v[126:127]
	v_fma_f64 v[3:4], v[3:4], v[121:122], v[123:124]
	buffer_store_dword v2, off, s[0:3], 0 offset:692
	buffer_store_dword v1, off, s[0:3], 0 offset:688
	;; [unrolled: 1-line block ×4, first 2 shown]
.LBB120_107:
	s_or_b32 exec_lo, exec_lo, s8
	v_mov_b32_e32 v4, s21
	v_cmp_lt_u32_e64 s5, 42, v0
	s_clause 0x3
	buffer_load_dword v1, v4, s[0:3], 0 offen
	buffer_load_dword v2, v4, s[0:3], 0 offen offset:4
	buffer_load_dword v3, v4, s[0:3], 0 offen offset:8
	;; [unrolled: 1-line block ×3, first 2 shown]
	s_waitcnt vmcnt(0)
	ds_write_b128 v120, v[1:4]
	s_waitcnt lgkmcnt(0)
	s_waitcnt_vscnt null, 0x0
	s_barrier
	buffer_gl0_inv
	s_and_saveexec_b32 s8, s5
	s_cbranch_execz .LBB120_115
; %bb.108:
	ds_read_b128 v[1:4], v120
	s_andn2_b32 vcc_lo, exec_lo, s64
	s_cbranch_vccnz .LBB120_110
; %bb.109:
	s_clause 0x3
	buffer_load_dword v121, v119, s[0:3], 0 offen offset:8
	buffer_load_dword v122, v119, s[0:3], 0 offen offset:12
	buffer_load_dword v123, v119, s[0:3], 0 offen
	buffer_load_dword v124, v119, s[0:3], 0 offen offset:4
	s_waitcnt vmcnt(2) lgkmcnt(0)
	v_mul_f64 v[126:127], v[3:4], v[121:122]
	v_mul_f64 v[121:122], v[1:2], v[121:122]
	s_waitcnt vmcnt(0)
	v_fma_f64 v[1:2], v[1:2], v[123:124], -v[126:127]
	v_fma_f64 v[3:4], v[3:4], v[123:124], v[121:122]
.LBB120_110:
	s_and_saveexec_b32 s65, s4
	s_cbranch_execz .LBB120_114
; %bb.111:
	v_subrev_nc_u32_e32 v121, 43, v0
	s_movk_i32 s66, 0x640
	s_mov_b32 s4, 0
	s_mov_b32 s67, s20
	.p2align	6
.LBB120_112:                            ; =>This Inner Loop Header: Depth=1
	v_mov_b32_e32 v124, s67
	v_add_nc_u32_e32 v121, -1, v121
	s_add_i32 s67, s67, 16
	s_clause 0x3
	buffer_load_dword v122, v124, s[0:3], 0 offen offset:8
	buffer_load_dword v123, v124, s[0:3], 0 offen offset:12
	buffer_load_dword v130, v124, s[0:3], 0 offen
	buffer_load_dword v131, v124, s[0:3], 0 offen offset:4
	v_mov_b32_e32 v124, s66
	v_cmp_eq_u32_e32 vcc_lo, 0, v121
	s_add_i32 s66, s66, 16
	ds_read_b128 v[126:129], v124
	s_or_b32 s4, vcc_lo, s4
	s_waitcnt vmcnt(2) lgkmcnt(0)
	v_mul_f64 v[132:133], v[128:129], v[122:123]
	v_mul_f64 v[122:123], v[126:127], v[122:123]
	s_waitcnt vmcnt(0)
	v_fma_f64 v[126:127], v[126:127], v[130:131], -v[132:133]
	v_fma_f64 v[122:123], v[128:129], v[130:131], v[122:123]
	v_add_f64 v[1:2], v[1:2], v[126:127]
	v_add_f64 v[3:4], v[3:4], v[122:123]
	s_andn2_b32 exec_lo, exec_lo, s4
	s_cbranch_execnz .LBB120_112
; %bb.113:
	s_or_b32 exec_lo, exec_lo, s4
.LBB120_114:
	s_or_b32 exec_lo, exec_lo, s65
	v_mov_b32_e32 v121, 0
	ds_read_b128 v[121:124], v121 offset:672
	s_waitcnt lgkmcnt(0)
	v_mul_f64 v[126:127], v[3:4], v[123:124]
	v_mul_f64 v[123:124], v[1:2], v[123:124]
	v_fma_f64 v[1:2], v[1:2], v[121:122], -v[126:127]
	v_fma_f64 v[3:4], v[3:4], v[121:122], v[123:124]
	buffer_store_dword v2, off, s[0:3], 0 offset:676
	buffer_store_dword v1, off, s[0:3], 0 offset:672
	;; [unrolled: 1-line block ×4, first 2 shown]
.LBB120_115:
	s_or_b32 exec_lo, exec_lo, s8
	v_mov_b32_e32 v4, s22
	v_cmp_lt_u32_e64 s4, 41, v0
	s_clause 0x3
	buffer_load_dword v1, v4, s[0:3], 0 offen
	buffer_load_dword v2, v4, s[0:3], 0 offen offset:4
	buffer_load_dword v3, v4, s[0:3], 0 offen offset:8
	;; [unrolled: 1-line block ×3, first 2 shown]
	s_waitcnt vmcnt(0)
	ds_write_b128 v120, v[1:4]
	s_waitcnt lgkmcnt(0)
	s_waitcnt_vscnt null, 0x0
	s_barrier
	buffer_gl0_inv
	s_and_saveexec_b32 s8, s4
	s_cbranch_execz .LBB120_123
; %bb.116:
	ds_read_b128 v[1:4], v120
	s_andn2_b32 vcc_lo, exec_lo, s64
	s_cbranch_vccnz .LBB120_118
; %bb.117:
	s_clause 0x3
	buffer_load_dword v121, v119, s[0:3], 0 offen offset:8
	buffer_load_dword v122, v119, s[0:3], 0 offen offset:12
	buffer_load_dword v123, v119, s[0:3], 0 offen
	buffer_load_dword v124, v119, s[0:3], 0 offen offset:4
	s_waitcnt vmcnt(2) lgkmcnt(0)
	v_mul_f64 v[126:127], v[3:4], v[121:122]
	v_mul_f64 v[121:122], v[1:2], v[121:122]
	s_waitcnt vmcnt(0)
	v_fma_f64 v[1:2], v[1:2], v[123:124], -v[126:127]
	v_fma_f64 v[3:4], v[3:4], v[123:124], v[121:122]
.LBB120_118:
	s_and_saveexec_b32 s65, s5
	s_cbranch_execz .LBB120_122
; %bb.119:
	v_subrev_nc_u32_e32 v121, 42, v0
	s_movk_i32 s66, 0x630
	s_mov_b32 s5, 0
	s_mov_b32 s67, s21
	.p2align	6
.LBB120_120:                            ; =>This Inner Loop Header: Depth=1
	v_mov_b32_e32 v124, s67
	v_add_nc_u32_e32 v121, -1, v121
	s_add_i32 s67, s67, 16
	s_clause 0x3
	buffer_load_dword v122, v124, s[0:3], 0 offen offset:8
	buffer_load_dword v123, v124, s[0:3], 0 offen offset:12
	buffer_load_dword v130, v124, s[0:3], 0 offen
	buffer_load_dword v131, v124, s[0:3], 0 offen offset:4
	v_mov_b32_e32 v124, s66
	v_cmp_eq_u32_e32 vcc_lo, 0, v121
	s_add_i32 s66, s66, 16
	ds_read_b128 v[126:129], v124
	s_or_b32 s5, vcc_lo, s5
	s_waitcnt vmcnt(2) lgkmcnt(0)
	v_mul_f64 v[132:133], v[128:129], v[122:123]
	v_mul_f64 v[122:123], v[126:127], v[122:123]
	s_waitcnt vmcnt(0)
	v_fma_f64 v[126:127], v[126:127], v[130:131], -v[132:133]
	v_fma_f64 v[122:123], v[128:129], v[130:131], v[122:123]
	v_add_f64 v[1:2], v[1:2], v[126:127]
	v_add_f64 v[3:4], v[3:4], v[122:123]
	s_andn2_b32 exec_lo, exec_lo, s5
	s_cbranch_execnz .LBB120_120
; %bb.121:
	s_or_b32 exec_lo, exec_lo, s5
.LBB120_122:
	s_or_b32 exec_lo, exec_lo, s65
	v_mov_b32_e32 v121, 0
	ds_read_b128 v[121:124], v121 offset:656
	s_waitcnt lgkmcnt(0)
	v_mul_f64 v[126:127], v[3:4], v[123:124]
	v_mul_f64 v[123:124], v[1:2], v[123:124]
	v_fma_f64 v[1:2], v[1:2], v[121:122], -v[126:127]
	v_fma_f64 v[3:4], v[3:4], v[121:122], v[123:124]
	buffer_store_dword v2, off, s[0:3], 0 offset:660
	buffer_store_dword v1, off, s[0:3], 0 offset:656
	;; [unrolled: 1-line block ×4, first 2 shown]
.LBB120_123:
	s_or_b32 exec_lo, exec_lo, s8
	v_mov_b32_e32 v4, s23
	v_cmp_lt_u32_e64 s5, 40, v0
	s_clause 0x3
	buffer_load_dword v1, v4, s[0:3], 0 offen
	buffer_load_dword v2, v4, s[0:3], 0 offen offset:4
	buffer_load_dword v3, v4, s[0:3], 0 offen offset:8
	;; [unrolled: 1-line block ×3, first 2 shown]
	s_waitcnt vmcnt(0)
	ds_write_b128 v120, v[1:4]
	s_waitcnt lgkmcnt(0)
	s_waitcnt_vscnt null, 0x0
	s_barrier
	buffer_gl0_inv
	s_and_saveexec_b32 s8, s5
	s_cbranch_execz .LBB120_131
; %bb.124:
	ds_read_b128 v[1:4], v120
	s_andn2_b32 vcc_lo, exec_lo, s64
	s_cbranch_vccnz .LBB120_126
; %bb.125:
	s_clause 0x3
	buffer_load_dword v121, v119, s[0:3], 0 offen offset:8
	buffer_load_dword v122, v119, s[0:3], 0 offen offset:12
	buffer_load_dword v123, v119, s[0:3], 0 offen
	buffer_load_dword v124, v119, s[0:3], 0 offen offset:4
	s_waitcnt vmcnt(2) lgkmcnt(0)
	v_mul_f64 v[126:127], v[3:4], v[121:122]
	v_mul_f64 v[121:122], v[1:2], v[121:122]
	s_waitcnt vmcnt(0)
	v_fma_f64 v[1:2], v[1:2], v[123:124], -v[126:127]
	v_fma_f64 v[3:4], v[3:4], v[123:124], v[121:122]
.LBB120_126:
	s_and_saveexec_b32 s65, s4
	s_cbranch_execz .LBB120_130
; %bb.127:
	v_subrev_nc_u32_e32 v121, 41, v0
	s_movk_i32 s66, 0x620
	s_mov_b32 s4, 0
	s_mov_b32 s67, s22
	.p2align	6
.LBB120_128:                            ; =>This Inner Loop Header: Depth=1
	v_mov_b32_e32 v124, s67
	v_add_nc_u32_e32 v121, -1, v121
	s_add_i32 s67, s67, 16
	s_clause 0x3
	buffer_load_dword v122, v124, s[0:3], 0 offen offset:8
	buffer_load_dword v123, v124, s[0:3], 0 offen offset:12
	buffer_load_dword v130, v124, s[0:3], 0 offen
	buffer_load_dword v131, v124, s[0:3], 0 offen offset:4
	v_mov_b32_e32 v124, s66
	v_cmp_eq_u32_e32 vcc_lo, 0, v121
	s_add_i32 s66, s66, 16
	ds_read_b128 v[126:129], v124
	s_or_b32 s4, vcc_lo, s4
	s_waitcnt vmcnt(2) lgkmcnt(0)
	v_mul_f64 v[132:133], v[128:129], v[122:123]
	v_mul_f64 v[122:123], v[126:127], v[122:123]
	s_waitcnt vmcnt(0)
	v_fma_f64 v[126:127], v[126:127], v[130:131], -v[132:133]
	v_fma_f64 v[122:123], v[128:129], v[130:131], v[122:123]
	v_add_f64 v[1:2], v[1:2], v[126:127]
	v_add_f64 v[3:4], v[3:4], v[122:123]
	s_andn2_b32 exec_lo, exec_lo, s4
	s_cbranch_execnz .LBB120_128
; %bb.129:
	s_or_b32 exec_lo, exec_lo, s4
.LBB120_130:
	s_or_b32 exec_lo, exec_lo, s65
	v_mov_b32_e32 v121, 0
	ds_read_b128 v[121:124], v121 offset:640
	s_waitcnt lgkmcnt(0)
	v_mul_f64 v[126:127], v[3:4], v[123:124]
	v_mul_f64 v[123:124], v[1:2], v[123:124]
	v_fma_f64 v[1:2], v[1:2], v[121:122], -v[126:127]
	v_fma_f64 v[3:4], v[3:4], v[121:122], v[123:124]
	buffer_store_dword v2, off, s[0:3], 0 offset:644
	buffer_store_dword v1, off, s[0:3], 0 offset:640
	;; [unrolled: 1-line block ×4, first 2 shown]
.LBB120_131:
	s_or_b32 exec_lo, exec_lo, s8
	v_mov_b32_e32 v4, s24
	v_cmp_lt_u32_e64 s4, 39, v0
	s_clause 0x3
	buffer_load_dword v1, v4, s[0:3], 0 offen
	buffer_load_dword v2, v4, s[0:3], 0 offen offset:4
	buffer_load_dword v3, v4, s[0:3], 0 offen offset:8
	;; [unrolled: 1-line block ×3, first 2 shown]
	s_waitcnt vmcnt(0)
	ds_write_b128 v120, v[1:4]
	s_waitcnt lgkmcnt(0)
	s_waitcnt_vscnt null, 0x0
	s_barrier
	buffer_gl0_inv
	s_and_saveexec_b32 s8, s4
	s_cbranch_execz .LBB120_139
; %bb.132:
	ds_read_b128 v[1:4], v120
	s_andn2_b32 vcc_lo, exec_lo, s64
	s_cbranch_vccnz .LBB120_134
; %bb.133:
	s_clause 0x3
	buffer_load_dword v121, v119, s[0:3], 0 offen offset:8
	buffer_load_dword v122, v119, s[0:3], 0 offen offset:12
	buffer_load_dword v123, v119, s[0:3], 0 offen
	buffer_load_dword v124, v119, s[0:3], 0 offen offset:4
	s_waitcnt vmcnt(2) lgkmcnt(0)
	v_mul_f64 v[126:127], v[3:4], v[121:122]
	v_mul_f64 v[121:122], v[1:2], v[121:122]
	s_waitcnt vmcnt(0)
	v_fma_f64 v[1:2], v[1:2], v[123:124], -v[126:127]
	v_fma_f64 v[3:4], v[3:4], v[123:124], v[121:122]
.LBB120_134:
	s_and_saveexec_b32 s65, s5
	s_cbranch_execz .LBB120_138
; %bb.135:
	v_subrev_nc_u32_e32 v121, 40, v0
	s_movk_i32 s66, 0x610
	s_mov_b32 s5, 0
	s_mov_b32 s67, s23
	.p2align	6
.LBB120_136:                            ; =>This Inner Loop Header: Depth=1
	v_mov_b32_e32 v124, s67
	v_add_nc_u32_e32 v121, -1, v121
	s_add_i32 s67, s67, 16
	s_clause 0x3
	buffer_load_dword v122, v124, s[0:3], 0 offen offset:8
	buffer_load_dword v123, v124, s[0:3], 0 offen offset:12
	buffer_load_dword v130, v124, s[0:3], 0 offen
	buffer_load_dword v131, v124, s[0:3], 0 offen offset:4
	v_mov_b32_e32 v124, s66
	v_cmp_eq_u32_e32 vcc_lo, 0, v121
	s_add_i32 s66, s66, 16
	ds_read_b128 v[126:129], v124
	s_or_b32 s5, vcc_lo, s5
	s_waitcnt vmcnt(2) lgkmcnt(0)
	v_mul_f64 v[132:133], v[128:129], v[122:123]
	v_mul_f64 v[122:123], v[126:127], v[122:123]
	s_waitcnt vmcnt(0)
	v_fma_f64 v[126:127], v[126:127], v[130:131], -v[132:133]
	v_fma_f64 v[122:123], v[128:129], v[130:131], v[122:123]
	v_add_f64 v[1:2], v[1:2], v[126:127]
	v_add_f64 v[3:4], v[3:4], v[122:123]
	s_andn2_b32 exec_lo, exec_lo, s5
	s_cbranch_execnz .LBB120_136
; %bb.137:
	s_or_b32 exec_lo, exec_lo, s5
.LBB120_138:
	s_or_b32 exec_lo, exec_lo, s65
	v_mov_b32_e32 v121, 0
	ds_read_b128 v[121:124], v121 offset:624
	s_waitcnt lgkmcnt(0)
	v_mul_f64 v[126:127], v[3:4], v[123:124]
	v_mul_f64 v[123:124], v[1:2], v[123:124]
	v_fma_f64 v[1:2], v[1:2], v[121:122], -v[126:127]
	v_fma_f64 v[3:4], v[3:4], v[121:122], v[123:124]
	buffer_store_dword v2, off, s[0:3], 0 offset:628
	buffer_store_dword v1, off, s[0:3], 0 offset:624
	;; [unrolled: 1-line block ×4, first 2 shown]
.LBB120_139:
	s_or_b32 exec_lo, exec_lo, s8
	v_mov_b32_e32 v4, s25
	v_cmp_lt_u32_e64 s5, 38, v0
	s_clause 0x3
	buffer_load_dword v1, v4, s[0:3], 0 offen
	buffer_load_dword v2, v4, s[0:3], 0 offen offset:4
	buffer_load_dword v3, v4, s[0:3], 0 offen offset:8
	;; [unrolled: 1-line block ×3, first 2 shown]
	s_waitcnt vmcnt(0)
	ds_write_b128 v120, v[1:4]
	s_waitcnt lgkmcnt(0)
	s_waitcnt_vscnt null, 0x0
	s_barrier
	buffer_gl0_inv
	s_and_saveexec_b32 s8, s5
	s_cbranch_execz .LBB120_147
; %bb.140:
	ds_read_b128 v[1:4], v120
	s_andn2_b32 vcc_lo, exec_lo, s64
	s_cbranch_vccnz .LBB120_142
; %bb.141:
	s_clause 0x3
	buffer_load_dword v121, v119, s[0:3], 0 offen offset:8
	buffer_load_dword v122, v119, s[0:3], 0 offen offset:12
	buffer_load_dword v123, v119, s[0:3], 0 offen
	buffer_load_dword v124, v119, s[0:3], 0 offen offset:4
	s_waitcnt vmcnt(2) lgkmcnt(0)
	v_mul_f64 v[126:127], v[3:4], v[121:122]
	v_mul_f64 v[121:122], v[1:2], v[121:122]
	s_waitcnt vmcnt(0)
	v_fma_f64 v[1:2], v[1:2], v[123:124], -v[126:127]
	v_fma_f64 v[3:4], v[3:4], v[123:124], v[121:122]
.LBB120_142:
	s_and_saveexec_b32 s65, s4
	s_cbranch_execz .LBB120_146
; %bb.143:
	v_subrev_nc_u32_e32 v121, 39, v0
	s_movk_i32 s66, 0x600
	s_mov_b32 s4, 0
	s_mov_b32 s67, s24
	.p2align	6
.LBB120_144:                            ; =>This Inner Loop Header: Depth=1
	v_mov_b32_e32 v124, s67
	v_add_nc_u32_e32 v121, -1, v121
	s_add_i32 s67, s67, 16
	s_clause 0x3
	buffer_load_dword v122, v124, s[0:3], 0 offen offset:8
	buffer_load_dword v123, v124, s[0:3], 0 offen offset:12
	buffer_load_dword v130, v124, s[0:3], 0 offen
	buffer_load_dword v131, v124, s[0:3], 0 offen offset:4
	v_mov_b32_e32 v124, s66
	v_cmp_eq_u32_e32 vcc_lo, 0, v121
	s_add_i32 s66, s66, 16
	ds_read_b128 v[126:129], v124
	s_or_b32 s4, vcc_lo, s4
	s_waitcnt vmcnt(2) lgkmcnt(0)
	v_mul_f64 v[132:133], v[128:129], v[122:123]
	v_mul_f64 v[122:123], v[126:127], v[122:123]
	s_waitcnt vmcnt(0)
	v_fma_f64 v[126:127], v[126:127], v[130:131], -v[132:133]
	v_fma_f64 v[122:123], v[128:129], v[130:131], v[122:123]
	v_add_f64 v[1:2], v[1:2], v[126:127]
	v_add_f64 v[3:4], v[3:4], v[122:123]
	s_andn2_b32 exec_lo, exec_lo, s4
	s_cbranch_execnz .LBB120_144
; %bb.145:
	s_or_b32 exec_lo, exec_lo, s4
.LBB120_146:
	s_or_b32 exec_lo, exec_lo, s65
	v_mov_b32_e32 v121, 0
	ds_read_b128 v[121:124], v121 offset:608
	s_waitcnt lgkmcnt(0)
	v_mul_f64 v[126:127], v[3:4], v[123:124]
	v_mul_f64 v[123:124], v[1:2], v[123:124]
	v_fma_f64 v[1:2], v[1:2], v[121:122], -v[126:127]
	v_fma_f64 v[3:4], v[3:4], v[121:122], v[123:124]
	buffer_store_dword v2, off, s[0:3], 0 offset:612
	buffer_store_dword v1, off, s[0:3], 0 offset:608
	;; [unrolled: 1-line block ×4, first 2 shown]
.LBB120_147:
	s_or_b32 exec_lo, exec_lo, s8
	v_mov_b32_e32 v4, s26
	v_cmp_lt_u32_e64 s4, 37, v0
	s_clause 0x3
	buffer_load_dword v1, v4, s[0:3], 0 offen
	buffer_load_dword v2, v4, s[0:3], 0 offen offset:4
	buffer_load_dword v3, v4, s[0:3], 0 offen offset:8
	;; [unrolled: 1-line block ×3, first 2 shown]
	s_waitcnt vmcnt(0)
	ds_write_b128 v120, v[1:4]
	s_waitcnt lgkmcnt(0)
	s_waitcnt_vscnt null, 0x0
	s_barrier
	buffer_gl0_inv
	s_and_saveexec_b32 s8, s4
	s_cbranch_execz .LBB120_155
; %bb.148:
	ds_read_b128 v[1:4], v120
	s_andn2_b32 vcc_lo, exec_lo, s64
	s_cbranch_vccnz .LBB120_150
; %bb.149:
	s_clause 0x3
	buffer_load_dword v121, v119, s[0:3], 0 offen offset:8
	buffer_load_dword v122, v119, s[0:3], 0 offen offset:12
	buffer_load_dword v123, v119, s[0:3], 0 offen
	buffer_load_dword v124, v119, s[0:3], 0 offen offset:4
	s_waitcnt vmcnt(2) lgkmcnt(0)
	v_mul_f64 v[126:127], v[3:4], v[121:122]
	v_mul_f64 v[121:122], v[1:2], v[121:122]
	s_waitcnt vmcnt(0)
	v_fma_f64 v[1:2], v[1:2], v[123:124], -v[126:127]
	v_fma_f64 v[3:4], v[3:4], v[123:124], v[121:122]
.LBB120_150:
	s_and_saveexec_b32 s65, s5
	s_cbranch_execz .LBB120_154
; %bb.151:
	v_subrev_nc_u32_e32 v121, 38, v0
	s_movk_i32 s66, 0x5f0
	s_mov_b32 s5, 0
	s_mov_b32 s67, s25
	.p2align	6
.LBB120_152:                            ; =>This Inner Loop Header: Depth=1
	v_mov_b32_e32 v124, s67
	v_add_nc_u32_e32 v121, -1, v121
	s_add_i32 s67, s67, 16
	s_clause 0x3
	buffer_load_dword v122, v124, s[0:3], 0 offen offset:8
	buffer_load_dword v123, v124, s[0:3], 0 offen offset:12
	buffer_load_dword v130, v124, s[0:3], 0 offen
	buffer_load_dword v131, v124, s[0:3], 0 offen offset:4
	v_mov_b32_e32 v124, s66
	v_cmp_eq_u32_e32 vcc_lo, 0, v121
	s_add_i32 s66, s66, 16
	ds_read_b128 v[126:129], v124
	s_or_b32 s5, vcc_lo, s5
	s_waitcnt vmcnt(2) lgkmcnt(0)
	v_mul_f64 v[132:133], v[128:129], v[122:123]
	v_mul_f64 v[122:123], v[126:127], v[122:123]
	s_waitcnt vmcnt(0)
	v_fma_f64 v[126:127], v[126:127], v[130:131], -v[132:133]
	v_fma_f64 v[122:123], v[128:129], v[130:131], v[122:123]
	v_add_f64 v[1:2], v[1:2], v[126:127]
	v_add_f64 v[3:4], v[3:4], v[122:123]
	s_andn2_b32 exec_lo, exec_lo, s5
	s_cbranch_execnz .LBB120_152
; %bb.153:
	s_or_b32 exec_lo, exec_lo, s5
.LBB120_154:
	s_or_b32 exec_lo, exec_lo, s65
	v_mov_b32_e32 v121, 0
	ds_read_b128 v[121:124], v121 offset:592
	s_waitcnt lgkmcnt(0)
	v_mul_f64 v[126:127], v[3:4], v[123:124]
	v_mul_f64 v[123:124], v[1:2], v[123:124]
	v_fma_f64 v[1:2], v[1:2], v[121:122], -v[126:127]
	v_fma_f64 v[3:4], v[3:4], v[121:122], v[123:124]
	buffer_store_dword v2, off, s[0:3], 0 offset:596
	buffer_store_dword v1, off, s[0:3], 0 offset:592
	;; [unrolled: 1-line block ×4, first 2 shown]
.LBB120_155:
	s_or_b32 exec_lo, exec_lo, s8
	v_mov_b32_e32 v4, s27
	v_cmp_lt_u32_e64 s5, 36, v0
	s_clause 0x3
	buffer_load_dword v1, v4, s[0:3], 0 offen
	buffer_load_dword v2, v4, s[0:3], 0 offen offset:4
	buffer_load_dword v3, v4, s[0:3], 0 offen offset:8
	;; [unrolled: 1-line block ×3, first 2 shown]
	s_waitcnt vmcnt(0)
	ds_write_b128 v120, v[1:4]
	s_waitcnt lgkmcnt(0)
	s_waitcnt_vscnt null, 0x0
	s_barrier
	buffer_gl0_inv
	s_and_saveexec_b32 s8, s5
	s_cbranch_execz .LBB120_163
; %bb.156:
	ds_read_b128 v[1:4], v120
	s_andn2_b32 vcc_lo, exec_lo, s64
	s_cbranch_vccnz .LBB120_158
; %bb.157:
	s_clause 0x3
	buffer_load_dword v121, v119, s[0:3], 0 offen offset:8
	buffer_load_dword v122, v119, s[0:3], 0 offen offset:12
	buffer_load_dword v123, v119, s[0:3], 0 offen
	buffer_load_dword v124, v119, s[0:3], 0 offen offset:4
	s_waitcnt vmcnt(2) lgkmcnt(0)
	v_mul_f64 v[126:127], v[3:4], v[121:122]
	v_mul_f64 v[121:122], v[1:2], v[121:122]
	s_waitcnt vmcnt(0)
	v_fma_f64 v[1:2], v[1:2], v[123:124], -v[126:127]
	v_fma_f64 v[3:4], v[3:4], v[123:124], v[121:122]
.LBB120_158:
	s_and_saveexec_b32 s65, s4
	s_cbranch_execz .LBB120_162
; %bb.159:
	v_subrev_nc_u32_e32 v121, 37, v0
	s_movk_i32 s66, 0x5e0
	s_mov_b32 s4, 0
	s_mov_b32 s67, s26
	.p2align	6
.LBB120_160:                            ; =>This Inner Loop Header: Depth=1
	v_mov_b32_e32 v124, s67
	v_add_nc_u32_e32 v121, -1, v121
	s_add_i32 s67, s67, 16
	s_clause 0x3
	buffer_load_dword v122, v124, s[0:3], 0 offen offset:8
	buffer_load_dword v123, v124, s[0:3], 0 offen offset:12
	buffer_load_dword v130, v124, s[0:3], 0 offen
	buffer_load_dword v131, v124, s[0:3], 0 offen offset:4
	v_mov_b32_e32 v124, s66
	v_cmp_eq_u32_e32 vcc_lo, 0, v121
	s_add_i32 s66, s66, 16
	ds_read_b128 v[126:129], v124
	s_or_b32 s4, vcc_lo, s4
	s_waitcnt vmcnt(2) lgkmcnt(0)
	v_mul_f64 v[132:133], v[128:129], v[122:123]
	v_mul_f64 v[122:123], v[126:127], v[122:123]
	s_waitcnt vmcnt(0)
	v_fma_f64 v[126:127], v[126:127], v[130:131], -v[132:133]
	v_fma_f64 v[122:123], v[128:129], v[130:131], v[122:123]
	v_add_f64 v[1:2], v[1:2], v[126:127]
	v_add_f64 v[3:4], v[3:4], v[122:123]
	s_andn2_b32 exec_lo, exec_lo, s4
	s_cbranch_execnz .LBB120_160
; %bb.161:
	s_or_b32 exec_lo, exec_lo, s4
.LBB120_162:
	s_or_b32 exec_lo, exec_lo, s65
	v_mov_b32_e32 v121, 0
	ds_read_b128 v[121:124], v121 offset:576
	s_waitcnt lgkmcnt(0)
	v_mul_f64 v[126:127], v[3:4], v[123:124]
	v_mul_f64 v[123:124], v[1:2], v[123:124]
	v_fma_f64 v[1:2], v[1:2], v[121:122], -v[126:127]
	v_fma_f64 v[3:4], v[3:4], v[121:122], v[123:124]
	buffer_store_dword v2, off, s[0:3], 0 offset:580
	buffer_store_dword v1, off, s[0:3], 0 offset:576
	;; [unrolled: 1-line block ×4, first 2 shown]
.LBB120_163:
	s_or_b32 exec_lo, exec_lo, s8
	v_mov_b32_e32 v4, s28
	v_cmp_lt_u32_e64 s4, 35, v0
	s_clause 0x3
	buffer_load_dword v1, v4, s[0:3], 0 offen
	buffer_load_dword v2, v4, s[0:3], 0 offen offset:4
	buffer_load_dword v3, v4, s[0:3], 0 offen offset:8
	;; [unrolled: 1-line block ×3, first 2 shown]
	s_waitcnt vmcnt(0)
	ds_write_b128 v120, v[1:4]
	s_waitcnt lgkmcnt(0)
	s_waitcnt_vscnt null, 0x0
	s_barrier
	buffer_gl0_inv
	s_and_saveexec_b32 s8, s4
	s_cbranch_execz .LBB120_171
; %bb.164:
	ds_read_b128 v[1:4], v120
	s_andn2_b32 vcc_lo, exec_lo, s64
	s_cbranch_vccnz .LBB120_166
; %bb.165:
	s_clause 0x3
	buffer_load_dword v121, v119, s[0:3], 0 offen offset:8
	buffer_load_dword v122, v119, s[0:3], 0 offen offset:12
	buffer_load_dword v123, v119, s[0:3], 0 offen
	buffer_load_dword v124, v119, s[0:3], 0 offen offset:4
	s_waitcnt vmcnt(2) lgkmcnt(0)
	v_mul_f64 v[126:127], v[3:4], v[121:122]
	v_mul_f64 v[121:122], v[1:2], v[121:122]
	s_waitcnt vmcnt(0)
	v_fma_f64 v[1:2], v[1:2], v[123:124], -v[126:127]
	v_fma_f64 v[3:4], v[3:4], v[123:124], v[121:122]
.LBB120_166:
	s_and_saveexec_b32 s65, s5
	s_cbranch_execz .LBB120_170
; %bb.167:
	v_subrev_nc_u32_e32 v121, 36, v0
	s_movk_i32 s66, 0x5d0
	s_mov_b32 s5, 0
	s_mov_b32 s67, s27
	.p2align	6
.LBB120_168:                            ; =>This Inner Loop Header: Depth=1
	v_mov_b32_e32 v124, s67
	v_add_nc_u32_e32 v121, -1, v121
	s_add_i32 s67, s67, 16
	s_clause 0x3
	buffer_load_dword v122, v124, s[0:3], 0 offen offset:8
	buffer_load_dword v123, v124, s[0:3], 0 offen offset:12
	buffer_load_dword v130, v124, s[0:3], 0 offen
	buffer_load_dword v131, v124, s[0:3], 0 offen offset:4
	v_mov_b32_e32 v124, s66
	v_cmp_eq_u32_e32 vcc_lo, 0, v121
	s_add_i32 s66, s66, 16
	ds_read_b128 v[126:129], v124
	s_or_b32 s5, vcc_lo, s5
	s_waitcnt vmcnt(2) lgkmcnt(0)
	v_mul_f64 v[132:133], v[128:129], v[122:123]
	v_mul_f64 v[122:123], v[126:127], v[122:123]
	s_waitcnt vmcnt(0)
	v_fma_f64 v[126:127], v[126:127], v[130:131], -v[132:133]
	v_fma_f64 v[122:123], v[128:129], v[130:131], v[122:123]
	v_add_f64 v[1:2], v[1:2], v[126:127]
	v_add_f64 v[3:4], v[3:4], v[122:123]
	s_andn2_b32 exec_lo, exec_lo, s5
	s_cbranch_execnz .LBB120_168
; %bb.169:
	s_or_b32 exec_lo, exec_lo, s5
.LBB120_170:
	s_or_b32 exec_lo, exec_lo, s65
	v_mov_b32_e32 v121, 0
	ds_read_b128 v[121:124], v121 offset:560
	s_waitcnt lgkmcnt(0)
	v_mul_f64 v[126:127], v[3:4], v[123:124]
	v_mul_f64 v[123:124], v[1:2], v[123:124]
	v_fma_f64 v[1:2], v[1:2], v[121:122], -v[126:127]
	v_fma_f64 v[3:4], v[3:4], v[121:122], v[123:124]
	buffer_store_dword v2, off, s[0:3], 0 offset:564
	buffer_store_dword v1, off, s[0:3], 0 offset:560
	buffer_store_dword v4, off, s[0:3], 0 offset:572
	buffer_store_dword v3, off, s[0:3], 0 offset:568
.LBB120_171:
	s_or_b32 exec_lo, exec_lo, s8
	v_mov_b32_e32 v4, s29
	v_cmp_lt_u32_e64 s5, 34, v0
	s_clause 0x3
	buffer_load_dword v1, v4, s[0:3], 0 offen
	buffer_load_dword v2, v4, s[0:3], 0 offen offset:4
	buffer_load_dword v3, v4, s[0:3], 0 offen offset:8
	;; [unrolled: 1-line block ×3, first 2 shown]
	s_waitcnt vmcnt(0)
	ds_write_b128 v120, v[1:4]
	s_waitcnt lgkmcnt(0)
	s_waitcnt_vscnt null, 0x0
	s_barrier
	buffer_gl0_inv
	s_and_saveexec_b32 s8, s5
	s_cbranch_execz .LBB120_179
; %bb.172:
	ds_read_b128 v[1:4], v120
	s_andn2_b32 vcc_lo, exec_lo, s64
	s_cbranch_vccnz .LBB120_174
; %bb.173:
	s_clause 0x3
	buffer_load_dword v121, v119, s[0:3], 0 offen offset:8
	buffer_load_dword v122, v119, s[0:3], 0 offen offset:12
	buffer_load_dword v123, v119, s[0:3], 0 offen
	buffer_load_dword v124, v119, s[0:3], 0 offen offset:4
	s_waitcnt vmcnt(2) lgkmcnt(0)
	v_mul_f64 v[126:127], v[3:4], v[121:122]
	v_mul_f64 v[121:122], v[1:2], v[121:122]
	s_waitcnt vmcnt(0)
	v_fma_f64 v[1:2], v[1:2], v[123:124], -v[126:127]
	v_fma_f64 v[3:4], v[3:4], v[123:124], v[121:122]
.LBB120_174:
	s_and_saveexec_b32 s65, s4
	s_cbranch_execz .LBB120_178
; %bb.175:
	v_subrev_nc_u32_e32 v121, 35, v0
	s_movk_i32 s66, 0x5c0
	s_mov_b32 s4, 0
	s_mov_b32 s67, s28
	.p2align	6
.LBB120_176:                            ; =>This Inner Loop Header: Depth=1
	v_mov_b32_e32 v124, s67
	v_add_nc_u32_e32 v121, -1, v121
	s_add_i32 s67, s67, 16
	s_clause 0x3
	buffer_load_dword v122, v124, s[0:3], 0 offen offset:8
	buffer_load_dword v123, v124, s[0:3], 0 offen offset:12
	buffer_load_dword v130, v124, s[0:3], 0 offen
	buffer_load_dword v131, v124, s[0:3], 0 offen offset:4
	v_mov_b32_e32 v124, s66
	v_cmp_eq_u32_e32 vcc_lo, 0, v121
	s_add_i32 s66, s66, 16
	ds_read_b128 v[126:129], v124
	s_or_b32 s4, vcc_lo, s4
	s_waitcnt vmcnt(2) lgkmcnt(0)
	v_mul_f64 v[132:133], v[128:129], v[122:123]
	v_mul_f64 v[122:123], v[126:127], v[122:123]
	s_waitcnt vmcnt(0)
	v_fma_f64 v[126:127], v[126:127], v[130:131], -v[132:133]
	v_fma_f64 v[122:123], v[128:129], v[130:131], v[122:123]
	v_add_f64 v[1:2], v[1:2], v[126:127]
	v_add_f64 v[3:4], v[3:4], v[122:123]
	s_andn2_b32 exec_lo, exec_lo, s4
	s_cbranch_execnz .LBB120_176
; %bb.177:
	s_or_b32 exec_lo, exec_lo, s4
.LBB120_178:
	s_or_b32 exec_lo, exec_lo, s65
	v_mov_b32_e32 v121, 0
	ds_read_b128 v[121:124], v121 offset:544
	s_waitcnt lgkmcnt(0)
	v_mul_f64 v[126:127], v[3:4], v[123:124]
	v_mul_f64 v[123:124], v[1:2], v[123:124]
	v_fma_f64 v[1:2], v[1:2], v[121:122], -v[126:127]
	v_fma_f64 v[3:4], v[3:4], v[121:122], v[123:124]
	buffer_store_dword v2, off, s[0:3], 0 offset:548
	buffer_store_dword v1, off, s[0:3], 0 offset:544
	;; [unrolled: 1-line block ×4, first 2 shown]
.LBB120_179:
	s_or_b32 exec_lo, exec_lo, s8
	v_mov_b32_e32 v4, s30
	v_cmp_lt_u32_e64 s4, 33, v0
	s_clause 0x3
	buffer_load_dword v1, v4, s[0:3], 0 offen
	buffer_load_dword v2, v4, s[0:3], 0 offen offset:4
	buffer_load_dword v3, v4, s[0:3], 0 offen offset:8
	;; [unrolled: 1-line block ×3, first 2 shown]
	s_waitcnt vmcnt(0)
	ds_write_b128 v120, v[1:4]
	s_waitcnt lgkmcnt(0)
	s_waitcnt_vscnt null, 0x0
	s_barrier
	buffer_gl0_inv
	s_and_saveexec_b32 s8, s4
	s_cbranch_execz .LBB120_187
; %bb.180:
	ds_read_b128 v[1:4], v120
	s_andn2_b32 vcc_lo, exec_lo, s64
	s_cbranch_vccnz .LBB120_182
; %bb.181:
	s_clause 0x3
	buffer_load_dword v121, v119, s[0:3], 0 offen offset:8
	buffer_load_dword v122, v119, s[0:3], 0 offen offset:12
	buffer_load_dword v123, v119, s[0:3], 0 offen
	buffer_load_dword v124, v119, s[0:3], 0 offen offset:4
	s_waitcnt vmcnt(2) lgkmcnt(0)
	v_mul_f64 v[126:127], v[3:4], v[121:122]
	v_mul_f64 v[121:122], v[1:2], v[121:122]
	s_waitcnt vmcnt(0)
	v_fma_f64 v[1:2], v[1:2], v[123:124], -v[126:127]
	v_fma_f64 v[3:4], v[3:4], v[123:124], v[121:122]
.LBB120_182:
	s_and_saveexec_b32 s65, s5
	s_cbranch_execz .LBB120_186
; %bb.183:
	v_subrev_nc_u32_e32 v121, 34, v0
	s_movk_i32 s66, 0x5b0
	s_mov_b32 s5, 0
	s_mov_b32 s67, s29
	.p2align	6
.LBB120_184:                            ; =>This Inner Loop Header: Depth=1
	v_mov_b32_e32 v124, s67
	v_add_nc_u32_e32 v121, -1, v121
	s_add_i32 s67, s67, 16
	s_clause 0x3
	buffer_load_dword v122, v124, s[0:3], 0 offen offset:8
	buffer_load_dword v123, v124, s[0:3], 0 offen offset:12
	buffer_load_dword v130, v124, s[0:3], 0 offen
	buffer_load_dword v131, v124, s[0:3], 0 offen offset:4
	v_mov_b32_e32 v124, s66
	v_cmp_eq_u32_e32 vcc_lo, 0, v121
	s_add_i32 s66, s66, 16
	ds_read_b128 v[126:129], v124
	s_or_b32 s5, vcc_lo, s5
	s_waitcnt vmcnt(2) lgkmcnt(0)
	v_mul_f64 v[132:133], v[128:129], v[122:123]
	v_mul_f64 v[122:123], v[126:127], v[122:123]
	s_waitcnt vmcnt(0)
	v_fma_f64 v[126:127], v[126:127], v[130:131], -v[132:133]
	v_fma_f64 v[122:123], v[128:129], v[130:131], v[122:123]
	v_add_f64 v[1:2], v[1:2], v[126:127]
	v_add_f64 v[3:4], v[3:4], v[122:123]
	s_andn2_b32 exec_lo, exec_lo, s5
	s_cbranch_execnz .LBB120_184
; %bb.185:
	s_or_b32 exec_lo, exec_lo, s5
.LBB120_186:
	s_or_b32 exec_lo, exec_lo, s65
	v_mov_b32_e32 v121, 0
	ds_read_b128 v[121:124], v121 offset:528
	s_waitcnt lgkmcnt(0)
	v_mul_f64 v[126:127], v[3:4], v[123:124]
	v_mul_f64 v[123:124], v[1:2], v[123:124]
	v_fma_f64 v[1:2], v[1:2], v[121:122], -v[126:127]
	v_fma_f64 v[3:4], v[3:4], v[121:122], v[123:124]
	buffer_store_dword v2, off, s[0:3], 0 offset:532
	buffer_store_dword v1, off, s[0:3], 0 offset:528
	;; [unrolled: 1-line block ×4, first 2 shown]
.LBB120_187:
	s_or_b32 exec_lo, exec_lo, s8
	v_mov_b32_e32 v4, s31
	v_cmp_lt_u32_e64 s5, 32, v0
	s_clause 0x3
	buffer_load_dword v1, v4, s[0:3], 0 offen
	buffer_load_dword v2, v4, s[0:3], 0 offen offset:4
	buffer_load_dword v3, v4, s[0:3], 0 offen offset:8
	;; [unrolled: 1-line block ×3, first 2 shown]
	s_waitcnt vmcnt(0)
	ds_write_b128 v120, v[1:4]
	s_waitcnt lgkmcnt(0)
	s_waitcnt_vscnt null, 0x0
	s_barrier
	buffer_gl0_inv
	s_and_saveexec_b32 s8, s5
	s_cbranch_execz .LBB120_195
; %bb.188:
	ds_read_b128 v[1:4], v120
	s_andn2_b32 vcc_lo, exec_lo, s64
	s_cbranch_vccnz .LBB120_190
; %bb.189:
	s_clause 0x3
	buffer_load_dword v121, v119, s[0:3], 0 offen offset:8
	buffer_load_dword v122, v119, s[0:3], 0 offen offset:12
	buffer_load_dword v123, v119, s[0:3], 0 offen
	buffer_load_dword v124, v119, s[0:3], 0 offen offset:4
	s_waitcnt vmcnt(2) lgkmcnt(0)
	v_mul_f64 v[126:127], v[3:4], v[121:122]
	v_mul_f64 v[121:122], v[1:2], v[121:122]
	s_waitcnt vmcnt(0)
	v_fma_f64 v[1:2], v[1:2], v[123:124], -v[126:127]
	v_fma_f64 v[3:4], v[3:4], v[123:124], v[121:122]
.LBB120_190:
	s_and_saveexec_b32 s65, s4
	s_cbranch_execz .LBB120_194
; %bb.191:
	v_subrev_nc_u32_e32 v121, 33, v0
	s_movk_i32 s66, 0x5a0
	s_mov_b32 s4, 0
	s_mov_b32 s67, s30
	.p2align	6
.LBB120_192:                            ; =>This Inner Loop Header: Depth=1
	v_mov_b32_e32 v124, s67
	v_add_nc_u32_e32 v121, -1, v121
	s_add_i32 s67, s67, 16
	s_clause 0x3
	buffer_load_dword v122, v124, s[0:3], 0 offen offset:8
	buffer_load_dword v123, v124, s[0:3], 0 offen offset:12
	buffer_load_dword v130, v124, s[0:3], 0 offen
	buffer_load_dword v131, v124, s[0:3], 0 offen offset:4
	v_mov_b32_e32 v124, s66
	v_cmp_eq_u32_e32 vcc_lo, 0, v121
	s_add_i32 s66, s66, 16
	ds_read_b128 v[126:129], v124
	s_or_b32 s4, vcc_lo, s4
	s_waitcnt vmcnt(2) lgkmcnt(0)
	v_mul_f64 v[132:133], v[128:129], v[122:123]
	v_mul_f64 v[122:123], v[126:127], v[122:123]
	s_waitcnt vmcnt(0)
	v_fma_f64 v[126:127], v[126:127], v[130:131], -v[132:133]
	v_fma_f64 v[122:123], v[128:129], v[130:131], v[122:123]
	v_add_f64 v[1:2], v[1:2], v[126:127]
	v_add_f64 v[3:4], v[3:4], v[122:123]
	s_andn2_b32 exec_lo, exec_lo, s4
	s_cbranch_execnz .LBB120_192
; %bb.193:
	s_or_b32 exec_lo, exec_lo, s4
.LBB120_194:
	s_or_b32 exec_lo, exec_lo, s65
	v_mov_b32_e32 v121, 0
	ds_read_b128 v[121:124], v121 offset:512
	s_waitcnt lgkmcnt(0)
	v_mul_f64 v[126:127], v[3:4], v[123:124]
	v_mul_f64 v[123:124], v[1:2], v[123:124]
	v_fma_f64 v[1:2], v[1:2], v[121:122], -v[126:127]
	v_fma_f64 v[3:4], v[3:4], v[121:122], v[123:124]
	buffer_store_dword v2, off, s[0:3], 0 offset:516
	buffer_store_dword v1, off, s[0:3], 0 offset:512
	;; [unrolled: 1-line block ×4, first 2 shown]
.LBB120_195:
	s_or_b32 exec_lo, exec_lo, s8
	v_mov_b32_e32 v4, s33
	v_cmp_lt_u32_e64 s4, 31, v0
	s_clause 0x3
	buffer_load_dword v1, v4, s[0:3], 0 offen
	buffer_load_dword v2, v4, s[0:3], 0 offen offset:4
	buffer_load_dword v3, v4, s[0:3], 0 offen offset:8
	;; [unrolled: 1-line block ×3, first 2 shown]
	s_waitcnt vmcnt(0)
	ds_write_b128 v120, v[1:4]
	s_waitcnt lgkmcnt(0)
	s_waitcnt_vscnt null, 0x0
	s_barrier
	buffer_gl0_inv
	s_and_saveexec_b32 s8, s4
	s_cbranch_execz .LBB120_203
; %bb.196:
	ds_read_b128 v[1:4], v120
	s_andn2_b32 vcc_lo, exec_lo, s64
	s_cbranch_vccnz .LBB120_198
; %bb.197:
	s_clause 0x3
	buffer_load_dword v121, v119, s[0:3], 0 offen offset:8
	buffer_load_dword v122, v119, s[0:3], 0 offen offset:12
	buffer_load_dword v123, v119, s[0:3], 0 offen
	buffer_load_dword v124, v119, s[0:3], 0 offen offset:4
	s_waitcnt vmcnt(2) lgkmcnt(0)
	v_mul_f64 v[126:127], v[3:4], v[121:122]
	v_mul_f64 v[121:122], v[1:2], v[121:122]
	s_waitcnt vmcnt(0)
	v_fma_f64 v[1:2], v[1:2], v[123:124], -v[126:127]
	v_fma_f64 v[3:4], v[3:4], v[123:124], v[121:122]
.LBB120_198:
	s_and_saveexec_b32 s65, s5
	s_cbranch_execz .LBB120_202
; %bb.199:
	v_subrev_nc_u32_e32 v121, 32, v0
	s_movk_i32 s66, 0x590
	s_mov_b32 s5, 0
	s_mov_b32 s67, s31
	.p2align	6
.LBB120_200:                            ; =>This Inner Loop Header: Depth=1
	v_mov_b32_e32 v124, s67
	v_add_nc_u32_e32 v121, -1, v121
	s_add_i32 s67, s67, 16
	s_clause 0x3
	buffer_load_dword v122, v124, s[0:3], 0 offen offset:8
	buffer_load_dword v123, v124, s[0:3], 0 offen offset:12
	buffer_load_dword v130, v124, s[0:3], 0 offen
	buffer_load_dword v131, v124, s[0:3], 0 offen offset:4
	v_mov_b32_e32 v124, s66
	v_cmp_eq_u32_e32 vcc_lo, 0, v121
	s_add_i32 s66, s66, 16
	ds_read_b128 v[126:129], v124
	s_or_b32 s5, vcc_lo, s5
	s_waitcnt vmcnt(2) lgkmcnt(0)
	v_mul_f64 v[132:133], v[128:129], v[122:123]
	v_mul_f64 v[122:123], v[126:127], v[122:123]
	s_waitcnt vmcnt(0)
	v_fma_f64 v[126:127], v[126:127], v[130:131], -v[132:133]
	v_fma_f64 v[122:123], v[128:129], v[130:131], v[122:123]
	v_add_f64 v[1:2], v[1:2], v[126:127]
	v_add_f64 v[3:4], v[3:4], v[122:123]
	s_andn2_b32 exec_lo, exec_lo, s5
	s_cbranch_execnz .LBB120_200
; %bb.201:
	s_or_b32 exec_lo, exec_lo, s5
.LBB120_202:
	s_or_b32 exec_lo, exec_lo, s65
	v_mov_b32_e32 v121, 0
	ds_read_b128 v[121:124], v121 offset:496
	s_waitcnt lgkmcnt(0)
	v_mul_f64 v[126:127], v[3:4], v[123:124]
	v_mul_f64 v[123:124], v[1:2], v[123:124]
	v_fma_f64 v[1:2], v[1:2], v[121:122], -v[126:127]
	v_fma_f64 v[3:4], v[3:4], v[121:122], v[123:124]
	buffer_store_dword v2, off, s[0:3], 0 offset:500
	buffer_store_dword v1, off, s[0:3], 0 offset:496
	;; [unrolled: 1-line block ×4, first 2 shown]
.LBB120_203:
	s_or_b32 exec_lo, exec_lo, s8
	v_mov_b32_e32 v4, s34
	v_cmp_lt_u32_e64 s5, 30, v0
	s_clause 0x3
	buffer_load_dword v1, v4, s[0:3], 0 offen
	buffer_load_dword v2, v4, s[0:3], 0 offen offset:4
	buffer_load_dword v3, v4, s[0:3], 0 offen offset:8
	;; [unrolled: 1-line block ×3, first 2 shown]
	s_waitcnt vmcnt(0)
	ds_write_b128 v120, v[1:4]
	s_waitcnt lgkmcnt(0)
	s_waitcnt_vscnt null, 0x0
	s_barrier
	buffer_gl0_inv
	s_and_saveexec_b32 s8, s5
	s_cbranch_execz .LBB120_211
; %bb.204:
	ds_read_b128 v[1:4], v120
	s_andn2_b32 vcc_lo, exec_lo, s64
	s_cbranch_vccnz .LBB120_206
; %bb.205:
	s_clause 0x3
	buffer_load_dword v121, v119, s[0:3], 0 offen offset:8
	buffer_load_dword v122, v119, s[0:3], 0 offen offset:12
	buffer_load_dword v123, v119, s[0:3], 0 offen
	buffer_load_dword v124, v119, s[0:3], 0 offen offset:4
	s_waitcnt vmcnt(2) lgkmcnt(0)
	v_mul_f64 v[126:127], v[3:4], v[121:122]
	v_mul_f64 v[121:122], v[1:2], v[121:122]
	s_waitcnt vmcnt(0)
	v_fma_f64 v[1:2], v[1:2], v[123:124], -v[126:127]
	v_fma_f64 v[3:4], v[3:4], v[123:124], v[121:122]
.LBB120_206:
	s_and_saveexec_b32 s65, s4
	s_cbranch_execz .LBB120_210
; %bb.207:
	v_subrev_nc_u32_e32 v121, 31, v0
	s_movk_i32 s66, 0x580
	s_mov_b32 s4, 0
	s_mov_b32 s67, s33
	.p2align	6
.LBB120_208:                            ; =>This Inner Loop Header: Depth=1
	v_mov_b32_e32 v124, s67
	v_add_nc_u32_e32 v121, -1, v121
	s_add_i32 s67, s67, 16
	s_clause 0x3
	buffer_load_dword v122, v124, s[0:3], 0 offen offset:8
	buffer_load_dword v123, v124, s[0:3], 0 offen offset:12
	buffer_load_dword v130, v124, s[0:3], 0 offen
	buffer_load_dword v131, v124, s[0:3], 0 offen offset:4
	v_mov_b32_e32 v124, s66
	v_cmp_eq_u32_e32 vcc_lo, 0, v121
	s_add_i32 s66, s66, 16
	ds_read_b128 v[126:129], v124
	s_or_b32 s4, vcc_lo, s4
	s_waitcnt vmcnt(2) lgkmcnt(0)
	v_mul_f64 v[132:133], v[128:129], v[122:123]
	v_mul_f64 v[122:123], v[126:127], v[122:123]
	s_waitcnt vmcnt(0)
	v_fma_f64 v[126:127], v[126:127], v[130:131], -v[132:133]
	v_fma_f64 v[122:123], v[128:129], v[130:131], v[122:123]
	v_add_f64 v[1:2], v[1:2], v[126:127]
	v_add_f64 v[3:4], v[3:4], v[122:123]
	s_andn2_b32 exec_lo, exec_lo, s4
	s_cbranch_execnz .LBB120_208
; %bb.209:
	s_or_b32 exec_lo, exec_lo, s4
.LBB120_210:
	s_or_b32 exec_lo, exec_lo, s65
	v_mov_b32_e32 v121, 0
	ds_read_b128 v[121:124], v121 offset:480
	s_waitcnt lgkmcnt(0)
	v_mul_f64 v[126:127], v[3:4], v[123:124]
	v_mul_f64 v[123:124], v[1:2], v[123:124]
	v_fma_f64 v[1:2], v[1:2], v[121:122], -v[126:127]
	v_fma_f64 v[3:4], v[3:4], v[121:122], v[123:124]
	buffer_store_dword v2, off, s[0:3], 0 offset:484
	buffer_store_dword v1, off, s[0:3], 0 offset:480
	;; [unrolled: 1-line block ×4, first 2 shown]
.LBB120_211:
	s_or_b32 exec_lo, exec_lo, s8
	v_mov_b32_e32 v4, s35
	v_cmp_lt_u32_e64 s4, 29, v0
	s_clause 0x3
	buffer_load_dword v1, v4, s[0:3], 0 offen
	buffer_load_dword v2, v4, s[0:3], 0 offen offset:4
	buffer_load_dword v3, v4, s[0:3], 0 offen offset:8
	;; [unrolled: 1-line block ×3, first 2 shown]
	s_waitcnt vmcnt(0)
	ds_write_b128 v120, v[1:4]
	s_waitcnt lgkmcnt(0)
	s_waitcnt_vscnt null, 0x0
	s_barrier
	buffer_gl0_inv
	s_and_saveexec_b32 s8, s4
	s_cbranch_execz .LBB120_219
; %bb.212:
	ds_read_b128 v[1:4], v120
	s_andn2_b32 vcc_lo, exec_lo, s64
	s_cbranch_vccnz .LBB120_214
; %bb.213:
	s_clause 0x3
	buffer_load_dword v121, v119, s[0:3], 0 offen offset:8
	buffer_load_dword v122, v119, s[0:3], 0 offen offset:12
	buffer_load_dword v123, v119, s[0:3], 0 offen
	buffer_load_dword v124, v119, s[0:3], 0 offen offset:4
	s_waitcnt vmcnt(2) lgkmcnt(0)
	v_mul_f64 v[126:127], v[3:4], v[121:122]
	v_mul_f64 v[121:122], v[1:2], v[121:122]
	s_waitcnt vmcnt(0)
	v_fma_f64 v[1:2], v[1:2], v[123:124], -v[126:127]
	v_fma_f64 v[3:4], v[3:4], v[123:124], v[121:122]
.LBB120_214:
	s_and_saveexec_b32 s65, s5
	s_cbranch_execz .LBB120_218
; %bb.215:
	v_subrev_nc_u32_e32 v121, 30, v0
	s_movk_i32 s66, 0x570
	s_mov_b32 s5, 0
	s_mov_b32 s67, s34
	.p2align	6
.LBB120_216:                            ; =>This Inner Loop Header: Depth=1
	v_mov_b32_e32 v124, s67
	v_add_nc_u32_e32 v121, -1, v121
	s_add_i32 s67, s67, 16
	s_clause 0x3
	buffer_load_dword v122, v124, s[0:3], 0 offen offset:8
	buffer_load_dword v123, v124, s[0:3], 0 offen offset:12
	buffer_load_dword v130, v124, s[0:3], 0 offen
	buffer_load_dword v131, v124, s[0:3], 0 offen offset:4
	v_mov_b32_e32 v124, s66
	v_cmp_eq_u32_e32 vcc_lo, 0, v121
	s_add_i32 s66, s66, 16
	ds_read_b128 v[126:129], v124
	s_or_b32 s5, vcc_lo, s5
	s_waitcnt vmcnt(2) lgkmcnt(0)
	v_mul_f64 v[132:133], v[128:129], v[122:123]
	v_mul_f64 v[122:123], v[126:127], v[122:123]
	s_waitcnt vmcnt(0)
	v_fma_f64 v[126:127], v[126:127], v[130:131], -v[132:133]
	v_fma_f64 v[122:123], v[128:129], v[130:131], v[122:123]
	v_add_f64 v[1:2], v[1:2], v[126:127]
	v_add_f64 v[3:4], v[3:4], v[122:123]
	s_andn2_b32 exec_lo, exec_lo, s5
	s_cbranch_execnz .LBB120_216
; %bb.217:
	s_or_b32 exec_lo, exec_lo, s5
.LBB120_218:
	s_or_b32 exec_lo, exec_lo, s65
	v_mov_b32_e32 v121, 0
	ds_read_b128 v[121:124], v121 offset:464
	s_waitcnt lgkmcnt(0)
	v_mul_f64 v[126:127], v[3:4], v[123:124]
	v_mul_f64 v[123:124], v[1:2], v[123:124]
	v_fma_f64 v[1:2], v[1:2], v[121:122], -v[126:127]
	v_fma_f64 v[3:4], v[3:4], v[121:122], v[123:124]
	buffer_store_dword v2, off, s[0:3], 0 offset:468
	buffer_store_dword v1, off, s[0:3], 0 offset:464
	buffer_store_dword v4, off, s[0:3], 0 offset:476
	buffer_store_dword v3, off, s[0:3], 0 offset:472
.LBB120_219:
	s_or_b32 exec_lo, exec_lo, s8
	v_mov_b32_e32 v4, s36
	v_cmp_lt_u32_e64 s5, 28, v0
	s_clause 0x3
	buffer_load_dword v1, v4, s[0:3], 0 offen
	buffer_load_dword v2, v4, s[0:3], 0 offen offset:4
	buffer_load_dword v3, v4, s[0:3], 0 offen offset:8
	;; [unrolled: 1-line block ×3, first 2 shown]
	s_waitcnt vmcnt(0)
	ds_write_b128 v120, v[1:4]
	s_waitcnt lgkmcnt(0)
	s_waitcnt_vscnt null, 0x0
	s_barrier
	buffer_gl0_inv
	s_and_saveexec_b32 s8, s5
	s_cbranch_execz .LBB120_227
; %bb.220:
	ds_read_b128 v[1:4], v120
	s_andn2_b32 vcc_lo, exec_lo, s64
	s_cbranch_vccnz .LBB120_222
; %bb.221:
	s_clause 0x3
	buffer_load_dword v121, v119, s[0:3], 0 offen offset:8
	buffer_load_dword v122, v119, s[0:3], 0 offen offset:12
	buffer_load_dword v123, v119, s[0:3], 0 offen
	buffer_load_dword v124, v119, s[0:3], 0 offen offset:4
	s_waitcnt vmcnt(2) lgkmcnt(0)
	v_mul_f64 v[126:127], v[3:4], v[121:122]
	v_mul_f64 v[121:122], v[1:2], v[121:122]
	s_waitcnt vmcnt(0)
	v_fma_f64 v[1:2], v[1:2], v[123:124], -v[126:127]
	v_fma_f64 v[3:4], v[3:4], v[123:124], v[121:122]
.LBB120_222:
	s_and_saveexec_b32 s65, s4
	s_cbranch_execz .LBB120_226
; %bb.223:
	v_subrev_nc_u32_e32 v121, 29, v0
	s_movk_i32 s66, 0x560
	s_mov_b32 s4, 0
	s_mov_b32 s67, s35
	.p2align	6
.LBB120_224:                            ; =>This Inner Loop Header: Depth=1
	v_mov_b32_e32 v124, s67
	v_add_nc_u32_e32 v121, -1, v121
	s_add_i32 s67, s67, 16
	s_clause 0x3
	buffer_load_dword v122, v124, s[0:3], 0 offen offset:8
	buffer_load_dword v123, v124, s[0:3], 0 offen offset:12
	buffer_load_dword v130, v124, s[0:3], 0 offen
	buffer_load_dword v131, v124, s[0:3], 0 offen offset:4
	v_mov_b32_e32 v124, s66
	v_cmp_eq_u32_e32 vcc_lo, 0, v121
	s_add_i32 s66, s66, 16
	ds_read_b128 v[126:129], v124
	s_or_b32 s4, vcc_lo, s4
	s_waitcnt vmcnt(2) lgkmcnt(0)
	v_mul_f64 v[132:133], v[128:129], v[122:123]
	v_mul_f64 v[122:123], v[126:127], v[122:123]
	s_waitcnt vmcnt(0)
	v_fma_f64 v[126:127], v[126:127], v[130:131], -v[132:133]
	v_fma_f64 v[122:123], v[128:129], v[130:131], v[122:123]
	v_add_f64 v[1:2], v[1:2], v[126:127]
	v_add_f64 v[3:4], v[3:4], v[122:123]
	s_andn2_b32 exec_lo, exec_lo, s4
	s_cbranch_execnz .LBB120_224
; %bb.225:
	s_or_b32 exec_lo, exec_lo, s4
.LBB120_226:
	s_or_b32 exec_lo, exec_lo, s65
	v_mov_b32_e32 v121, 0
	ds_read_b128 v[121:124], v121 offset:448
	s_waitcnt lgkmcnt(0)
	v_mul_f64 v[126:127], v[3:4], v[123:124]
	v_mul_f64 v[123:124], v[1:2], v[123:124]
	v_fma_f64 v[1:2], v[1:2], v[121:122], -v[126:127]
	v_fma_f64 v[3:4], v[3:4], v[121:122], v[123:124]
	buffer_store_dword v2, off, s[0:3], 0 offset:452
	buffer_store_dword v1, off, s[0:3], 0 offset:448
	;; [unrolled: 1-line block ×4, first 2 shown]
.LBB120_227:
	s_or_b32 exec_lo, exec_lo, s8
	v_mov_b32_e32 v4, s37
	v_cmp_lt_u32_e64 s4, 27, v0
	s_clause 0x3
	buffer_load_dword v1, v4, s[0:3], 0 offen
	buffer_load_dword v2, v4, s[0:3], 0 offen offset:4
	buffer_load_dword v3, v4, s[0:3], 0 offen offset:8
	;; [unrolled: 1-line block ×3, first 2 shown]
	s_waitcnt vmcnt(0)
	ds_write_b128 v120, v[1:4]
	s_waitcnt lgkmcnt(0)
	s_waitcnt_vscnt null, 0x0
	s_barrier
	buffer_gl0_inv
	s_and_saveexec_b32 s8, s4
	s_cbranch_execz .LBB120_235
; %bb.228:
	ds_read_b128 v[1:4], v120
	s_andn2_b32 vcc_lo, exec_lo, s64
	s_cbranch_vccnz .LBB120_230
; %bb.229:
	s_clause 0x3
	buffer_load_dword v121, v119, s[0:3], 0 offen offset:8
	buffer_load_dword v122, v119, s[0:3], 0 offen offset:12
	buffer_load_dword v123, v119, s[0:3], 0 offen
	buffer_load_dword v124, v119, s[0:3], 0 offen offset:4
	s_waitcnt vmcnt(2) lgkmcnt(0)
	v_mul_f64 v[126:127], v[3:4], v[121:122]
	v_mul_f64 v[121:122], v[1:2], v[121:122]
	s_waitcnt vmcnt(0)
	v_fma_f64 v[1:2], v[1:2], v[123:124], -v[126:127]
	v_fma_f64 v[3:4], v[3:4], v[123:124], v[121:122]
.LBB120_230:
	s_and_saveexec_b32 s65, s5
	s_cbranch_execz .LBB120_234
; %bb.231:
	v_subrev_nc_u32_e32 v121, 28, v0
	s_movk_i32 s66, 0x550
	s_mov_b32 s5, 0
	s_mov_b32 s67, s36
	.p2align	6
.LBB120_232:                            ; =>This Inner Loop Header: Depth=1
	v_mov_b32_e32 v124, s67
	v_add_nc_u32_e32 v121, -1, v121
	s_add_i32 s67, s67, 16
	s_clause 0x3
	buffer_load_dword v122, v124, s[0:3], 0 offen offset:8
	buffer_load_dword v123, v124, s[0:3], 0 offen offset:12
	buffer_load_dword v130, v124, s[0:3], 0 offen
	buffer_load_dword v131, v124, s[0:3], 0 offen offset:4
	v_mov_b32_e32 v124, s66
	v_cmp_eq_u32_e32 vcc_lo, 0, v121
	s_add_i32 s66, s66, 16
	ds_read_b128 v[126:129], v124
	s_or_b32 s5, vcc_lo, s5
	s_waitcnt vmcnt(2) lgkmcnt(0)
	v_mul_f64 v[132:133], v[128:129], v[122:123]
	v_mul_f64 v[122:123], v[126:127], v[122:123]
	s_waitcnt vmcnt(0)
	v_fma_f64 v[126:127], v[126:127], v[130:131], -v[132:133]
	v_fma_f64 v[122:123], v[128:129], v[130:131], v[122:123]
	v_add_f64 v[1:2], v[1:2], v[126:127]
	v_add_f64 v[3:4], v[3:4], v[122:123]
	s_andn2_b32 exec_lo, exec_lo, s5
	s_cbranch_execnz .LBB120_232
; %bb.233:
	s_or_b32 exec_lo, exec_lo, s5
.LBB120_234:
	s_or_b32 exec_lo, exec_lo, s65
	v_mov_b32_e32 v121, 0
	ds_read_b128 v[121:124], v121 offset:432
	s_waitcnt lgkmcnt(0)
	v_mul_f64 v[126:127], v[3:4], v[123:124]
	v_mul_f64 v[123:124], v[1:2], v[123:124]
	v_fma_f64 v[1:2], v[1:2], v[121:122], -v[126:127]
	v_fma_f64 v[3:4], v[3:4], v[121:122], v[123:124]
	buffer_store_dword v2, off, s[0:3], 0 offset:436
	buffer_store_dword v1, off, s[0:3], 0 offset:432
	;; [unrolled: 1-line block ×4, first 2 shown]
.LBB120_235:
	s_or_b32 exec_lo, exec_lo, s8
	v_mov_b32_e32 v4, s38
	v_cmp_lt_u32_e64 s5, 26, v0
	s_clause 0x3
	buffer_load_dword v1, v4, s[0:3], 0 offen
	buffer_load_dword v2, v4, s[0:3], 0 offen offset:4
	buffer_load_dword v3, v4, s[0:3], 0 offen offset:8
	buffer_load_dword v4, v4, s[0:3], 0 offen offset:12
	s_waitcnt vmcnt(0)
	ds_write_b128 v120, v[1:4]
	s_waitcnt lgkmcnt(0)
	s_waitcnt_vscnt null, 0x0
	s_barrier
	buffer_gl0_inv
	s_and_saveexec_b32 s8, s5
	s_cbranch_execz .LBB120_243
; %bb.236:
	ds_read_b128 v[1:4], v120
	s_andn2_b32 vcc_lo, exec_lo, s64
	s_cbranch_vccnz .LBB120_238
; %bb.237:
	s_clause 0x3
	buffer_load_dword v121, v119, s[0:3], 0 offen offset:8
	buffer_load_dword v122, v119, s[0:3], 0 offen offset:12
	buffer_load_dword v123, v119, s[0:3], 0 offen
	buffer_load_dword v124, v119, s[0:3], 0 offen offset:4
	s_waitcnt vmcnt(2) lgkmcnt(0)
	v_mul_f64 v[126:127], v[3:4], v[121:122]
	v_mul_f64 v[121:122], v[1:2], v[121:122]
	s_waitcnt vmcnt(0)
	v_fma_f64 v[1:2], v[1:2], v[123:124], -v[126:127]
	v_fma_f64 v[3:4], v[3:4], v[123:124], v[121:122]
.LBB120_238:
	s_and_saveexec_b32 s65, s4
	s_cbranch_execz .LBB120_242
; %bb.239:
	v_subrev_nc_u32_e32 v121, 27, v0
	s_movk_i32 s66, 0x540
	s_mov_b32 s4, 0
	s_mov_b32 s67, s37
	.p2align	6
.LBB120_240:                            ; =>This Inner Loop Header: Depth=1
	v_mov_b32_e32 v124, s67
	v_add_nc_u32_e32 v121, -1, v121
	s_add_i32 s67, s67, 16
	s_clause 0x3
	buffer_load_dword v122, v124, s[0:3], 0 offen offset:8
	buffer_load_dword v123, v124, s[0:3], 0 offen offset:12
	buffer_load_dword v130, v124, s[0:3], 0 offen
	buffer_load_dword v131, v124, s[0:3], 0 offen offset:4
	v_mov_b32_e32 v124, s66
	v_cmp_eq_u32_e32 vcc_lo, 0, v121
	s_add_i32 s66, s66, 16
	ds_read_b128 v[126:129], v124
	s_or_b32 s4, vcc_lo, s4
	s_waitcnt vmcnt(2) lgkmcnt(0)
	v_mul_f64 v[132:133], v[128:129], v[122:123]
	v_mul_f64 v[122:123], v[126:127], v[122:123]
	s_waitcnt vmcnt(0)
	v_fma_f64 v[126:127], v[126:127], v[130:131], -v[132:133]
	v_fma_f64 v[122:123], v[128:129], v[130:131], v[122:123]
	v_add_f64 v[1:2], v[1:2], v[126:127]
	v_add_f64 v[3:4], v[3:4], v[122:123]
	s_andn2_b32 exec_lo, exec_lo, s4
	s_cbranch_execnz .LBB120_240
; %bb.241:
	s_or_b32 exec_lo, exec_lo, s4
.LBB120_242:
	s_or_b32 exec_lo, exec_lo, s65
	v_mov_b32_e32 v121, 0
	ds_read_b128 v[121:124], v121 offset:416
	s_waitcnt lgkmcnt(0)
	v_mul_f64 v[126:127], v[3:4], v[123:124]
	v_mul_f64 v[123:124], v[1:2], v[123:124]
	v_fma_f64 v[1:2], v[1:2], v[121:122], -v[126:127]
	v_fma_f64 v[3:4], v[3:4], v[121:122], v[123:124]
	buffer_store_dword v2, off, s[0:3], 0 offset:420
	buffer_store_dword v1, off, s[0:3], 0 offset:416
	;; [unrolled: 1-line block ×4, first 2 shown]
.LBB120_243:
	s_or_b32 exec_lo, exec_lo, s8
	v_mov_b32_e32 v4, s39
	v_cmp_lt_u32_e64 s4, 25, v0
	s_clause 0x3
	buffer_load_dword v1, v4, s[0:3], 0 offen
	buffer_load_dword v2, v4, s[0:3], 0 offen offset:4
	buffer_load_dword v3, v4, s[0:3], 0 offen offset:8
	buffer_load_dword v4, v4, s[0:3], 0 offen offset:12
	s_waitcnt vmcnt(0)
	ds_write_b128 v120, v[1:4]
	s_waitcnt lgkmcnt(0)
	s_waitcnt_vscnt null, 0x0
	s_barrier
	buffer_gl0_inv
	s_and_saveexec_b32 s8, s4
	s_cbranch_execz .LBB120_251
; %bb.244:
	ds_read_b128 v[1:4], v120
	s_andn2_b32 vcc_lo, exec_lo, s64
	s_cbranch_vccnz .LBB120_246
; %bb.245:
	s_clause 0x3
	buffer_load_dword v121, v119, s[0:3], 0 offen offset:8
	buffer_load_dword v122, v119, s[0:3], 0 offen offset:12
	buffer_load_dword v123, v119, s[0:3], 0 offen
	buffer_load_dword v124, v119, s[0:3], 0 offen offset:4
	s_waitcnt vmcnt(2) lgkmcnt(0)
	v_mul_f64 v[126:127], v[3:4], v[121:122]
	v_mul_f64 v[121:122], v[1:2], v[121:122]
	s_waitcnt vmcnt(0)
	v_fma_f64 v[1:2], v[1:2], v[123:124], -v[126:127]
	v_fma_f64 v[3:4], v[3:4], v[123:124], v[121:122]
.LBB120_246:
	s_and_saveexec_b32 s65, s5
	s_cbranch_execz .LBB120_250
; %bb.247:
	v_subrev_nc_u32_e32 v121, 26, v0
	s_movk_i32 s66, 0x530
	s_mov_b32 s5, 0
	s_mov_b32 s67, s38
	.p2align	6
.LBB120_248:                            ; =>This Inner Loop Header: Depth=1
	v_mov_b32_e32 v124, s67
	v_add_nc_u32_e32 v121, -1, v121
	s_add_i32 s67, s67, 16
	s_clause 0x3
	buffer_load_dword v122, v124, s[0:3], 0 offen offset:8
	buffer_load_dword v123, v124, s[0:3], 0 offen offset:12
	buffer_load_dword v130, v124, s[0:3], 0 offen
	buffer_load_dword v131, v124, s[0:3], 0 offen offset:4
	v_mov_b32_e32 v124, s66
	v_cmp_eq_u32_e32 vcc_lo, 0, v121
	s_add_i32 s66, s66, 16
	ds_read_b128 v[126:129], v124
	s_or_b32 s5, vcc_lo, s5
	s_waitcnt vmcnt(2) lgkmcnt(0)
	v_mul_f64 v[132:133], v[128:129], v[122:123]
	v_mul_f64 v[122:123], v[126:127], v[122:123]
	s_waitcnt vmcnt(0)
	v_fma_f64 v[126:127], v[126:127], v[130:131], -v[132:133]
	v_fma_f64 v[122:123], v[128:129], v[130:131], v[122:123]
	v_add_f64 v[1:2], v[1:2], v[126:127]
	v_add_f64 v[3:4], v[3:4], v[122:123]
	s_andn2_b32 exec_lo, exec_lo, s5
	s_cbranch_execnz .LBB120_248
; %bb.249:
	s_or_b32 exec_lo, exec_lo, s5
.LBB120_250:
	s_or_b32 exec_lo, exec_lo, s65
	v_mov_b32_e32 v121, 0
	ds_read_b128 v[121:124], v121 offset:400
	s_waitcnt lgkmcnt(0)
	v_mul_f64 v[126:127], v[3:4], v[123:124]
	v_mul_f64 v[123:124], v[1:2], v[123:124]
	v_fma_f64 v[1:2], v[1:2], v[121:122], -v[126:127]
	v_fma_f64 v[3:4], v[3:4], v[121:122], v[123:124]
	buffer_store_dword v2, off, s[0:3], 0 offset:404
	buffer_store_dword v1, off, s[0:3], 0 offset:400
	;; [unrolled: 1-line block ×4, first 2 shown]
.LBB120_251:
	s_or_b32 exec_lo, exec_lo, s8
	v_mov_b32_e32 v4, s40
	v_cmp_lt_u32_e64 s5, 24, v0
	s_clause 0x3
	buffer_load_dword v1, v4, s[0:3], 0 offen
	buffer_load_dword v2, v4, s[0:3], 0 offen offset:4
	buffer_load_dword v3, v4, s[0:3], 0 offen offset:8
	;; [unrolled: 1-line block ×3, first 2 shown]
	s_waitcnt vmcnt(0)
	ds_write_b128 v120, v[1:4]
	s_waitcnt lgkmcnt(0)
	s_waitcnt_vscnt null, 0x0
	s_barrier
	buffer_gl0_inv
	s_and_saveexec_b32 s8, s5
	s_cbranch_execz .LBB120_259
; %bb.252:
	ds_read_b128 v[1:4], v120
	s_andn2_b32 vcc_lo, exec_lo, s64
	s_cbranch_vccnz .LBB120_254
; %bb.253:
	s_clause 0x3
	buffer_load_dword v121, v119, s[0:3], 0 offen offset:8
	buffer_load_dword v122, v119, s[0:3], 0 offen offset:12
	buffer_load_dword v123, v119, s[0:3], 0 offen
	buffer_load_dword v124, v119, s[0:3], 0 offen offset:4
	s_waitcnt vmcnt(2) lgkmcnt(0)
	v_mul_f64 v[126:127], v[3:4], v[121:122]
	v_mul_f64 v[121:122], v[1:2], v[121:122]
	s_waitcnt vmcnt(0)
	v_fma_f64 v[1:2], v[1:2], v[123:124], -v[126:127]
	v_fma_f64 v[3:4], v[3:4], v[123:124], v[121:122]
.LBB120_254:
	s_and_saveexec_b32 s65, s4
	s_cbranch_execz .LBB120_258
; %bb.255:
	v_subrev_nc_u32_e32 v121, 25, v0
	s_movk_i32 s66, 0x520
	s_mov_b32 s4, 0
	s_mov_b32 s67, s39
	.p2align	6
.LBB120_256:                            ; =>This Inner Loop Header: Depth=1
	v_mov_b32_e32 v124, s67
	v_add_nc_u32_e32 v121, -1, v121
	s_add_i32 s67, s67, 16
	s_clause 0x3
	buffer_load_dword v122, v124, s[0:3], 0 offen offset:8
	buffer_load_dword v123, v124, s[0:3], 0 offen offset:12
	buffer_load_dword v130, v124, s[0:3], 0 offen
	buffer_load_dword v131, v124, s[0:3], 0 offen offset:4
	v_mov_b32_e32 v124, s66
	v_cmp_eq_u32_e32 vcc_lo, 0, v121
	s_add_i32 s66, s66, 16
	ds_read_b128 v[126:129], v124
	s_or_b32 s4, vcc_lo, s4
	s_waitcnt vmcnt(2) lgkmcnt(0)
	v_mul_f64 v[132:133], v[128:129], v[122:123]
	v_mul_f64 v[122:123], v[126:127], v[122:123]
	s_waitcnt vmcnt(0)
	v_fma_f64 v[126:127], v[126:127], v[130:131], -v[132:133]
	v_fma_f64 v[122:123], v[128:129], v[130:131], v[122:123]
	v_add_f64 v[1:2], v[1:2], v[126:127]
	v_add_f64 v[3:4], v[3:4], v[122:123]
	s_andn2_b32 exec_lo, exec_lo, s4
	s_cbranch_execnz .LBB120_256
; %bb.257:
	s_or_b32 exec_lo, exec_lo, s4
.LBB120_258:
	s_or_b32 exec_lo, exec_lo, s65
	v_mov_b32_e32 v121, 0
	ds_read_b128 v[121:124], v121 offset:384
	s_waitcnt lgkmcnt(0)
	v_mul_f64 v[126:127], v[3:4], v[123:124]
	v_mul_f64 v[123:124], v[1:2], v[123:124]
	v_fma_f64 v[1:2], v[1:2], v[121:122], -v[126:127]
	v_fma_f64 v[3:4], v[3:4], v[121:122], v[123:124]
	buffer_store_dword v2, off, s[0:3], 0 offset:388
	buffer_store_dword v1, off, s[0:3], 0 offset:384
	;; [unrolled: 1-line block ×4, first 2 shown]
.LBB120_259:
	s_or_b32 exec_lo, exec_lo, s8
	v_mov_b32_e32 v4, s41
	v_cmp_lt_u32_e64 s4, 23, v0
	s_clause 0x3
	buffer_load_dword v1, v4, s[0:3], 0 offen
	buffer_load_dword v2, v4, s[0:3], 0 offen offset:4
	buffer_load_dword v3, v4, s[0:3], 0 offen offset:8
	;; [unrolled: 1-line block ×3, first 2 shown]
	s_waitcnt vmcnt(0)
	ds_write_b128 v120, v[1:4]
	s_waitcnt lgkmcnt(0)
	s_waitcnt_vscnt null, 0x0
	s_barrier
	buffer_gl0_inv
	s_and_saveexec_b32 s8, s4
	s_cbranch_execz .LBB120_267
; %bb.260:
	ds_read_b128 v[1:4], v120
	s_andn2_b32 vcc_lo, exec_lo, s64
	s_cbranch_vccnz .LBB120_262
; %bb.261:
	s_clause 0x3
	buffer_load_dword v121, v119, s[0:3], 0 offen offset:8
	buffer_load_dword v122, v119, s[0:3], 0 offen offset:12
	buffer_load_dword v123, v119, s[0:3], 0 offen
	buffer_load_dword v124, v119, s[0:3], 0 offen offset:4
	s_waitcnt vmcnt(2) lgkmcnt(0)
	v_mul_f64 v[126:127], v[3:4], v[121:122]
	v_mul_f64 v[121:122], v[1:2], v[121:122]
	s_waitcnt vmcnt(0)
	v_fma_f64 v[1:2], v[1:2], v[123:124], -v[126:127]
	v_fma_f64 v[3:4], v[3:4], v[123:124], v[121:122]
.LBB120_262:
	s_and_saveexec_b32 s65, s5
	s_cbranch_execz .LBB120_266
; %bb.263:
	v_subrev_nc_u32_e32 v121, 24, v0
	s_movk_i32 s66, 0x510
	s_mov_b32 s5, 0
	s_mov_b32 s67, s40
	.p2align	6
.LBB120_264:                            ; =>This Inner Loop Header: Depth=1
	v_mov_b32_e32 v124, s67
	v_add_nc_u32_e32 v121, -1, v121
	s_add_i32 s67, s67, 16
	s_clause 0x3
	buffer_load_dword v122, v124, s[0:3], 0 offen offset:8
	buffer_load_dword v123, v124, s[0:3], 0 offen offset:12
	buffer_load_dword v130, v124, s[0:3], 0 offen
	buffer_load_dword v131, v124, s[0:3], 0 offen offset:4
	v_mov_b32_e32 v124, s66
	v_cmp_eq_u32_e32 vcc_lo, 0, v121
	s_add_i32 s66, s66, 16
	ds_read_b128 v[126:129], v124
	s_or_b32 s5, vcc_lo, s5
	s_waitcnt vmcnt(2) lgkmcnt(0)
	v_mul_f64 v[132:133], v[128:129], v[122:123]
	v_mul_f64 v[122:123], v[126:127], v[122:123]
	s_waitcnt vmcnt(0)
	v_fma_f64 v[126:127], v[126:127], v[130:131], -v[132:133]
	v_fma_f64 v[122:123], v[128:129], v[130:131], v[122:123]
	v_add_f64 v[1:2], v[1:2], v[126:127]
	v_add_f64 v[3:4], v[3:4], v[122:123]
	s_andn2_b32 exec_lo, exec_lo, s5
	s_cbranch_execnz .LBB120_264
; %bb.265:
	s_or_b32 exec_lo, exec_lo, s5
.LBB120_266:
	s_or_b32 exec_lo, exec_lo, s65
	v_mov_b32_e32 v121, 0
	ds_read_b128 v[121:124], v121 offset:368
	s_waitcnt lgkmcnt(0)
	v_mul_f64 v[126:127], v[3:4], v[123:124]
	v_mul_f64 v[123:124], v[1:2], v[123:124]
	v_fma_f64 v[1:2], v[1:2], v[121:122], -v[126:127]
	v_fma_f64 v[3:4], v[3:4], v[121:122], v[123:124]
	buffer_store_dword v2, off, s[0:3], 0 offset:372
	buffer_store_dword v1, off, s[0:3], 0 offset:368
	;; [unrolled: 1-line block ×4, first 2 shown]
.LBB120_267:
	s_or_b32 exec_lo, exec_lo, s8
	v_mov_b32_e32 v4, s42
	v_cmp_lt_u32_e64 s5, 22, v0
	s_clause 0x3
	buffer_load_dword v1, v4, s[0:3], 0 offen
	buffer_load_dword v2, v4, s[0:3], 0 offen offset:4
	buffer_load_dword v3, v4, s[0:3], 0 offen offset:8
	;; [unrolled: 1-line block ×3, first 2 shown]
	s_waitcnt vmcnt(0)
	ds_write_b128 v120, v[1:4]
	s_waitcnt lgkmcnt(0)
	s_waitcnt_vscnt null, 0x0
	s_barrier
	buffer_gl0_inv
	s_and_saveexec_b32 s8, s5
	s_cbranch_execz .LBB120_275
; %bb.268:
	ds_read_b128 v[1:4], v120
	s_andn2_b32 vcc_lo, exec_lo, s64
	s_cbranch_vccnz .LBB120_270
; %bb.269:
	s_clause 0x3
	buffer_load_dword v121, v119, s[0:3], 0 offen offset:8
	buffer_load_dword v122, v119, s[0:3], 0 offen offset:12
	buffer_load_dword v123, v119, s[0:3], 0 offen
	buffer_load_dword v124, v119, s[0:3], 0 offen offset:4
	s_waitcnt vmcnt(2) lgkmcnt(0)
	v_mul_f64 v[126:127], v[3:4], v[121:122]
	v_mul_f64 v[121:122], v[1:2], v[121:122]
	s_waitcnt vmcnt(0)
	v_fma_f64 v[1:2], v[1:2], v[123:124], -v[126:127]
	v_fma_f64 v[3:4], v[3:4], v[123:124], v[121:122]
.LBB120_270:
	s_and_saveexec_b32 s65, s4
	s_cbranch_execz .LBB120_274
; %bb.271:
	v_subrev_nc_u32_e32 v121, 23, v0
	s_movk_i32 s66, 0x500
	s_mov_b32 s4, 0
	s_mov_b32 s67, s41
	.p2align	6
.LBB120_272:                            ; =>This Inner Loop Header: Depth=1
	v_mov_b32_e32 v124, s67
	v_add_nc_u32_e32 v121, -1, v121
	s_add_i32 s67, s67, 16
	s_clause 0x3
	buffer_load_dword v122, v124, s[0:3], 0 offen offset:8
	buffer_load_dword v123, v124, s[0:3], 0 offen offset:12
	buffer_load_dword v130, v124, s[0:3], 0 offen
	buffer_load_dword v131, v124, s[0:3], 0 offen offset:4
	v_mov_b32_e32 v124, s66
	v_cmp_eq_u32_e32 vcc_lo, 0, v121
	s_add_i32 s66, s66, 16
	ds_read_b128 v[126:129], v124
	s_or_b32 s4, vcc_lo, s4
	s_waitcnt vmcnt(2) lgkmcnt(0)
	v_mul_f64 v[132:133], v[128:129], v[122:123]
	v_mul_f64 v[122:123], v[126:127], v[122:123]
	s_waitcnt vmcnt(0)
	v_fma_f64 v[126:127], v[126:127], v[130:131], -v[132:133]
	v_fma_f64 v[122:123], v[128:129], v[130:131], v[122:123]
	v_add_f64 v[1:2], v[1:2], v[126:127]
	v_add_f64 v[3:4], v[3:4], v[122:123]
	s_andn2_b32 exec_lo, exec_lo, s4
	s_cbranch_execnz .LBB120_272
; %bb.273:
	s_or_b32 exec_lo, exec_lo, s4
.LBB120_274:
	s_or_b32 exec_lo, exec_lo, s65
	v_mov_b32_e32 v121, 0
	ds_read_b128 v[121:124], v121 offset:352
	s_waitcnt lgkmcnt(0)
	v_mul_f64 v[126:127], v[3:4], v[123:124]
	v_mul_f64 v[123:124], v[1:2], v[123:124]
	v_fma_f64 v[1:2], v[1:2], v[121:122], -v[126:127]
	v_fma_f64 v[3:4], v[3:4], v[121:122], v[123:124]
	buffer_store_dword v2, off, s[0:3], 0 offset:356
	buffer_store_dword v1, off, s[0:3], 0 offset:352
	;; [unrolled: 1-line block ×4, first 2 shown]
.LBB120_275:
	s_or_b32 exec_lo, exec_lo, s8
	v_mov_b32_e32 v4, s43
	v_cmp_lt_u32_e64 s4, 21, v0
	s_clause 0x3
	buffer_load_dword v1, v4, s[0:3], 0 offen
	buffer_load_dword v2, v4, s[0:3], 0 offen offset:4
	buffer_load_dword v3, v4, s[0:3], 0 offen offset:8
	;; [unrolled: 1-line block ×3, first 2 shown]
	s_waitcnt vmcnt(0)
	ds_write_b128 v120, v[1:4]
	s_waitcnt lgkmcnt(0)
	s_waitcnt_vscnt null, 0x0
	s_barrier
	buffer_gl0_inv
	s_and_saveexec_b32 s8, s4
	s_cbranch_execz .LBB120_283
; %bb.276:
	ds_read_b128 v[1:4], v120
	s_andn2_b32 vcc_lo, exec_lo, s64
	s_cbranch_vccnz .LBB120_278
; %bb.277:
	s_clause 0x3
	buffer_load_dword v121, v119, s[0:3], 0 offen offset:8
	buffer_load_dword v122, v119, s[0:3], 0 offen offset:12
	buffer_load_dword v123, v119, s[0:3], 0 offen
	buffer_load_dword v124, v119, s[0:3], 0 offen offset:4
	s_waitcnt vmcnt(2) lgkmcnt(0)
	v_mul_f64 v[126:127], v[3:4], v[121:122]
	v_mul_f64 v[121:122], v[1:2], v[121:122]
	s_waitcnt vmcnt(0)
	v_fma_f64 v[1:2], v[1:2], v[123:124], -v[126:127]
	v_fma_f64 v[3:4], v[3:4], v[123:124], v[121:122]
.LBB120_278:
	s_and_saveexec_b32 s65, s5
	s_cbranch_execz .LBB120_282
; %bb.279:
	v_subrev_nc_u32_e32 v121, 22, v0
	s_movk_i32 s66, 0x4f0
	s_mov_b32 s5, 0
	s_mov_b32 s67, s42
	.p2align	6
.LBB120_280:                            ; =>This Inner Loop Header: Depth=1
	v_mov_b32_e32 v124, s67
	v_add_nc_u32_e32 v121, -1, v121
	s_add_i32 s67, s67, 16
	s_clause 0x3
	buffer_load_dword v122, v124, s[0:3], 0 offen offset:8
	buffer_load_dword v123, v124, s[0:3], 0 offen offset:12
	buffer_load_dword v130, v124, s[0:3], 0 offen
	buffer_load_dword v131, v124, s[0:3], 0 offen offset:4
	v_mov_b32_e32 v124, s66
	v_cmp_eq_u32_e32 vcc_lo, 0, v121
	s_add_i32 s66, s66, 16
	ds_read_b128 v[126:129], v124
	s_or_b32 s5, vcc_lo, s5
	s_waitcnt vmcnt(2) lgkmcnt(0)
	v_mul_f64 v[132:133], v[128:129], v[122:123]
	v_mul_f64 v[122:123], v[126:127], v[122:123]
	s_waitcnt vmcnt(0)
	v_fma_f64 v[126:127], v[126:127], v[130:131], -v[132:133]
	v_fma_f64 v[122:123], v[128:129], v[130:131], v[122:123]
	v_add_f64 v[1:2], v[1:2], v[126:127]
	v_add_f64 v[3:4], v[3:4], v[122:123]
	s_andn2_b32 exec_lo, exec_lo, s5
	s_cbranch_execnz .LBB120_280
; %bb.281:
	s_or_b32 exec_lo, exec_lo, s5
.LBB120_282:
	s_or_b32 exec_lo, exec_lo, s65
	v_mov_b32_e32 v121, 0
	ds_read_b128 v[121:124], v121 offset:336
	s_waitcnt lgkmcnt(0)
	v_mul_f64 v[126:127], v[3:4], v[123:124]
	v_mul_f64 v[123:124], v[1:2], v[123:124]
	v_fma_f64 v[1:2], v[1:2], v[121:122], -v[126:127]
	v_fma_f64 v[3:4], v[3:4], v[121:122], v[123:124]
	buffer_store_dword v2, off, s[0:3], 0 offset:340
	buffer_store_dword v1, off, s[0:3], 0 offset:336
	buffer_store_dword v4, off, s[0:3], 0 offset:348
	buffer_store_dword v3, off, s[0:3], 0 offset:344
.LBB120_283:
	s_or_b32 exec_lo, exec_lo, s8
	v_mov_b32_e32 v4, s44
	v_cmp_lt_u32_e64 s5, 20, v0
	s_clause 0x3
	buffer_load_dword v1, v4, s[0:3], 0 offen
	buffer_load_dword v2, v4, s[0:3], 0 offen offset:4
	buffer_load_dword v3, v4, s[0:3], 0 offen offset:8
	buffer_load_dword v4, v4, s[0:3], 0 offen offset:12
	s_waitcnt vmcnt(0)
	ds_write_b128 v120, v[1:4]
	s_waitcnt lgkmcnt(0)
	s_waitcnt_vscnt null, 0x0
	s_barrier
	buffer_gl0_inv
	s_and_saveexec_b32 s8, s5
	s_cbranch_execz .LBB120_291
; %bb.284:
	ds_read_b128 v[1:4], v120
	s_andn2_b32 vcc_lo, exec_lo, s64
	s_cbranch_vccnz .LBB120_286
; %bb.285:
	s_clause 0x3
	buffer_load_dword v121, v119, s[0:3], 0 offen offset:8
	buffer_load_dword v122, v119, s[0:3], 0 offen offset:12
	buffer_load_dword v123, v119, s[0:3], 0 offen
	buffer_load_dword v124, v119, s[0:3], 0 offen offset:4
	s_waitcnt vmcnt(2) lgkmcnt(0)
	v_mul_f64 v[126:127], v[3:4], v[121:122]
	v_mul_f64 v[121:122], v[1:2], v[121:122]
	s_waitcnt vmcnt(0)
	v_fma_f64 v[1:2], v[1:2], v[123:124], -v[126:127]
	v_fma_f64 v[3:4], v[3:4], v[123:124], v[121:122]
.LBB120_286:
	s_and_saveexec_b32 s65, s4
	s_cbranch_execz .LBB120_290
; %bb.287:
	v_subrev_nc_u32_e32 v121, 21, v0
	s_movk_i32 s66, 0x4e0
	s_mov_b32 s4, 0
	s_mov_b32 s67, s43
	.p2align	6
.LBB120_288:                            ; =>This Inner Loop Header: Depth=1
	v_mov_b32_e32 v124, s67
	v_add_nc_u32_e32 v121, -1, v121
	s_add_i32 s67, s67, 16
	s_clause 0x3
	buffer_load_dword v122, v124, s[0:3], 0 offen offset:8
	buffer_load_dword v123, v124, s[0:3], 0 offen offset:12
	buffer_load_dword v130, v124, s[0:3], 0 offen
	buffer_load_dword v131, v124, s[0:3], 0 offen offset:4
	v_mov_b32_e32 v124, s66
	v_cmp_eq_u32_e32 vcc_lo, 0, v121
	s_add_i32 s66, s66, 16
	ds_read_b128 v[126:129], v124
	s_or_b32 s4, vcc_lo, s4
	s_waitcnt vmcnt(2) lgkmcnt(0)
	v_mul_f64 v[132:133], v[128:129], v[122:123]
	v_mul_f64 v[122:123], v[126:127], v[122:123]
	s_waitcnt vmcnt(0)
	v_fma_f64 v[126:127], v[126:127], v[130:131], -v[132:133]
	v_fma_f64 v[122:123], v[128:129], v[130:131], v[122:123]
	v_add_f64 v[1:2], v[1:2], v[126:127]
	v_add_f64 v[3:4], v[3:4], v[122:123]
	s_andn2_b32 exec_lo, exec_lo, s4
	s_cbranch_execnz .LBB120_288
; %bb.289:
	s_or_b32 exec_lo, exec_lo, s4
.LBB120_290:
	s_or_b32 exec_lo, exec_lo, s65
	v_mov_b32_e32 v121, 0
	ds_read_b128 v[121:124], v121 offset:320
	s_waitcnt lgkmcnt(0)
	v_mul_f64 v[126:127], v[3:4], v[123:124]
	v_mul_f64 v[123:124], v[1:2], v[123:124]
	v_fma_f64 v[1:2], v[1:2], v[121:122], -v[126:127]
	v_fma_f64 v[3:4], v[3:4], v[121:122], v[123:124]
	buffer_store_dword v2, off, s[0:3], 0 offset:324
	buffer_store_dword v1, off, s[0:3], 0 offset:320
	;; [unrolled: 1-line block ×4, first 2 shown]
.LBB120_291:
	s_or_b32 exec_lo, exec_lo, s8
	v_mov_b32_e32 v4, s45
	v_cmp_lt_u32_e64 s4, 19, v0
	s_clause 0x3
	buffer_load_dword v1, v4, s[0:3], 0 offen
	buffer_load_dword v2, v4, s[0:3], 0 offen offset:4
	buffer_load_dword v3, v4, s[0:3], 0 offen offset:8
	;; [unrolled: 1-line block ×3, first 2 shown]
	s_waitcnt vmcnt(0)
	ds_write_b128 v120, v[1:4]
	s_waitcnt lgkmcnt(0)
	s_waitcnt_vscnt null, 0x0
	s_barrier
	buffer_gl0_inv
	s_and_saveexec_b32 s8, s4
	s_cbranch_execz .LBB120_299
; %bb.292:
	ds_read_b128 v[1:4], v120
	s_andn2_b32 vcc_lo, exec_lo, s64
	s_cbranch_vccnz .LBB120_294
; %bb.293:
	s_clause 0x3
	buffer_load_dword v121, v119, s[0:3], 0 offen offset:8
	buffer_load_dword v122, v119, s[0:3], 0 offen offset:12
	buffer_load_dword v123, v119, s[0:3], 0 offen
	buffer_load_dword v124, v119, s[0:3], 0 offen offset:4
	s_waitcnt vmcnt(2) lgkmcnt(0)
	v_mul_f64 v[126:127], v[3:4], v[121:122]
	v_mul_f64 v[121:122], v[1:2], v[121:122]
	s_waitcnt vmcnt(0)
	v_fma_f64 v[1:2], v[1:2], v[123:124], -v[126:127]
	v_fma_f64 v[3:4], v[3:4], v[123:124], v[121:122]
.LBB120_294:
	s_and_saveexec_b32 s65, s5
	s_cbranch_execz .LBB120_298
; %bb.295:
	v_subrev_nc_u32_e32 v121, 20, v0
	s_movk_i32 s66, 0x4d0
	s_mov_b32 s5, 0
	s_mov_b32 s67, s44
	.p2align	6
.LBB120_296:                            ; =>This Inner Loop Header: Depth=1
	v_mov_b32_e32 v124, s67
	v_add_nc_u32_e32 v121, -1, v121
	s_add_i32 s67, s67, 16
	s_clause 0x3
	buffer_load_dword v122, v124, s[0:3], 0 offen offset:8
	buffer_load_dword v123, v124, s[0:3], 0 offen offset:12
	buffer_load_dword v130, v124, s[0:3], 0 offen
	buffer_load_dword v131, v124, s[0:3], 0 offen offset:4
	v_mov_b32_e32 v124, s66
	v_cmp_eq_u32_e32 vcc_lo, 0, v121
	s_add_i32 s66, s66, 16
	ds_read_b128 v[126:129], v124
	s_or_b32 s5, vcc_lo, s5
	s_waitcnt vmcnt(2) lgkmcnt(0)
	v_mul_f64 v[132:133], v[128:129], v[122:123]
	v_mul_f64 v[122:123], v[126:127], v[122:123]
	s_waitcnt vmcnt(0)
	v_fma_f64 v[126:127], v[126:127], v[130:131], -v[132:133]
	v_fma_f64 v[122:123], v[128:129], v[130:131], v[122:123]
	v_add_f64 v[1:2], v[1:2], v[126:127]
	v_add_f64 v[3:4], v[3:4], v[122:123]
	s_andn2_b32 exec_lo, exec_lo, s5
	s_cbranch_execnz .LBB120_296
; %bb.297:
	s_or_b32 exec_lo, exec_lo, s5
.LBB120_298:
	s_or_b32 exec_lo, exec_lo, s65
	v_mov_b32_e32 v121, 0
	ds_read_b128 v[121:124], v121 offset:304
	s_waitcnt lgkmcnt(0)
	v_mul_f64 v[126:127], v[3:4], v[123:124]
	v_mul_f64 v[123:124], v[1:2], v[123:124]
	v_fma_f64 v[1:2], v[1:2], v[121:122], -v[126:127]
	v_fma_f64 v[3:4], v[3:4], v[121:122], v[123:124]
	buffer_store_dword v2, off, s[0:3], 0 offset:308
	buffer_store_dword v1, off, s[0:3], 0 offset:304
	;; [unrolled: 1-line block ×4, first 2 shown]
.LBB120_299:
	s_or_b32 exec_lo, exec_lo, s8
	v_mov_b32_e32 v4, s46
	v_cmp_lt_u32_e64 s5, 18, v0
	s_clause 0x3
	buffer_load_dword v1, v4, s[0:3], 0 offen
	buffer_load_dword v2, v4, s[0:3], 0 offen offset:4
	buffer_load_dword v3, v4, s[0:3], 0 offen offset:8
	;; [unrolled: 1-line block ×3, first 2 shown]
	s_waitcnt vmcnt(0)
	ds_write_b128 v120, v[1:4]
	s_waitcnt lgkmcnt(0)
	s_waitcnt_vscnt null, 0x0
	s_barrier
	buffer_gl0_inv
	s_and_saveexec_b32 s8, s5
	s_cbranch_execz .LBB120_307
; %bb.300:
	ds_read_b128 v[1:4], v120
	s_andn2_b32 vcc_lo, exec_lo, s64
	s_cbranch_vccnz .LBB120_302
; %bb.301:
	s_clause 0x3
	buffer_load_dword v121, v119, s[0:3], 0 offen offset:8
	buffer_load_dword v122, v119, s[0:3], 0 offen offset:12
	buffer_load_dword v123, v119, s[0:3], 0 offen
	buffer_load_dword v124, v119, s[0:3], 0 offen offset:4
	s_waitcnt vmcnt(2) lgkmcnt(0)
	v_mul_f64 v[126:127], v[3:4], v[121:122]
	v_mul_f64 v[121:122], v[1:2], v[121:122]
	s_waitcnt vmcnt(0)
	v_fma_f64 v[1:2], v[1:2], v[123:124], -v[126:127]
	v_fma_f64 v[3:4], v[3:4], v[123:124], v[121:122]
.LBB120_302:
	s_and_saveexec_b32 s65, s4
	s_cbranch_execz .LBB120_306
; %bb.303:
	v_subrev_nc_u32_e32 v121, 19, v0
	s_movk_i32 s66, 0x4c0
	s_mov_b32 s4, 0
	s_mov_b32 s67, s45
	.p2align	6
.LBB120_304:                            ; =>This Inner Loop Header: Depth=1
	v_mov_b32_e32 v124, s67
	v_add_nc_u32_e32 v121, -1, v121
	s_add_i32 s67, s67, 16
	s_clause 0x3
	buffer_load_dword v122, v124, s[0:3], 0 offen offset:8
	buffer_load_dword v123, v124, s[0:3], 0 offen offset:12
	buffer_load_dword v130, v124, s[0:3], 0 offen
	buffer_load_dword v131, v124, s[0:3], 0 offen offset:4
	v_mov_b32_e32 v124, s66
	v_cmp_eq_u32_e32 vcc_lo, 0, v121
	s_add_i32 s66, s66, 16
	ds_read_b128 v[126:129], v124
	s_or_b32 s4, vcc_lo, s4
	s_waitcnt vmcnt(2) lgkmcnt(0)
	v_mul_f64 v[132:133], v[128:129], v[122:123]
	v_mul_f64 v[122:123], v[126:127], v[122:123]
	s_waitcnt vmcnt(0)
	v_fma_f64 v[126:127], v[126:127], v[130:131], -v[132:133]
	v_fma_f64 v[122:123], v[128:129], v[130:131], v[122:123]
	v_add_f64 v[1:2], v[1:2], v[126:127]
	v_add_f64 v[3:4], v[3:4], v[122:123]
	s_andn2_b32 exec_lo, exec_lo, s4
	s_cbranch_execnz .LBB120_304
; %bb.305:
	s_or_b32 exec_lo, exec_lo, s4
.LBB120_306:
	s_or_b32 exec_lo, exec_lo, s65
	v_mov_b32_e32 v121, 0
	ds_read_b128 v[121:124], v121 offset:288
	s_waitcnt lgkmcnt(0)
	v_mul_f64 v[126:127], v[3:4], v[123:124]
	v_mul_f64 v[123:124], v[1:2], v[123:124]
	v_fma_f64 v[1:2], v[1:2], v[121:122], -v[126:127]
	v_fma_f64 v[3:4], v[3:4], v[121:122], v[123:124]
	buffer_store_dword v2, off, s[0:3], 0 offset:292
	buffer_store_dword v1, off, s[0:3], 0 offset:288
	;; [unrolled: 1-line block ×4, first 2 shown]
.LBB120_307:
	s_or_b32 exec_lo, exec_lo, s8
	v_mov_b32_e32 v4, s47
	v_cmp_lt_u32_e64 s4, 17, v0
	s_clause 0x3
	buffer_load_dword v1, v4, s[0:3], 0 offen
	buffer_load_dword v2, v4, s[0:3], 0 offen offset:4
	buffer_load_dword v3, v4, s[0:3], 0 offen offset:8
	;; [unrolled: 1-line block ×3, first 2 shown]
	s_waitcnt vmcnt(0)
	ds_write_b128 v120, v[1:4]
	s_waitcnt lgkmcnt(0)
	s_waitcnt_vscnt null, 0x0
	s_barrier
	buffer_gl0_inv
	s_and_saveexec_b32 s8, s4
	s_cbranch_execz .LBB120_315
; %bb.308:
	ds_read_b128 v[1:4], v120
	s_andn2_b32 vcc_lo, exec_lo, s64
	s_cbranch_vccnz .LBB120_310
; %bb.309:
	s_clause 0x3
	buffer_load_dword v121, v119, s[0:3], 0 offen offset:8
	buffer_load_dword v122, v119, s[0:3], 0 offen offset:12
	buffer_load_dword v123, v119, s[0:3], 0 offen
	buffer_load_dword v124, v119, s[0:3], 0 offen offset:4
	s_waitcnt vmcnt(2) lgkmcnt(0)
	v_mul_f64 v[126:127], v[3:4], v[121:122]
	v_mul_f64 v[121:122], v[1:2], v[121:122]
	s_waitcnt vmcnt(0)
	v_fma_f64 v[1:2], v[1:2], v[123:124], -v[126:127]
	v_fma_f64 v[3:4], v[3:4], v[123:124], v[121:122]
.LBB120_310:
	s_and_saveexec_b32 s65, s5
	s_cbranch_execz .LBB120_314
; %bb.311:
	v_subrev_nc_u32_e32 v121, 18, v0
	s_movk_i32 s66, 0x4b0
	s_mov_b32 s5, 0
	s_mov_b32 s67, s46
	.p2align	6
.LBB120_312:                            ; =>This Inner Loop Header: Depth=1
	v_mov_b32_e32 v124, s67
	v_add_nc_u32_e32 v121, -1, v121
	s_add_i32 s67, s67, 16
	s_clause 0x3
	buffer_load_dword v122, v124, s[0:3], 0 offen offset:8
	buffer_load_dword v123, v124, s[0:3], 0 offen offset:12
	buffer_load_dword v130, v124, s[0:3], 0 offen
	buffer_load_dword v131, v124, s[0:3], 0 offen offset:4
	v_mov_b32_e32 v124, s66
	v_cmp_eq_u32_e32 vcc_lo, 0, v121
	s_add_i32 s66, s66, 16
	ds_read_b128 v[126:129], v124
	s_or_b32 s5, vcc_lo, s5
	s_waitcnt vmcnt(2) lgkmcnt(0)
	v_mul_f64 v[132:133], v[128:129], v[122:123]
	v_mul_f64 v[122:123], v[126:127], v[122:123]
	s_waitcnt vmcnt(0)
	v_fma_f64 v[126:127], v[126:127], v[130:131], -v[132:133]
	v_fma_f64 v[122:123], v[128:129], v[130:131], v[122:123]
	v_add_f64 v[1:2], v[1:2], v[126:127]
	v_add_f64 v[3:4], v[3:4], v[122:123]
	s_andn2_b32 exec_lo, exec_lo, s5
	s_cbranch_execnz .LBB120_312
; %bb.313:
	s_or_b32 exec_lo, exec_lo, s5
.LBB120_314:
	s_or_b32 exec_lo, exec_lo, s65
	v_mov_b32_e32 v121, 0
	ds_read_b128 v[121:124], v121 offset:272
	s_waitcnt lgkmcnt(0)
	v_mul_f64 v[126:127], v[3:4], v[123:124]
	v_mul_f64 v[123:124], v[1:2], v[123:124]
	v_fma_f64 v[1:2], v[1:2], v[121:122], -v[126:127]
	v_fma_f64 v[3:4], v[3:4], v[121:122], v[123:124]
	buffer_store_dword v2, off, s[0:3], 0 offset:276
	buffer_store_dword v1, off, s[0:3], 0 offset:272
	;; [unrolled: 1-line block ×4, first 2 shown]
.LBB120_315:
	s_or_b32 exec_lo, exec_lo, s8
	v_mov_b32_e32 v4, s48
	v_cmp_lt_u32_e64 s5, 16, v0
	s_clause 0x3
	buffer_load_dword v1, v4, s[0:3], 0 offen
	buffer_load_dword v2, v4, s[0:3], 0 offen offset:4
	buffer_load_dword v3, v4, s[0:3], 0 offen offset:8
	buffer_load_dword v4, v4, s[0:3], 0 offen offset:12
	s_waitcnt vmcnt(0)
	ds_write_b128 v120, v[1:4]
	s_waitcnt lgkmcnt(0)
	s_waitcnt_vscnt null, 0x0
	s_barrier
	buffer_gl0_inv
	s_and_saveexec_b32 s8, s5
	s_cbranch_execz .LBB120_323
; %bb.316:
	ds_read_b128 v[1:4], v120
	s_andn2_b32 vcc_lo, exec_lo, s64
	s_cbranch_vccnz .LBB120_318
; %bb.317:
	s_clause 0x3
	buffer_load_dword v121, v119, s[0:3], 0 offen offset:8
	buffer_load_dword v122, v119, s[0:3], 0 offen offset:12
	buffer_load_dword v123, v119, s[0:3], 0 offen
	buffer_load_dword v124, v119, s[0:3], 0 offen offset:4
	s_waitcnt vmcnt(2) lgkmcnt(0)
	v_mul_f64 v[126:127], v[3:4], v[121:122]
	v_mul_f64 v[121:122], v[1:2], v[121:122]
	s_waitcnt vmcnt(0)
	v_fma_f64 v[1:2], v[1:2], v[123:124], -v[126:127]
	v_fma_f64 v[3:4], v[3:4], v[123:124], v[121:122]
.LBB120_318:
	s_and_saveexec_b32 s65, s4
	s_cbranch_execz .LBB120_322
; %bb.319:
	v_subrev_nc_u32_e32 v121, 17, v0
	s_movk_i32 s66, 0x4a0
	s_mov_b32 s4, 0
	s_mov_b32 s67, s47
	.p2align	6
.LBB120_320:                            ; =>This Inner Loop Header: Depth=1
	v_mov_b32_e32 v124, s67
	v_add_nc_u32_e32 v121, -1, v121
	s_add_i32 s67, s67, 16
	s_clause 0x3
	buffer_load_dword v122, v124, s[0:3], 0 offen offset:8
	buffer_load_dword v123, v124, s[0:3], 0 offen offset:12
	buffer_load_dword v130, v124, s[0:3], 0 offen
	buffer_load_dword v131, v124, s[0:3], 0 offen offset:4
	v_mov_b32_e32 v124, s66
	v_cmp_eq_u32_e32 vcc_lo, 0, v121
	s_add_i32 s66, s66, 16
	ds_read_b128 v[126:129], v124
	s_or_b32 s4, vcc_lo, s4
	s_waitcnt vmcnt(2) lgkmcnt(0)
	v_mul_f64 v[132:133], v[128:129], v[122:123]
	v_mul_f64 v[122:123], v[126:127], v[122:123]
	s_waitcnt vmcnt(0)
	v_fma_f64 v[126:127], v[126:127], v[130:131], -v[132:133]
	v_fma_f64 v[122:123], v[128:129], v[130:131], v[122:123]
	v_add_f64 v[1:2], v[1:2], v[126:127]
	v_add_f64 v[3:4], v[3:4], v[122:123]
	s_andn2_b32 exec_lo, exec_lo, s4
	s_cbranch_execnz .LBB120_320
; %bb.321:
	s_or_b32 exec_lo, exec_lo, s4
.LBB120_322:
	s_or_b32 exec_lo, exec_lo, s65
	v_mov_b32_e32 v121, 0
	ds_read_b128 v[121:124], v121 offset:256
	s_waitcnt lgkmcnt(0)
	v_mul_f64 v[126:127], v[3:4], v[123:124]
	v_mul_f64 v[123:124], v[1:2], v[123:124]
	v_fma_f64 v[1:2], v[1:2], v[121:122], -v[126:127]
	v_fma_f64 v[3:4], v[3:4], v[121:122], v[123:124]
	buffer_store_dword v2, off, s[0:3], 0 offset:260
	buffer_store_dword v1, off, s[0:3], 0 offset:256
	;; [unrolled: 1-line block ×4, first 2 shown]
.LBB120_323:
	s_or_b32 exec_lo, exec_lo, s8
	v_mov_b32_e32 v4, s49
	v_cmp_lt_u32_e64 s4, 15, v0
	s_clause 0x3
	buffer_load_dword v1, v4, s[0:3], 0 offen
	buffer_load_dword v2, v4, s[0:3], 0 offen offset:4
	buffer_load_dword v3, v4, s[0:3], 0 offen offset:8
	;; [unrolled: 1-line block ×3, first 2 shown]
	s_waitcnt vmcnt(0)
	ds_write_b128 v120, v[1:4]
	s_waitcnt lgkmcnt(0)
	s_waitcnt_vscnt null, 0x0
	s_barrier
	buffer_gl0_inv
	s_and_saveexec_b32 s8, s4
	s_cbranch_execz .LBB120_331
; %bb.324:
	ds_read_b128 v[1:4], v120
	s_andn2_b32 vcc_lo, exec_lo, s64
	s_cbranch_vccnz .LBB120_326
; %bb.325:
	s_clause 0x3
	buffer_load_dword v121, v119, s[0:3], 0 offen offset:8
	buffer_load_dword v122, v119, s[0:3], 0 offen offset:12
	buffer_load_dword v123, v119, s[0:3], 0 offen
	buffer_load_dword v124, v119, s[0:3], 0 offen offset:4
	s_waitcnt vmcnt(2) lgkmcnt(0)
	v_mul_f64 v[126:127], v[3:4], v[121:122]
	v_mul_f64 v[121:122], v[1:2], v[121:122]
	s_waitcnt vmcnt(0)
	v_fma_f64 v[1:2], v[1:2], v[123:124], -v[126:127]
	v_fma_f64 v[3:4], v[3:4], v[123:124], v[121:122]
.LBB120_326:
	s_and_saveexec_b32 s65, s5
	s_cbranch_execz .LBB120_330
; %bb.327:
	v_add_nc_u32_e32 v121, -16, v0
	s_movk_i32 s66, 0x490
	s_mov_b32 s5, 0
	s_mov_b32 s67, s48
	.p2align	6
.LBB120_328:                            ; =>This Inner Loop Header: Depth=1
	v_mov_b32_e32 v124, s67
	v_add_nc_u32_e32 v121, -1, v121
	s_add_i32 s67, s67, 16
	s_clause 0x3
	buffer_load_dword v122, v124, s[0:3], 0 offen offset:8
	buffer_load_dword v123, v124, s[0:3], 0 offen offset:12
	buffer_load_dword v130, v124, s[0:3], 0 offen
	buffer_load_dword v131, v124, s[0:3], 0 offen offset:4
	v_mov_b32_e32 v124, s66
	v_cmp_eq_u32_e32 vcc_lo, 0, v121
	s_add_i32 s66, s66, 16
	ds_read_b128 v[126:129], v124
	s_or_b32 s5, vcc_lo, s5
	s_waitcnt vmcnt(2) lgkmcnt(0)
	v_mul_f64 v[132:133], v[128:129], v[122:123]
	v_mul_f64 v[122:123], v[126:127], v[122:123]
	s_waitcnt vmcnt(0)
	v_fma_f64 v[126:127], v[126:127], v[130:131], -v[132:133]
	v_fma_f64 v[122:123], v[128:129], v[130:131], v[122:123]
	v_add_f64 v[1:2], v[1:2], v[126:127]
	v_add_f64 v[3:4], v[3:4], v[122:123]
	s_andn2_b32 exec_lo, exec_lo, s5
	s_cbranch_execnz .LBB120_328
; %bb.329:
	s_or_b32 exec_lo, exec_lo, s5
.LBB120_330:
	s_or_b32 exec_lo, exec_lo, s65
	v_mov_b32_e32 v121, 0
	ds_read_b128 v[121:124], v121 offset:240
	s_waitcnt lgkmcnt(0)
	v_mul_f64 v[126:127], v[3:4], v[123:124]
	v_mul_f64 v[123:124], v[1:2], v[123:124]
	v_fma_f64 v[1:2], v[1:2], v[121:122], -v[126:127]
	v_fma_f64 v[3:4], v[3:4], v[121:122], v[123:124]
	buffer_store_dword v2, off, s[0:3], 0 offset:244
	buffer_store_dword v1, off, s[0:3], 0 offset:240
	;; [unrolled: 1-line block ×4, first 2 shown]
.LBB120_331:
	s_or_b32 exec_lo, exec_lo, s8
	v_mov_b32_e32 v4, s50
	v_cmp_lt_u32_e64 s5, 14, v0
	s_clause 0x3
	buffer_load_dword v1, v4, s[0:3], 0 offen
	buffer_load_dword v2, v4, s[0:3], 0 offen offset:4
	buffer_load_dword v3, v4, s[0:3], 0 offen offset:8
	;; [unrolled: 1-line block ×3, first 2 shown]
	s_waitcnt vmcnt(0)
	ds_write_b128 v120, v[1:4]
	s_waitcnt lgkmcnt(0)
	s_waitcnt_vscnt null, 0x0
	s_barrier
	buffer_gl0_inv
	s_and_saveexec_b32 s8, s5
	s_cbranch_execz .LBB120_339
; %bb.332:
	ds_read_b128 v[1:4], v120
	s_andn2_b32 vcc_lo, exec_lo, s64
	s_cbranch_vccnz .LBB120_334
; %bb.333:
	s_clause 0x3
	buffer_load_dword v121, v119, s[0:3], 0 offen offset:8
	buffer_load_dword v122, v119, s[0:3], 0 offen offset:12
	buffer_load_dword v123, v119, s[0:3], 0 offen
	buffer_load_dword v124, v119, s[0:3], 0 offen offset:4
	s_waitcnt vmcnt(2) lgkmcnt(0)
	v_mul_f64 v[126:127], v[3:4], v[121:122]
	v_mul_f64 v[121:122], v[1:2], v[121:122]
	s_waitcnt vmcnt(0)
	v_fma_f64 v[1:2], v[1:2], v[123:124], -v[126:127]
	v_fma_f64 v[3:4], v[3:4], v[123:124], v[121:122]
.LBB120_334:
	s_and_saveexec_b32 s65, s4
	s_cbranch_execz .LBB120_338
; %bb.335:
	v_add_nc_u32_e32 v121, -15, v0
	s_movk_i32 s66, 0x480
	s_mov_b32 s4, 0
	s_mov_b32 s67, s49
	.p2align	6
.LBB120_336:                            ; =>This Inner Loop Header: Depth=1
	v_mov_b32_e32 v124, s67
	v_add_nc_u32_e32 v121, -1, v121
	s_add_i32 s67, s67, 16
	s_clause 0x3
	buffer_load_dword v122, v124, s[0:3], 0 offen offset:8
	buffer_load_dword v123, v124, s[0:3], 0 offen offset:12
	buffer_load_dword v130, v124, s[0:3], 0 offen
	buffer_load_dword v131, v124, s[0:3], 0 offen offset:4
	v_mov_b32_e32 v124, s66
	v_cmp_eq_u32_e32 vcc_lo, 0, v121
	s_add_i32 s66, s66, 16
	ds_read_b128 v[126:129], v124
	s_or_b32 s4, vcc_lo, s4
	s_waitcnt vmcnt(2) lgkmcnt(0)
	v_mul_f64 v[132:133], v[128:129], v[122:123]
	v_mul_f64 v[122:123], v[126:127], v[122:123]
	s_waitcnt vmcnt(0)
	v_fma_f64 v[126:127], v[126:127], v[130:131], -v[132:133]
	v_fma_f64 v[122:123], v[128:129], v[130:131], v[122:123]
	v_add_f64 v[1:2], v[1:2], v[126:127]
	v_add_f64 v[3:4], v[3:4], v[122:123]
	s_andn2_b32 exec_lo, exec_lo, s4
	s_cbranch_execnz .LBB120_336
; %bb.337:
	s_or_b32 exec_lo, exec_lo, s4
.LBB120_338:
	s_or_b32 exec_lo, exec_lo, s65
	v_mov_b32_e32 v121, 0
	ds_read_b128 v[121:124], v121 offset:224
	s_waitcnt lgkmcnt(0)
	v_mul_f64 v[126:127], v[3:4], v[123:124]
	v_mul_f64 v[123:124], v[1:2], v[123:124]
	v_fma_f64 v[1:2], v[1:2], v[121:122], -v[126:127]
	v_fma_f64 v[3:4], v[3:4], v[121:122], v[123:124]
	buffer_store_dword v2, off, s[0:3], 0 offset:228
	buffer_store_dword v1, off, s[0:3], 0 offset:224
	;; [unrolled: 1-line block ×4, first 2 shown]
.LBB120_339:
	s_or_b32 exec_lo, exec_lo, s8
	v_mov_b32_e32 v4, s51
	v_cmp_lt_u32_e64 s4, 13, v0
	s_clause 0x3
	buffer_load_dword v1, v4, s[0:3], 0 offen
	buffer_load_dword v2, v4, s[0:3], 0 offen offset:4
	buffer_load_dword v3, v4, s[0:3], 0 offen offset:8
	;; [unrolled: 1-line block ×3, first 2 shown]
	s_waitcnt vmcnt(0)
	ds_write_b128 v120, v[1:4]
	s_waitcnt lgkmcnt(0)
	s_waitcnt_vscnt null, 0x0
	s_barrier
	buffer_gl0_inv
	s_and_saveexec_b32 s8, s4
	s_cbranch_execz .LBB120_347
; %bb.340:
	ds_read_b128 v[1:4], v120
	s_andn2_b32 vcc_lo, exec_lo, s64
	s_cbranch_vccnz .LBB120_342
; %bb.341:
	s_clause 0x3
	buffer_load_dword v121, v119, s[0:3], 0 offen offset:8
	buffer_load_dword v122, v119, s[0:3], 0 offen offset:12
	buffer_load_dword v123, v119, s[0:3], 0 offen
	buffer_load_dword v124, v119, s[0:3], 0 offen offset:4
	s_waitcnt vmcnt(2) lgkmcnt(0)
	v_mul_f64 v[126:127], v[3:4], v[121:122]
	v_mul_f64 v[121:122], v[1:2], v[121:122]
	s_waitcnt vmcnt(0)
	v_fma_f64 v[1:2], v[1:2], v[123:124], -v[126:127]
	v_fma_f64 v[3:4], v[3:4], v[123:124], v[121:122]
.LBB120_342:
	s_and_saveexec_b32 s65, s5
	s_cbranch_execz .LBB120_346
; %bb.343:
	v_add_nc_u32_e32 v121, -14, v0
	s_movk_i32 s66, 0x470
	s_mov_b32 s5, 0
	s_mov_b32 s67, s50
	.p2align	6
.LBB120_344:                            ; =>This Inner Loop Header: Depth=1
	v_mov_b32_e32 v124, s67
	v_add_nc_u32_e32 v121, -1, v121
	s_add_i32 s67, s67, 16
	s_clause 0x3
	buffer_load_dword v122, v124, s[0:3], 0 offen offset:8
	buffer_load_dword v123, v124, s[0:3], 0 offen offset:12
	buffer_load_dword v130, v124, s[0:3], 0 offen
	buffer_load_dword v131, v124, s[0:3], 0 offen offset:4
	v_mov_b32_e32 v124, s66
	v_cmp_eq_u32_e32 vcc_lo, 0, v121
	s_add_i32 s66, s66, 16
	ds_read_b128 v[126:129], v124
	s_or_b32 s5, vcc_lo, s5
	s_waitcnt vmcnt(2) lgkmcnt(0)
	v_mul_f64 v[132:133], v[128:129], v[122:123]
	v_mul_f64 v[122:123], v[126:127], v[122:123]
	s_waitcnt vmcnt(0)
	v_fma_f64 v[126:127], v[126:127], v[130:131], -v[132:133]
	v_fma_f64 v[122:123], v[128:129], v[130:131], v[122:123]
	v_add_f64 v[1:2], v[1:2], v[126:127]
	v_add_f64 v[3:4], v[3:4], v[122:123]
	s_andn2_b32 exec_lo, exec_lo, s5
	s_cbranch_execnz .LBB120_344
; %bb.345:
	s_or_b32 exec_lo, exec_lo, s5
.LBB120_346:
	s_or_b32 exec_lo, exec_lo, s65
	v_mov_b32_e32 v121, 0
	ds_read_b128 v[121:124], v121 offset:208
	s_waitcnt lgkmcnt(0)
	v_mul_f64 v[126:127], v[3:4], v[123:124]
	v_mul_f64 v[123:124], v[1:2], v[123:124]
	v_fma_f64 v[1:2], v[1:2], v[121:122], -v[126:127]
	v_fma_f64 v[3:4], v[3:4], v[121:122], v[123:124]
	buffer_store_dword v2, off, s[0:3], 0 offset:212
	buffer_store_dword v1, off, s[0:3], 0 offset:208
	;; [unrolled: 1-line block ×4, first 2 shown]
.LBB120_347:
	s_or_b32 exec_lo, exec_lo, s8
	v_mov_b32_e32 v4, s52
	v_cmp_lt_u32_e64 s5, 12, v0
	s_clause 0x3
	buffer_load_dword v1, v4, s[0:3], 0 offen
	buffer_load_dword v2, v4, s[0:3], 0 offen offset:4
	buffer_load_dword v3, v4, s[0:3], 0 offen offset:8
	buffer_load_dword v4, v4, s[0:3], 0 offen offset:12
	s_waitcnt vmcnt(0)
	ds_write_b128 v120, v[1:4]
	s_waitcnt lgkmcnt(0)
	s_waitcnt_vscnt null, 0x0
	s_barrier
	buffer_gl0_inv
	s_and_saveexec_b32 s8, s5
	s_cbranch_execz .LBB120_355
; %bb.348:
	ds_read_b128 v[1:4], v120
	s_andn2_b32 vcc_lo, exec_lo, s64
	s_cbranch_vccnz .LBB120_350
; %bb.349:
	s_clause 0x3
	buffer_load_dword v121, v119, s[0:3], 0 offen offset:8
	buffer_load_dword v122, v119, s[0:3], 0 offen offset:12
	buffer_load_dword v123, v119, s[0:3], 0 offen
	buffer_load_dword v124, v119, s[0:3], 0 offen offset:4
	s_waitcnt vmcnt(2) lgkmcnt(0)
	v_mul_f64 v[126:127], v[3:4], v[121:122]
	v_mul_f64 v[121:122], v[1:2], v[121:122]
	s_waitcnt vmcnt(0)
	v_fma_f64 v[1:2], v[1:2], v[123:124], -v[126:127]
	v_fma_f64 v[3:4], v[3:4], v[123:124], v[121:122]
.LBB120_350:
	s_and_saveexec_b32 s65, s4
	s_cbranch_execz .LBB120_354
; %bb.351:
	v_add_nc_u32_e32 v121, -13, v0
	s_movk_i32 s66, 0x460
	s_mov_b32 s4, 0
	s_mov_b32 s67, s51
	.p2align	6
.LBB120_352:                            ; =>This Inner Loop Header: Depth=1
	v_mov_b32_e32 v124, s67
	v_add_nc_u32_e32 v121, -1, v121
	s_add_i32 s67, s67, 16
	s_clause 0x3
	buffer_load_dword v122, v124, s[0:3], 0 offen offset:8
	buffer_load_dword v123, v124, s[0:3], 0 offen offset:12
	buffer_load_dword v130, v124, s[0:3], 0 offen
	buffer_load_dword v131, v124, s[0:3], 0 offen offset:4
	v_mov_b32_e32 v124, s66
	v_cmp_eq_u32_e32 vcc_lo, 0, v121
	s_add_i32 s66, s66, 16
	ds_read_b128 v[126:129], v124
	s_or_b32 s4, vcc_lo, s4
	s_waitcnt vmcnt(2) lgkmcnt(0)
	v_mul_f64 v[132:133], v[128:129], v[122:123]
	v_mul_f64 v[122:123], v[126:127], v[122:123]
	s_waitcnt vmcnt(0)
	v_fma_f64 v[126:127], v[126:127], v[130:131], -v[132:133]
	v_fma_f64 v[122:123], v[128:129], v[130:131], v[122:123]
	v_add_f64 v[1:2], v[1:2], v[126:127]
	v_add_f64 v[3:4], v[3:4], v[122:123]
	s_andn2_b32 exec_lo, exec_lo, s4
	s_cbranch_execnz .LBB120_352
; %bb.353:
	s_or_b32 exec_lo, exec_lo, s4
.LBB120_354:
	s_or_b32 exec_lo, exec_lo, s65
	v_mov_b32_e32 v121, 0
	ds_read_b128 v[121:124], v121 offset:192
	s_waitcnt lgkmcnt(0)
	v_mul_f64 v[126:127], v[3:4], v[123:124]
	v_mul_f64 v[123:124], v[1:2], v[123:124]
	v_fma_f64 v[1:2], v[1:2], v[121:122], -v[126:127]
	v_fma_f64 v[3:4], v[3:4], v[121:122], v[123:124]
	buffer_store_dword v2, off, s[0:3], 0 offset:196
	buffer_store_dword v1, off, s[0:3], 0 offset:192
	;; [unrolled: 1-line block ×4, first 2 shown]
.LBB120_355:
	s_or_b32 exec_lo, exec_lo, s8
	v_mov_b32_e32 v4, s53
	v_cmp_lt_u32_e64 s4, 11, v0
	s_clause 0x3
	buffer_load_dword v1, v4, s[0:3], 0 offen
	buffer_load_dword v2, v4, s[0:3], 0 offen offset:4
	buffer_load_dword v3, v4, s[0:3], 0 offen offset:8
	;; [unrolled: 1-line block ×3, first 2 shown]
	s_waitcnt vmcnt(0)
	ds_write_b128 v120, v[1:4]
	s_waitcnt lgkmcnt(0)
	s_waitcnt_vscnt null, 0x0
	s_barrier
	buffer_gl0_inv
	s_and_saveexec_b32 s8, s4
	s_cbranch_execz .LBB120_363
; %bb.356:
	ds_read_b128 v[1:4], v120
	s_andn2_b32 vcc_lo, exec_lo, s64
	s_cbranch_vccnz .LBB120_358
; %bb.357:
	s_clause 0x3
	buffer_load_dword v121, v119, s[0:3], 0 offen offset:8
	buffer_load_dword v122, v119, s[0:3], 0 offen offset:12
	buffer_load_dword v123, v119, s[0:3], 0 offen
	buffer_load_dword v124, v119, s[0:3], 0 offen offset:4
	s_waitcnt vmcnt(2) lgkmcnt(0)
	v_mul_f64 v[126:127], v[3:4], v[121:122]
	v_mul_f64 v[121:122], v[1:2], v[121:122]
	s_waitcnt vmcnt(0)
	v_fma_f64 v[1:2], v[1:2], v[123:124], -v[126:127]
	v_fma_f64 v[3:4], v[3:4], v[123:124], v[121:122]
.LBB120_358:
	s_and_saveexec_b32 s65, s5
	s_cbranch_execz .LBB120_362
; %bb.359:
	v_add_nc_u32_e32 v121, -12, v0
	s_movk_i32 s66, 0x450
	s_mov_b32 s5, 0
	s_mov_b32 s67, s52
	.p2align	6
.LBB120_360:                            ; =>This Inner Loop Header: Depth=1
	v_mov_b32_e32 v124, s67
	v_add_nc_u32_e32 v121, -1, v121
	s_add_i32 s67, s67, 16
	s_clause 0x3
	buffer_load_dword v122, v124, s[0:3], 0 offen offset:8
	buffer_load_dword v123, v124, s[0:3], 0 offen offset:12
	buffer_load_dword v130, v124, s[0:3], 0 offen
	buffer_load_dword v131, v124, s[0:3], 0 offen offset:4
	v_mov_b32_e32 v124, s66
	v_cmp_eq_u32_e32 vcc_lo, 0, v121
	s_add_i32 s66, s66, 16
	ds_read_b128 v[126:129], v124
	s_or_b32 s5, vcc_lo, s5
	s_waitcnt vmcnt(2) lgkmcnt(0)
	v_mul_f64 v[132:133], v[128:129], v[122:123]
	v_mul_f64 v[122:123], v[126:127], v[122:123]
	s_waitcnt vmcnt(0)
	v_fma_f64 v[126:127], v[126:127], v[130:131], -v[132:133]
	v_fma_f64 v[122:123], v[128:129], v[130:131], v[122:123]
	v_add_f64 v[1:2], v[1:2], v[126:127]
	v_add_f64 v[3:4], v[3:4], v[122:123]
	s_andn2_b32 exec_lo, exec_lo, s5
	s_cbranch_execnz .LBB120_360
; %bb.361:
	s_or_b32 exec_lo, exec_lo, s5
.LBB120_362:
	s_or_b32 exec_lo, exec_lo, s65
	v_mov_b32_e32 v121, 0
	ds_read_b128 v[121:124], v121 offset:176
	s_waitcnt lgkmcnt(0)
	v_mul_f64 v[126:127], v[3:4], v[123:124]
	v_mul_f64 v[123:124], v[1:2], v[123:124]
	v_fma_f64 v[1:2], v[1:2], v[121:122], -v[126:127]
	v_fma_f64 v[3:4], v[3:4], v[121:122], v[123:124]
	buffer_store_dword v2, off, s[0:3], 0 offset:180
	buffer_store_dword v1, off, s[0:3], 0 offset:176
	;; [unrolled: 1-line block ×4, first 2 shown]
.LBB120_363:
	s_or_b32 exec_lo, exec_lo, s8
	v_mov_b32_e32 v4, s54
	v_cmp_lt_u32_e64 s5, 10, v0
	s_clause 0x3
	buffer_load_dword v1, v4, s[0:3], 0 offen
	buffer_load_dword v2, v4, s[0:3], 0 offen offset:4
	buffer_load_dword v3, v4, s[0:3], 0 offen offset:8
	;; [unrolled: 1-line block ×3, first 2 shown]
	s_waitcnt vmcnt(0)
	ds_write_b128 v120, v[1:4]
	s_waitcnt lgkmcnt(0)
	s_waitcnt_vscnt null, 0x0
	s_barrier
	buffer_gl0_inv
	s_and_saveexec_b32 s8, s5
	s_cbranch_execz .LBB120_371
; %bb.364:
	ds_read_b128 v[1:4], v120
	s_andn2_b32 vcc_lo, exec_lo, s64
	s_cbranch_vccnz .LBB120_366
; %bb.365:
	s_clause 0x3
	buffer_load_dword v121, v119, s[0:3], 0 offen offset:8
	buffer_load_dword v122, v119, s[0:3], 0 offen offset:12
	buffer_load_dword v123, v119, s[0:3], 0 offen
	buffer_load_dword v124, v119, s[0:3], 0 offen offset:4
	s_waitcnt vmcnt(2) lgkmcnt(0)
	v_mul_f64 v[126:127], v[3:4], v[121:122]
	v_mul_f64 v[121:122], v[1:2], v[121:122]
	s_waitcnt vmcnt(0)
	v_fma_f64 v[1:2], v[1:2], v[123:124], -v[126:127]
	v_fma_f64 v[3:4], v[3:4], v[123:124], v[121:122]
.LBB120_366:
	s_and_saveexec_b32 s65, s4
	s_cbranch_execz .LBB120_370
; %bb.367:
	v_add_nc_u32_e32 v121, -11, v0
	s_movk_i32 s66, 0x440
	s_mov_b32 s4, 0
	s_mov_b32 s67, s53
	.p2align	6
.LBB120_368:                            ; =>This Inner Loop Header: Depth=1
	v_mov_b32_e32 v124, s67
	v_add_nc_u32_e32 v121, -1, v121
	s_add_i32 s67, s67, 16
	s_clause 0x3
	buffer_load_dword v122, v124, s[0:3], 0 offen offset:8
	buffer_load_dword v123, v124, s[0:3], 0 offen offset:12
	buffer_load_dword v130, v124, s[0:3], 0 offen
	buffer_load_dword v131, v124, s[0:3], 0 offen offset:4
	v_mov_b32_e32 v124, s66
	v_cmp_eq_u32_e32 vcc_lo, 0, v121
	s_add_i32 s66, s66, 16
	ds_read_b128 v[126:129], v124
	s_or_b32 s4, vcc_lo, s4
	s_waitcnt vmcnt(2) lgkmcnt(0)
	v_mul_f64 v[132:133], v[128:129], v[122:123]
	v_mul_f64 v[122:123], v[126:127], v[122:123]
	s_waitcnt vmcnt(0)
	v_fma_f64 v[126:127], v[126:127], v[130:131], -v[132:133]
	v_fma_f64 v[122:123], v[128:129], v[130:131], v[122:123]
	v_add_f64 v[1:2], v[1:2], v[126:127]
	v_add_f64 v[3:4], v[3:4], v[122:123]
	s_andn2_b32 exec_lo, exec_lo, s4
	s_cbranch_execnz .LBB120_368
; %bb.369:
	s_or_b32 exec_lo, exec_lo, s4
.LBB120_370:
	s_or_b32 exec_lo, exec_lo, s65
	v_mov_b32_e32 v121, 0
	ds_read_b128 v[121:124], v121 offset:160
	s_waitcnt lgkmcnt(0)
	v_mul_f64 v[126:127], v[3:4], v[123:124]
	v_mul_f64 v[123:124], v[1:2], v[123:124]
	v_fma_f64 v[1:2], v[1:2], v[121:122], -v[126:127]
	v_fma_f64 v[3:4], v[3:4], v[121:122], v[123:124]
	buffer_store_dword v2, off, s[0:3], 0 offset:164
	buffer_store_dword v1, off, s[0:3], 0 offset:160
	;; [unrolled: 1-line block ×4, first 2 shown]
.LBB120_371:
	s_or_b32 exec_lo, exec_lo, s8
	v_mov_b32_e32 v4, s55
	v_cmp_lt_u32_e64 s4, 9, v0
	s_clause 0x3
	buffer_load_dword v1, v4, s[0:3], 0 offen
	buffer_load_dword v2, v4, s[0:3], 0 offen offset:4
	buffer_load_dword v3, v4, s[0:3], 0 offen offset:8
	;; [unrolled: 1-line block ×3, first 2 shown]
	s_waitcnt vmcnt(0)
	ds_write_b128 v120, v[1:4]
	s_waitcnt lgkmcnt(0)
	s_waitcnt_vscnt null, 0x0
	s_barrier
	buffer_gl0_inv
	s_and_saveexec_b32 s8, s4
	s_cbranch_execz .LBB120_379
; %bb.372:
	ds_read_b128 v[1:4], v120
	s_andn2_b32 vcc_lo, exec_lo, s64
	s_cbranch_vccnz .LBB120_374
; %bb.373:
	s_clause 0x3
	buffer_load_dword v121, v119, s[0:3], 0 offen offset:8
	buffer_load_dword v122, v119, s[0:3], 0 offen offset:12
	buffer_load_dword v123, v119, s[0:3], 0 offen
	buffer_load_dword v124, v119, s[0:3], 0 offen offset:4
	s_waitcnt vmcnt(2) lgkmcnt(0)
	v_mul_f64 v[126:127], v[3:4], v[121:122]
	v_mul_f64 v[121:122], v[1:2], v[121:122]
	s_waitcnt vmcnt(0)
	v_fma_f64 v[1:2], v[1:2], v[123:124], -v[126:127]
	v_fma_f64 v[3:4], v[3:4], v[123:124], v[121:122]
.LBB120_374:
	s_and_saveexec_b32 s65, s5
	s_cbranch_execz .LBB120_378
; %bb.375:
	v_add_nc_u32_e32 v121, -10, v0
	s_movk_i32 s66, 0x430
	s_mov_b32 s5, 0
	s_mov_b32 s67, s54
	.p2align	6
.LBB120_376:                            ; =>This Inner Loop Header: Depth=1
	v_mov_b32_e32 v124, s67
	v_add_nc_u32_e32 v121, -1, v121
	s_add_i32 s67, s67, 16
	s_clause 0x3
	buffer_load_dword v122, v124, s[0:3], 0 offen offset:8
	buffer_load_dword v123, v124, s[0:3], 0 offen offset:12
	buffer_load_dword v130, v124, s[0:3], 0 offen
	buffer_load_dword v131, v124, s[0:3], 0 offen offset:4
	v_mov_b32_e32 v124, s66
	v_cmp_eq_u32_e32 vcc_lo, 0, v121
	s_add_i32 s66, s66, 16
	ds_read_b128 v[126:129], v124
	s_or_b32 s5, vcc_lo, s5
	s_waitcnt vmcnt(2) lgkmcnt(0)
	v_mul_f64 v[132:133], v[128:129], v[122:123]
	v_mul_f64 v[122:123], v[126:127], v[122:123]
	s_waitcnt vmcnt(0)
	v_fma_f64 v[126:127], v[126:127], v[130:131], -v[132:133]
	v_fma_f64 v[122:123], v[128:129], v[130:131], v[122:123]
	v_add_f64 v[1:2], v[1:2], v[126:127]
	v_add_f64 v[3:4], v[3:4], v[122:123]
	s_andn2_b32 exec_lo, exec_lo, s5
	s_cbranch_execnz .LBB120_376
; %bb.377:
	s_or_b32 exec_lo, exec_lo, s5
.LBB120_378:
	s_or_b32 exec_lo, exec_lo, s65
	v_mov_b32_e32 v121, 0
	ds_read_b128 v[121:124], v121 offset:144
	s_waitcnt lgkmcnt(0)
	v_mul_f64 v[126:127], v[3:4], v[123:124]
	v_mul_f64 v[123:124], v[1:2], v[123:124]
	v_fma_f64 v[1:2], v[1:2], v[121:122], -v[126:127]
	v_fma_f64 v[3:4], v[3:4], v[121:122], v[123:124]
	buffer_store_dword v2, off, s[0:3], 0 offset:148
	buffer_store_dword v1, off, s[0:3], 0 offset:144
	;; [unrolled: 1-line block ×4, first 2 shown]
.LBB120_379:
	s_or_b32 exec_lo, exec_lo, s8
	v_mov_b32_e32 v4, s56
	v_cmp_lt_u32_e64 s5, 8, v0
	s_clause 0x3
	buffer_load_dword v1, v4, s[0:3], 0 offen
	buffer_load_dword v2, v4, s[0:3], 0 offen offset:4
	buffer_load_dword v3, v4, s[0:3], 0 offen offset:8
	buffer_load_dword v4, v4, s[0:3], 0 offen offset:12
	s_waitcnt vmcnt(0)
	ds_write_b128 v120, v[1:4]
	s_waitcnt lgkmcnt(0)
	s_waitcnt_vscnt null, 0x0
	s_barrier
	buffer_gl0_inv
	s_and_saveexec_b32 s8, s5
	s_cbranch_execz .LBB120_387
; %bb.380:
	ds_read_b128 v[1:4], v120
	s_andn2_b32 vcc_lo, exec_lo, s64
	s_cbranch_vccnz .LBB120_382
; %bb.381:
	s_clause 0x3
	buffer_load_dword v121, v119, s[0:3], 0 offen offset:8
	buffer_load_dword v122, v119, s[0:3], 0 offen offset:12
	buffer_load_dword v123, v119, s[0:3], 0 offen
	buffer_load_dword v124, v119, s[0:3], 0 offen offset:4
	s_waitcnt vmcnt(2) lgkmcnt(0)
	v_mul_f64 v[126:127], v[3:4], v[121:122]
	v_mul_f64 v[121:122], v[1:2], v[121:122]
	s_waitcnt vmcnt(0)
	v_fma_f64 v[1:2], v[1:2], v[123:124], -v[126:127]
	v_fma_f64 v[3:4], v[3:4], v[123:124], v[121:122]
.LBB120_382:
	s_and_saveexec_b32 s65, s4
	s_cbranch_execz .LBB120_386
; %bb.383:
	v_add_nc_u32_e32 v121, -9, v0
	s_movk_i32 s66, 0x420
	s_mov_b32 s4, 0
	s_mov_b32 s67, s55
	.p2align	6
.LBB120_384:                            ; =>This Inner Loop Header: Depth=1
	v_mov_b32_e32 v124, s67
	v_add_nc_u32_e32 v121, -1, v121
	s_add_i32 s67, s67, 16
	s_clause 0x3
	buffer_load_dword v122, v124, s[0:3], 0 offen offset:8
	buffer_load_dword v123, v124, s[0:3], 0 offen offset:12
	buffer_load_dword v130, v124, s[0:3], 0 offen
	buffer_load_dword v131, v124, s[0:3], 0 offen offset:4
	v_mov_b32_e32 v124, s66
	v_cmp_eq_u32_e32 vcc_lo, 0, v121
	s_add_i32 s66, s66, 16
	ds_read_b128 v[126:129], v124
	s_or_b32 s4, vcc_lo, s4
	s_waitcnt vmcnt(2) lgkmcnt(0)
	v_mul_f64 v[132:133], v[128:129], v[122:123]
	v_mul_f64 v[122:123], v[126:127], v[122:123]
	s_waitcnt vmcnt(0)
	v_fma_f64 v[126:127], v[126:127], v[130:131], -v[132:133]
	v_fma_f64 v[122:123], v[128:129], v[130:131], v[122:123]
	v_add_f64 v[1:2], v[1:2], v[126:127]
	v_add_f64 v[3:4], v[3:4], v[122:123]
	s_andn2_b32 exec_lo, exec_lo, s4
	s_cbranch_execnz .LBB120_384
; %bb.385:
	s_or_b32 exec_lo, exec_lo, s4
.LBB120_386:
	s_or_b32 exec_lo, exec_lo, s65
	v_mov_b32_e32 v121, 0
	ds_read_b128 v[121:124], v121 offset:128
	s_waitcnt lgkmcnt(0)
	v_mul_f64 v[126:127], v[3:4], v[123:124]
	v_mul_f64 v[123:124], v[1:2], v[123:124]
	v_fma_f64 v[1:2], v[1:2], v[121:122], -v[126:127]
	v_fma_f64 v[3:4], v[3:4], v[121:122], v[123:124]
	buffer_store_dword v2, off, s[0:3], 0 offset:132
	buffer_store_dword v1, off, s[0:3], 0 offset:128
	;; [unrolled: 1-line block ×4, first 2 shown]
.LBB120_387:
	s_or_b32 exec_lo, exec_lo, s8
	v_mov_b32_e32 v4, s57
	v_cmp_lt_u32_e64 s4, 7, v0
	s_clause 0x3
	buffer_load_dword v1, v4, s[0:3], 0 offen
	buffer_load_dword v2, v4, s[0:3], 0 offen offset:4
	buffer_load_dword v3, v4, s[0:3], 0 offen offset:8
	;; [unrolled: 1-line block ×3, first 2 shown]
	s_waitcnt vmcnt(0)
	ds_write_b128 v120, v[1:4]
	s_waitcnt lgkmcnt(0)
	s_waitcnt_vscnt null, 0x0
	s_barrier
	buffer_gl0_inv
	s_and_saveexec_b32 s8, s4
	s_cbranch_execz .LBB120_395
; %bb.388:
	ds_read_b128 v[1:4], v120
	s_andn2_b32 vcc_lo, exec_lo, s64
	s_cbranch_vccnz .LBB120_390
; %bb.389:
	s_clause 0x3
	buffer_load_dword v121, v119, s[0:3], 0 offen offset:8
	buffer_load_dword v122, v119, s[0:3], 0 offen offset:12
	buffer_load_dword v123, v119, s[0:3], 0 offen
	buffer_load_dword v124, v119, s[0:3], 0 offen offset:4
	s_waitcnt vmcnt(2) lgkmcnt(0)
	v_mul_f64 v[126:127], v[3:4], v[121:122]
	v_mul_f64 v[121:122], v[1:2], v[121:122]
	s_waitcnt vmcnt(0)
	v_fma_f64 v[1:2], v[1:2], v[123:124], -v[126:127]
	v_fma_f64 v[3:4], v[3:4], v[123:124], v[121:122]
.LBB120_390:
	s_and_saveexec_b32 s65, s5
	s_cbranch_execz .LBB120_394
; %bb.391:
	v_add_nc_u32_e32 v121, -8, v0
	s_movk_i32 s66, 0x410
	s_mov_b32 s5, 0
	s_mov_b32 s67, s56
	.p2align	6
.LBB120_392:                            ; =>This Inner Loop Header: Depth=1
	v_mov_b32_e32 v124, s67
	v_add_nc_u32_e32 v121, -1, v121
	s_add_i32 s67, s67, 16
	s_clause 0x3
	buffer_load_dword v122, v124, s[0:3], 0 offen offset:8
	buffer_load_dword v123, v124, s[0:3], 0 offen offset:12
	buffer_load_dword v130, v124, s[0:3], 0 offen
	buffer_load_dword v131, v124, s[0:3], 0 offen offset:4
	v_mov_b32_e32 v124, s66
	v_cmp_eq_u32_e32 vcc_lo, 0, v121
	s_add_i32 s66, s66, 16
	ds_read_b128 v[126:129], v124
	s_or_b32 s5, vcc_lo, s5
	s_waitcnt vmcnt(2) lgkmcnt(0)
	v_mul_f64 v[132:133], v[128:129], v[122:123]
	v_mul_f64 v[122:123], v[126:127], v[122:123]
	s_waitcnt vmcnt(0)
	v_fma_f64 v[126:127], v[126:127], v[130:131], -v[132:133]
	v_fma_f64 v[122:123], v[128:129], v[130:131], v[122:123]
	v_add_f64 v[1:2], v[1:2], v[126:127]
	v_add_f64 v[3:4], v[3:4], v[122:123]
	s_andn2_b32 exec_lo, exec_lo, s5
	s_cbranch_execnz .LBB120_392
; %bb.393:
	s_or_b32 exec_lo, exec_lo, s5
.LBB120_394:
	s_or_b32 exec_lo, exec_lo, s65
	v_mov_b32_e32 v121, 0
	ds_read_b128 v[121:124], v121 offset:112
	s_waitcnt lgkmcnt(0)
	v_mul_f64 v[126:127], v[3:4], v[123:124]
	v_mul_f64 v[123:124], v[1:2], v[123:124]
	v_fma_f64 v[1:2], v[1:2], v[121:122], -v[126:127]
	v_fma_f64 v[3:4], v[3:4], v[121:122], v[123:124]
	buffer_store_dword v2, off, s[0:3], 0 offset:116
	buffer_store_dword v1, off, s[0:3], 0 offset:112
	;; [unrolled: 1-line block ×4, first 2 shown]
.LBB120_395:
	s_or_b32 exec_lo, exec_lo, s8
	v_mov_b32_e32 v4, s58
	v_cmp_lt_u32_e64 s5, 6, v0
	s_clause 0x3
	buffer_load_dword v1, v4, s[0:3], 0 offen
	buffer_load_dword v2, v4, s[0:3], 0 offen offset:4
	buffer_load_dword v3, v4, s[0:3], 0 offen offset:8
	buffer_load_dword v4, v4, s[0:3], 0 offen offset:12
	s_waitcnt vmcnt(0)
	ds_write_b128 v120, v[1:4]
	s_waitcnt lgkmcnt(0)
	s_waitcnt_vscnt null, 0x0
	s_barrier
	buffer_gl0_inv
	s_and_saveexec_b32 s8, s5
	s_cbranch_execz .LBB120_403
; %bb.396:
	ds_read_b128 v[1:4], v120
	s_andn2_b32 vcc_lo, exec_lo, s64
	s_cbranch_vccnz .LBB120_398
; %bb.397:
	s_clause 0x3
	buffer_load_dword v121, v119, s[0:3], 0 offen offset:8
	buffer_load_dword v122, v119, s[0:3], 0 offen offset:12
	buffer_load_dword v123, v119, s[0:3], 0 offen
	buffer_load_dword v124, v119, s[0:3], 0 offen offset:4
	s_waitcnt vmcnt(2) lgkmcnt(0)
	v_mul_f64 v[126:127], v[3:4], v[121:122]
	v_mul_f64 v[121:122], v[1:2], v[121:122]
	s_waitcnt vmcnt(0)
	v_fma_f64 v[1:2], v[1:2], v[123:124], -v[126:127]
	v_fma_f64 v[3:4], v[3:4], v[123:124], v[121:122]
.LBB120_398:
	s_and_saveexec_b32 s65, s4
	s_cbranch_execz .LBB120_402
; %bb.399:
	v_add_nc_u32_e32 v121, -7, v0
	s_movk_i32 s66, 0x400
	s_mov_b32 s4, 0
	s_mov_b32 s67, s57
	.p2align	6
.LBB120_400:                            ; =>This Inner Loop Header: Depth=1
	v_mov_b32_e32 v124, s67
	v_add_nc_u32_e32 v121, -1, v121
	s_add_i32 s67, s67, 16
	s_clause 0x3
	buffer_load_dword v122, v124, s[0:3], 0 offen offset:8
	buffer_load_dword v123, v124, s[0:3], 0 offen offset:12
	buffer_load_dword v130, v124, s[0:3], 0 offen
	buffer_load_dword v131, v124, s[0:3], 0 offen offset:4
	v_mov_b32_e32 v124, s66
	v_cmp_eq_u32_e32 vcc_lo, 0, v121
	s_add_i32 s66, s66, 16
	ds_read_b128 v[126:129], v124
	s_or_b32 s4, vcc_lo, s4
	s_waitcnt vmcnt(2) lgkmcnt(0)
	v_mul_f64 v[132:133], v[128:129], v[122:123]
	v_mul_f64 v[122:123], v[126:127], v[122:123]
	s_waitcnt vmcnt(0)
	v_fma_f64 v[126:127], v[126:127], v[130:131], -v[132:133]
	v_fma_f64 v[122:123], v[128:129], v[130:131], v[122:123]
	v_add_f64 v[1:2], v[1:2], v[126:127]
	v_add_f64 v[3:4], v[3:4], v[122:123]
	s_andn2_b32 exec_lo, exec_lo, s4
	s_cbranch_execnz .LBB120_400
; %bb.401:
	s_or_b32 exec_lo, exec_lo, s4
.LBB120_402:
	s_or_b32 exec_lo, exec_lo, s65
	v_mov_b32_e32 v121, 0
	ds_read_b128 v[121:124], v121 offset:96
	s_waitcnt lgkmcnt(0)
	v_mul_f64 v[126:127], v[3:4], v[123:124]
	v_mul_f64 v[123:124], v[1:2], v[123:124]
	v_fma_f64 v[1:2], v[1:2], v[121:122], -v[126:127]
	v_fma_f64 v[3:4], v[3:4], v[121:122], v[123:124]
	buffer_store_dword v2, off, s[0:3], 0 offset:100
	buffer_store_dword v1, off, s[0:3], 0 offset:96
	;; [unrolled: 1-line block ×4, first 2 shown]
.LBB120_403:
	s_or_b32 exec_lo, exec_lo, s8
	v_mov_b32_e32 v4, s59
	v_cmp_lt_u32_e64 s4, 5, v0
	s_clause 0x3
	buffer_load_dword v1, v4, s[0:3], 0 offen
	buffer_load_dword v2, v4, s[0:3], 0 offen offset:4
	buffer_load_dword v3, v4, s[0:3], 0 offen offset:8
	;; [unrolled: 1-line block ×3, first 2 shown]
	s_waitcnt vmcnt(0)
	ds_write_b128 v120, v[1:4]
	s_waitcnt lgkmcnt(0)
	s_waitcnt_vscnt null, 0x0
	s_barrier
	buffer_gl0_inv
	s_and_saveexec_b32 s8, s4
	s_cbranch_execz .LBB120_411
; %bb.404:
	ds_read_b128 v[1:4], v120
	s_andn2_b32 vcc_lo, exec_lo, s64
	s_cbranch_vccnz .LBB120_406
; %bb.405:
	s_clause 0x3
	buffer_load_dword v121, v119, s[0:3], 0 offen offset:8
	buffer_load_dword v122, v119, s[0:3], 0 offen offset:12
	buffer_load_dword v123, v119, s[0:3], 0 offen
	buffer_load_dword v124, v119, s[0:3], 0 offen offset:4
	s_waitcnt vmcnt(2) lgkmcnt(0)
	v_mul_f64 v[126:127], v[3:4], v[121:122]
	v_mul_f64 v[121:122], v[1:2], v[121:122]
	s_waitcnt vmcnt(0)
	v_fma_f64 v[1:2], v[1:2], v[123:124], -v[126:127]
	v_fma_f64 v[3:4], v[3:4], v[123:124], v[121:122]
.LBB120_406:
	s_and_saveexec_b32 s65, s5
	s_cbranch_execz .LBB120_410
; %bb.407:
	v_add_nc_u32_e32 v121, -6, v0
	s_movk_i32 s66, 0x3f0
	s_mov_b32 s5, 0
	s_mov_b32 s67, s58
	.p2align	6
.LBB120_408:                            ; =>This Inner Loop Header: Depth=1
	v_mov_b32_e32 v124, s67
	v_add_nc_u32_e32 v121, -1, v121
	s_add_i32 s67, s67, 16
	s_clause 0x3
	buffer_load_dword v122, v124, s[0:3], 0 offen offset:8
	buffer_load_dword v123, v124, s[0:3], 0 offen offset:12
	buffer_load_dword v130, v124, s[0:3], 0 offen
	buffer_load_dword v131, v124, s[0:3], 0 offen offset:4
	v_mov_b32_e32 v124, s66
	v_cmp_eq_u32_e32 vcc_lo, 0, v121
	s_add_i32 s66, s66, 16
	ds_read_b128 v[126:129], v124
	s_or_b32 s5, vcc_lo, s5
	s_waitcnt vmcnt(2) lgkmcnt(0)
	v_mul_f64 v[132:133], v[128:129], v[122:123]
	v_mul_f64 v[122:123], v[126:127], v[122:123]
	s_waitcnt vmcnt(0)
	v_fma_f64 v[126:127], v[126:127], v[130:131], -v[132:133]
	v_fma_f64 v[122:123], v[128:129], v[130:131], v[122:123]
	v_add_f64 v[1:2], v[1:2], v[126:127]
	v_add_f64 v[3:4], v[3:4], v[122:123]
	s_andn2_b32 exec_lo, exec_lo, s5
	s_cbranch_execnz .LBB120_408
; %bb.409:
	s_or_b32 exec_lo, exec_lo, s5
.LBB120_410:
	s_or_b32 exec_lo, exec_lo, s65
	v_mov_b32_e32 v121, 0
	ds_read_b128 v[121:124], v121 offset:80
	s_waitcnt lgkmcnt(0)
	v_mul_f64 v[126:127], v[3:4], v[123:124]
	v_mul_f64 v[123:124], v[1:2], v[123:124]
	v_fma_f64 v[1:2], v[1:2], v[121:122], -v[126:127]
	v_fma_f64 v[3:4], v[3:4], v[121:122], v[123:124]
	buffer_store_dword v2, off, s[0:3], 0 offset:84
	buffer_store_dword v1, off, s[0:3], 0 offset:80
	;; [unrolled: 1-line block ×4, first 2 shown]
.LBB120_411:
	s_or_b32 exec_lo, exec_lo, s8
	v_mov_b32_e32 v4, s60
	v_cmp_lt_u32_e64 s5, 4, v0
	s_clause 0x3
	buffer_load_dword v1, v4, s[0:3], 0 offen
	buffer_load_dword v2, v4, s[0:3], 0 offen offset:4
	buffer_load_dword v3, v4, s[0:3], 0 offen offset:8
	;; [unrolled: 1-line block ×3, first 2 shown]
	s_waitcnt vmcnt(0)
	ds_write_b128 v120, v[1:4]
	s_waitcnt lgkmcnt(0)
	s_waitcnt_vscnt null, 0x0
	s_barrier
	buffer_gl0_inv
	s_and_saveexec_b32 s8, s5
	s_cbranch_execz .LBB120_419
; %bb.412:
	ds_read_b128 v[1:4], v120
	s_andn2_b32 vcc_lo, exec_lo, s64
	s_cbranch_vccnz .LBB120_414
; %bb.413:
	s_clause 0x3
	buffer_load_dword v121, v119, s[0:3], 0 offen offset:8
	buffer_load_dword v122, v119, s[0:3], 0 offen offset:12
	buffer_load_dword v123, v119, s[0:3], 0 offen
	buffer_load_dword v124, v119, s[0:3], 0 offen offset:4
	s_waitcnt vmcnt(2) lgkmcnt(0)
	v_mul_f64 v[126:127], v[3:4], v[121:122]
	v_mul_f64 v[121:122], v[1:2], v[121:122]
	s_waitcnt vmcnt(0)
	v_fma_f64 v[1:2], v[1:2], v[123:124], -v[126:127]
	v_fma_f64 v[3:4], v[3:4], v[123:124], v[121:122]
.LBB120_414:
	s_and_saveexec_b32 s65, s4
	s_cbranch_execz .LBB120_418
; %bb.415:
	v_add_nc_u32_e32 v121, -5, v0
	s_movk_i32 s66, 0x3e0
	s_mov_b32 s4, 0
	s_mov_b32 s67, s59
	.p2align	6
.LBB120_416:                            ; =>This Inner Loop Header: Depth=1
	v_mov_b32_e32 v124, s67
	v_add_nc_u32_e32 v121, -1, v121
	s_add_i32 s67, s67, 16
	s_clause 0x3
	buffer_load_dword v122, v124, s[0:3], 0 offen offset:8
	buffer_load_dword v123, v124, s[0:3], 0 offen offset:12
	buffer_load_dword v130, v124, s[0:3], 0 offen
	buffer_load_dword v131, v124, s[0:3], 0 offen offset:4
	v_mov_b32_e32 v124, s66
	v_cmp_eq_u32_e32 vcc_lo, 0, v121
	s_add_i32 s66, s66, 16
	ds_read_b128 v[126:129], v124
	s_or_b32 s4, vcc_lo, s4
	s_waitcnt vmcnt(2) lgkmcnt(0)
	v_mul_f64 v[132:133], v[128:129], v[122:123]
	v_mul_f64 v[122:123], v[126:127], v[122:123]
	s_waitcnt vmcnt(0)
	v_fma_f64 v[126:127], v[126:127], v[130:131], -v[132:133]
	v_fma_f64 v[122:123], v[128:129], v[130:131], v[122:123]
	v_add_f64 v[1:2], v[1:2], v[126:127]
	v_add_f64 v[3:4], v[3:4], v[122:123]
	s_andn2_b32 exec_lo, exec_lo, s4
	s_cbranch_execnz .LBB120_416
; %bb.417:
	s_or_b32 exec_lo, exec_lo, s4
.LBB120_418:
	s_or_b32 exec_lo, exec_lo, s65
	v_mov_b32_e32 v121, 0
	ds_read_b128 v[121:124], v121 offset:64
	s_waitcnt lgkmcnt(0)
	v_mul_f64 v[126:127], v[3:4], v[123:124]
	v_mul_f64 v[123:124], v[1:2], v[123:124]
	v_fma_f64 v[1:2], v[1:2], v[121:122], -v[126:127]
	v_fma_f64 v[3:4], v[3:4], v[121:122], v[123:124]
	buffer_store_dword v2, off, s[0:3], 0 offset:68
	buffer_store_dword v1, off, s[0:3], 0 offset:64
	;; [unrolled: 1-line block ×4, first 2 shown]
.LBB120_419:
	s_or_b32 exec_lo, exec_lo, s8
	v_mov_b32_e32 v4, s61
	v_cmp_lt_u32_e64 s4, 3, v0
	s_clause 0x3
	buffer_load_dword v1, v4, s[0:3], 0 offen
	buffer_load_dword v2, v4, s[0:3], 0 offen offset:4
	buffer_load_dword v3, v4, s[0:3], 0 offen offset:8
	;; [unrolled: 1-line block ×3, first 2 shown]
	s_waitcnt vmcnt(0)
	ds_write_b128 v120, v[1:4]
	s_waitcnt lgkmcnt(0)
	s_waitcnt_vscnt null, 0x0
	s_barrier
	buffer_gl0_inv
	s_and_saveexec_b32 s8, s4
	s_cbranch_execz .LBB120_427
; %bb.420:
	ds_read_b128 v[1:4], v120
	s_andn2_b32 vcc_lo, exec_lo, s64
	s_cbranch_vccnz .LBB120_422
; %bb.421:
	s_clause 0x3
	buffer_load_dword v121, v119, s[0:3], 0 offen offset:8
	buffer_load_dword v122, v119, s[0:3], 0 offen offset:12
	buffer_load_dword v123, v119, s[0:3], 0 offen
	buffer_load_dword v124, v119, s[0:3], 0 offen offset:4
	s_waitcnt vmcnt(2) lgkmcnt(0)
	v_mul_f64 v[126:127], v[3:4], v[121:122]
	v_mul_f64 v[121:122], v[1:2], v[121:122]
	s_waitcnt vmcnt(0)
	v_fma_f64 v[1:2], v[1:2], v[123:124], -v[126:127]
	v_fma_f64 v[3:4], v[3:4], v[123:124], v[121:122]
.LBB120_422:
	s_and_saveexec_b32 s65, s5
	s_cbranch_execz .LBB120_426
; %bb.423:
	v_add_nc_u32_e32 v121, -4, v0
	s_movk_i32 s66, 0x3d0
	s_mov_b32 s5, 0
	s_mov_b32 s67, s60
	.p2align	6
.LBB120_424:                            ; =>This Inner Loop Header: Depth=1
	v_mov_b32_e32 v124, s67
	v_add_nc_u32_e32 v121, -1, v121
	s_add_i32 s67, s67, 16
	s_clause 0x3
	buffer_load_dword v122, v124, s[0:3], 0 offen offset:8
	buffer_load_dword v123, v124, s[0:3], 0 offen offset:12
	buffer_load_dword v130, v124, s[0:3], 0 offen
	buffer_load_dword v131, v124, s[0:3], 0 offen offset:4
	v_mov_b32_e32 v124, s66
	v_cmp_eq_u32_e32 vcc_lo, 0, v121
	s_add_i32 s66, s66, 16
	ds_read_b128 v[126:129], v124
	s_or_b32 s5, vcc_lo, s5
	s_waitcnt vmcnt(2) lgkmcnt(0)
	v_mul_f64 v[132:133], v[128:129], v[122:123]
	v_mul_f64 v[122:123], v[126:127], v[122:123]
	s_waitcnt vmcnt(0)
	v_fma_f64 v[126:127], v[126:127], v[130:131], -v[132:133]
	v_fma_f64 v[122:123], v[128:129], v[130:131], v[122:123]
	v_add_f64 v[1:2], v[1:2], v[126:127]
	v_add_f64 v[3:4], v[3:4], v[122:123]
	s_andn2_b32 exec_lo, exec_lo, s5
	s_cbranch_execnz .LBB120_424
; %bb.425:
	s_or_b32 exec_lo, exec_lo, s5
.LBB120_426:
	s_or_b32 exec_lo, exec_lo, s65
	v_mov_b32_e32 v121, 0
	ds_read_b128 v[121:124], v121 offset:48
	s_waitcnt lgkmcnt(0)
	v_mul_f64 v[126:127], v[3:4], v[123:124]
	v_mul_f64 v[123:124], v[1:2], v[123:124]
	v_fma_f64 v[1:2], v[1:2], v[121:122], -v[126:127]
	v_fma_f64 v[3:4], v[3:4], v[121:122], v[123:124]
	buffer_store_dword v2, off, s[0:3], 0 offset:52
	buffer_store_dword v1, off, s[0:3], 0 offset:48
	buffer_store_dword v4, off, s[0:3], 0 offset:60
	buffer_store_dword v3, off, s[0:3], 0 offset:56
.LBB120_427:
	s_or_b32 exec_lo, exec_lo, s8
	v_mov_b32_e32 v4, s62
	v_cmp_lt_u32_e64 s5, 2, v0
	s_clause 0x3
	buffer_load_dword v1, v4, s[0:3], 0 offen
	buffer_load_dword v2, v4, s[0:3], 0 offen offset:4
	buffer_load_dword v3, v4, s[0:3], 0 offen offset:8
	;; [unrolled: 1-line block ×3, first 2 shown]
	s_waitcnt vmcnt(0)
	ds_write_b128 v120, v[1:4]
	s_waitcnt lgkmcnt(0)
	s_waitcnt_vscnt null, 0x0
	s_barrier
	buffer_gl0_inv
	s_and_saveexec_b32 s8, s5
	s_cbranch_execz .LBB120_435
; %bb.428:
	ds_read_b128 v[1:4], v120
	s_andn2_b32 vcc_lo, exec_lo, s64
	s_cbranch_vccnz .LBB120_430
; %bb.429:
	s_clause 0x3
	buffer_load_dword v121, v119, s[0:3], 0 offen offset:8
	buffer_load_dword v122, v119, s[0:3], 0 offen offset:12
	buffer_load_dword v123, v119, s[0:3], 0 offen
	buffer_load_dword v124, v119, s[0:3], 0 offen offset:4
	s_waitcnt vmcnt(2) lgkmcnt(0)
	v_mul_f64 v[126:127], v[3:4], v[121:122]
	v_mul_f64 v[121:122], v[1:2], v[121:122]
	s_waitcnt vmcnt(0)
	v_fma_f64 v[1:2], v[1:2], v[123:124], -v[126:127]
	v_fma_f64 v[3:4], v[3:4], v[123:124], v[121:122]
.LBB120_430:
	s_and_saveexec_b32 s65, s4
	s_cbranch_execz .LBB120_434
; %bb.431:
	v_add_nc_u32_e32 v121, -3, v0
	s_movk_i32 s66, 0x3c0
	s_mov_b32 s4, 0
	s_mov_b32 s67, s61
	.p2align	6
.LBB120_432:                            ; =>This Inner Loop Header: Depth=1
	v_mov_b32_e32 v124, s67
	v_add_nc_u32_e32 v121, -1, v121
	s_add_i32 s67, s67, 16
	s_clause 0x3
	buffer_load_dword v122, v124, s[0:3], 0 offen offset:8
	buffer_load_dword v123, v124, s[0:3], 0 offen offset:12
	buffer_load_dword v130, v124, s[0:3], 0 offen
	buffer_load_dword v131, v124, s[0:3], 0 offen offset:4
	v_mov_b32_e32 v124, s66
	v_cmp_eq_u32_e32 vcc_lo, 0, v121
	s_add_i32 s66, s66, 16
	ds_read_b128 v[126:129], v124
	s_or_b32 s4, vcc_lo, s4
	s_waitcnt vmcnt(2) lgkmcnt(0)
	v_mul_f64 v[132:133], v[128:129], v[122:123]
	v_mul_f64 v[122:123], v[126:127], v[122:123]
	s_waitcnt vmcnt(0)
	v_fma_f64 v[126:127], v[126:127], v[130:131], -v[132:133]
	v_fma_f64 v[122:123], v[128:129], v[130:131], v[122:123]
	v_add_f64 v[1:2], v[1:2], v[126:127]
	v_add_f64 v[3:4], v[3:4], v[122:123]
	s_andn2_b32 exec_lo, exec_lo, s4
	s_cbranch_execnz .LBB120_432
; %bb.433:
	s_or_b32 exec_lo, exec_lo, s4
.LBB120_434:
	s_or_b32 exec_lo, exec_lo, s65
	v_mov_b32_e32 v121, 0
	ds_read_b128 v[121:124], v121 offset:32
	s_waitcnt lgkmcnt(0)
	v_mul_f64 v[126:127], v[3:4], v[123:124]
	v_mul_f64 v[123:124], v[1:2], v[123:124]
	v_fma_f64 v[1:2], v[1:2], v[121:122], -v[126:127]
	v_fma_f64 v[3:4], v[3:4], v[121:122], v[123:124]
	buffer_store_dword v2, off, s[0:3], 0 offset:36
	buffer_store_dword v1, off, s[0:3], 0 offset:32
	;; [unrolled: 1-line block ×4, first 2 shown]
.LBB120_435:
	s_or_b32 exec_lo, exec_lo, s8
	v_mov_b32_e32 v4, s63
	v_cmp_lt_u32_e64 s4, 1, v0
	s_clause 0x3
	buffer_load_dword v1, v4, s[0:3], 0 offen
	buffer_load_dword v2, v4, s[0:3], 0 offen offset:4
	buffer_load_dword v3, v4, s[0:3], 0 offen offset:8
	;; [unrolled: 1-line block ×3, first 2 shown]
	s_waitcnt vmcnt(0)
	ds_write_b128 v120, v[1:4]
	s_waitcnt lgkmcnt(0)
	s_waitcnt_vscnt null, 0x0
	s_barrier
	buffer_gl0_inv
	s_and_saveexec_b32 s8, s4
	s_cbranch_execz .LBB120_443
; %bb.436:
	ds_read_b128 v[1:4], v120
	s_andn2_b32 vcc_lo, exec_lo, s64
	s_cbranch_vccnz .LBB120_438
; %bb.437:
	s_clause 0x3
	buffer_load_dword v121, v119, s[0:3], 0 offen offset:8
	buffer_load_dword v122, v119, s[0:3], 0 offen offset:12
	buffer_load_dword v123, v119, s[0:3], 0 offen
	buffer_load_dword v124, v119, s[0:3], 0 offen offset:4
	s_waitcnt vmcnt(2) lgkmcnt(0)
	v_mul_f64 v[126:127], v[3:4], v[121:122]
	v_mul_f64 v[121:122], v[1:2], v[121:122]
	s_waitcnt vmcnt(0)
	v_fma_f64 v[1:2], v[1:2], v[123:124], -v[126:127]
	v_fma_f64 v[3:4], v[3:4], v[123:124], v[121:122]
.LBB120_438:
	s_and_saveexec_b32 s65, s5
	s_cbranch_execz .LBB120_442
; %bb.439:
	v_add_nc_u32_e32 v121, -2, v0
	s_movk_i32 s66, 0x3b0
	s_mov_b32 s5, 0
	s_mov_b32 s67, s62
	.p2align	6
.LBB120_440:                            ; =>This Inner Loop Header: Depth=1
	v_mov_b32_e32 v124, s67
	v_add_nc_u32_e32 v121, -1, v121
	s_add_i32 s67, s67, 16
	s_clause 0x3
	buffer_load_dword v122, v124, s[0:3], 0 offen offset:8
	buffer_load_dword v123, v124, s[0:3], 0 offen offset:12
	buffer_load_dword v130, v124, s[0:3], 0 offen
	buffer_load_dword v131, v124, s[0:3], 0 offen offset:4
	v_mov_b32_e32 v124, s66
	v_cmp_eq_u32_e32 vcc_lo, 0, v121
	s_add_i32 s66, s66, 16
	ds_read_b128 v[126:129], v124
	s_or_b32 s5, vcc_lo, s5
	s_waitcnt vmcnt(2) lgkmcnt(0)
	v_mul_f64 v[132:133], v[128:129], v[122:123]
	v_mul_f64 v[122:123], v[126:127], v[122:123]
	s_waitcnt vmcnt(0)
	v_fma_f64 v[126:127], v[126:127], v[130:131], -v[132:133]
	v_fma_f64 v[122:123], v[128:129], v[130:131], v[122:123]
	v_add_f64 v[1:2], v[1:2], v[126:127]
	v_add_f64 v[3:4], v[3:4], v[122:123]
	s_andn2_b32 exec_lo, exec_lo, s5
	s_cbranch_execnz .LBB120_440
; %bb.441:
	s_or_b32 exec_lo, exec_lo, s5
.LBB120_442:
	s_or_b32 exec_lo, exec_lo, s65
	v_mov_b32_e32 v121, 0
	ds_read_b128 v[121:124], v121 offset:16
	s_waitcnt lgkmcnt(0)
	v_mul_f64 v[126:127], v[3:4], v[123:124]
	v_mul_f64 v[123:124], v[1:2], v[123:124]
	v_fma_f64 v[1:2], v[1:2], v[121:122], -v[126:127]
	v_fma_f64 v[3:4], v[3:4], v[121:122], v[123:124]
	buffer_store_dword v2, off, s[0:3], 0 offset:20
	buffer_store_dword v1, off, s[0:3], 0 offset:16
	;; [unrolled: 1-line block ×4, first 2 shown]
.LBB120_443:
	s_or_b32 exec_lo, exec_lo, s8
	s_clause 0x3
	buffer_load_dword v1, off, s[0:3], 0
	buffer_load_dword v2, off, s[0:3], 0 offset:4
	buffer_load_dword v3, off, s[0:3], 0 offset:8
	;; [unrolled: 1-line block ×3, first 2 shown]
	s_mov_b32 s8, 0
	s_mov_b32 s5, 0
	s_mov_b32 s65, exec_lo
                                        ; implicit-def: $sgpr66
	s_waitcnt vmcnt(0)
	ds_write_b128 v120, v[1:4]
	s_waitcnt lgkmcnt(0)
	s_waitcnt_vscnt null, 0x0
	s_barrier
	buffer_gl0_inv
                                        ; implicit-def: $vgpr1_vgpr2
	v_cmpx_ne_u32_e32 0, v0
	s_cbranch_execz .LBB120_451
; %bb.444:
	ds_read_b128 v[1:4], v120
	s_andn2_b32 vcc_lo, exec_lo, s64
	s_cbranch_vccnz .LBB120_446
; %bb.445:
	s_clause 0x3
	buffer_load_dword v121, v119, s[0:3], 0 offen offset:8
	buffer_load_dword v122, v119, s[0:3], 0 offen offset:12
	buffer_load_dword v123, v119, s[0:3], 0 offen
	buffer_load_dword v124, v119, s[0:3], 0 offen offset:4
	s_waitcnt vmcnt(2) lgkmcnt(0)
	v_mul_f64 v[126:127], v[3:4], v[121:122]
	v_mul_f64 v[121:122], v[1:2], v[121:122]
	s_waitcnt vmcnt(0)
	v_fma_f64 v[1:2], v[1:2], v[123:124], -v[126:127]
	v_fma_f64 v[3:4], v[3:4], v[123:124], v[121:122]
.LBB120_446:
	s_and_saveexec_b32 s5, s4
	s_cbranch_execz .LBB120_450
; %bb.447:
	v_add_nc_u32_e32 v121, -1, v0
	s_movk_i32 s66, 0x3a0
	s_mov_b32 s4, 0
	s_mov_b32 s67, s63
	.p2align	6
.LBB120_448:                            ; =>This Inner Loop Header: Depth=1
	v_mov_b32_e32 v124, s67
	v_add_nc_u32_e32 v121, -1, v121
	s_add_i32 s67, s67, 16
	s_clause 0x3
	buffer_load_dword v122, v124, s[0:3], 0 offen offset:8
	buffer_load_dword v123, v124, s[0:3], 0 offen offset:12
	buffer_load_dword v130, v124, s[0:3], 0 offen
	buffer_load_dword v131, v124, s[0:3], 0 offen offset:4
	v_mov_b32_e32 v124, s66
	v_cmp_eq_u32_e32 vcc_lo, 0, v121
	s_add_i32 s66, s66, 16
	ds_read_b128 v[126:129], v124
	s_or_b32 s4, vcc_lo, s4
	s_waitcnt vmcnt(2) lgkmcnt(0)
	v_mul_f64 v[132:133], v[128:129], v[122:123]
	v_mul_f64 v[122:123], v[126:127], v[122:123]
	s_waitcnt vmcnt(0)
	v_fma_f64 v[126:127], v[126:127], v[130:131], -v[132:133]
	v_fma_f64 v[122:123], v[128:129], v[130:131], v[122:123]
	v_add_f64 v[1:2], v[1:2], v[126:127]
	v_add_f64 v[3:4], v[3:4], v[122:123]
	s_andn2_b32 exec_lo, exec_lo, s4
	s_cbranch_execnz .LBB120_448
; %bb.449:
	s_or_b32 exec_lo, exec_lo, s4
.LBB120_450:
	s_or_b32 exec_lo, exec_lo, s5
	v_mov_b32_e32 v121, 0
	s_mov_b32 s5, exec_lo
	s_or_b32 s66, 0, 8
	ds_read_b128 v[121:124], v121
	s_waitcnt lgkmcnt(0)
	v_mul_f64 v[126:127], v[3:4], v[123:124]
	v_mul_f64 v[123:124], v[1:2], v[123:124]
	v_fma_f64 v[126:127], v[1:2], v[121:122], -v[126:127]
	v_fma_f64 v[1:2], v[3:4], v[121:122], v[123:124]
	buffer_store_dword v127, off, s[0:3], 0 offset:4
	buffer_store_dword v126, off, s[0:3], 0
.LBB120_451:
	s_or_b32 exec_lo, exec_lo, s65
	s_and_b32 vcc_lo, exec_lo, s8
	s_cbranch_vccnz .LBB120_453
	s_branch .LBB120_896
.LBB120_452:
	s_mov_b32 s5, 0
                                        ; implicit-def: $vgpr1_vgpr2
                                        ; implicit-def: $sgpr66
	s_cbranch_execz .LBB120_896
.LBB120_453:
	v_mov_b32_e32 v4, s63
	v_cmp_eq_u32_e64 s4, 0, v0
	v_cndmask_b32_e64 v121, 0, 1, s64
	s_clause 0x3
	buffer_load_dword v1, v4, s[0:3], 0 offen
	buffer_load_dword v2, v4, s[0:3], 0 offen offset:4
	buffer_load_dword v3, v4, s[0:3], 0 offen offset:8
	;; [unrolled: 1-line block ×3, first 2 shown]
	s_waitcnt vmcnt(0)
	ds_write_b128 v120, v[1:4]
	s_waitcnt lgkmcnt(0)
	s_waitcnt_vscnt null, 0x0
	s_barrier
	buffer_gl0_inv
	s_and_saveexec_b32 s8, s4
	s_cbranch_execz .LBB120_457
; %bb.454:
	ds_read_b128 v[1:4], v120
	s_andn2_b32 vcc_lo, exec_lo, s64
	s_cbranch_vccnz .LBB120_456
; %bb.455:
	s_clause 0x3
	buffer_load_dword v122, v119, s[0:3], 0 offen offset:8
	buffer_load_dword v123, v119, s[0:3], 0 offen offset:12
	buffer_load_dword v126, v119, s[0:3], 0 offen
	buffer_load_dword v127, v119, s[0:3], 0 offen offset:4
	s_waitcnt vmcnt(2) lgkmcnt(0)
	v_mul_f64 v[128:129], v[3:4], v[122:123]
	v_mul_f64 v[122:123], v[1:2], v[122:123]
	s_waitcnt vmcnt(0)
	v_fma_f64 v[1:2], v[1:2], v[126:127], -v[128:129]
	v_fma_f64 v[3:4], v[3:4], v[126:127], v[122:123]
.LBB120_456:
	v_mov_b32_e32 v122, 0
	ds_read_b128 v[126:129], v122 offset:16
	s_waitcnt lgkmcnt(0)
	v_mul_f64 v[122:123], v[3:4], v[128:129]
	v_mul_f64 v[128:129], v[1:2], v[128:129]
	v_fma_f64 v[1:2], v[1:2], v[126:127], -v[122:123]
	v_fma_f64 v[3:4], v[3:4], v[126:127], v[128:129]
	buffer_store_dword v2, off, s[0:3], 0 offset:20
	buffer_store_dword v1, off, s[0:3], 0 offset:16
	;; [unrolled: 1-line block ×4, first 2 shown]
.LBB120_457:
	s_or_b32 exec_lo, exec_lo, s8
	v_mov_b32_e32 v4, s62
	s_mov_b32 s8, exec_lo
	s_clause 0x3
	buffer_load_dword v1, v4, s[0:3], 0 offen
	buffer_load_dword v2, v4, s[0:3], 0 offen offset:4
	buffer_load_dword v3, v4, s[0:3], 0 offen offset:8
	;; [unrolled: 1-line block ×3, first 2 shown]
	s_waitcnt vmcnt(0)
	ds_write_b128 v120, v[1:4]
	s_waitcnt lgkmcnt(0)
	s_waitcnt_vscnt null, 0x0
	s_barrier
	buffer_gl0_inv
	v_cmpx_gt_u32_e32 2, v0
	s_cbranch_execz .LBB120_463
; %bb.458:
	ds_read_b128 v[1:4], v120
	v_cmp_ne_u32_e32 vcc_lo, 1, v121
	s_cbranch_vccnz .LBB120_460
; %bb.459:
	s_clause 0x3
	buffer_load_dword v122, v119, s[0:3], 0 offen offset:8
	buffer_load_dword v123, v119, s[0:3], 0 offen offset:12
	buffer_load_dword v126, v119, s[0:3], 0 offen
	buffer_load_dword v127, v119, s[0:3], 0 offen offset:4
	s_waitcnt vmcnt(2) lgkmcnt(0)
	v_mul_f64 v[128:129], v[3:4], v[122:123]
	v_mul_f64 v[122:123], v[1:2], v[122:123]
	s_waitcnt vmcnt(0)
	v_fma_f64 v[1:2], v[1:2], v[126:127], -v[128:129]
	v_fma_f64 v[3:4], v[3:4], v[126:127], v[122:123]
.LBB120_460:
	s_and_saveexec_b32 s64, s4
	s_cbranch_execz .LBB120_462
; %bb.461:
	s_clause 0x3
	buffer_load_dword v122, off, s[0:3], 0 offset:24
	buffer_load_dword v123, off, s[0:3], 0 offset:28
	;; [unrolled: 1-line block ×4, first 2 shown]
	v_mov_b32_e32 v124, 0
	ds_read_b128 v[126:129], v124 offset:928
	s_waitcnt vmcnt(2) lgkmcnt(0)
	v_mul_f64 v[132:133], v[128:129], v[122:123]
	v_mul_f64 v[122:123], v[126:127], v[122:123]
	s_waitcnt vmcnt(0)
	v_fma_f64 v[126:127], v[126:127], v[130:131], -v[132:133]
	v_fma_f64 v[122:123], v[128:129], v[130:131], v[122:123]
	v_add_f64 v[1:2], v[1:2], v[126:127]
	v_add_f64 v[3:4], v[3:4], v[122:123]
.LBB120_462:
	s_or_b32 exec_lo, exec_lo, s64
	v_mov_b32_e32 v122, 0
	ds_read_b128 v[126:129], v122 offset:32
	s_waitcnt lgkmcnt(0)
	v_mul_f64 v[122:123], v[3:4], v[128:129]
	v_mul_f64 v[128:129], v[1:2], v[128:129]
	v_fma_f64 v[1:2], v[1:2], v[126:127], -v[122:123]
	v_fma_f64 v[3:4], v[3:4], v[126:127], v[128:129]
	buffer_store_dword v2, off, s[0:3], 0 offset:36
	buffer_store_dword v1, off, s[0:3], 0 offset:32
	;; [unrolled: 1-line block ×4, first 2 shown]
.LBB120_463:
	s_or_b32 exec_lo, exec_lo, s8
	v_mov_b32_e32 v4, s61
	s_mov_b32 s8, exec_lo
	s_clause 0x3
	buffer_load_dword v1, v4, s[0:3], 0 offen
	buffer_load_dword v2, v4, s[0:3], 0 offen offset:4
	buffer_load_dword v3, v4, s[0:3], 0 offen offset:8
	;; [unrolled: 1-line block ×3, first 2 shown]
	s_waitcnt vmcnt(0)
	ds_write_b128 v120, v[1:4]
	s_waitcnt lgkmcnt(0)
	s_waitcnt_vscnt null, 0x0
	s_barrier
	buffer_gl0_inv
	v_cmpx_gt_u32_e32 3, v0
	s_cbranch_execz .LBB120_471
; %bb.464:
	ds_read_b128 v[1:4], v120
	v_cmp_ne_u32_e32 vcc_lo, 1, v121
	s_cbranch_vccnz .LBB120_466
; %bb.465:
	s_clause 0x3
	buffer_load_dword v122, v119, s[0:3], 0 offen offset:8
	buffer_load_dword v123, v119, s[0:3], 0 offen offset:12
	buffer_load_dword v126, v119, s[0:3], 0 offen
	buffer_load_dword v127, v119, s[0:3], 0 offen offset:4
	s_waitcnt vmcnt(2) lgkmcnt(0)
	v_mul_f64 v[128:129], v[3:4], v[122:123]
	v_mul_f64 v[122:123], v[1:2], v[122:123]
	s_waitcnt vmcnt(0)
	v_fma_f64 v[1:2], v[1:2], v[126:127], -v[128:129]
	v_fma_f64 v[3:4], v[3:4], v[126:127], v[122:123]
.LBB120_466:
	s_mov_b32 s64, exec_lo
	v_cmpx_ne_u32_e32 2, v0
	s_cbranch_execz .LBB120_470
; %bb.467:
	s_clause 0x3
	buffer_load_dword v122, v119, s[0:3], 0 offen offset:24
	buffer_load_dword v123, v119, s[0:3], 0 offen offset:28
	;; [unrolled: 1-line block ×4, first 2 shown]
	ds_read_b128 v[126:129], v120 offset:16
	s_waitcnt vmcnt(2) lgkmcnt(0)
	v_mul_f64 v[132:133], v[128:129], v[122:123]
	v_mul_f64 v[122:123], v[126:127], v[122:123]
	s_waitcnt vmcnt(0)
	v_fma_f64 v[126:127], v[126:127], v[130:131], -v[132:133]
	v_fma_f64 v[122:123], v[128:129], v[130:131], v[122:123]
	v_add_f64 v[1:2], v[1:2], v[126:127]
	v_add_f64 v[3:4], v[3:4], v[122:123]
	s_and_saveexec_b32 s65, s4
	s_cbranch_execz .LBB120_469
; %bb.468:
	s_clause 0x3
	buffer_load_dword v122, off, s[0:3], 0 offset:40
	buffer_load_dword v123, off, s[0:3], 0 offset:44
	;; [unrolled: 1-line block ×4, first 2 shown]
	v_mov_b32_e32 v124, 0
	ds_read_b128 v[126:129], v124 offset:944
	s_waitcnt vmcnt(2) lgkmcnt(0)
	v_mul_f64 v[132:133], v[126:127], v[122:123]
	v_mul_f64 v[122:123], v[128:129], v[122:123]
	s_waitcnt vmcnt(0)
	v_fma_f64 v[128:129], v[128:129], v[130:131], v[132:133]
	v_fma_f64 v[122:123], v[126:127], v[130:131], -v[122:123]
	v_add_f64 v[3:4], v[3:4], v[128:129]
	v_add_f64 v[1:2], v[1:2], v[122:123]
.LBB120_469:
	s_or_b32 exec_lo, exec_lo, s65
.LBB120_470:
	s_or_b32 exec_lo, exec_lo, s64
	v_mov_b32_e32 v122, 0
	ds_read_b128 v[126:129], v122 offset:48
	s_waitcnt lgkmcnt(0)
	v_mul_f64 v[122:123], v[3:4], v[128:129]
	v_mul_f64 v[128:129], v[1:2], v[128:129]
	v_fma_f64 v[1:2], v[1:2], v[126:127], -v[122:123]
	v_fma_f64 v[3:4], v[3:4], v[126:127], v[128:129]
	buffer_store_dword v2, off, s[0:3], 0 offset:52
	buffer_store_dword v1, off, s[0:3], 0 offset:48
	;; [unrolled: 1-line block ×4, first 2 shown]
.LBB120_471:
	s_or_b32 exec_lo, exec_lo, s8
	v_mov_b32_e32 v4, s60
	s_mov_b32 s4, exec_lo
	s_clause 0x3
	buffer_load_dword v1, v4, s[0:3], 0 offen
	buffer_load_dword v2, v4, s[0:3], 0 offen offset:4
	buffer_load_dword v3, v4, s[0:3], 0 offen offset:8
	;; [unrolled: 1-line block ×3, first 2 shown]
	s_waitcnt vmcnt(0)
	ds_write_b128 v120, v[1:4]
	s_waitcnt lgkmcnt(0)
	s_waitcnt_vscnt null, 0x0
	s_barrier
	buffer_gl0_inv
	v_cmpx_gt_u32_e32 4, v0
	s_cbranch_execz .LBB120_479
; %bb.472:
	ds_read_b128 v[1:4], v120
	v_cmp_ne_u32_e32 vcc_lo, 1, v121
	s_cbranch_vccnz .LBB120_474
; %bb.473:
	s_clause 0x3
	buffer_load_dword v122, v119, s[0:3], 0 offen offset:8
	buffer_load_dword v123, v119, s[0:3], 0 offen offset:12
	buffer_load_dword v126, v119, s[0:3], 0 offen
	buffer_load_dword v127, v119, s[0:3], 0 offen offset:4
	s_waitcnt vmcnt(2) lgkmcnt(0)
	v_mul_f64 v[128:129], v[3:4], v[122:123]
	v_mul_f64 v[122:123], v[1:2], v[122:123]
	s_waitcnt vmcnt(0)
	v_fma_f64 v[1:2], v[1:2], v[126:127], -v[128:129]
	v_fma_f64 v[3:4], v[3:4], v[126:127], v[122:123]
.LBB120_474:
	s_mov_b32 s8, exec_lo
	v_cmpx_ne_u32_e32 3, v0
	s_cbranch_execz .LBB120_478
; %bb.475:
	v_add_nc_u32_e32 v122, 0x3a0, v125
	v_add3_u32 v123, 0, v125, 16
	v_mov_b32_e32 v124, v0
	s_mov_b32 s64, 0
	.p2align	6
.LBB120_476:                            ; =>This Inner Loop Header: Depth=1
	s_clause 0x3
	buffer_load_dword v130, v123, s[0:3], 0 offen offset:8
	buffer_load_dword v131, v123, s[0:3], 0 offen offset:12
	buffer_load_dword v132, v123, s[0:3], 0 offen
	buffer_load_dword v133, v123, s[0:3], 0 offen offset:4
	ds_read_b128 v[126:129], v122
	v_add_nc_u32_e32 v124, 1, v124
	v_add_nc_u32_e32 v122, 16, v122
	v_add_nc_u32_e32 v123, 16, v123
	v_cmp_lt_u32_e32 vcc_lo, 2, v124
	s_or_b32 s64, vcc_lo, s64
	s_waitcnt vmcnt(2) lgkmcnt(0)
	v_mul_f64 v[134:135], v[128:129], v[130:131]
	v_mul_f64 v[130:131], v[126:127], v[130:131]
	s_waitcnt vmcnt(0)
	v_fma_f64 v[126:127], v[126:127], v[132:133], -v[134:135]
	v_fma_f64 v[128:129], v[128:129], v[132:133], v[130:131]
	v_add_f64 v[1:2], v[1:2], v[126:127]
	v_add_f64 v[3:4], v[3:4], v[128:129]
	s_andn2_b32 exec_lo, exec_lo, s64
	s_cbranch_execnz .LBB120_476
; %bb.477:
	s_or_b32 exec_lo, exec_lo, s64
.LBB120_478:
	s_or_b32 exec_lo, exec_lo, s8
	v_mov_b32_e32 v122, 0
	ds_read_b128 v[126:129], v122 offset:64
	s_waitcnt lgkmcnt(0)
	v_mul_f64 v[122:123], v[3:4], v[128:129]
	v_mul_f64 v[128:129], v[1:2], v[128:129]
	v_fma_f64 v[1:2], v[1:2], v[126:127], -v[122:123]
	v_fma_f64 v[3:4], v[3:4], v[126:127], v[128:129]
	buffer_store_dword v2, off, s[0:3], 0 offset:68
	buffer_store_dword v1, off, s[0:3], 0 offset:64
	;; [unrolled: 1-line block ×4, first 2 shown]
.LBB120_479:
	s_or_b32 exec_lo, exec_lo, s4
	v_mov_b32_e32 v4, s59
	s_mov_b32 s4, exec_lo
	s_clause 0x3
	buffer_load_dword v1, v4, s[0:3], 0 offen
	buffer_load_dword v2, v4, s[0:3], 0 offen offset:4
	buffer_load_dword v3, v4, s[0:3], 0 offen offset:8
	;; [unrolled: 1-line block ×3, first 2 shown]
	s_waitcnt vmcnt(0)
	ds_write_b128 v120, v[1:4]
	s_waitcnt lgkmcnt(0)
	s_waitcnt_vscnt null, 0x0
	s_barrier
	buffer_gl0_inv
	v_cmpx_gt_u32_e32 5, v0
	s_cbranch_execz .LBB120_487
; %bb.480:
	ds_read_b128 v[1:4], v120
	v_cmp_ne_u32_e32 vcc_lo, 1, v121
	s_cbranch_vccnz .LBB120_482
; %bb.481:
	s_clause 0x3
	buffer_load_dword v122, v119, s[0:3], 0 offen offset:8
	buffer_load_dword v123, v119, s[0:3], 0 offen offset:12
	buffer_load_dword v126, v119, s[0:3], 0 offen
	buffer_load_dword v127, v119, s[0:3], 0 offen offset:4
	s_waitcnt vmcnt(2) lgkmcnt(0)
	v_mul_f64 v[128:129], v[3:4], v[122:123]
	v_mul_f64 v[122:123], v[1:2], v[122:123]
	s_waitcnt vmcnt(0)
	v_fma_f64 v[1:2], v[1:2], v[126:127], -v[128:129]
	v_fma_f64 v[3:4], v[3:4], v[126:127], v[122:123]
.LBB120_482:
	s_mov_b32 s8, exec_lo
	v_cmpx_ne_u32_e32 4, v0
	s_cbranch_execz .LBB120_486
; %bb.483:
	v_add_nc_u32_e32 v122, 0x3a0, v125
	v_add3_u32 v123, 0, v125, 16
	v_mov_b32_e32 v124, v0
	s_mov_b32 s64, 0
	.p2align	6
.LBB120_484:                            ; =>This Inner Loop Header: Depth=1
	s_clause 0x3
	buffer_load_dword v130, v123, s[0:3], 0 offen offset:8
	buffer_load_dword v131, v123, s[0:3], 0 offen offset:12
	buffer_load_dword v132, v123, s[0:3], 0 offen
	buffer_load_dword v133, v123, s[0:3], 0 offen offset:4
	ds_read_b128 v[126:129], v122
	v_add_nc_u32_e32 v124, 1, v124
	v_add_nc_u32_e32 v122, 16, v122
	;; [unrolled: 1-line block ×3, first 2 shown]
	v_cmp_lt_u32_e32 vcc_lo, 3, v124
	s_or_b32 s64, vcc_lo, s64
	s_waitcnt vmcnt(2) lgkmcnt(0)
	v_mul_f64 v[134:135], v[128:129], v[130:131]
	v_mul_f64 v[130:131], v[126:127], v[130:131]
	s_waitcnt vmcnt(0)
	v_fma_f64 v[126:127], v[126:127], v[132:133], -v[134:135]
	v_fma_f64 v[128:129], v[128:129], v[132:133], v[130:131]
	v_add_f64 v[1:2], v[1:2], v[126:127]
	v_add_f64 v[3:4], v[3:4], v[128:129]
	s_andn2_b32 exec_lo, exec_lo, s64
	s_cbranch_execnz .LBB120_484
; %bb.485:
	s_or_b32 exec_lo, exec_lo, s64
.LBB120_486:
	s_or_b32 exec_lo, exec_lo, s8
	v_mov_b32_e32 v122, 0
	ds_read_b128 v[126:129], v122 offset:80
	s_waitcnt lgkmcnt(0)
	v_mul_f64 v[122:123], v[3:4], v[128:129]
	v_mul_f64 v[128:129], v[1:2], v[128:129]
	v_fma_f64 v[1:2], v[1:2], v[126:127], -v[122:123]
	v_fma_f64 v[3:4], v[3:4], v[126:127], v[128:129]
	buffer_store_dword v2, off, s[0:3], 0 offset:84
	buffer_store_dword v1, off, s[0:3], 0 offset:80
	;; [unrolled: 1-line block ×4, first 2 shown]
.LBB120_487:
	s_or_b32 exec_lo, exec_lo, s4
	v_mov_b32_e32 v4, s58
	s_mov_b32 s4, exec_lo
	s_clause 0x3
	buffer_load_dword v1, v4, s[0:3], 0 offen
	buffer_load_dword v2, v4, s[0:3], 0 offen offset:4
	buffer_load_dword v3, v4, s[0:3], 0 offen offset:8
	;; [unrolled: 1-line block ×3, first 2 shown]
	s_waitcnt vmcnt(0)
	ds_write_b128 v120, v[1:4]
	s_waitcnt lgkmcnt(0)
	s_waitcnt_vscnt null, 0x0
	s_barrier
	buffer_gl0_inv
	v_cmpx_gt_u32_e32 6, v0
	s_cbranch_execz .LBB120_495
; %bb.488:
	ds_read_b128 v[1:4], v120
	v_cmp_ne_u32_e32 vcc_lo, 1, v121
	s_cbranch_vccnz .LBB120_490
; %bb.489:
	s_clause 0x3
	buffer_load_dword v122, v119, s[0:3], 0 offen offset:8
	buffer_load_dword v123, v119, s[0:3], 0 offen offset:12
	buffer_load_dword v126, v119, s[0:3], 0 offen
	buffer_load_dword v127, v119, s[0:3], 0 offen offset:4
	s_waitcnt vmcnt(2) lgkmcnt(0)
	v_mul_f64 v[128:129], v[3:4], v[122:123]
	v_mul_f64 v[122:123], v[1:2], v[122:123]
	s_waitcnt vmcnt(0)
	v_fma_f64 v[1:2], v[1:2], v[126:127], -v[128:129]
	v_fma_f64 v[3:4], v[3:4], v[126:127], v[122:123]
.LBB120_490:
	s_mov_b32 s8, exec_lo
	v_cmpx_ne_u32_e32 5, v0
	s_cbranch_execz .LBB120_494
; %bb.491:
	v_add_nc_u32_e32 v122, 0x3a0, v125
	v_add3_u32 v123, 0, v125, 16
	v_mov_b32_e32 v124, v0
	s_mov_b32 s64, 0
	.p2align	6
.LBB120_492:                            ; =>This Inner Loop Header: Depth=1
	s_clause 0x3
	buffer_load_dword v130, v123, s[0:3], 0 offen offset:8
	buffer_load_dword v131, v123, s[0:3], 0 offen offset:12
	buffer_load_dword v132, v123, s[0:3], 0 offen
	buffer_load_dword v133, v123, s[0:3], 0 offen offset:4
	ds_read_b128 v[126:129], v122
	v_add_nc_u32_e32 v124, 1, v124
	v_add_nc_u32_e32 v122, 16, v122
	;; [unrolled: 1-line block ×3, first 2 shown]
	v_cmp_lt_u32_e32 vcc_lo, 4, v124
	s_or_b32 s64, vcc_lo, s64
	s_waitcnt vmcnt(2) lgkmcnt(0)
	v_mul_f64 v[134:135], v[128:129], v[130:131]
	v_mul_f64 v[130:131], v[126:127], v[130:131]
	s_waitcnt vmcnt(0)
	v_fma_f64 v[126:127], v[126:127], v[132:133], -v[134:135]
	v_fma_f64 v[128:129], v[128:129], v[132:133], v[130:131]
	v_add_f64 v[1:2], v[1:2], v[126:127]
	v_add_f64 v[3:4], v[3:4], v[128:129]
	s_andn2_b32 exec_lo, exec_lo, s64
	s_cbranch_execnz .LBB120_492
; %bb.493:
	s_or_b32 exec_lo, exec_lo, s64
.LBB120_494:
	s_or_b32 exec_lo, exec_lo, s8
	v_mov_b32_e32 v122, 0
	ds_read_b128 v[126:129], v122 offset:96
	s_waitcnt lgkmcnt(0)
	v_mul_f64 v[122:123], v[3:4], v[128:129]
	v_mul_f64 v[128:129], v[1:2], v[128:129]
	v_fma_f64 v[1:2], v[1:2], v[126:127], -v[122:123]
	v_fma_f64 v[3:4], v[3:4], v[126:127], v[128:129]
	buffer_store_dword v2, off, s[0:3], 0 offset:100
	buffer_store_dword v1, off, s[0:3], 0 offset:96
	;; [unrolled: 1-line block ×4, first 2 shown]
.LBB120_495:
	s_or_b32 exec_lo, exec_lo, s4
	v_mov_b32_e32 v4, s57
	s_mov_b32 s4, exec_lo
	s_clause 0x3
	buffer_load_dword v1, v4, s[0:3], 0 offen
	buffer_load_dword v2, v4, s[0:3], 0 offen offset:4
	buffer_load_dword v3, v4, s[0:3], 0 offen offset:8
	;; [unrolled: 1-line block ×3, first 2 shown]
	s_waitcnt vmcnt(0)
	ds_write_b128 v120, v[1:4]
	s_waitcnt lgkmcnt(0)
	s_waitcnt_vscnt null, 0x0
	s_barrier
	buffer_gl0_inv
	v_cmpx_gt_u32_e32 7, v0
	s_cbranch_execz .LBB120_503
; %bb.496:
	ds_read_b128 v[1:4], v120
	v_cmp_ne_u32_e32 vcc_lo, 1, v121
	s_cbranch_vccnz .LBB120_498
; %bb.497:
	s_clause 0x3
	buffer_load_dword v122, v119, s[0:3], 0 offen offset:8
	buffer_load_dword v123, v119, s[0:3], 0 offen offset:12
	buffer_load_dword v126, v119, s[0:3], 0 offen
	buffer_load_dword v127, v119, s[0:3], 0 offen offset:4
	s_waitcnt vmcnt(2) lgkmcnt(0)
	v_mul_f64 v[128:129], v[3:4], v[122:123]
	v_mul_f64 v[122:123], v[1:2], v[122:123]
	s_waitcnt vmcnt(0)
	v_fma_f64 v[1:2], v[1:2], v[126:127], -v[128:129]
	v_fma_f64 v[3:4], v[3:4], v[126:127], v[122:123]
.LBB120_498:
	s_mov_b32 s8, exec_lo
	v_cmpx_ne_u32_e32 6, v0
	s_cbranch_execz .LBB120_502
; %bb.499:
	v_add_nc_u32_e32 v122, 0x3a0, v125
	v_add3_u32 v123, 0, v125, 16
	v_mov_b32_e32 v124, v0
	s_mov_b32 s64, 0
	.p2align	6
.LBB120_500:                            ; =>This Inner Loop Header: Depth=1
	s_clause 0x3
	buffer_load_dword v130, v123, s[0:3], 0 offen offset:8
	buffer_load_dword v131, v123, s[0:3], 0 offen offset:12
	buffer_load_dword v132, v123, s[0:3], 0 offen
	buffer_load_dword v133, v123, s[0:3], 0 offen offset:4
	ds_read_b128 v[126:129], v122
	v_add_nc_u32_e32 v124, 1, v124
	v_add_nc_u32_e32 v122, 16, v122
	v_add_nc_u32_e32 v123, 16, v123
	v_cmp_lt_u32_e32 vcc_lo, 5, v124
	s_or_b32 s64, vcc_lo, s64
	s_waitcnt vmcnt(2) lgkmcnt(0)
	v_mul_f64 v[134:135], v[128:129], v[130:131]
	v_mul_f64 v[130:131], v[126:127], v[130:131]
	s_waitcnt vmcnt(0)
	v_fma_f64 v[126:127], v[126:127], v[132:133], -v[134:135]
	v_fma_f64 v[128:129], v[128:129], v[132:133], v[130:131]
	v_add_f64 v[1:2], v[1:2], v[126:127]
	v_add_f64 v[3:4], v[3:4], v[128:129]
	s_andn2_b32 exec_lo, exec_lo, s64
	s_cbranch_execnz .LBB120_500
; %bb.501:
	s_or_b32 exec_lo, exec_lo, s64
.LBB120_502:
	s_or_b32 exec_lo, exec_lo, s8
	v_mov_b32_e32 v122, 0
	ds_read_b128 v[126:129], v122 offset:112
	s_waitcnt lgkmcnt(0)
	v_mul_f64 v[122:123], v[3:4], v[128:129]
	v_mul_f64 v[128:129], v[1:2], v[128:129]
	v_fma_f64 v[1:2], v[1:2], v[126:127], -v[122:123]
	v_fma_f64 v[3:4], v[3:4], v[126:127], v[128:129]
	buffer_store_dword v2, off, s[0:3], 0 offset:116
	buffer_store_dword v1, off, s[0:3], 0 offset:112
	;; [unrolled: 1-line block ×4, first 2 shown]
.LBB120_503:
	s_or_b32 exec_lo, exec_lo, s4
	v_mov_b32_e32 v4, s56
	s_mov_b32 s4, exec_lo
	s_clause 0x3
	buffer_load_dword v1, v4, s[0:3], 0 offen
	buffer_load_dword v2, v4, s[0:3], 0 offen offset:4
	buffer_load_dword v3, v4, s[0:3], 0 offen offset:8
	;; [unrolled: 1-line block ×3, first 2 shown]
	s_waitcnt vmcnt(0)
	ds_write_b128 v120, v[1:4]
	s_waitcnt lgkmcnt(0)
	s_waitcnt_vscnt null, 0x0
	s_barrier
	buffer_gl0_inv
	v_cmpx_gt_u32_e32 8, v0
	s_cbranch_execz .LBB120_511
; %bb.504:
	ds_read_b128 v[1:4], v120
	v_cmp_ne_u32_e32 vcc_lo, 1, v121
	s_cbranch_vccnz .LBB120_506
; %bb.505:
	s_clause 0x3
	buffer_load_dword v122, v119, s[0:3], 0 offen offset:8
	buffer_load_dword v123, v119, s[0:3], 0 offen offset:12
	buffer_load_dword v126, v119, s[0:3], 0 offen
	buffer_load_dword v127, v119, s[0:3], 0 offen offset:4
	s_waitcnt vmcnt(2) lgkmcnt(0)
	v_mul_f64 v[128:129], v[3:4], v[122:123]
	v_mul_f64 v[122:123], v[1:2], v[122:123]
	s_waitcnt vmcnt(0)
	v_fma_f64 v[1:2], v[1:2], v[126:127], -v[128:129]
	v_fma_f64 v[3:4], v[3:4], v[126:127], v[122:123]
.LBB120_506:
	s_mov_b32 s8, exec_lo
	v_cmpx_ne_u32_e32 7, v0
	s_cbranch_execz .LBB120_510
; %bb.507:
	v_add_nc_u32_e32 v122, 0x3a0, v125
	v_add3_u32 v123, 0, v125, 16
	v_mov_b32_e32 v124, v0
	s_mov_b32 s64, 0
	.p2align	6
.LBB120_508:                            ; =>This Inner Loop Header: Depth=1
	s_clause 0x3
	buffer_load_dword v130, v123, s[0:3], 0 offen offset:8
	buffer_load_dword v131, v123, s[0:3], 0 offen offset:12
	buffer_load_dword v132, v123, s[0:3], 0 offen
	buffer_load_dword v133, v123, s[0:3], 0 offen offset:4
	ds_read_b128 v[126:129], v122
	v_add_nc_u32_e32 v124, 1, v124
	v_add_nc_u32_e32 v122, 16, v122
	;; [unrolled: 1-line block ×3, first 2 shown]
	v_cmp_lt_u32_e32 vcc_lo, 6, v124
	s_or_b32 s64, vcc_lo, s64
	s_waitcnt vmcnt(2) lgkmcnt(0)
	v_mul_f64 v[134:135], v[128:129], v[130:131]
	v_mul_f64 v[130:131], v[126:127], v[130:131]
	s_waitcnt vmcnt(0)
	v_fma_f64 v[126:127], v[126:127], v[132:133], -v[134:135]
	v_fma_f64 v[128:129], v[128:129], v[132:133], v[130:131]
	v_add_f64 v[1:2], v[1:2], v[126:127]
	v_add_f64 v[3:4], v[3:4], v[128:129]
	s_andn2_b32 exec_lo, exec_lo, s64
	s_cbranch_execnz .LBB120_508
; %bb.509:
	s_or_b32 exec_lo, exec_lo, s64
.LBB120_510:
	s_or_b32 exec_lo, exec_lo, s8
	v_mov_b32_e32 v122, 0
	ds_read_b128 v[126:129], v122 offset:128
	s_waitcnt lgkmcnt(0)
	v_mul_f64 v[122:123], v[3:4], v[128:129]
	v_mul_f64 v[128:129], v[1:2], v[128:129]
	v_fma_f64 v[1:2], v[1:2], v[126:127], -v[122:123]
	v_fma_f64 v[3:4], v[3:4], v[126:127], v[128:129]
	buffer_store_dword v2, off, s[0:3], 0 offset:132
	buffer_store_dword v1, off, s[0:3], 0 offset:128
	;; [unrolled: 1-line block ×4, first 2 shown]
.LBB120_511:
	s_or_b32 exec_lo, exec_lo, s4
	v_mov_b32_e32 v4, s55
	s_mov_b32 s4, exec_lo
	s_clause 0x3
	buffer_load_dword v1, v4, s[0:3], 0 offen
	buffer_load_dword v2, v4, s[0:3], 0 offen offset:4
	buffer_load_dword v3, v4, s[0:3], 0 offen offset:8
	;; [unrolled: 1-line block ×3, first 2 shown]
	s_waitcnt vmcnt(0)
	ds_write_b128 v120, v[1:4]
	s_waitcnt lgkmcnt(0)
	s_waitcnt_vscnt null, 0x0
	s_barrier
	buffer_gl0_inv
	v_cmpx_gt_u32_e32 9, v0
	s_cbranch_execz .LBB120_519
; %bb.512:
	ds_read_b128 v[1:4], v120
	v_cmp_ne_u32_e32 vcc_lo, 1, v121
	s_cbranch_vccnz .LBB120_514
; %bb.513:
	s_clause 0x3
	buffer_load_dword v122, v119, s[0:3], 0 offen offset:8
	buffer_load_dword v123, v119, s[0:3], 0 offen offset:12
	buffer_load_dword v126, v119, s[0:3], 0 offen
	buffer_load_dword v127, v119, s[0:3], 0 offen offset:4
	s_waitcnt vmcnt(2) lgkmcnt(0)
	v_mul_f64 v[128:129], v[3:4], v[122:123]
	v_mul_f64 v[122:123], v[1:2], v[122:123]
	s_waitcnt vmcnt(0)
	v_fma_f64 v[1:2], v[1:2], v[126:127], -v[128:129]
	v_fma_f64 v[3:4], v[3:4], v[126:127], v[122:123]
.LBB120_514:
	s_mov_b32 s8, exec_lo
	v_cmpx_ne_u32_e32 8, v0
	s_cbranch_execz .LBB120_518
; %bb.515:
	v_add_nc_u32_e32 v122, 0x3a0, v125
	v_add3_u32 v123, 0, v125, 16
	v_mov_b32_e32 v124, v0
	s_mov_b32 s64, 0
	.p2align	6
.LBB120_516:                            ; =>This Inner Loop Header: Depth=1
	s_clause 0x3
	buffer_load_dword v130, v123, s[0:3], 0 offen offset:8
	buffer_load_dword v131, v123, s[0:3], 0 offen offset:12
	buffer_load_dword v132, v123, s[0:3], 0 offen
	buffer_load_dword v133, v123, s[0:3], 0 offen offset:4
	ds_read_b128 v[126:129], v122
	v_add_nc_u32_e32 v124, 1, v124
	v_add_nc_u32_e32 v122, 16, v122
	;; [unrolled: 1-line block ×3, first 2 shown]
	v_cmp_lt_u32_e32 vcc_lo, 7, v124
	s_or_b32 s64, vcc_lo, s64
	s_waitcnt vmcnt(2) lgkmcnt(0)
	v_mul_f64 v[134:135], v[128:129], v[130:131]
	v_mul_f64 v[130:131], v[126:127], v[130:131]
	s_waitcnt vmcnt(0)
	v_fma_f64 v[126:127], v[126:127], v[132:133], -v[134:135]
	v_fma_f64 v[128:129], v[128:129], v[132:133], v[130:131]
	v_add_f64 v[1:2], v[1:2], v[126:127]
	v_add_f64 v[3:4], v[3:4], v[128:129]
	s_andn2_b32 exec_lo, exec_lo, s64
	s_cbranch_execnz .LBB120_516
; %bb.517:
	s_or_b32 exec_lo, exec_lo, s64
.LBB120_518:
	s_or_b32 exec_lo, exec_lo, s8
	v_mov_b32_e32 v122, 0
	ds_read_b128 v[126:129], v122 offset:144
	s_waitcnt lgkmcnt(0)
	v_mul_f64 v[122:123], v[3:4], v[128:129]
	v_mul_f64 v[128:129], v[1:2], v[128:129]
	v_fma_f64 v[1:2], v[1:2], v[126:127], -v[122:123]
	v_fma_f64 v[3:4], v[3:4], v[126:127], v[128:129]
	buffer_store_dword v2, off, s[0:3], 0 offset:148
	buffer_store_dword v1, off, s[0:3], 0 offset:144
	;; [unrolled: 1-line block ×4, first 2 shown]
.LBB120_519:
	s_or_b32 exec_lo, exec_lo, s4
	v_mov_b32_e32 v4, s54
	s_mov_b32 s4, exec_lo
	s_clause 0x3
	buffer_load_dword v1, v4, s[0:3], 0 offen
	buffer_load_dword v2, v4, s[0:3], 0 offen offset:4
	buffer_load_dword v3, v4, s[0:3], 0 offen offset:8
	;; [unrolled: 1-line block ×3, first 2 shown]
	s_waitcnt vmcnt(0)
	ds_write_b128 v120, v[1:4]
	s_waitcnt lgkmcnt(0)
	s_waitcnt_vscnt null, 0x0
	s_barrier
	buffer_gl0_inv
	v_cmpx_gt_u32_e32 10, v0
	s_cbranch_execz .LBB120_527
; %bb.520:
	ds_read_b128 v[1:4], v120
	v_cmp_ne_u32_e32 vcc_lo, 1, v121
	s_cbranch_vccnz .LBB120_522
; %bb.521:
	s_clause 0x3
	buffer_load_dword v122, v119, s[0:3], 0 offen offset:8
	buffer_load_dword v123, v119, s[0:3], 0 offen offset:12
	buffer_load_dword v126, v119, s[0:3], 0 offen
	buffer_load_dword v127, v119, s[0:3], 0 offen offset:4
	s_waitcnt vmcnt(2) lgkmcnt(0)
	v_mul_f64 v[128:129], v[3:4], v[122:123]
	v_mul_f64 v[122:123], v[1:2], v[122:123]
	s_waitcnt vmcnt(0)
	v_fma_f64 v[1:2], v[1:2], v[126:127], -v[128:129]
	v_fma_f64 v[3:4], v[3:4], v[126:127], v[122:123]
.LBB120_522:
	s_mov_b32 s8, exec_lo
	v_cmpx_ne_u32_e32 9, v0
	s_cbranch_execz .LBB120_526
; %bb.523:
	v_add_nc_u32_e32 v122, 0x3a0, v125
	v_add3_u32 v123, 0, v125, 16
	v_mov_b32_e32 v124, v0
	s_mov_b32 s64, 0
	.p2align	6
.LBB120_524:                            ; =>This Inner Loop Header: Depth=1
	s_clause 0x3
	buffer_load_dword v130, v123, s[0:3], 0 offen offset:8
	buffer_load_dword v131, v123, s[0:3], 0 offen offset:12
	buffer_load_dword v132, v123, s[0:3], 0 offen
	buffer_load_dword v133, v123, s[0:3], 0 offen offset:4
	ds_read_b128 v[126:129], v122
	v_add_nc_u32_e32 v124, 1, v124
	v_add_nc_u32_e32 v122, 16, v122
	;; [unrolled: 1-line block ×3, first 2 shown]
	v_cmp_lt_u32_e32 vcc_lo, 8, v124
	s_or_b32 s64, vcc_lo, s64
	s_waitcnt vmcnt(2) lgkmcnt(0)
	v_mul_f64 v[134:135], v[128:129], v[130:131]
	v_mul_f64 v[130:131], v[126:127], v[130:131]
	s_waitcnt vmcnt(0)
	v_fma_f64 v[126:127], v[126:127], v[132:133], -v[134:135]
	v_fma_f64 v[128:129], v[128:129], v[132:133], v[130:131]
	v_add_f64 v[1:2], v[1:2], v[126:127]
	v_add_f64 v[3:4], v[3:4], v[128:129]
	s_andn2_b32 exec_lo, exec_lo, s64
	s_cbranch_execnz .LBB120_524
; %bb.525:
	s_or_b32 exec_lo, exec_lo, s64
.LBB120_526:
	s_or_b32 exec_lo, exec_lo, s8
	v_mov_b32_e32 v122, 0
	ds_read_b128 v[126:129], v122 offset:160
	s_waitcnt lgkmcnt(0)
	v_mul_f64 v[122:123], v[3:4], v[128:129]
	v_mul_f64 v[128:129], v[1:2], v[128:129]
	v_fma_f64 v[1:2], v[1:2], v[126:127], -v[122:123]
	v_fma_f64 v[3:4], v[3:4], v[126:127], v[128:129]
	buffer_store_dword v2, off, s[0:3], 0 offset:164
	buffer_store_dword v1, off, s[0:3], 0 offset:160
	;; [unrolled: 1-line block ×4, first 2 shown]
.LBB120_527:
	s_or_b32 exec_lo, exec_lo, s4
	v_mov_b32_e32 v4, s53
	s_mov_b32 s4, exec_lo
	s_clause 0x3
	buffer_load_dword v1, v4, s[0:3], 0 offen
	buffer_load_dword v2, v4, s[0:3], 0 offen offset:4
	buffer_load_dword v3, v4, s[0:3], 0 offen offset:8
	;; [unrolled: 1-line block ×3, first 2 shown]
	s_waitcnt vmcnt(0)
	ds_write_b128 v120, v[1:4]
	s_waitcnt lgkmcnt(0)
	s_waitcnt_vscnt null, 0x0
	s_barrier
	buffer_gl0_inv
	v_cmpx_gt_u32_e32 11, v0
	s_cbranch_execz .LBB120_535
; %bb.528:
	ds_read_b128 v[1:4], v120
	v_cmp_ne_u32_e32 vcc_lo, 1, v121
	s_cbranch_vccnz .LBB120_530
; %bb.529:
	s_clause 0x3
	buffer_load_dword v122, v119, s[0:3], 0 offen offset:8
	buffer_load_dword v123, v119, s[0:3], 0 offen offset:12
	buffer_load_dword v126, v119, s[0:3], 0 offen
	buffer_load_dword v127, v119, s[0:3], 0 offen offset:4
	s_waitcnt vmcnt(2) lgkmcnt(0)
	v_mul_f64 v[128:129], v[3:4], v[122:123]
	v_mul_f64 v[122:123], v[1:2], v[122:123]
	s_waitcnt vmcnt(0)
	v_fma_f64 v[1:2], v[1:2], v[126:127], -v[128:129]
	v_fma_f64 v[3:4], v[3:4], v[126:127], v[122:123]
.LBB120_530:
	s_mov_b32 s8, exec_lo
	v_cmpx_ne_u32_e32 10, v0
	s_cbranch_execz .LBB120_534
; %bb.531:
	v_add_nc_u32_e32 v122, 0x3a0, v125
	v_add3_u32 v123, 0, v125, 16
	v_mov_b32_e32 v124, v0
	s_mov_b32 s64, 0
	.p2align	6
.LBB120_532:                            ; =>This Inner Loop Header: Depth=1
	s_clause 0x3
	buffer_load_dword v130, v123, s[0:3], 0 offen offset:8
	buffer_load_dword v131, v123, s[0:3], 0 offen offset:12
	buffer_load_dword v132, v123, s[0:3], 0 offen
	buffer_load_dword v133, v123, s[0:3], 0 offen offset:4
	ds_read_b128 v[126:129], v122
	v_add_nc_u32_e32 v124, 1, v124
	v_add_nc_u32_e32 v122, 16, v122
	;; [unrolled: 1-line block ×3, first 2 shown]
	v_cmp_lt_u32_e32 vcc_lo, 9, v124
	s_or_b32 s64, vcc_lo, s64
	s_waitcnt vmcnt(2) lgkmcnt(0)
	v_mul_f64 v[134:135], v[128:129], v[130:131]
	v_mul_f64 v[130:131], v[126:127], v[130:131]
	s_waitcnt vmcnt(0)
	v_fma_f64 v[126:127], v[126:127], v[132:133], -v[134:135]
	v_fma_f64 v[128:129], v[128:129], v[132:133], v[130:131]
	v_add_f64 v[1:2], v[1:2], v[126:127]
	v_add_f64 v[3:4], v[3:4], v[128:129]
	s_andn2_b32 exec_lo, exec_lo, s64
	s_cbranch_execnz .LBB120_532
; %bb.533:
	s_or_b32 exec_lo, exec_lo, s64
.LBB120_534:
	s_or_b32 exec_lo, exec_lo, s8
	v_mov_b32_e32 v122, 0
	ds_read_b128 v[126:129], v122 offset:176
	s_waitcnt lgkmcnt(0)
	v_mul_f64 v[122:123], v[3:4], v[128:129]
	v_mul_f64 v[128:129], v[1:2], v[128:129]
	v_fma_f64 v[1:2], v[1:2], v[126:127], -v[122:123]
	v_fma_f64 v[3:4], v[3:4], v[126:127], v[128:129]
	buffer_store_dword v2, off, s[0:3], 0 offset:180
	buffer_store_dword v1, off, s[0:3], 0 offset:176
	;; [unrolled: 1-line block ×4, first 2 shown]
.LBB120_535:
	s_or_b32 exec_lo, exec_lo, s4
	v_mov_b32_e32 v4, s52
	s_mov_b32 s4, exec_lo
	s_clause 0x3
	buffer_load_dword v1, v4, s[0:3], 0 offen
	buffer_load_dword v2, v4, s[0:3], 0 offen offset:4
	buffer_load_dword v3, v4, s[0:3], 0 offen offset:8
	;; [unrolled: 1-line block ×3, first 2 shown]
	s_waitcnt vmcnt(0)
	ds_write_b128 v120, v[1:4]
	s_waitcnt lgkmcnt(0)
	s_waitcnt_vscnt null, 0x0
	s_barrier
	buffer_gl0_inv
	v_cmpx_gt_u32_e32 12, v0
	s_cbranch_execz .LBB120_543
; %bb.536:
	ds_read_b128 v[1:4], v120
	v_cmp_ne_u32_e32 vcc_lo, 1, v121
	s_cbranch_vccnz .LBB120_538
; %bb.537:
	s_clause 0x3
	buffer_load_dword v122, v119, s[0:3], 0 offen offset:8
	buffer_load_dword v123, v119, s[0:3], 0 offen offset:12
	buffer_load_dword v126, v119, s[0:3], 0 offen
	buffer_load_dword v127, v119, s[0:3], 0 offen offset:4
	s_waitcnt vmcnt(2) lgkmcnt(0)
	v_mul_f64 v[128:129], v[3:4], v[122:123]
	v_mul_f64 v[122:123], v[1:2], v[122:123]
	s_waitcnt vmcnt(0)
	v_fma_f64 v[1:2], v[1:2], v[126:127], -v[128:129]
	v_fma_f64 v[3:4], v[3:4], v[126:127], v[122:123]
.LBB120_538:
	s_mov_b32 s8, exec_lo
	v_cmpx_ne_u32_e32 11, v0
	s_cbranch_execz .LBB120_542
; %bb.539:
	v_add_nc_u32_e32 v122, 0x3a0, v125
	v_add3_u32 v123, 0, v125, 16
	v_mov_b32_e32 v124, v0
	s_mov_b32 s64, 0
	.p2align	6
.LBB120_540:                            ; =>This Inner Loop Header: Depth=1
	s_clause 0x3
	buffer_load_dword v130, v123, s[0:3], 0 offen offset:8
	buffer_load_dword v131, v123, s[0:3], 0 offen offset:12
	buffer_load_dword v132, v123, s[0:3], 0 offen
	buffer_load_dword v133, v123, s[0:3], 0 offen offset:4
	ds_read_b128 v[126:129], v122
	v_add_nc_u32_e32 v124, 1, v124
	v_add_nc_u32_e32 v122, 16, v122
	;; [unrolled: 1-line block ×3, first 2 shown]
	v_cmp_lt_u32_e32 vcc_lo, 10, v124
	s_or_b32 s64, vcc_lo, s64
	s_waitcnt vmcnt(2) lgkmcnt(0)
	v_mul_f64 v[134:135], v[128:129], v[130:131]
	v_mul_f64 v[130:131], v[126:127], v[130:131]
	s_waitcnt vmcnt(0)
	v_fma_f64 v[126:127], v[126:127], v[132:133], -v[134:135]
	v_fma_f64 v[128:129], v[128:129], v[132:133], v[130:131]
	v_add_f64 v[1:2], v[1:2], v[126:127]
	v_add_f64 v[3:4], v[3:4], v[128:129]
	s_andn2_b32 exec_lo, exec_lo, s64
	s_cbranch_execnz .LBB120_540
; %bb.541:
	s_or_b32 exec_lo, exec_lo, s64
.LBB120_542:
	s_or_b32 exec_lo, exec_lo, s8
	v_mov_b32_e32 v122, 0
	ds_read_b128 v[126:129], v122 offset:192
	s_waitcnt lgkmcnt(0)
	v_mul_f64 v[122:123], v[3:4], v[128:129]
	v_mul_f64 v[128:129], v[1:2], v[128:129]
	v_fma_f64 v[1:2], v[1:2], v[126:127], -v[122:123]
	v_fma_f64 v[3:4], v[3:4], v[126:127], v[128:129]
	buffer_store_dword v2, off, s[0:3], 0 offset:196
	buffer_store_dword v1, off, s[0:3], 0 offset:192
	;; [unrolled: 1-line block ×4, first 2 shown]
.LBB120_543:
	s_or_b32 exec_lo, exec_lo, s4
	v_mov_b32_e32 v4, s51
	s_mov_b32 s4, exec_lo
	s_clause 0x3
	buffer_load_dword v1, v4, s[0:3], 0 offen
	buffer_load_dword v2, v4, s[0:3], 0 offen offset:4
	buffer_load_dword v3, v4, s[0:3], 0 offen offset:8
	;; [unrolled: 1-line block ×3, first 2 shown]
	s_waitcnt vmcnt(0)
	ds_write_b128 v120, v[1:4]
	s_waitcnt lgkmcnt(0)
	s_waitcnt_vscnt null, 0x0
	s_barrier
	buffer_gl0_inv
	v_cmpx_gt_u32_e32 13, v0
	s_cbranch_execz .LBB120_551
; %bb.544:
	ds_read_b128 v[1:4], v120
	v_cmp_ne_u32_e32 vcc_lo, 1, v121
	s_cbranch_vccnz .LBB120_546
; %bb.545:
	s_clause 0x3
	buffer_load_dword v122, v119, s[0:3], 0 offen offset:8
	buffer_load_dword v123, v119, s[0:3], 0 offen offset:12
	buffer_load_dword v126, v119, s[0:3], 0 offen
	buffer_load_dword v127, v119, s[0:3], 0 offen offset:4
	s_waitcnt vmcnt(2) lgkmcnt(0)
	v_mul_f64 v[128:129], v[3:4], v[122:123]
	v_mul_f64 v[122:123], v[1:2], v[122:123]
	s_waitcnt vmcnt(0)
	v_fma_f64 v[1:2], v[1:2], v[126:127], -v[128:129]
	v_fma_f64 v[3:4], v[3:4], v[126:127], v[122:123]
.LBB120_546:
	s_mov_b32 s8, exec_lo
	v_cmpx_ne_u32_e32 12, v0
	s_cbranch_execz .LBB120_550
; %bb.547:
	v_add_nc_u32_e32 v122, 0x3a0, v125
	v_add3_u32 v123, 0, v125, 16
	v_mov_b32_e32 v124, v0
	s_mov_b32 s64, 0
	.p2align	6
.LBB120_548:                            ; =>This Inner Loop Header: Depth=1
	s_clause 0x3
	buffer_load_dword v130, v123, s[0:3], 0 offen offset:8
	buffer_load_dword v131, v123, s[0:3], 0 offen offset:12
	buffer_load_dword v132, v123, s[0:3], 0 offen
	buffer_load_dword v133, v123, s[0:3], 0 offen offset:4
	ds_read_b128 v[126:129], v122
	v_add_nc_u32_e32 v124, 1, v124
	v_add_nc_u32_e32 v122, 16, v122
	v_add_nc_u32_e32 v123, 16, v123
	v_cmp_lt_u32_e32 vcc_lo, 11, v124
	s_or_b32 s64, vcc_lo, s64
	s_waitcnt vmcnt(2) lgkmcnt(0)
	v_mul_f64 v[134:135], v[128:129], v[130:131]
	v_mul_f64 v[130:131], v[126:127], v[130:131]
	s_waitcnt vmcnt(0)
	v_fma_f64 v[126:127], v[126:127], v[132:133], -v[134:135]
	v_fma_f64 v[128:129], v[128:129], v[132:133], v[130:131]
	v_add_f64 v[1:2], v[1:2], v[126:127]
	v_add_f64 v[3:4], v[3:4], v[128:129]
	s_andn2_b32 exec_lo, exec_lo, s64
	s_cbranch_execnz .LBB120_548
; %bb.549:
	s_or_b32 exec_lo, exec_lo, s64
.LBB120_550:
	s_or_b32 exec_lo, exec_lo, s8
	v_mov_b32_e32 v122, 0
	ds_read_b128 v[126:129], v122 offset:208
	s_waitcnt lgkmcnt(0)
	v_mul_f64 v[122:123], v[3:4], v[128:129]
	v_mul_f64 v[128:129], v[1:2], v[128:129]
	v_fma_f64 v[1:2], v[1:2], v[126:127], -v[122:123]
	v_fma_f64 v[3:4], v[3:4], v[126:127], v[128:129]
	buffer_store_dword v2, off, s[0:3], 0 offset:212
	buffer_store_dword v1, off, s[0:3], 0 offset:208
	;; [unrolled: 1-line block ×4, first 2 shown]
.LBB120_551:
	s_or_b32 exec_lo, exec_lo, s4
	v_mov_b32_e32 v4, s50
	s_mov_b32 s4, exec_lo
	s_clause 0x3
	buffer_load_dword v1, v4, s[0:3], 0 offen
	buffer_load_dword v2, v4, s[0:3], 0 offen offset:4
	buffer_load_dword v3, v4, s[0:3], 0 offen offset:8
	;; [unrolled: 1-line block ×3, first 2 shown]
	s_waitcnt vmcnt(0)
	ds_write_b128 v120, v[1:4]
	s_waitcnt lgkmcnt(0)
	s_waitcnt_vscnt null, 0x0
	s_barrier
	buffer_gl0_inv
	v_cmpx_gt_u32_e32 14, v0
	s_cbranch_execz .LBB120_559
; %bb.552:
	ds_read_b128 v[1:4], v120
	v_cmp_ne_u32_e32 vcc_lo, 1, v121
	s_cbranch_vccnz .LBB120_554
; %bb.553:
	s_clause 0x3
	buffer_load_dword v122, v119, s[0:3], 0 offen offset:8
	buffer_load_dword v123, v119, s[0:3], 0 offen offset:12
	buffer_load_dword v126, v119, s[0:3], 0 offen
	buffer_load_dword v127, v119, s[0:3], 0 offen offset:4
	s_waitcnt vmcnt(2) lgkmcnt(0)
	v_mul_f64 v[128:129], v[3:4], v[122:123]
	v_mul_f64 v[122:123], v[1:2], v[122:123]
	s_waitcnt vmcnt(0)
	v_fma_f64 v[1:2], v[1:2], v[126:127], -v[128:129]
	v_fma_f64 v[3:4], v[3:4], v[126:127], v[122:123]
.LBB120_554:
	s_mov_b32 s8, exec_lo
	v_cmpx_ne_u32_e32 13, v0
	s_cbranch_execz .LBB120_558
; %bb.555:
	v_add_nc_u32_e32 v122, 0x3a0, v125
	v_add3_u32 v123, 0, v125, 16
	v_mov_b32_e32 v124, v0
	s_mov_b32 s64, 0
	.p2align	6
.LBB120_556:                            ; =>This Inner Loop Header: Depth=1
	s_clause 0x3
	buffer_load_dword v130, v123, s[0:3], 0 offen offset:8
	buffer_load_dword v131, v123, s[0:3], 0 offen offset:12
	buffer_load_dword v132, v123, s[0:3], 0 offen
	buffer_load_dword v133, v123, s[0:3], 0 offen offset:4
	ds_read_b128 v[126:129], v122
	v_add_nc_u32_e32 v124, 1, v124
	v_add_nc_u32_e32 v122, 16, v122
	;; [unrolled: 1-line block ×3, first 2 shown]
	v_cmp_lt_u32_e32 vcc_lo, 12, v124
	s_or_b32 s64, vcc_lo, s64
	s_waitcnt vmcnt(2) lgkmcnt(0)
	v_mul_f64 v[134:135], v[128:129], v[130:131]
	v_mul_f64 v[130:131], v[126:127], v[130:131]
	s_waitcnt vmcnt(0)
	v_fma_f64 v[126:127], v[126:127], v[132:133], -v[134:135]
	v_fma_f64 v[128:129], v[128:129], v[132:133], v[130:131]
	v_add_f64 v[1:2], v[1:2], v[126:127]
	v_add_f64 v[3:4], v[3:4], v[128:129]
	s_andn2_b32 exec_lo, exec_lo, s64
	s_cbranch_execnz .LBB120_556
; %bb.557:
	s_or_b32 exec_lo, exec_lo, s64
.LBB120_558:
	s_or_b32 exec_lo, exec_lo, s8
	v_mov_b32_e32 v122, 0
	ds_read_b128 v[126:129], v122 offset:224
	s_waitcnt lgkmcnt(0)
	v_mul_f64 v[122:123], v[3:4], v[128:129]
	v_mul_f64 v[128:129], v[1:2], v[128:129]
	v_fma_f64 v[1:2], v[1:2], v[126:127], -v[122:123]
	v_fma_f64 v[3:4], v[3:4], v[126:127], v[128:129]
	buffer_store_dword v2, off, s[0:3], 0 offset:228
	buffer_store_dword v1, off, s[0:3], 0 offset:224
	;; [unrolled: 1-line block ×4, first 2 shown]
.LBB120_559:
	s_or_b32 exec_lo, exec_lo, s4
	v_mov_b32_e32 v4, s49
	s_mov_b32 s4, exec_lo
	s_clause 0x3
	buffer_load_dword v1, v4, s[0:3], 0 offen
	buffer_load_dword v2, v4, s[0:3], 0 offen offset:4
	buffer_load_dword v3, v4, s[0:3], 0 offen offset:8
	;; [unrolled: 1-line block ×3, first 2 shown]
	s_waitcnt vmcnt(0)
	ds_write_b128 v120, v[1:4]
	s_waitcnt lgkmcnt(0)
	s_waitcnt_vscnt null, 0x0
	s_barrier
	buffer_gl0_inv
	v_cmpx_gt_u32_e32 15, v0
	s_cbranch_execz .LBB120_567
; %bb.560:
	ds_read_b128 v[1:4], v120
	v_cmp_ne_u32_e32 vcc_lo, 1, v121
	s_cbranch_vccnz .LBB120_562
; %bb.561:
	s_clause 0x3
	buffer_load_dword v122, v119, s[0:3], 0 offen offset:8
	buffer_load_dword v123, v119, s[0:3], 0 offen offset:12
	buffer_load_dword v126, v119, s[0:3], 0 offen
	buffer_load_dword v127, v119, s[0:3], 0 offen offset:4
	s_waitcnt vmcnt(2) lgkmcnt(0)
	v_mul_f64 v[128:129], v[3:4], v[122:123]
	v_mul_f64 v[122:123], v[1:2], v[122:123]
	s_waitcnt vmcnt(0)
	v_fma_f64 v[1:2], v[1:2], v[126:127], -v[128:129]
	v_fma_f64 v[3:4], v[3:4], v[126:127], v[122:123]
.LBB120_562:
	s_mov_b32 s8, exec_lo
	v_cmpx_ne_u32_e32 14, v0
	s_cbranch_execz .LBB120_566
; %bb.563:
	v_add_nc_u32_e32 v122, 0x3a0, v125
	v_add3_u32 v123, 0, v125, 16
	v_mov_b32_e32 v124, v0
	s_mov_b32 s64, 0
	.p2align	6
.LBB120_564:                            ; =>This Inner Loop Header: Depth=1
	s_clause 0x3
	buffer_load_dword v130, v123, s[0:3], 0 offen offset:8
	buffer_load_dword v131, v123, s[0:3], 0 offen offset:12
	buffer_load_dword v132, v123, s[0:3], 0 offen
	buffer_load_dword v133, v123, s[0:3], 0 offen offset:4
	ds_read_b128 v[126:129], v122
	v_add_nc_u32_e32 v124, 1, v124
	v_add_nc_u32_e32 v122, 16, v122
	;; [unrolled: 1-line block ×3, first 2 shown]
	v_cmp_lt_u32_e32 vcc_lo, 13, v124
	s_or_b32 s64, vcc_lo, s64
	s_waitcnt vmcnt(2) lgkmcnt(0)
	v_mul_f64 v[134:135], v[128:129], v[130:131]
	v_mul_f64 v[130:131], v[126:127], v[130:131]
	s_waitcnt vmcnt(0)
	v_fma_f64 v[126:127], v[126:127], v[132:133], -v[134:135]
	v_fma_f64 v[128:129], v[128:129], v[132:133], v[130:131]
	v_add_f64 v[1:2], v[1:2], v[126:127]
	v_add_f64 v[3:4], v[3:4], v[128:129]
	s_andn2_b32 exec_lo, exec_lo, s64
	s_cbranch_execnz .LBB120_564
; %bb.565:
	s_or_b32 exec_lo, exec_lo, s64
.LBB120_566:
	s_or_b32 exec_lo, exec_lo, s8
	v_mov_b32_e32 v122, 0
	ds_read_b128 v[126:129], v122 offset:240
	s_waitcnt lgkmcnt(0)
	v_mul_f64 v[122:123], v[3:4], v[128:129]
	v_mul_f64 v[128:129], v[1:2], v[128:129]
	v_fma_f64 v[1:2], v[1:2], v[126:127], -v[122:123]
	v_fma_f64 v[3:4], v[3:4], v[126:127], v[128:129]
	buffer_store_dword v2, off, s[0:3], 0 offset:244
	buffer_store_dword v1, off, s[0:3], 0 offset:240
	;; [unrolled: 1-line block ×4, first 2 shown]
.LBB120_567:
	s_or_b32 exec_lo, exec_lo, s4
	v_mov_b32_e32 v4, s48
	s_mov_b32 s4, exec_lo
	s_clause 0x3
	buffer_load_dword v1, v4, s[0:3], 0 offen
	buffer_load_dword v2, v4, s[0:3], 0 offen offset:4
	buffer_load_dword v3, v4, s[0:3], 0 offen offset:8
	;; [unrolled: 1-line block ×3, first 2 shown]
	s_waitcnt vmcnt(0)
	ds_write_b128 v120, v[1:4]
	s_waitcnt lgkmcnt(0)
	s_waitcnt_vscnt null, 0x0
	s_barrier
	buffer_gl0_inv
	v_cmpx_gt_u32_e32 16, v0
	s_cbranch_execz .LBB120_575
; %bb.568:
	ds_read_b128 v[1:4], v120
	v_cmp_ne_u32_e32 vcc_lo, 1, v121
	s_cbranch_vccnz .LBB120_570
; %bb.569:
	s_clause 0x3
	buffer_load_dword v122, v119, s[0:3], 0 offen offset:8
	buffer_load_dword v123, v119, s[0:3], 0 offen offset:12
	buffer_load_dword v126, v119, s[0:3], 0 offen
	buffer_load_dword v127, v119, s[0:3], 0 offen offset:4
	s_waitcnt vmcnt(2) lgkmcnt(0)
	v_mul_f64 v[128:129], v[3:4], v[122:123]
	v_mul_f64 v[122:123], v[1:2], v[122:123]
	s_waitcnt vmcnt(0)
	v_fma_f64 v[1:2], v[1:2], v[126:127], -v[128:129]
	v_fma_f64 v[3:4], v[3:4], v[126:127], v[122:123]
.LBB120_570:
	s_mov_b32 s8, exec_lo
	v_cmpx_ne_u32_e32 15, v0
	s_cbranch_execz .LBB120_574
; %bb.571:
	v_add_nc_u32_e32 v122, 0x3a0, v125
	v_add3_u32 v123, 0, v125, 16
	v_mov_b32_e32 v124, v0
	s_mov_b32 s64, 0
	.p2align	6
.LBB120_572:                            ; =>This Inner Loop Header: Depth=1
	s_clause 0x3
	buffer_load_dword v130, v123, s[0:3], 0 offen offset:8
	buffer_load_dword v131, v123, s[0:3], 0 offen offset:12
	buffer_load_dword v132, v123, s[0:3], 0 offen
	buffer_load_dword v133, v123, s[0:3], 0 offen offset:4
	ds_read_b128 v[126:129], v122
	v_add_nc_u32_e32 v124, 1, v124
	v_add_nc_u32_e32 v122, 16, v122
	;; [unrolled: 1-line block ×3, first 2 shown]
	v_cmp_lt_u32_e32 vcc_lo, 14, v124
	s_or_b32 s64, vcc_lo, s64
	s_waitcnt vmcnt(2) lgkmcnt(0)
	v_mul_f64 v[134:135], v[128:129], v[130:131]
	v_mul_f64 v[130:131], v[126:127], v[130:131]
	s_waitcnt vmcnt(0)
	v_fma_f64 v[126:127], v[126:127], v[132:133], -v[134:135]
	v_fma_f64 v[128:129], v[128:129], v[132:133], v[130:131]
	v_add_f64 v[1:2], v[1:2], v[126:127]
	v_add_f64 v[3:4], v[3:4], v[128:129]
	s_andn2_b32 exec_lo, exec_lo, s64
	s_cbranch_execnz .LBB120_572
; %bb.573:
	s_or_b32 exec_lo, exec_lo, s64
.LBB120_574:
	s_or_b32 exec_lo, exec_lo, s8
	v_mov_b32_e32 v122, 0
	ds_read_b128 v[126:129], v122 offset:256
	s_waitcnt lgkmcnt(0)
	v_mul_f64 v[122:123], v[3:4], v[128:129]
	v_mul_f64 v[128:129], v[1:2], v[128:129]
	v_fma_f64 v[1:2], v[1:2], v[126:127], -v[122:123]
	v_fma_f64 v[3:4], v[3:4], v[126:127], v[128:129]
	buffer_store_dword v2, off, s[0:3], 0 offset:260
	buffer_store_dword v1, off, s[0:3], 0 offset:256
	;; [unrolled: 1-line block ×4, first 2 shown]
.LBB120_575:
	s_or_b32 exec_lo, exec_lo, s4
	v_mov_b32_e32 v4, s47
	s_mov_b32 s4, exec_lo
	s_clause 0x3
	buffer_load_dword v1, v4, s[0:3], 0 offen
	buffer_load_dword v2, v4, s[0:3], 0 offen offset:4
	buffer_load_dword v3, v4, s[0:3], 0 offen offset:8
	;; [unrolled: 1-line block ×3, first 2 shown]
	s_waitcnt vmcnt(0)
	ds_write_b128 v120, v[1:4]
	s_waitcnt lgkmcnt(0)
	s_waitcnt_vscnt null, 0x0
	s_barrier
	buffer_gl0_inv
	v_cmpx_gt_u32_e32 17, v0
	s_cbranch_execz .LBB120_583
; %bb.576:
	ds_read_b128 v[1:4], v120
	v_cmp_ne_u32_e32 vcc_lo, 1, v121
	s_cbranch_vccnz .LBB120_578
; %bb.577:
	s_clause 0x3
	buffer_load_dword v122, v119, s[0:3], 0 offen offset:8
	buffer_load_dword v123, v119, s[0:3], 0 offen offset:12
	buffer_load_dword v126, v119, s[0:3], 0 offen
	buffer_load_dword v127, v119, s[0:3], 0 offen offset:4
	s_waitcnt vmcnt(2) lgkmcnt(0)
	v_mul_f64 v[128:129], v[3:4], v[122:123]
	v_mul_f64 v[122:123], v[1:2], v[122:123]
	s_waitcnt vmcnt(0)
	v_fma_f64 v[1:2], v[1:2], v[126:127], -v[128:129]
	v_fma_f64 v[3:4], v[3:4], v[126:127], v[122:123]
.LBB120_578:
	s_mov_b32 s8, exec_lo
	v_cmpx_ne_u32_e32 16, v0
	s_cbranch_execz .LBB120_582
; %bb.579:
	v_add_nc_u32_e32 v122, 0x3a0, v125
	v_add3_u32 v123, 0, v125, 16
	v_mov_b32_e32 v124, v0
	s_mov_b32 s64, 0
	.p2align	6
.LBB120_580:                            ; =>This Inner Loop Header: Depth=1
	s_clause 0x3
	buffer_load_dword v130, v123, s[0:3], 0 offen offset:8
	buffer_load_dword v131, v123, s[0:3], 0 offen offset:12
	buffer_load_dword v132, v123, s[0:3], 0 offen
	buffer_load_dword v133, v123, s[0:3], 0 offen offset:4
	ds_read_b128 v[126:129], v122
	v_add_nc_u32_e32 v124, 1, v124
	v_add_nc_u32_e32 v122, 16, v122
	;; [unrolled: 1-line block ×3, first 2 shown]
	v_cmp_lt_u32_e32 vcc_lo, 15, v124
	s_or_b32 s64, vcc_lo, s64
	s_waitcnt vmcnt(2) lgkmcnt(0)
	v_mul_f64 v[134:135], v[128:129], v[130:131]
	v_mul_f64 v[130:131], v[126:127], v[130:131]
	s_waitcnt vmcnt(0)
	v_fma_f64 v[126:127], v[126:127], v[132:133], -v[134:135]
	v_fma_f64 v[128:129], v[128:129], v[132:133], v[130:131]
	v_add_f64 v[1:2], v[1:2], v[126:127]
	v_add_f64 v[3:4], v[3:4], v[128:129]
	s_andn2_b32 exec_lo, exec_lo, s64
	s_cbranch_execnz .LBB120_580
; %bb.581:
	s_or_b32 exec_lo, exec_lo, s64
.LBB120_582:
	s_or_b32 exec_lo, exec_lo, s8
	v_mov_b32_e32 v122, 0
	ds_read_b128 v[126:129], v122 offset:272
	s_waitcnt lgkmcnt(0)
	v_mul_f64 v[122:123], v[3:4], v[128:129]
	v_mul_f64 v[128:129], v[1:2], v[128:129]
	v_fma_f64 v[1:2], v[1:2], v[126:127], -v[122:123]
	v_fma_f64 v[3:4], v[3:4], v[126:127], v[128:129]
	buffer_store_dword v2, off, s[0:3], 0 offset:276
	buffer_store_dword v1, off, s[0:3], 0 offset:272
	;; [unrolled: 1-line block ×4, first 2 shown]
.LBB120_583:
	s_or_b32 exec_lo, exec_lo, s4
	v_mov_b32_e32 v4, s46
	s_mov_b32 s4, exec_lo
	s_clause 0x3
	buffer_load_dword v1, v4, s[0:3], 0 offen
	buffer_load_dword v2, v4, s[0:3], 0 offen offset:4
	buffer_load_dword v3, v4, s[0:3], 0 offen offset:8
	buffer_load_dword v4, v4, s[0:3], 0 offen offset:12
	s_waitcnt vmcnt(0)
	ds_write_b128 v120, v[1:4]
	s_waitcnt lgkmcnt(0)
	s_waitcnt_vscnt null, 0x0
	s_barrier
	buffer_gl0_inv
	v_cmpx_gt_u32_e32 18, v0
	s_cbranch_execz .LBB120_591
; %bb.584:
	ds_read_b128 v[1:4], v120
	v_cmp_ne_u32_e32 vcc_lo, 1, v121
	s_cbranch_vccnz .LBB120_586
; %bb.585:
	s_clause 0x3
	buffer_load_dword v122, v119, s[0:3], 0 offen offset:8
	buffer_load_dword v123, v119, s[0:3], 0 offen offset:12
	buffer_load_dword v126, v119, s[0:3], 0 offen
	buffer_load_dword v127, v119, s[0:3], 0 offen offset:4
	s_waitcnt vmcnt(2) lgkmcnt(0)
	v_mul_f64 v[128:129], v[3:4], v[122:123]
	v_mul_f64 v[122:123], v[1:2], v[122:123]
	s_waitcnt vmcnt(0)
	v_fma_f64 v[1:2], v[1:2], v[126:127], -v[128:129]
	v_fma_f64 v[3:4], v[3:4], v[126:127], v[122:123]
.LBB120_586:
	s_mov_b32 s8, exec_lo
	v_cmpx_ne_u32_e32 17, v0
	s_cbranch_execz .LBB120_590
; %bb.587:
	v_add_nc_u32_e32 v122, 0x3a0, v125
	v_add3_u32 v123, 0, v125, 16
	v_mov_b32_e32 v124, v0
	s_mov_b32 s64, 0
	.p2align	6
.LBB120_588:                            ; =>This Inner Loop Header: Depth=1
	s_clause 0x3
	buffer_load_dword v130, v123, s[0:3], 0 offen offset:8
	buffer_load_dword v131, v123, s[0:3], 0 offen offset:12
	buffer_load_dword v132, v123, s[0:3], 0 offen
	buffer_load_dword v133, v123, s[0:3], 0 offen offset:4
	ds_read_b128 v[126:129], v122
	v_add_nc_u32_e32 v124, 1, v124
	v_add_nc_u32_e32 v122, 16, v122
	;; [unrolled: 1-line block ×3, first 2 shown]
	v_cmp_lt_u32_e32 vcc_lo, 16, v124
	s_or_b32 s64, vcc_lo, s64
	s_waitcnt vmcnt(2) lgkmcnt(0)
	v_mul_f64 v[134:135], v[128:129], v[130:131]
	v_mul_f64 v[130:131], v[126:127], v[130:131]
	s_waitcnt vmcnt(0)
	v_fma_f64 v[126:127], v[126:127], v[132:133], -v[134:135]
	v_fma_f64 v[128:129], v[128:129], v[132:133], v[130:131]
	v_add_f64 v[1:2], v[1:2], v[126:127]
	v_add_f64 v[3:4], v[3:4], v[128:129]
	s_andn2_b32 exec_lo, exec_lo, s64
	s_cbranch_execnz .LBB120_588
; %bb.589:
	s_or_b32 exec_lo, exec_lo, s64
.LBB120_590:
	s_or_b32 exec_lo, exec_lo, s8
	v_mov_b32_e32 v122, 0
	ds_read_b128 v[126:129], v122 offset:288
	s_waitcnt lgkmcnt(0)
	v_mul_f64 v[122:123], v[3:4], v[128:129]
	v_mul_f64 v[128:129], v[1:2], v[128:129]
	v_fma_f64 v[1:2], v[1:2], v[126:127], -v[122:123]
	v_fma_f64 v[3:4], v[3:4], v[126:127], v[128:129]
	buffer_store_dword v2, off, s[0:3], 0 offset:292
	buffer_store_dword v1, off, s[0:3], 0 offset:288
	buffer_store_dword v4, off, s[0:3], 0 offset:300
	buffer_store_dword v3, off, s[0:3], 0 offset:296
.LBB120_591:
	s_or_b32 exec_lo, exec_lo, s4
	v_mov_b32_e32 v4, s45
	s_mov_b32 s4, exec_lo
	s_clause 0x3
	buffer_load_dword v1, v4, s[0:3], 0 offen
	buffer_load_dword v2, v4, s[0:3], 0 offen offset:4
	buffer_load_dword v3, v4, s[0:3], 0 offen offset:8
	;; [unrolled: 1-line block ×3, first 2 shown]
	s_waitcnt vmcnt(0)
	ds_write_b128 v120, v[1:4]
	s_waitcnt lgkmcnt(0)
	s_waitcnt_vscnt null, 0x0
	s_barrier
	buffer_gl0_inv
	v_cmpx_gt_u32_e32 19, v0
	s_cbranch_execz .LBB120_599
; %bb.592:
	ds_read_b128 v[1:4], v120
	v_cmp_ne_u32_e32 vcc_lo, 1, v121
	s_cbranch_vccnz .LBB120_594
; %bb.593:
	s_clause 0x3
	buffer_load_dword v122, v119, s[0:3], 0 offen offset:8
	buffer_load_dword v123, v119, s[0:3], 0 offen offset:12
	buffer_load_dword v126, v119, s[0:3], 0 offen
	buffer_load_dword v127, v119, s[0:3], 0 offen offset:4
	s_waitcnt vmcnt(2) lgkmcnt(0)
	v_mul_f64 v[128:129], v[3:4], v[122:123]
	v_mul_f64 v[122:123], v[1:2], v[122:123]
	s_waitcnt vmcnt(0)
	v_fma_f64 v[1:2], v[1:2], v[126:127], -v[128:129]
	v_fma_f64 v[3:4], v[3:4], v[126:127], v[122:123]
.LBB120_594:
	s_mov_b32 s8, exec_lo
	v_cmpx_ne_u32_e32 18, v0
	s_cbranch_execz .LBB120_598
; %bb.595:
	v_add_nc_u32_e32 v122, 0x3a0, v125
	v_add3_u32 v123, 0, v125, 16
	v_mov_b32_e32 v124, v0
	s_mov_b32 s64, 0
	.p2align	6
.LBB120_596:                            ; =>This Inner Loop Header: Depth=1
	s_clause 0x3
	buffer_load_dword v130, v123, s[0:3], 0 offen offset:8
	buffer_load_dword v131, v123, s[0:3], 0 offen offset:12
	buffer_load_dword v132, v123, s[0:3], 0 offen
	buffer_load_dword v133, v123, s[0:3], 0 offen offset:4
	ds_read_b128 v[126:129], v122
	v_add_nc_u32_e32 v124, 1, v124
	v_add_nc_u32_e32 v122, 16, v122
	;; [unrolled: 1-line block ×3, first 2 shown]
	v_cmp_lt_u32_e32 vcc_lo, 17, v124
	s_or_b32 s64, vcc_lo, s64
	s_waitcnt vmcnt(2) lgkmcnt(0)
	v_mul_f64 v[134:135], v[128:129], v[130:131]
	v_mul_f64 v[130:131], v[126:127], v[130:131]
	s_waitcnt vmcnt(0)
	v_fma_f64 v[126:127], v[126:127], v[132:133], -v[134:135]
	v_fma_f64 v[128:129], v[128:129], v[132:133], v[130:131]
	v_add_f64 v[1:2], v[1:2], v[126:127]
	v_add_f64 v[3:4], v[3:4], v[128:129]
	s_andn2_b32 exec_lo, exec_lo, s64
	s_cbranch_execnz .LBB120_596
; %bb.597:
	s_or_b32 exec_lo, exec_lo, s64
.LBB120_598:
	s_or_b32 exec_lo, exec_lo, s8
	v_mov_b32_e32 v122, 0
	ds_read_b128 v[126:129], v122 offset:304
	s_waitcnt lgkmcnt(0)
	v_mul_f64 v[122:123], v[3:4], v[128:129]
	v_mul_f64 v[128:129], v[1:2], v[128:129]
	v_fma_f64 v[1:2], v[1:2], v[126:127], -v[122:123]
	v_fma_f64 v[3:4], v[3:4], v[126:127], v[128:129]
	buffer_store_dword v2, off, s[0:3], 0 offset:308
	buffer_store_dword v1, off, s[0:3], 0 offset:304
	;; [unrolled: 1-line block ×4, first 2 shown]
.LBB120_599:
	s_or_b32 exec_lo, exec_lo, s4
	v_mov_b32_e32 v4, s44
	s_mov_b32 s4, exec_lo
	s_clause 0x3
	buffer_load_dword v1, v4, s[0:3], 0 offen
	buffer_load_dword v2, v4, s[0:3], 0 offen offset:4
	buffer_load_dword v3, v4, s[0:3], 0 offen offset:8
	;; [unrolled: 1-line block ×3, first 2 shown]
	s_waitcnt vmcnt(0)
	ds_write_b128 v120, v[1:4]
	s_waitcnt lgkmcnt(0)
	s_waitcnt_vscnt null, 0x0
	s_barrier
	buffer_gl0_inv
	v_cmpx_gt_u32_e32 20, v0
	s_cbranch_execz .LBB120_607
; %bb.600:
	ds_read_b128 v[1:4], v120
	v_cmp_ne_u32_e32 vcc_lo, 1, v121
	s_cbranch_vccnz .LBB120_602
; %bb.601:
	s_clause 0x3
	buffer_load_dword v122, v119, s[0:3], 0 offen offset:8
	buffer_load_dword v123, v119, s[0:3], 0 offen offset:12
	buffer_load_dword v126, v119, s[0:3], 0 offen
	buffer_load_dword v127, v119, s[0:3], 0 offen offset:4
	s_waitcnt vmcnt(2) lgkmcnt(0)
	v_mul_f64 v[128:129], v[3:4], v[122:123]
	v_mul_f64 v[122:123], v[1:2], v[122:123]
	s_waitcnt vmcnt(0)
	v_fma_f64 v[1:2], v[1:2], v[126:127], -v[128:129]
	v_fma_f64 v[3:4], v[3:4], v[126:127], v[122:123]
.LBB120_602:
	s_mov_b32 s8, exec_lo
	v_cmpx_ne_u32_e32 19, v0
	s_cbranch_execz .LBB120_606
; %bb.603:
	v_add_nc_u32_e32 v122, 0x3a0, v125
	v_add3_u32 v123, 0, v125, 16
	v_mov_b32_e32 v124, v0
	s_mov_b32 s64, 0
	.p2align	6
.LBB120_604:                            ; =>This Inner Loop Header: Depth=1
	s_clause 0x3
	buffer_load_dword v130, v123, s[0:3], 0 offen offset:8
	buffer_load_dword v131, v123, s[0:3], 0 offen offset:12
	buffer_load_dword v132, v123, s[0:3], 0 offen
	buffer_load_dword v133, v123, s[0:3], 0 offen offset:4
	ds_read_b128 v[126:129], v122
	v_add_nc_u32_e32 v124, 1, v124
	v_add_nc_u32_e32 v122, 16, v122
	;; [unrolled: 1-line block ×3, first 2 shown]
	v_cmp_lt_u32_e32 vcc_lo, 18, v124
	s_or_b32 s64, vcc_lo, s64
	s_waitcnt vmcnt(2) lgkmcnt(0)
	v_mul_f64 v[134:135], v[128:129], v[130:131]
	v_mul_f64 v[130:131], v[126:127], v[130:131]
	s_waitcnt vmcnt(0)
	v_fma_f64 v[126:127], v[126:127], v[132:133], -v[134:135]
	v_fma_f64 v[128:129], v[128:129], v[132:133], v[130:131]
	v_add_f64 v[1:2], v[1:2], v[126:127]
	v_add_f64 v[3:4], v[3:4], v[128:129]
	s_andn2_b32 exec_lo, exec_lo, s64
	s_cbranch_execnz .LBB120_604
; %bb.605:
	s_or_b32 exec_lo, exec_lo, s64
.LBB120_606:
	s_or_b32 exec_lo, exec_lo, s8
	v_mov_b32_e32 v122, 0
	ds_read_b128 v[126:129], v122 offset:320
	s_waitcnt lgkmcnt(0)
	v_mul_f64 v[122:123], v[3:4], v[128:129]
	v_mul_f64 v[128:129], v[1:2], v[128:129]
	v_fma_f64 v[1:2], v[1:2], v[126:127], -v[122:123]
	v_fma_f64 v[3:4], v[3:4], v[126:127], v[128:129]
	buffer_store_dword v2, off, s[0:3], 0 offset:324
	buffer_store_dword v1, off, s[0:3], 0 offset:320
	;; [unrolled: 1-line block ×4, first 2 shown]
.LBB120_607:
	s_or_b32 exec_lo, exec_lo, s4
	v_mov_b32_e32 v4, s43
	s_mov_b32 s4, exec_lo
	s_clause 0x3
	buffer_load_dword v1, v4, s[0:3], 0 offen
	buffer_load_dword v2, v4, s[0:3], 0 offen offset:4
	buffer_load_dword v3, v4, s[0:3], 0 offen offset:8
	;; [unrolled: 1-line block ×3, first 2 shown]
	s_waitcnt vmcnt(0)
	ds_write_b128 v120, v[1:4]
	s_waitcnt lgkmcnt(0)
	s_waitcnt_vscnt null, 0x0
	s_barrier
	buffer_gl0_inv
	v_cmpx_gt_u32_e32 21, v0
	s_cbranch_execz .LBB120_615
; %bb.608:
	ds_read_b128 v[1:4], v120
	v_cmp_ne_u32_e32 vcc_lo, 1, v121
	s_cbranch_vccnz .LBB120_610
; %bb.609:
	s_clause 0x3
	buffer_load_dword v122, v119, s[0:3], 0 offen offset:8
	buffer_load_dword v123, v119, s[0:3], 0 offen offset:12
	buffer_load_dword v126, v119, s[0:3], 0 offen
	buffer_load_dword v127, v119, s[0:3], 0 offen offset:4
	s_waitcnt vmcnt(2) lgkmcnt(0)
	v_mul_f64 v[128:129], v[3:4], v[122:123]
	v_mul_f64 v[122:123], v[1:2], v[122:123]
	s_waitcnt vmcnt(0)
	v_fma_f64 v[1:2], v[1:2], v[126:127], -v[128:129]
	v_fma_f64 v[3:4], v[3:4], v[126:127], v[122:123]
.LBB120_610:
	s_mov_b32 s8, exec_lo
	v_cmpx_ne_u32_e32 20, v0
	s_cbranch_execz .LBB120_614
; %bb.611:
	v_add_nc_u32_e32 v122, 0x3a0, v125
	v_add3_u32 v123, 0, v125, 16
	v_mov_b32_e32 v124, v0
	s_mov_b32 s64, 0
	.p2align	6
.LBB120_612:                            ; =>This Inner Loop Header: Depth=1
	s_clause 0x3
	buffer_load_dword v130, v123, s[0:3], 0 offen offset:8
	buffer_load_dword v131, v123, s[0:3], 0 offen offset:12
	buffer_load_dword v132, v123, s[0:3], 0 offen
	buffer_load_dword v133, v123, s[0:3], 0 offen offset:4
	ds_read_b128 v[126:129], v122
	v_add_nc_u32_e32 v124, 1, v124
	v_add_nc_u32_e32 v122, 16, v122
	;; [unrolled: 1-line block ×3, first 2 shown]
	v_cmp_lt_u32_e32 vcc_lo, 19, v124
	s_or_b32 s64, vcc_lo, s64
	s_waitcnt vmcnt(2) lgkmcnt(0)
	v_mul_f64 v[134:135], v[128:129], v[130:131]
	v_mul_f64 v[130:131], v[126:127], v[130:131]
	s_waitcnt vmcnt(0)
	v_fma_f64 v[126:127], v[126:127], v[132:133], -v[134:135]
	v_fma_f64 v[128:129], v[128:129], v[132:133], v[130:131]
	v_add_f64 v[1:2], v[1:2], v[126:127]
	v_add_f64 v[3:4], v[3:4], v[128:129]
	s_andn2_b32 exec_lo, exec_lo, s64
	s_cbranch_execnz .LBB120_612
; %bb.613:
	s_or_b32 exec_lo, exec_lo, s64
.LBB120_614:
	s_or_b32 exec_lo, exec_lo, s8
	v_mov_b32_e32 v122, 0
	ds_read_b128 v[126:129], v122 offset:336
	s_waitcnt lgkmcnt(0)
	v_mul_f64 v[122:123], v[3:4], v[128:129]
	v_mul_f64 v[128:129], v[1:2], v[128:129]
	v_fma_f64 v[1:2], v[1:2], v[126:127], -v[122:123]
	v_fma_f64 v[3:4], v[3:4], v[126:127], v[128:129]
	buffer_store_dword v2, off, s[0:3], 0 offset:340
	buffer_store_dword v1, off, s[0:3], 0 offset:336
	;; [unrolled: 1-line block ×4, first 2 shown]
.LBB120_615:
	s_or_b32 exec_lo, exec_lo, s4
	v_mov_b32_e32 v4, s42
	s_mov_b32 s4, exec_lo
	s_clause 0x3
	buffer_load_dword v1, v4, s[0:3], 0 offen
	buffer_load_dword v2, v4, s[0:3], 0 offen offset:4
	buffer_load_dword v3, v4, s[0:3], 0 offen offset:8
	;; [unrolled: 1-line block ×3, first 2 shown]
	s_waitcnt vmcnt(0)
	ds_write_b128 v120, v[1:4]
	s_waitcnt lgkmcnt(0)
	s_waitcnt_vscnt null, 0x0
	s_barrier
	buffer_gl0_inv
	v_cmpx_gt_u32_e32 22, v0
	s_cbranch_execz .LBB120_623
; %bb.616:
	ds_read_b128 v[1:4], v120
	v_cmp_ne_u32_e32 vcc_lo, 1, v121
	s_cbranch_vccnz .LBB120_618
; %bb.617:
	s_clause 0x3
	buffer_load_dword v122, v119, s[0:3], 0 offen offset:8
	buffer_load_dword v123, v119, s[0:3], 0 offen offset:12
	buffer_load_dword v126, v119, s[0:3], 0 offen
	buffer_load_dword v127, v119, s[0:3], 0 offen offset:4
	s_waitcnt vmcnt(2) lgkmcnt(0)
	v_mul_f64 v[128:129], v[3:4], v[122:123]
	v_mul_f64 v[122:123], v[1:2], v[122:123]
	s_waitcnt vmcnt(0)
	v_fma_f64 v[1:2], v[1:2], v[126:127], -v[128:129]
	v_fma_f64 v[3:4], v[3:4], v[126:127], v[122:123]
.LBB120_618:
	s_mov_b32 s8, exec_lo
	v_cmpx_ne_u32_e32 21, v0
	s_cbranch_execz .LBB120_622
; %bb.619:
	v_add_nc_u32_e32 v122, 0x3a0, v125
	v_add3_u32 v123, 0, v125, 16
	v_mov_b32_e32 v124, v0
	s_mov_b32 s64, 0
	.p2align	6
.LBB120_620:                            ; =>This Inner Loop Header: Depth=1
	s_clause 0x3
	buffer_load_dword v130, v123, s[0:3], 0 offen offset:8
	buffer_load_dword v131, v123, s[0:3], 0 offen offset:12
	buffer_load_dword v132, v123, s[0:3], 0 offen
	buffer_load_dword v133, v123, s[0:3], 0 offen offset:4
	ds_read_b128 v[126:129], v122
	v_add_nc_u32_e32 v124, 1, v124
	v_add_nc_u32_e32 v122, 16, v122
	;; [unrolled: 1-line block ×3, first 2 shown]
	v_cmp_lt_u32_e32 vcc_lo, 20, v124
	s_or_b32 s64, vcc_lo, s64
	s_waitcnt vmcnt(2) lgkmcnt(0)
	v_mul_f64 v[134:135], v[128:129], v[130:131]
	v_mul_f64 v[130:131], v[126:127], v[130:131]
	s_waitcnt vmcnt(0)
	v_fma_f64 v[126:127], v[126:127], v[132:133], -v[134:135]
	v_fma_f64 v[128:129], v[128:129], v[132:133], v[130:131]
	v_add_f64 v[1:2], v[1:2], v[126:127]
	v_add_f64 v[3:4], v[3:4], v[128:129]
	s_andn2_b32 exec_lo, exec_lo, s64
	s_cbranch_execnz .LBB120_620
; %bb.621:
	s_or_b32 exec_lo, exec_lo, s64
.LBB120_622:
	s_or_b32 exec_lo, exec_lo, s8
	v_mov_b32_e32 v122, 0
	ds_read_b128 v[126:129], v122 offset:352
	s_waitcnt lgkmcnt(0)
	v_mul_f64 v[122:123], v[3:4], v[128:129]
	v_mul_f64 v[128:129], v[1:2], v[128:129]
	v_fma_f64 v[1:2], v[1:2], v[126:127], -v[122:123]
	v_fma_f64 v[3:4], v[3:4], v[126:127], v[128:129]
	buffer_store_dword v2, off, s[0:3], 0 offset:356
	buffer_store_dword v1, off, s[0:3], 0 offset:352
	;; [unrolled: 1-line block ×4, first 2 shown]
.LBB120_623:
	s_or_b32 exec_lo, exec_lo, s4
	v_mov_b32_e32 v4, s41
	s_mov_b32 s4, exec_lo
	s_clause 0x3
	buffer_load_dword v1, v4, s[0:3], 0 offen
	buffer_load_dword v2, v4, s[0:3], 0 offen offset:4
	buffer_load_dword v3, v4, s[0:3], 0 offen offset:8
	;; [unrolled: 1-line block ×3, first 2 shown]
	s_waitcnt vmcnt(0)
	ds_write_b128 v120, v[1:4]
	s_waitcnt lgkmcnt(0)
	s_waitcnt_vscnt null, 0x0
	s_barrier
	buffer_gl0_inv
	v_cmpx_gt_u32_e32 23, v0
	s_cbranch_execz .LBB120_631
; %bb.624:
	ds_read_b128 v[1:4], v120
	v_cmp_ne_u32_e32 vcc_lo, 1, v121
	s_cbranch_vccnz .LBB120_626
; %bb.625:
	s_clause 0x3
	buffer_load_dword v122, v119, s[0:3], 0 offen offset:8
	buffer_load_dword v123, v119, s[0:3], 0 offen offset:12
	buffer_load_dword v126, v119, s[0:3], 0 offen
	buffer_load_dword v127, v119, s[0:3], 0 offen offset:4
	s_waitcnt vmcnt(2) lgkmcnt(0)
	v_mul_f64 v[128:129], v[3:4], v[122:123]
	v_mul_f64 v[122:123], v[1:2], v[122:123]
	s_waitcnt vmcnt(0)
	v_fma_f64 v[1:2], v[1:2], v[126:127], -v[128:129]
	v_fma_f64 v[3:4], v[3:4], v[126:127], v[122:123]
.LBB120_626:
	s_mov_b32 s8, exec_lo
	v_cmpx_ne_u32_e32 22, v0
	s_cbranch_execz .LBB120_630
; %bb.627:
	v_add_nc_u32_e32 v122, 0x3a0, v125
	v_add3_u32 v123, 0, v125, 16
	v_mov_b32_e32 v124, v0
	s_mov_b32 s64, 0
	.p2align	6
.LBB120_628:                            ; =>This Inner Loop Header: Depth=1
	s_clause 0x3
	buffer_load_dword v130, v123, s[0:3], 0 offen offset:8
	buffer_load_dword v131, v123, s[0:3], 0 offen offset:12
	buffer_load_dword v132, v123, s[0:3], 0 offen
	buffer_load_dword v133, v123, s[0:3], 0 offen offset:4
	ds_read_b128 v[126:129], v122
	v_add_nc_u32_e32 v124, 1, v124
	v_add_nc_u32_e32 v122, 16, v122
	;; [unrolled: 1-line block ×3, first 2 shown]
	v_cmp_lt_u32_e32 vcc_lo, 21, v124
	s_or_b32 s64, vcc_lo, s64
	s_waitcnt vmcnt(2) lgkmcnt(0)
	v_mul_f64 v[134:135], v[128:129], v[130:131]
	v_mul_f64 v[130:131], v[126:127], v[130:131]
	s_waitcnt vmcnt(0)
	v_fma_f64 v[126:127], v[126:127], v[132:133], -v[134:135]
	v_fma_f64 v[128:129], v[128:129], v[132:133], v[130:131]
	v_add_f64 v[1:2], v[1:2], v[126:127]
	v_add_f64 v[3:4], v[3:4], v[128:129]
	s_andn2_b32 exec_lo, exec_lo, s64
	s_cbranch_execnz .LBB120_628
; %bb.629:
	s_or_b32 exec_lo, exec_lo, s64
.LBB120_630:
	s_or_b32 exec_lo, exec_lo, s8
	v_mov_b32_e32 v122, 0
	ds_read_b128 v[126:129], v122 offset:368
	s_waitcnt lgkmcnt(0)
	v_mul_f64 v[122:123], v[3:4], v[128:129]
	v_mul_f64 v[128:129], v[1:2], v[128:129]
	v_fma_f64 v[1:2], v[1:2], v[126:127], -v[122:123]
	v_fma_f64 v[3:4], v[3:4], v[126:127], v[128:129]
	buffer_store_dword v2, off, s[0:3], 0 offset:372
	buffer_store_dword v1, off, s[0:3], 0 offset:368
	;; [unrolled: 1-line block ×4, first 2 shown]
.LBB120_631:
	s_or_b32 exec_lo, exec_lo, s4
	v_mov_b32_e32 v4, s40
	s_mov_b32 s4, exec_lo
	s_clause 0x3
	buffer_load_dword v1, v4, s[0:3], 0 offen
	buffer_load_dword v2, v4, s[0:3], 0 offen offset:4
	buffer_load_dword v3, v4, s[0:3], 0 offen offset:8
	;; [unrolled: 1-line block ×3, first 2 shown]
	s_waitcnt vmcnt(0)
	ds_write_b128 v120, v[1:4]
	s_waitcnt lgkmcnt(0)
	s_waitcnt_vscnt null, 0x0
	s_barrier
	buffer_gl0_inv
	v_cmpx_gt_u32_e32 24, v0
	s_cbranch_execz .LBB120_639
; %bb.632:
	ds_read_b128 v[1:4], v120
	v_cmp_ne_u32_e32 vcc_lo, 1, v121
	s_cbranch_vccnz .LBB120_634
; %bb.633:
	s_clause 0x3
	buffer_load_dword v122, v119, s[0:3], 0 offen offset:8
	buffer_load_dword v123, v119, s[0:3], 0 offen offset:12
	buffer_load_dword v126, v119, s[0:3], 0 offen
	buffer_load_dword v127, v119, s[0:3], 0 offen offset:4
	s_waitcnt vmcnt(2) lgkmcnt(0)
	v_mul_f64 v[128:129], v[3:4], v[122:123]
	v_mul_f64 v[122:123], v[1:2], v[122:123]
	s_waitcnt vmcnt(0)
	v_fma_f64 v[1:2], v[1:2], v[126:127], -v[128:129]
	v_fma_f64 v[3:4], v[3:4], v[126:127], v[122:123]
.LBB120_634:
	s_mov_b32 s8, exec_lo
	v_cmpx_ne_u32_e32 23, v0
	s_cbranch_execz .LBB120_638
; %bb.635:
	v_add_nc_u32_e32 v122, 0x3a0, v125
	v_add3_u32 v123, 0, v125, 16
	v_mov_b32_e32 v124, v0
	s_mov_b32 s64, 0
	.p2align	6
.LBB120_636:                            ; =>This Inner Loop Header: Depth=1
	s_clause 0x3
	buffer_load_dword v130, v123, s[0:3], 0 offen offset:8
	buffer_load_dword v131, v123, s[0:3], 0 offen offset:12
	buffer_load_dword v132, v123, s[0:3], 0 offen
	buffer_load_dword v133, v123, s[0:3], 0 offen offset:4
	ds_read_b128 v[126:129], v122
	v_add_nc_u32_e32 v124, 1, v124
	v_add_nc_u32_e32 v122, 16, v122
	;; [unrolled: 1-line block ×3, first 2 shown]
	v_cmp_lt_u32_e32 vcc_lo, 22, v124
	s_or_b32 s64, vcc_lo, s64
	s_waitcnt vmcnt(2) lgkmcnt(0)
	v_mul_f64 v[134:135], v[128:129], v[130:131]
	v_mul_f64 v[130:131], v[126:127], v[130:131]
	s_waitcnt vmcnt(0)
	v_fma_f64 v[126:127], v[126:127], v[132:133], -v[134:135]
	v_fma_f64 v[128:129], v[128:129], v[132:133], v[130:131]
	v_add_f64 v[1:2], v[1:2], v[126:127]
	v_add_f64 v[3:4], v[3:4], v[128:129]
	s_andn2_b32 exec_lo, exec_lo, s64
	s_cbranch_execnz .LBB120_636
; %bb.637:
	s_or_b32 exec_lo, exec_lo, s64
.LBB120_638:
	s_or_b32 exec_lo, exec_lo, s8
	v_mov_b32_e32 v122, 0
	ds_read_b128 v[126:129], v122 offset:384
	s_waitcnt lgkmcnt(0)
	v_mul_f64 v[122:123], v[3:4], v[128:129]
	v_mul_f64 v[128:129], v[1:2], v[128:129]
	v_fma_f64 v[1:2], v[1:2], v[126:127], -v[122:123]
	v_fma_f64 v[3:4], v[3:4], v[126:127], v[128:129]
	buffer_store_dword v2, off, s[0:3], 0 offset:388
	buffer_store_dword v1, off, s[0:3], 0 offset:384
	;; [unrolled: 1-line block ×4, first 2 shown]
.LBB120_639:
	s_or_b32 exec_lo, exec_lo, s4
	v_mov_b32_e32 v4, s39
	s_mov_b32 s4, exec_lo
	s_clause 0x3
	buffer_load_dword v1, v4, s[0:3], 0 offen
	buffer_load_dword v2, v4, s[0:3], 0 offen offset:4
	buffer_load_dword v3, v4, s[0:3], 0 offen offset:8
	;; [unrolled: 1-line block ×3, first 2 shown]
	s_waitcnt vmcnt(0)
	ds_write_b128 v120, v[1:4]
	s_waitcnt lgkmcnt(0)
	s_waitcnt_vscnt null, 0x0
	s_barrier
	buffer_gl0_inv
	v_cmpx_gt_u32_e32 25, v0
	s_cbranch_execz .LBB120_647
; %bb.640:
	ds_read_b128 v[1:4], v120
	v_cmp_ne_u32_e32 vcc_lo, 1, v121
	s_cbranch_vccnz .LBB120_642
; %bb.641:
	s_clause 0x3
	buffer_load_dword v122, v119, s[0:3], 0 offen offset:8
	buffer_load_dword v123, v119, s[0:3], 0 offen offset:12
	buffer_load_dword v126, v119, s[0:3], 0 offen
	buffer_load_dword v127, v119, s[0:3], 0 offen offset:4
	s_waitcnt vmcnt(2) lgkmcnt(0)
	v_mul_f64 v[128:129], v[3:4], v[122:123]
	v_mul_f64 v[122:123], v[1:2], v[122:123]
	s_waitcnt vmcnt(0)
	v_fma_f64 v[1:2], v[1:2], v[126:127], -v[128:129]
	v_fma_f64 v[3:4], v[3:4], v[126:127], v[122:123]
.LBB120_642:
	s_mov_b32 s8, exec_lo
	v_cmpx_ne_u32_e32 24, v0
	s_cbranch_execz .LBB120_646
; %bb.643:
	v_add_nc_u32_e32 v122, 0x3a0, v125
	v_add3_u32 v123, 0, v125, 16
	v_mov_b32_e32 v124, v0
	s_mov_b32 s64, 0
	.p2align	6
.LBB120_644:                            ; =>This Inner Loop Header: Depth=1
	s_clause 0x3
	buffer_load_dword v130, v123, s[0:3], 0 offen offset:8
	buffer_load_dword v131, v123, s[0:3], 0 offen offset:12
	buffer_load_dword v132, v123, s[0:3], 0 offen
	buffer_load_dword v133, v123, s[0:3], 0 offen offset:4
	ds_read_b128 v[126:129], v122
	v_add_nc_u32_e32 v124, 1, v124
	v_add_nc_u32_e32 v122, 16, v122
	;; [unrolled: 1-line block ×3, first 2 shown]
	v_cmp_lt_u32_e32 vcc_lo, 23, v124
	s_or_b32 s64, vcc_lo, s64
	s_waitcnt vmcnt(2) lgkmcnt(0)
	v_mul_f64 v[134:135], v[128:129], v[130:131]
	v_mul_f64 v[130:131], v[126:127], v[130:131]
	s_waitcnt vmcnt(0)
	v_fma_f64 v[126:127], v[126:127], v[132:133], -v[134:135]
	v_fma_f64 v[128:129], v[128:129], v[132:133], v[130:131]
	v_add_f64 v[1:2], v[1:2], v[126:127]
	v_add_f64 v[3:4], v[3:4], v[128:129]
	s_andn2_b32 exec_lo, exec_lo, s64
	s_cbranch_execnz .LBB120_644
; %bb.645:
	s_or_b32 exec_lo, exec_lo, s64
.LBB120_646:
	s_or_b32 exec_lo, exec_lo, s8
	v_mov_b32_e32 v122, 0
	ds_read_b128 v[126:129], v122 offset:400
	s_waitcnt lgkmcnt(0)
	v_mul_f64 v[122:123], v[3:4], v[128:129]
	v_mul_f64 v[128:129], v[1:2], v[128:129]
	v_fma_f64 v[1:2], v[1:2], v[126:127], -v[122:123]
	v_fma_f64 v[3:4], v[3:4], v[126:127], v[128:129]
	buffer_store_dword v2, off, s[0:3], 0 offset:404
	buffer_store_dword v1, off, s[0:3], 0 offset:400
	;; [unrolled: 1-line block ×4, first 2 shown]
.LBB120_647:
	s_or_b32 exec_lo, exec_lo, s4
	v_mov_b32_e32 v4, s38
	s_mov_b32 s4, exec_lo
	s_clause 0x3
	buffer_load_dword v1, v4, s[0:3], 0 offen
	buffer_load_dword v2, v4, s[0:3], 0 offen offset:4
	buffer_load_dword v3, v4, s[0:3], 0 offen offset:8
	;; [unrolled: 1-line block ×3, first 2 shown]
	s_waitcnt vmcnt(0)
	ds_write_b128 v120, v[1:4]
	s_waitcnt lgkmcnt(0)
	s_waitcnt_vscnt null, 0x0
	s_barrier
	buffer_gl0_inv
	v_cmpx_gt_u32_e32 26, v0
	s_cbranch_execz .LBB120_655
; %bb.648:
	ds_read_b128 v[1:4], v120
	v_cmp_ne_u32_e32 vcc_lo, 1, v121
	s_cbranch_vccnz .LBB120_650
; %bb.649:
	s_clause 0x3
	buffer_load_dword v122, v119, s[0:3], 0 offen offset:8
	buffer_load_dword v123, v119, s[0:3], 0 offen offset:12
	buffer_load_dword v126, v119, s[0:3], 0 offen
	buffer_load_dword v127, v119, s[0:3], 0 offen offset:4
	s_waitcnt vmcnt(2) lgkmcnt(0)
	v_mul_f64 v[128:129], v[3:4], v[122:123]
	v_mul_f64 v[122:123], v[1:2], v[122:123]
	s_waitcnt vmcnt(0)
	v_fma_f64 v[1:2], v[1:2], v[126:127], -v[128:129]
	v_fma_f64 v[3:4], v[3:4], v[126:127], v[122:123]
.LBB120_650:
	s_mov_b32 s8, exec_lo
	v_cmpx_ne_u32_e32 25, v0
	s_cbranch_execz .LBB120_654
; %bb.651:
	v_add_nc_u32_e32 v122, 0x3a0, v125
	v_add3_u32 v123, 0, v125, 16
	v_mov_b32_e32 v124, v0
	s_mov_b32 s64, 0
	.p2align	6
.LBB120_652:                            ; =>This Inner Loop Header: Depth=1
	s_clause 0x3
	buffer_load_dword v130, v123, s[0:3], 0 offen offset:8
	buffer_load_dword v131, v123, s[0:3], 0 offen offset:12
	buffer_load_dword v132, v123, s[0:3], 0 offen
	buffer_load_dword v133, v123, s[0:3], 0 offen offset:4
	ds_read_b128 v[126:129], v122
	v_add_nc_u32_e32 v124, 1, v124
	v_add_nc_u32_e32 v122, 16, v122
	;; [unrolled: 1-line block ×3, first 2 shown]
	v_cmp_lt_u32_e32 vcc_lo, 24, v124
	s_or_b32 s64, vcc_lo, s64
	s_waitcnt vmcnt(2) lgkmcnt(0)
	v_mul_f64 v[134:135], v[128:129], v[130:131]
	v_mul_f64 v[130:131], v[126:127], v[130:131]
	s_waitcnt vmcnt(0)
	v_fma_f64 v[126:127], v[126:127], v[132:133], -v[134:135]
	v_fma_f64 v[128:129], v[128:129], v[132:133], v[130:131]
	v_add_f64 v[1:2], v[1:2], v[126:127]
	v_add_f64 v[3:4], v[3:4], v[128:129]
	s_andn2_b32 exec_lo, exec_lo, s64
	s_cbranch_execnz .LBB120_652
; %bb.653:
	s_or_b32 exec_lo, exec_lo, s64
.LBB120_654:
	s_or_b32 exec_lo, exec_lo, s8
	v_mov_b32_e32 v122, 0
	ds_read_b128 v[126:129], v122 offset:416
	s_waitcnt lgkmcnt(0)
	v_mul_f64 v[122:123], v[3:4], v[128:129]
	v_mul_f64 v[128:129], v[1:2], v[128:129]
	v_fma_f64 v[1:2], v[1:2], v[126:127], -v[122:123]
	v_fma_f64 v[3:4], v[3:4], v[126:127], v[128:129]
	buffer_store_dword v2, off, s[0:3], 0 offset:420
	buffer_store_dword v1, off, s[0:3], 0 offset:416
	;; [unrolled: 1-line block ×4, first 2 shown]
.LBB120_655:
	s_or_b32 exec_lo, exec_lo, s4
	v_mov_b32_e32 v4, s37
	s_mov_b32 s4, exec_lo
	s_clause 0x3
	buffer_load_dword v1, v4, s[0:3], 0 offen
	buffer_load_dword v2, v4, s[0:3], 0 offen offset:4
	buffer_load_dword v3, v4, s[0:3], 0 offen offset:8
	;; [unrolled: 1-line block ×3, first 2 shown]
	s_waitcnt vmcnt(0)
	ds_write_b128 v120, v[1:4]
	s_waitcnt lgkmcnt(0)
	s_waitcnt_vscnt null, 0x0
	s_barrier
	buffer_gl0_inv
	v_cmpx_gt_u32_e32 27, v0
	s_cbranch_execz .LBB120_663
; %bb.656:
	ds_read_b128 v[1:4], v120
	v_cmp_ne_u32_e32 vcc_lo, 1, v121
	s_cbranch_vccnz .LBB120_658
; %bb.657:
	s_clause 0x3
	buffer_load_dword v122, v119, s[0:3], 0 offen offset:8
	buffer_load_dword v123, v119, s[0:3], 0 offen offset:12
	buffer_load_dword v126, v119, s[0:3], 0 offen
	buffer_load_dword v127, v119, s[0:3], 0 offen offset:4
	s_waitcnt vmcnt(2) lgkmcnt(0)
	v_mul_f64 v[128:129], v[3:4], v[122:123]
	v_mul_f64 v[122:123], v[1:2], v[122:123]
	s_waitcnt vmcnt(0)
	v_fma_f64 v[1:2], v[1:2], v[126:127], -v[128:129]
	v_fma_f64 v[3:4], v[3:4], v[126:127], v[122:123]
.LBB120_658:
	s_mov_b32 s8, exec_lo
	v_cmpx_ne_u32_e32 26, v0
	s_cbranch_execz .LBB120_662
; %bb.659:
	v_add_nc_u32_e32 v122, 0x3a0, v125
	v_add3_u32 v123, 0, v125, 16
	v_mov_b32_e32 v124, v0
	s_mov_b32 s64, 0
	.p2align	6
.LBB120_660:                            ; =>This Inner Loop Header: Depth=1
	s_clause 0x3
	buffer_load_dword v130, v123, s[0:3], 0 offen offset:8
	buffer_load_dword v131, v123, s[0:3], 0 offen offset:12
	buffer_load_dword v132, v123, s[0:3], 0 offen
	buffer_load_dword v133, v123, s[0:3], 0 offen offset:4
	ds_read_b128 v[126:129], v122
	v_add_nc_u32_e32 v124, 1, v124
	v_add_nc_u32_e32 v122, 16, v122
	;; [unrolled: 1-line block ×3, first 2 shown]
	v_cmp_lt_u32_e32 vcc_lo, 25, v124
	s_or_b32 s64, vcc_lo, s64
	s_waitcnt vmcnt(2) lgkmcnt(0)
	v_mul_f64 v[134:135], v[128:129], v[130:131]
	v_mul_f64 v[130:131], v[126:127], v[130:131]
	s_waitcnt vmcnt(0)
	v_fma_f64 v[126:127], v[126:127], v[132:133], -v[134:135]
	v_fma_f64 v[128:129], v[128:129], v[132:133], v[130:131]
	v_add_f64 v[1:2], v[1:2], v[126:127]
	v_add_f64 v[3:4], v[3:4], v[128:129]
	s_andn2_b32 exec_lo, exec_lo, s64
	s_cbranch_execnz .LBB120_660
; %bb.661:
	s_or_b32 exec_lo, exec_lo, s64
.LBB120_662:
	s_or_b32 exec_lo, exec_lo, s8
	v_mov_b32_e32 v122, 0
	ds_read_b128 v[126:129], v122 offset:432
	s_waitcnt lgkmcnt(0)
	v_mul_f64 v[122:123], v[3:4], v[128:129]
	v_mul_f64 v[128:129], v[1:2], v[128:129]
	v_fma_f64 v[1:2], v[1:2], v[126:127], -v[122:123]
	v_fma_f64 v[3:4], v[3:4], v[126:127], v[128:129]
	buffer_store_dword v2, off, s[0:3], 0 offset:436
	buffer_store_dword v1, off, s[0:3], 0 offset:432
	;; [unrolled: 1-line block ×4, first 2 shown]
.LBB120_663:
	s_or_b32 exec_lo, exec_lo, s4
	v_mov_b32_e32 v4, s36
	s_mov_b32 s4, exec_lo
	s_clause 0x3
	buffer_load_dword v1, v4, s[0:3], 0 offen
	buffer_load_dword v2, v4, s[0:3], 0 offen offset:4
	buffer_load_dword v3, v4, s[0:3], 0 offen offset:8
	;; [unrolled: 1-line block ×3, first 2 shown]
	s_waitcnt vmcnt(0)
	ds_write_b128 v120, v[1:4]
	s_waitcnt lgkmcnt(0)
	s_waitcnt_vscnt null, 0x0
	s_barrier
	buffer_gl0_inv
	v_cmpx_gt_u32_e32 28, v0
	s_cbranch_execz .LBB120_671
; %bb.664:
	ds_read_b128 v[1:4], v120
	v_cmp_ne_u32_e32 vcc_lo, 1, v121
	s_cbranch_vccnz .LBB120_666
; %bb.665:
	s_clause 0x3
	buffer_load_dword v122, v119, s[0:3], 0 offen offset:8
	buffer_load_dword v123, v119, s[0:3], 0 offen offset:12
	buffer_load_dword v126, v119, s[0:3], 0 offen
	buffer_load_dword v127, v119, s[0:3], 0 offen offset:4
	s_waitcnt vmcnt(2) lgkmcnt(0)
	v_mul_f64 v[128:129], v[3:4], v[122:123]
	v_mul_f64 v[122:123], v[1:2], v[122:123]
	s_waitcnt vmcnt(0)
	v_fma_f64 v[1:2], v[1:2], v[126:127], -v[128:129]
	v_fma_f64 v[3:4], v[3:4], v[126:127], v[122:123]
.LBB120_666:
	s_mov_b32 s8, exec_lo
	v_cmpx_ne_u32_e32 27, v0
	s_cbranch_execz .LBB120_670
; %bb.667:
	v_add_nc_u32_e32 v122, 0x3a0, v125
	v_add3_u32 v123, 0, v125, 16
	v_mov_b32_e32 v124, v0
	s_mov_b32 s64, 0
	.p2align	6
.LBB120_668:                            ; =>This Inner Loop Header: Depth=1
	s_clause 0x3
	buffer_load_dword v130, v123, s[0:3], 0 offen offset:8
	buffer_load_dword v131, v123, s[0:3], 0 offen offset:12
	buffer_load_dword v132, v123, s[0:3], 0 offen
	buffer_load_dword v133, v123, s[0:3], 0 offen offset:4
	ds_read_b128 v[126:129], v122
	v_add_nc_u32_e32 v124, 1, v124
	v_add_nc_u32_e32 v122, 16, v122
	;; [unrolled: 1-line block ×3, first 2 shown]
	v_cmp_lt_u32_e32 vcc_lo, 26, v124
	s_or_b32 s64, vcc_lo, s64
	s_waitcnt vmcnt(2) lgkmcnt(0)
	v_mul_f64 v[134:135], v[128:129], v[130:131]
	v_mul_f64 v[130:131], v[126:127], v[130:131]
	s_waitcnt vmcnt(0)
	v_fma_f64 v[126:127], v[126:127], v[132:133], -v[134:135]
	v_fma_f64 v[128:129], v[128:129], v[132:133], v[130:131]
	v_add_f64 v[1:2], v[1:2], v[126:127]
	v_add_f64 v[3:4], v[3:4], v[128:129]
	s_andn2_b32 exec_lo, exec_lo, s64
	s_cbranch_execnz .LBB120_668
; %bb.669:
	s_or_b32 exec_lo, exec_lo, s64
.LBB120_670:
	s_or_b32 exec_lo, exec_lo, s8
	v_mov_b32_e32 v122, 0
	ds_read_b128 v[126:129], v122 offset:448
	s_waitcnt lgkmcnt(0)
	v_mul_f64 v[122:123], v[3:4], v[128:129]
	v_mul_f64 v[128:129], v[1:2], v[128:129]
	v_fma_f64 v[1:2], v[1:2], v[126:127], -v[122:123]
	v_fma_f64 v[3:4], v[3:4], v[126:127], v[128:129]
	buffer_store_dword v2, off, s[0:3], 0 offset:452
	buffer_store_dword v1, off, s[0:3], 0 offset:448
	;; [unrolled: 1-line block ×4, first 2 shown]
.LBB120_671:
	s_or_b32 exec_lo, exec_lo, s4
	v_mov_b32_e32 v4, s35
	s_mov_b32 s4, exec_lo
	s_clause 0x3
	buffer_load_dword v1, v4, s[0:3], 0 offen
	buffer_load_dword v2, v4, s[0:3], 0 offen offset:4
	buffer_load_dword v3, v4, s[0:3], 0 offen offset:8
	;; [unrolled: 1-line block ×3, first 2 shown]
	s_waitcnt vmcnt(0)
	ds_write_b128 v120, v[1:4]
	s_waitcnt lgkmcnt(0)
	s_waitcnt_vscnt null, 0x0
	s_barrier
	buffer_gl0_inv
	v_cmpx_gt_u32_e32 29, v0
	s_cbranch_execz .LBB120_679
; %bb.672:
	ds_read_b128 v[1:4], v120
	v_cmp_ne_u32_e32 vcc_lo, 1, v121
	s_cbranch_vccnz .LBB120_674
; %bb.673:
	s_clause 0x3
	buffer_load_dword v122, v119, s[0:3], 0 offen offset:8
	buffer_load_dword v123, v119, s[0:3], 0 offen offset:12
	buffer_load_dword v126, v119, s[0:3], 0 offen
	buffer_load_dword v127, v119, s[0:3], 0 offen offset:4
	s_waitcnt vmcnt(2) lgkmcnt(0)
	v_mul_f64 v[128:129], v[3:4], v[122:123]
	v_mul_f64 v[122:123], v[1:2], v[122:123]
	s_waitcnt vmcnt(0)
	v_fma_f64 v[1:2], v[1:2], v[126:127], -v[128:129]
	v_fma_f64 v[3:4], v[3:4], v[126:127], v[122:123]
.LBB120_674:
	s_mov_b32 s8, exec_lo
	v_cmpx_ne_u32_e32 28, v0
	s_cbranch_execz .LBB120_678
; %bb.675:
	v_add_nc_u32_e32 v122, 0x3a0, v125
	v_add3_u32 v123, 0, v125, 16
	v_mov_b32_e32 v124, v0
	s_mov_b32 s64, 0
	.p2align	6
.LBB120_676:                            ; =>This Inner Loop Header: Depth=1
	s_clause 0x3
	buffer_load_dword v130, v123, s[0:3], 0 offen offset:8
	buffer_load_dword v131, v123, s[0:3], 0 offen offset:12
	buffer_load_dword v132, v123, s[0:3], 0 offen
	buffer_load_dword v133, v123, s[0:3], 0 offen offset:4
	ds_read_b128 v[126:129], v122
	v_add_nc_u32_e32 v124, 1, v124
	v_add_nc_u32_e32 v122, 16, v122
	;; [unrolled: 1-line block ×3, first 2 shown]
	v_cmp_lt_u32_e32 vcc_lo, 27, v124
	s_or_b32 s64, vcc_lo, s64
	s_waitcnt vmcnt(2) lgkmcnt(0)
	v_mul_f64 v[134:135], v[128:129], v[130:131]
	v_mul_f64 v[130:131], v[126:127], v[130:131]
	s_waitcnt vmcnt(0)
	v_fma_f64 v[126:127], v[126:127], v[132:133], -v[134:135]
	v_fma_f64 v[128:129], v[128:129], v[132:133], v[130:131]
	v_add_f64 v[1:2], v[1:2], v[126:127]
	v_add_f64 v[3:4], v[3:4], v[128:129]
	s_andn2_b32 exec_lo, exec_lo, s64
	s_cbranch_execnz .LBB120_676
; %bb.677:
	s_or_b32 exec_lo, exec_lo, s64
.LBB120_678:
	s_or_b32 exec_lo, exec_lo, s8
	v_mov_b32_e32 v122, 0
	ds_read_b128 v[126:129], v122 offset:464
	s_waitcnt lgkmcnt(0)
	v_mul_f64 v[122:123], v[3:4], v[128:129]
	v_mul_f64 v[128:129], v[1:2], v[128:129]
	v_fma_f64 v[1:2], v[1:2], v[126:127], -v[122:123]
	v_fma_f64 v[3:4], v[3:4], v[126:127], v[128:129]
	buffer_store_dword v2, off, s[0:3], 0 offset:468
	buffer_store_dword v1, off, s[0:3], 0 offset:464
	;; [unrolled: 1-line block ×4, first 2 shown]
.LBB120_679:
	s_or_b32 exec_lo, exec_lo, s4
	v_mov_b32_e32 v4, s34
	s_mov_b32 s4, exec_lo
	s_clause 0x3
	buffer_load_dword v1, v4, s[0:3], 0 offen
	buffer_load_dword v2, v4, s[0:3], 0 offen offset:4
	buffer_load_dword v3, v4, s[0:3], 0 offen offset:8
	;; [unrolled: 1-line block ×3, first 2 shown]
	s_waitcnt vmcnt(0)
	ds_write_b128 v120, v[1:4]
	s_waitcnt lgkmcnt(0)
	s_waitcnt_vscnt null, 0x0
	s_barrier
	buffer_gl0_inv
	v_cmpx_gt_u32_e32 30, v0
	s_cbranch_execz .LBB120_687
; %bb.680:
	ds_read_b128 v[1:4], v120
	v_cmp_ne_u32_e32 vcc_lo, 1, v121
	s_cbranch_vccnz .LBB120_682
; %bb.681:
	s_clause 0x3
	buffer_load_dword v122, v119, s[0:3], 0 offen offset:8
	buffer_load_dword v123, v119, s[0:3], 0 offen offset:12
	buffer_load_dword v126, v119, s[0:3], 0 offen
	buffer_load_dword v127, v119, s[0:3], 0 offen offset:4
	s_waitcnt vmcnt(2) lgkmcnt(0)
	v_mul_f64 v[128:129], v[3:4], v[122:123]
	v_mul_f64 v[122:123], v[1:2], v[122:123]
	s_waitcnt vmcnt(0)
	v_fma_f64 v[1:2], v[1:2], v[126:127], -v[128:129]
	v_fma_f64 v[3:4], v[3:4], v[126:127], v[122:123]
.LBB120_682:
	s_mov_b32 s8, exec_lo
	v_cmpx_ne_u32_e32 29, v0
	s_cbranch_execz .LBB120_686
; %bb.683:
	v_add_nc_u32_e32 v122, 0x3a0, v125
	v_add3_u32 v123, 0, v125, 16
	v_mov_b32_e32 v124, v0
	s_mov_b32 s64, 0
	.p2align	6
.LBB120_684:                            ; =>This Inner Loop Header: Depth=1
	s_clause 0x3
	buffer_load_dword v130, v123, s[0:3], 0 offen offset:8
	buffer_load_dword v131, v123, s[0:3], 0 offen offset:12
	buffer_load_dword v132, v123, s[0:3], 0 offen
	buffer_load_dword v133, v123, s[0:3], 0 offen offset:4
	ds_read_b128 v[126:129], v122
	v_add_nc_u32_e32 v124, 1, v124
	v_add_nc_u32_e32 v122, 16, v122
	;; [unrolled: 1-line block ×3, first 2 shown]
	v_cmp_lt_u32_e32 vcc_lo, 28, v124
	s_or_b32 s64, vcc_lo, s64
	s_waitcnt vmcnt(2) lgkmcnt(0)
	v_mul_f64 v[134:135], v[128:129], v[130:131]
	v_mul_f64 v[130:131], v[126:127], v[130:131]
	s_waitcnt vmcnt(0)
	v_fma_f64 v[126:127], v[126:127], v[132:133], -v[134:135]
	v_fma_f64 v[128:129], v[128:129], v[132:133], v[130:131]
	v_add_f64 v[1:2], v[1:2], v[126:127]
	v_add_f64 v[3:4], v[3:4], v[128:129]
	s_andn2_b32 exec_lo, exec_lo, s64
	s_cbranch_execnz .LBB120_684
; %bb.685:
	s_or_b32 exec_lo, exec_lo, s64
.LBB120_686:
	s_or_b32 exec_lo, exec_lo, s8
	v_mov_b32_e32 v122, 0
	ds_read_b128 v[126:129], v122 offset:480
	s_waitcnt lgkmcnt(0)
	v_mul_f64 v[122:123], v[3:4], v[128:129]
	v_mul_f64 v[128:129], v[1:2], v[128:129]
	v_fma_f64 v[1:2], v[1:2], v[126:127], -v[122:123]
	v_fma_f64 v[3:4], v[3:4], v[126:127], v[128:129]
	buffer_store_dword v2, off, s[0:3], 0 offset:484
	buffer_store_dword v1, off, s[0:3], 0 offset:480
	buffer_store_dword v4, off, s[0:3], 0 offset:492
	buffer_store_dword v3, off, s[0:3], 0 offset:488
.LBB120_687:
	s_or_b32 exec_lo, exec_lo, s4
	v_mov_b32_e32 v4, s33
	s_mov_b32 s4, exec_lo
	s_clause 0x3
	buffer_load_dword v1, v4, s[0:3], 0 offen
	buffer_load_dword v2, v4, s[0:3], 0 offen offset:4
	buffer_load_dword v3, v4, s[0:3], 0 offen offset:8
	;; [unrolled: 1-line block ×3, first 2 shown]
	s_waitcnt vmcnt(0)
	ds_write_b128 v120, v[1:4]
	s_waitcnt lgkmcnt(0)
	s_waitcnt_vscnt null, 0x0
	s_barrier
	buffer_gl0_inv
	v_cmpx_gt_u32_e32 31, v0
	s_cbranch_execz .LBB120_695
; %bb.688:
	ds_read_b128 v[1:4], v120
	v_cmp_ne_u32_e32 vcc_lo, 1, v121
	s_cbranch_vccnz .LBB120_690
; %bb.689:
	s_clause 0x3
	buffer_load_dword v122, v119, s[0:3], 0 offen offset:8
	buffer_load_dword v123, v119, s[0:3], 0 offen offset:12
	buffer_load_dword v126, v119, s[0:3], 0 offen
	buffer_load_dword v127, v119, s[0:3], 0 offen offset:4
	s_waitcnt vmcnt(2) lgkmcnt(0)
	v_mul_f64 v[128:129], v[3:4], v[122:123]
	v_mul_f64 v[122:123], v[1:2], v[122:123]
	s_waitcnt vmcnt(0)
	v_fma_f64 v[1:2], v[1:2], v[126:127], -v[128:129]
	v_fma_f64 v[3:4], v[3:4], v[126:127], v[122:123]
.LBB120_690:
	s_mov_b32 s8, exec_lo
	v_cmpx_ne_u32_e32 30, v0
	s_cbranch_execz .LBB120_694
; %bb.691:
	v_add_nc_u32_e32 v122, 0x3a0, v125
	v_add3_u32 v123, 0, v125, 16
	v_mov_b32_e32 v124, v0
	s_mov_b32 s64, 0
	.p2align	6
.LBB120_692:                            ; =>This Inner Loop Header: Depth=1
	s_clause 0x3
	buffer_load_dword v130, v123, s[0:3], 0 offen offset:8
	buffer_load_dword v131, v123, s[0:3], 0 offen offset:12
	buffer_load_dword v132, v123, s[0:3], 0 offen
	buffer_load_dword v133, v123, s[0:3], 0 offen offset:4
	ds_read_b128 v[126:129], v122
	v_add_nc_u32_e32 v124, 1, v124
	v_add_nc_u32_e32 v122, 16, v122
	;; [unrolled: 1-line block ×3, first 2 shown]
	v_cmp_lt_u32_e32 vcc_lo, 29, v124
	s_or_b32 s64, vcc_lo, s64
	s_waitcnt vmcnt(2) lgkmcnt(0)
	v_mul_f64 v[134:135], v[128:129], v[130:131]
	v_mul_f64 v[130:131], v[126:127], v[130:131]
	s_waitcnt vmcnt(0)
	v_fma_f64 v[126:127], v[126:127], v[132:133], -v[134:135]
	v_fma_f64 v[128:129], v[128:129], v[132:133], v[130:131]
	v_add_f64 v[1:2], v[1:2], v[126:127]
	v_add_f64 v[3:4], v[3:4], v[128:129]
	s_andn2_b32 exec_lo, exec_lo, s64
	s_cbranch_execnz .LBB120_692
; %bb.693:
	s_or_b32 exec_lo, exec_lo, s64
.LBB120_694:
	s_or_b32 exec_lo, exec_lo, s8
	v_mov_b32_e32 v122, 0
	ds_read_b128 v[126:129], v122 offset:496
	s_waitcnt lgkmcnt(0)
	v_mul_f64 v[122:123], v[3:4], v[128:129]
	v_mul_f64 v[128:129], v[1:2], v[128:129]
	v_fma_f64 v[1:2], v[1:2], v[126:127], -v[122:123]
	v_fma_f64 v[3:4], v[3:4], v[126:127], v[128:129]
	buffer_store_dword v2, off, s[0:3], 0 offset:500
	buffer_store_dword v1, off, s[0:3], 0 offset:496
	;; [unrolled: 1-line block ×4, first 2 shown]
.LBB120_695:
	s_or_b32 exec_lo, exec_lo, s4
	v_mov_b32_e32 v4, s31
	s_mov_b32 s4, exec_lo
	s_clause 0x3
	buffer_load_dword v1, v4, s[0:3], 0 offen
	buffer_load_dword v2, v4, s[0:3], 0 offen offset:4
	buffer_load_dword v3, v4, s[0:3], 0 offen offset:8
	;; [unrolled: 1-line block ×3, first 2 shown]
	s_waitcnt vmcnt(0)
	ds_write_b128 v120, v[1:4]
	s_waitcnt lgkmcnt(0)
	s_waitcnt_vscnt null, 0x0
	s_barrier
	buffer_gl0_inv
	v_cmpx_gt_u32_e32 32, v0
	s_cbranch_execz .LBB120_703
; %bb.696:
	ds_read_b128 v[1:4], v120
	v_cmp_ne_u32_e32 vcc_lo, 1, v121
	s_cbranch_vccnz .LBB120_698
; %bb.697:
	s_clause 0x3
	buffer_load_dword v122, v119, s[0:3], 0 offen offset:8
	buffer_load_dword v123, v119, s[0:3], 0 offen offset:12
	buffer_load_dword v126, v119, s[0:3], 0 offen
	buffer_load_dword v127, v119, s[0:3], 0 offen offset:4
	s_waitcnt vmcnt(2) lgkmcnt(0)
	v_mul_f64 v[128:129], v[3:4], v[122:123]
	v_mul_f64 v[122:123], v[1:2], v[122:123]
	s_waitcnt vmcnt(0)
	v_fma_f64 v[1:2], v[1:2], v[126:127], -v[128:129]
	v_fma_f64 v[3:4], v[3:4], v[126:127], v[122:123]
.LBB120_698:
	s_mov_b32 s8, exec_lo
	v_cmpx_ne_u32_e32 31, v0
	s_cbranch_execz .LBB120_702
; %bb.699:
	v_add_nc_u32_e32 v122, 0x3a0, v125
	v_add3_u32 v123, 0, v125, 16
	v_mov_b32_e32 v124, v0
	s_mov_b32 s64, 0
	.p2align	6
.LBB120_700:                            ; =>This Inner Loop Header: Depth=1
	s_clause 0x3
	buffer_load_dword v130, v123, s[0:3], 0 offen offset:8
	buffer_load_dword v131, v123, s[0:3], 0 offen offset:12
	buffer_load_dword v132, v123, s[0:3], 0 offen
	buffer_load_dword v133, v123, s[0:3], 0 offen offset:4
	ds_read_b128 v[126:129], v122
	v_add_nc_u32_e32 v124, 1, v124
	v_add_nc_u32_e32 v122, 16, v122
	;; [unrolled: 1-line block ×3, first 2 shown]
	v_cmp_lt_u32_e32 vcc_lo, 30, v124
	s_or_b32 s64, vcc_lo, s64
	s_waitcnt vmcnt(2) lgkmcnt(0)
	v_mul_f64 v[134:135], v[128:129], v[130:131]
	v_mul_f64 v[130:131], v[126:127], v[130:131]
	s_waitcnt vmcnt(0)
	v_fma_f64 v[126:127], v[126:127], v[132:133], -v[134:135]
	v_fma_f64 v[128:129], v[128:129], v[132:133], v[130:131]
	v_add_f64 v[1:2], v[1:2], v[126:127]
	v_add_f64 v[3:4], v[3:4], v[128:129]
	s_andn2_b32 exec_lo, exec_lo, s64
	s_cbranch_execnz .LBB120_700
; %bb.701:
	s_or_b32 exec_lo, exec_lo, s64
.LBB120_702:
	s_or_b32 exec_lo, exec_lo, s8
	v_mov_b32_e32 v122, 0
	ds_read_b128 v[126:129], v122 offset:512
	s_waitcnt lgkmcnt(0)
	v_mul_f64 v[122:123], v[3:4], v[128:129]
	v_mul_f64 v[128:129], v[1:2], v[128:129]
	v_fma_f64 v[1:2], v[1:2], v[126:127], -v[122:123]
	v_fma_f64 v[3:4], v[3:4], v[126:127], v[128:129]
	buffer_store_dword v2, off, s[0:3], 0 offset:516
	buffer_store_dword v1, off, s[0:3], 0 offset:512
	;; [unrolled: 1-line block ×4, first 2 shown]
.LBB120_703:
	s_or_b32 exec_lo, exec_lo, s4
	v_mov_b32_e32 v4, s30
	s_mov_b32 s4, exec_lo
	s_clause 0x3
	buffer_load_dword v1, v4, s[0:3], 0 offen
	buffer_load_dword v2, v4, s[0:3], 0 offen offset:4
	buffer_load_dword v3, v4, s[0:3], 0 offen offset:8
	;; [unrolled: 1-line block ×3, first 2 shown]
	s_waitcnt vmcnt(0)
	ds_write_b128 v120, v[1:4]
	s_waitcnt lgkmcnt(0)
	s_waitcnt_vscnt null, 0x0
	s_barrier
	buffer_gl0_inv
	v_cmpx_gt_u32_e32 33, v0
	s_cbranch_execz .LBB120_711
; %bb.704:
	ds_read_b128 v[1:4], v120
	v_cmp_ne_u32_e32 vcc_lo, 1, v121
	s_cbranch_vccnz .LBB120_706
; %bb.705:
	s_clause 0x3
	buffer_load_dword v122, v119, s[0:3], 0 offen offset:8
	buffer_load_dword v123, v119, s[0:3], 0 offen offset:12
	buffer_load_dword v126, v119, s[0:3], 0 offen
	buffer_load_dword v127, v119, s[0:3], 0 offen offset:4
	s_waitcnt vmcnt(2) lgkmcnt(0)
	v_mul_f64 v[128:129], v[3:4], v[122:123]
	v_mul_f64 v[122:123], v[1:2], v[122:123]
	s_waitcnt vmcnt(0)
	v_fma_f64 v[1:2], v[1:2], v[126:127], -v[128:129]
	v_fma_f64 v[3:4], v[3:4], v[126:127], v[122:123]
.LBB120_706:
	s_mov_b32 s8, exec_lo
	v_cmpx_ne_u32_e32 32, v0
	s_cbranch_execz .LBB120_710
; %bb.707:
	v_add_nc_u32_e32 v122, 0x3a0, v125
	v_add3_u32 v123, 0, v125, 16
	v_mov_b32_e32 v124, v0
	s_mov_b32 s64, 0
	.p2align	6
.LBB120_708:                            ; =>This Inner Loop Header: Depth=1
	s_clause 0x3
	buffer_load_dword v130, v123, s[0:3], 0 offen offset:8
	buffer_load_dword v131, v123, s[0:3], 0 offen offset:12
	buffer_load_dword v132, v123, s[0:3], 0 offen
	buffer_load_dword v133, v123, s[0:3], 0 offen offset:4
	ds_read_b128 v[126:129], v122
	v_add_nc_u32_e32 v124, 1, v124
	v_add_nc_u32_e32 v122, 16, v122
	v_add_nc_u32_e32 v123, 16, v123
	v_cmp_lt_u32_e32 vcc_lo, 31, v124
	s_or_b32 s64, vcc_lo, s64
	s_waitcnt vmcnt(2) lgkmcnt(0)
	v_mul_f64 v[134:135], v[128:129], v[130:131]
	v_mul_f64 v[130:131], v[126:127], v[130:131]
	s_waitcnt vmcnt(0)
	v_fma_f64 v[126:127], v[126:127], v[132:133], -v[134:135]
	v_fma_f64 v[128:129], v[128:129], v[132:133], v[130:131]
	v_add_f64 v[1:2], v[1:2], v[126:127]
	v_add_f64 v[3:4], v[3:4], v[128:129]
	s_andn2_b32 exec_lo, exec_lo, s64
	s_cbranch_execnz .LBB120_708
; %bb.709:
	s_or_b32 exec_lo, exec_lo, s64
.LBB120_710:
	s_or_b32 exec_lo, exec_lo, s8
	v_mov_b32_e32 v122, 0
	ds_read_b128 v[126:129], v122 offset:528
	s_waitcnt lgkmcnt(0)
	v_mul_f64 v[122:123], v[3:4], v[128:129]
	v_mul_f64 v[128:129], v[1:2], v[128:129]
	v_fma_f64 v[1:2], v[1:2], v[126:127], -v[122:123]
	v_fma_f64 v[3:4], v[3:4], v[126:127], v[128:129]
	buffer_store_dword v2, off, s[0:3], 0 offset:532
	buffer_store_dword v1, off, s[0:3], 0 offset:528
	;; [unrolled: 1-line block ×4, first 2 shown]
.LBB120_711:
	s_or_b32 exec_lo, exec_lo, s4
	v_mov_b32_e32 v4, s29
	s_mov_b32 s4, exec_lo
	s_clause 0x3
	buffer_load_dword v1, v4, s[0:3], 0 offen
	buffer_load_dword v2, v4, s[0:3], 0 offen offset:4
	buffer_load_dword v3, v4, s[0:3], 0 offen offset:8
	;; [unrolled: 1-line block ×3, first 2 shown]
	s_waitcnt vmcnt(0)
	ds_write_b128 v120, v[1:4]
	s_waitcnt lgkmcnt(0)
	s_waitcnt_vscnt null, 0x0
	s_barrier
	buffer_gl0_inv
	v_cmpx_gt_u32_e32 34, v0
	s_cbranch_execz .LBB120_719
; %bb.712:
	ds_read_b128 v[1:4], v120
	v_cmp_ne_u32_e32 vcc_lo, 1, v121
	s_cbranch_vccnz .LBB120_714
; %bb.713:
	s_clause 0x3
	buffer_load_dword v122, v119, s[0:3], 0 offen offset:8
	buffer_load_dword v123, v119, s[0:3], 0 offen offset:12
	buffer_load_dword v126, v119, s[0:3], 0 offen
	buffer_load_dword v127, v119, s[0:3], 0 offen offset:4
	s_waitcnt vmcnt(2) lgkmcnt(0)
	v_mul_f64 v[128:129], v[3:4], v[122:123]
	v_mul_f64 v[122:123], v[1:2], v[122:123]
	s_waitcnt vmcnt(0)
	v_fma_f64 v[1:2], v[1:2], v[126:127], -v[128:129]
	v_fma_f64 v[3:4], v[3:4], v[126:127], v[122:123]
.LBB120_714:
	s_mov_b32 s8, exec_lo
	v_cmpx_ne_u32_e32 33, v0
	s_cbranch_execz .LBB120_718
; %bb.715:
	v_add_nc_u32_e32 v122, 0x3a0, v125
	v_add3_u32 v123, 0, v125, 16
	v_mov_b32_e32 v124, v0
	s_mov_b32 s64, 0
	.p2align	6
.LBB120_716:                            ; =>This Inner Loop Header: Depth=1
	s_clause 0x3
	buffer_load_dword v130, v123, s[0:3], 0 offen offset:8
	buffer_load_dword v131, v123, s[0:3], 0 offen offset:12
	buffer_load_dword v132, v123, s[0:3], 0 offen
	buffer_load_dword v133, v123, s[0:3], 0 offen offset:4
	ds_read_b128 v[126:129], v122
	v_add_nc_u32_e32 v124, 1, v124
	v_add_nc_u32_e32 v122, 16, v122
	;; [unrolled: 1-line block ×3, first 2 shown]
	v_cmp_lt_u32_e32 vcc_lo, 32, v124
	s_or_b32 s64, vcc_lo, s64
	s_waitcnt vmcnt(2) lgkmcnt(0)
	v_mul_f64 v[134:135], v[128:129], v[130:131]
	v_mul_f64 v[130:131], v[126:127], v[130:131]
	s_waitcnt vmcnt(0)
	v_fma_f64 v[126:127], v[126:127], v[132:133], -v[134:135]
	v_fma_f64 v[128:129], v[128:129], v[132:133], v[130:131]
	v_add_f64 v[1:2], v[1:2], v[126:127]
	v_add_f64 v[3:4], v[3:4], v[128:129]
	s_andn2_b32 exec_lo, exec_lo, s64
	s_cbranch_execnz .LBB120_716
; %bb.717:
	s_or_b32 exec_lo, exec_lo, s64
.LBB120_718:
	s_or_b32 exec_lo, exec_lo, s8
	v_mov_b32_e32 v122, 0
	ds_read_b128 v[126:129], v122 offset:544
	s_waitcnt lgkmcnt(0)
	v_mul_f64 v[122:123], v[3:4], v[128:129]
	v_mul_f64 v[128:129], v[1:2], v[128:129]
	v_fma_f64 v[1:2], v[1:2], v[126:127], -v[122:123]
	v_fma_f64 v[3:4], v[3:4], v[126:127], v[128:129]
	buffer_store_dword v2, off, s[0:3], 0 offset:548
	buffer_store_dword v1, off, s[0:3], 0 offset:544
	;; [unrolled: 1-line block ×4, first 2 shown]
.LBB120_719:
	s_or_b32 exec_lo, exec_lo, s4
	v_mov_b32_e32 v4, s28
	s_mov_b32 s4, exec_lo
	s_clause 0x3
	buffer_load_dword v1, v4, s[0:3], 0 offen
	buffer_load_dword v2, v4, s[0:3], 0 offen offset:4
	buffer_load_dword v3, v4, s[0:3], 0 offen offset:8
	;; [unrolled: 1-line block ×3, first 2 shown]
	s_waitcnt vmcnt(0)
	ds_write_b128 v120, v[1:4]
	s_waitcnt lgkmcnt(0)
	s_waitcnt_vscnt null, 0x0
	s_barrier
	buffer_gl0_inv
	v_cmpx_gt_u32_e32 35, v0
	s_cbranch_execz .LBB120_727
; %bb.720:
	ds_read_b128 v[1:4], v120
	v_cmp_ne_u32_e32 vcc_lo, 1, v121
	s_cbranch_vccnz .LBB120_722
; %bb.721:
	s_clause 0x3
	buffer_load_dword v122, v119, s[0:3], 0 offen offset:8
	buffer_load_dword v123, v119, s[0:3], 0 offen offset:12
	buffer_load_dword v126, v119, s[0:3], 0 offen
	buffer_load_dword v127, v119, s[0:3], 0 offen offset:4
	s_waitcnt vmcnt(2) lgkmcnt(0)
	v_mul_f64 v[128:129], v[3:4], v[122:123]
	v_mul_f64 v[122:123], v[1:2], v[122:123]
	s_waitcnt vmcnt(0)
	v_fma_f64 v[1:2], v[1:2], v[126:127], -v[128:129]
	v_fma_f64 v[3:4], v[3:4], v[126:127], v[122:123]
.LBB120_722:
	s_mov_b32 s8, exec_lo
	v_cmpx_ne_u32_e32 34, v0
	s_cbranch_execz .LBB120_726
; %bb.723:
	v_add_nc_u32_e32 v122, 0x3a0, v125
	v_add3_u32 v123, 0, v125, 16
	v_mov_b32_e32 v124, v0
	s_mov_b32 s64, 0
	.p2align	6
.LBB120_724:                            ; =>This Inner Loop Header: Depth=1
	s_clause 0x3
	buffer_load_dword v130, v123, s[0:3], 0 offen offset:8
	buffer_load_dword v131, v123, s[0:3], 0 offen offset:12
	buffer_load_dword v132, v123, s[0:3], 0 offen
	buffer_load_dword v133, v123, s[0:3], 0 offen offset:4
	ds_read_b128 v[126:129], v122
	v_add_nc_u32_e32 v124, 1, v124
	v_add_nc_u32_e32 v122, 16, v122
	;; [unrolled: 1-line block ×3, first 2 shown]
	v_cmp_lt_u32_e32 vcc_lo, 33, v124
	s_or_b32 s64, vcc_lo, s64
	s_waitcnt vmcnt(2) lgkmcnt(0)
	v_mul_f64 v[134:135], v[128:129], v[130:131]
	v_mul_f64 v[130:131], v[126:127], v[130:131]
	s_waitcnt vmcnt(0)
	v_fma_f64 v[126:127], v[126:127], v[132:133], -v[134:135]
	v_fma_f64 v[128:129], v[128:129], v[132:133], v[130:131]
	v_add_f64 v[1:2], v[1:2], v[126:127]
	v_add_f64 v[3:4], v[3:4], v[128:129]
	s_andn2_b32 exec_lo, exec_lo, s64
	s_cbranch_execnz .LBB120_724
; %bb.725:
	s_or_b32 exec_lo, exec_lo, s64
.LBB120_726:
	s_or_b32 exec_lo, exec_lo, s8
	v_mov_b32_e32 v122, 0
	ds_read_b128 v[126:129], v122 offset:560
	s_waitcnt lgkmcnt(0)
	v_mul_f64 v[122:123], v[3:4], v[128:129]
	v_mul_f64 v[128:129], v[1:2], v[128:129]
	v_fma_f64 v[1:2], v[1:2], v[126:127], -v[122:123]
	v_fma_f64 v[3:4], v[3:4], v[126:127], v[128:129]
	buffer_store_dword v2, off, s[0:3], 0 offset:564
	buffer_store_dword v1, off, s[0:3], 0 offset:560
	;; [unrolled: 1-line block ×4, first 2 shown]
.LBB120_727:
	s_or_b32 exec_lo, exec_lo, s4
	v_mov_b32_e32 v4, s27
	s_mov_b32 s4, exec_lo
	s_clause 0x3
	buffer_load_dword v1, v4, s[0:3], 0 offen
	buffer_load_dword v2, v4, s[0:3], 0 offen offset:4
	buffer_load_dword v3, v4, s[0:3], 0 offen offset:8
	;; [unrolled: 1-line block ×3, first 2 shown]
	s_waitcnt vmcnt(0)
	ds_write_b128 v120, v[1:4]
	s_waitcnt lgkmcnt(0)
	s_waitcnt_vscnt null, 0x0
	s_barrier
	buffer_gl0_inv
	v_cmpx_gt_u32_e32 36, v0
	s_cbranch_execz .LBB120_735
; %bb.728:
	ds_read_b128 v[1:4], v120
	v_cmp_ne_u32_e32 vcc_lo, 1, v121
	s_cbranch_vccnz .LBB120_730
; %bb.729:
	s_clause 0x3
	buffer_load_dword v122, v119, s[0:3], 0 offen offset:8
	buffer_load_dword v123, v119, s[0:3], 0 offen offset:12
	buffer_load_dword v126, v119, s[0:3], 0 offen
	buffer_load_dword v127, v119, s[0:3], 0 offen offset:4
	s_waitcnt vmcnt(2) lgkmcnt(0)
	v_mul_f64 v[128:129], v[3:4], v[122:123]
	v_mul_f64 v[122:123], v[1:2], v[122:123]
	s_waitcnt vmcnt(0)
	v_fma_f64 v[1:2], v[1:2], v[126:127], -v[128:129]
	v_fma_f64 v[3:4], v[3:4], v[126:127], v[122:123]
.LBB120_730:
	s_mov_b32 s8, exec_lo
	v_cmpx_ne_u32_e32 35, v0
	s_cbranch_execz .LBB120_734
; %bb.731:
	v_add_nc_u32_e32 v122, 0x3a0, v125
	v_add3_u32 v123, 0, v125, 16
	v_mov_b32_e32 v124, v0
	s_mov_b32 s64, 0
	.p2align	6
.LBB120_732:                            ; =>This Inner Loop Header: Depth=1
	s_clause 0x3
	buffer_load_dword v130, v123, s[0:3], 0 offen offset:8
	buffer_load_dword v131, v123, s[0:3], 0 offen offset:12
	buffer_load_dword v132, v123, s[0:3], 0 offen
	buffer_load_dword v133, v123, s[0:3], 0 offen offset:4
	ds_read_b128 v[126:129], v122
	v_add_nc_u32_e32 v124, 1, v124
	v_add_nc_u32_e32 v122, 16, v122
	v_add_nc_u32_e32 v123, 16, v123
	v_cmp_lt_u32_e32 vcc_lo, 34, v124
	s_or_b32 s64, vcc_lo, s64
	s_waitcnt vmcnt(2) lgkmcnt(0)
	v_mul_f64 v[134:135], v[128:129], v[130:131]
	v_mul_f64 v[130:131], v[126:127], v[130:131]
	s_waitcnt vmcnt(0)
	v_fma_f64 v[126:127], v[126:127], v[132:133], -v[134:135]
	v_fma_f64 v[128:129], v[128:129], v[132:133], v[130:131]
	v_add_f64 v[1:2], v[1:2], v[126:127]
	v_add_f64 v[3:4], v[3:4], v[128:129]
	s_andn2_b32 exec_lo, exec_lo, s64
	s_cbranch_execnz .LBB120_732
; %bb.733:
	s_or_b32 exec_lo, exec_lo, s64
.LBB120_734:
	s_or_b32 exec_lo, exec_lo, s8
	v_mov_b32_e32 v122, 0
	ds_read_b128 v[126:129], v122 offset:576
	s_waitcnt lgkmcnt(0)
	v_mul_f64 v[122:123], v[3:4], v[128:129]
	v_mul_f64 v[128:129], v[1:2], v[128:129]
	v_fma_f64 v[1:2], v[1:2], v[126:127], -v[122:123]
	v_fma_f64 v[3:4], v[3:4], v[126:127], v[128:129]
	buffer_store_dword v2, off, s[0:3], 0 offset:580
	buffer_store_dword v1, off, s[0:3], 0 offset:576
	;; [unrolled: 1-line block ×4, first 2 shown]
.LBB120_735:
	s_or_b32 exec_lo, exec_lo, s4
	v_mov_b32_e32 v4, s26
	s_mov_b32 s4, exec_lo
	s_clause 0x3
	buffer_load_dword v1, v4, s[0:3], 0 offen
	buffer_load_dword v2, v4, s[0:3], 0 offen offset:4
	buffer_load_dword v3, v4, s[0:3], 0 offen offset:8
	;; [unrolled: 1-line block ×3, first 2 shown]
	s_waitcnt vmcnt(0)
	ds_write_b128 v120, v[1:4]
	s_waitcnt lgkmcnt(0)
	s_waitcnt_vscnt null, 0x0
	s_barrier
	buffer_gl0_inv
	v_cmpx_gt_u32_e32 37, v0
	s_cbranch_execz .LBB120_743
; %bb.736:
	ds_read_b128 v[1:4], v120
	v_cmp_ne_u32_e32 vcc_lo, 1, v121
	s_cbranch_vccnz .LBB120_738
; %bb.737:
	s_clause 0x3
	buffer_load_dword v122, v119, s[0:3], 0 offen offset:8
	buffer_load_dword v123, v119, s[0:3], 0 offen offset:12
	buffer_load_dword v126, v119, s[0:3], 0 offen
	buffer_load_dword v127, v119, s[0:3], 0 offen offset:4
	s_waitcnt vmcnt(2) lgkmcnt(0)
	v_mul_f64 v[128:129], v[3:4], v[122:123]
	v_mul_f64 v[122:123], v[1:2], v[122:123]
	s_waitcnt vmcnt(0)
	v_fma_f64 v[1:2], v[1:2], v[126:127], -v[128:129]
	v_fma_f64 v[3:4], v[3:4], v[126:127], v[122:123]
.LBB120_738:
	s_mov_b32 s8, exec_lo
	v_cmpx_ne_u32_e32 36, v0
	s_cbranch_execz .LBB120_742
; %bb.739:
	v_add_nc_u32_e32 v122, 0x3a0, v125
	v_add3_u32 v123, 0, v125, 16
	v_mov_b32_e32 v124, v0
	s_mov_b32 s64, 0
	.p2align	6
.LBB120_740:                            ; =>This Inner Loop Header: Depth=1
	s_clause 0x3
	buffer_load_dword v130, v123, s[0:3], 0 offen offset:8
	buffer_load_dword v131, v123, s[0:3], 0 offen offset:12
	buffer_load_dword v132, v123, s[0:3], 0 offen
	buffer_load_dword v133, v123, s[0:3], 0 offen offset:4
	ds_read_b128 v[126:129], v122
	v_add_nc_u32_e32 v124, 1, v124
	v_add_nc_u32_e32 v122, 16, v122
	;; [unrolled: 1-line block ×3, first 2 shown]
	v_cmp_lt_u32_e32 vcc_lo, 35, v124
	s_or_b32 s64, vcc_lo, s64
	s_waitcnt vmcnt(2) lgkmcnt(0)
	v_mul_f64 v[134:135], v[128:129], v[130:131]
	v_mul_f64 v[130:131], v[126:127], v[130:131]
	s_waitcnt vmcnt(0)
	v_fma_f64 v[126:127], v[126:127], v[132:133], -v[134:135]
	v_fma_f64 v[128:129], v[128:129], v[132:133], v[130:131]
	v_add_f64 v[1:2], v[1:2], v[126:127]
	v_add_f64 v[3:4], v[3:4], v[128:129]
	s_andn2_b32 exec_lo, exec_lo, s64
	s_cbranch_execnz .LBB120_740
; %bb.741:
	s_or_b32 exec_lo, exec_lo, s64
.LBB120_742:
	s_or_b32 exec_lo, exec_lo, s8
	v_mov_b32_e32 v122, 0
	ds_read_b128 v[126:129], v122 offset:592
	s_waitcnt lgkmcnt(0)
	v_mul_f64 v[122:123], v[3:4], v[128:129]
	v_mul_f64 v[128:129], v[1:2], v[128:129]
	v_fma_f64 v[1:2], v[1:2], v[126:127], -v[122:123]
	v_fma_f64 v[3:4], v[3:4], v[126:127], v[128:129]
	buffer_store_dword v2, off, s[0:3], 0 offset:596
	buffer_store_dword v1, off, s[0:3], 0 offset:592
	;; [unrolled: 1-line block ×4, first 2 shown]
.LBB120_743:
	s_or_b32 exec_lo, exec_lo, s4
	v_mov_b32_e32 v4, s25
	s_mov_b32 s4, exec_lo
	s_clause 0x3
	buffer_load_dword v1, v4, s[0:3], 0 offen
	buffer_load_dword v2, v4, s[0:3], 0 offen offset:4
	buffer_load_dword v3, v4, s[0:3], 0 offen offset:8
	buffer_load_dword v4, v4, s[0:3], 0 offen offset:12
	s_waitcnt vmcnt(0)
	ds_write_b128 v120, v[1:4]
	s_waitcnt lgkmcnt(0)
	s_waitcnt_vscnt null, 0x0
	s_barrier
	buffer_gl0_inv
	v_cmpx_gt_u32_e32 38, v0
	s_cbranch_execz .LBB120_751
; %bb.744:
	ds_read_b128 v[1:4], v120
	v_cmp_ne_u32_e32 vcc_lo, 1, v121
	s_cbranch_vccnz .LBB120_746
; %bb.745:
	s_clause 0x3
	buffer_load_dword v122, v119, s[0:3], 0 offen offset:8
	buffer_load_dword v123, v119, s[0:3], 0 offen offset:12
	buffer_load_dword v126, v119, s[0:3], 0 offen
	buffer_load_dword v127, v119, s[0:3], 0 offen offset:4
	s_waitcnt vmcnt(2) lgkmcnt(0)
	v_mul_f64 v[128:129], v[3:4], v[122:123]
	v_mul_f64 v[122:123], v[1:2], v[122:123]
	s_waitcnt vmcnt(0)
	v_fma_f64 v[1:2], v[1:2], v[126:127], -v[128:129]
	v_fma_f64 v[3:4], v[3:4], v[126:127], v[122:123]
.LBB120_746:
	s_mov_b32 s8, exec_lo
	v_cmpx_ne_u32_e32 37, v0
	s_cbranch_execz .LBB120_750
; %bb.747:
	v_add_nc_u32_e32 v122, 0x3a0, v125
	v_add3_u32 v123, 0, v125, 16
	v_mov_b32_e32 v124, v0
	s_mov_b32 s64, 0
	.p2align	6
.LBB120_748:                            ; =>This Inner Loop Header: Depth=1
	s_clause 0x3
	buffer_load_dword v130, v123, s[0:3], 0 offen offset:8
	buffer_load_dword v131, v123, s[0:3], 0 offen offset:12
	buffer_load_dword v132, v123, s[0:3], 0 offen
	buffer_load_dword v133, v123, s[0:3], 0 offen offset:4
	ds_read_b128 v[126:129], v122
	v_add_nc_u32_e32 v124, 1, v124
	v_add_nc_u32_e32 v122, 16, v122
	;; [unrolled: 1-line block ×3, first 2 shown]
	v_cmp_lt_u32_e32 vcc_lo, 36, v124
	s_or_b32 s64, vcc_lo, s64
	s_waitcnt vmcnt(2) lgkmcnt(0)
	v_mul_f64 v[134:135], v[128:129], v[130:131]
	v_mul_f64 v[130:131], v[126:127], v[130:131]
	s_waitcnt vmcnt(0)
	v_fma_f64 v[126:127], v[126:127], v[132:133], -v[134:135]
	v_fma_f64 v[128:129], v[128:129], v[132:133], v[130:131]
	v_add_f64 v[1:2], v[1:2], v[126:127]
	v_add_f64 v[3:4], v[3:4], v[128:129]
	s_andn2_b32 exec_lo, exec_lo, s64
	s_cbranch_execnz .LBB120_748
; %bb.749:
	s_or_b32 exec_lo, exec_lo, s64
.LBB120_750:
	s_or_b32 exec_lo, exec_lo, s8
	v_mov_b32_e32 v122, 0
	ds_read_b128 v[126:129], v122 offset:608
	s_waitcnt lgkmcnt(0)
	v_mul_f64 v[122:123], v[3:4], v[128:129]
	v_mul_f64 v[128:129], v[1:2], v[128:129]
	v_fma_f64 v[1:2], v[1:2], v[126:127], -v[122:123]
	v_fma_f64 v[3:4], v[3:4], v[126:127], v[128:129]
	buffer_store_dword v2, off, s[0:3], 0 offset:612
	buffer_store_dword v1, off, s[0:3], 0 offset:608
	;; [unrolled: 1-line block ×4, first 2 shown]
.LBB120_751:
	s_or_b32 exec_lo, exec_lo, s4
	v_mov_b32_e32 v4, s24
	s_mov_b32 s4, exec_lo
	s_clause 0x3
	buffer_load_dword v1, v4, s[0:3], 0 offen
	buffer_load_dword v2, v4, s[0:3], 0 offen offset:4
	buffer_load_dword v3, v4, s[0:3], 0 offen offset:8
	;; [unrolled: 1-line block ×3, first 2 shown]
	s_waitcnt vmcnt(0)
	ds_write_b128 v120, v[1:4]
	s_waitcnt lgkmcnt(0)
	s_waitcnt_vscnt null, 0x0
	s_barrier
	buffer_gl0_inv
	v_cmpx_gt_u32_e32 39, v0
	s_cbranch_execz .LBB120_759
; %bb.752:
	ds_read_b128 v[1:4], v120
	v_cmp_ne_u32_e32 vcc_lo, 1, v121
	s_cbranch_vccnz .LBB120_754
; %bb.753:
	s_clause 0x3
	buffer_load_dword v122, v119, s[0:3], 0 offen offset:8
	buffer_load_dword v123, v119, s[0:3], 0 offen offset:12
	buffer_load_dword v126, v119, s[0:3], 0 offen
	buffer_load_dword v127, v119, s[0:3], 0 offen offset:4
	s_waitcnt vmcnt(2) lgkmcnt(0)
	v_mul_f64 v[128:129], v[3:4], v[122:123]
	v_mul_f64 v[122:123], v[1:2], v[122:123]
	s_waitcnt vmcnt(0)
	v_fma_f64 v[1:2], v[1:2], v[126:127], -v[128:129]
	v_fma_f64 v[3:4], v[3:4], v[126:127], v[122:123]
.LBB120_754:
	s_mov_b32 s8, exec_lo
	v_cmpx_ne_u32_e32 38, v0
	s_cbranch_execz .LBB120_758
; %bb.755:
	v_add_nc_u32_e32 v122, 0x3a0, v125
	v_add3_u32 v123, 0, v125, 16
	v_mov_b32_e32 v124, v0
	s_mov_b32 s64, 0
	.p2align	6
.LBB120_756:                            ; =>This Inner Loop Header: Depth=1
	s_clause 0x3
	buffer_load_dword v130, v123, s[0:3], 0 offen offset:8
	buffer_load_dword v131, v123, s[0:3], 0 offen offset:12
	buffer_load_dword v132, v123, s[0:3], 0 offen
	buffer_load_dword v133, v123, s[0:3], 0 offen offset:4
	ds_read_b128 v[126:129], v122
	v_add_nc_u32_e32 v124, 1, v124
	v_add_nc_u32_e32 v122, 16, v122
	;; [unrolled: 1-line block ×3, first 2 shown]
	v_cmp_lt_u32_e32 vcc_lo, 37, v124
	s_or_b32 s64, vcc_lo, s64
	s_waitcnt vmcnt(2) lgkmcnt(0)
	v_mul_f64 v[134:135], v[128:129], v[130:131]
	v_mul_f64 v[130:131], v[126:127], v[130:131]
	s_waitcnt vmcnt(0)
	v_fma_f64 v[126:127], v[126:127], v[132:133], -v[134:135]
	v_fma_f64 v[128:129], v[128:129], v[132:133], v[130:131]
	v_add_f64 v[1:2], v[1:2], v[126:127]
	v_add_f64 v[3:4], v[3:4], v[128:129]
	s_andn2_b32 exec_lo, exec_lo, s64
	s_cbranch_execnz .LBB120_756
; %bb.757:
	s_or_b32 exec_lo, exec_lo, s64
.LBB120_758:
	s_or_b32 exec_lo, exec_lo, s8
	v_mov_b32_e32 v122, 0
	ds_read_b128 v[126:129], v122 offset:624
	s_waitcnt lgkmcnt(0)
	v_mul_f64 v[122:123], v[3:4], v[128:129]
	v_mul_f64 v[128:129], v[1:2], v[128:129]
	v_fma_f64 v[1:2], v[1:2], v[126:127], -v[122:123]
	v_fma_f64 v[3:4], v[3:4], v[126:127], v[128:129]
	buffer_store_dword v2, off, s[0:3], 0 offset:628
	buffer_store_dword v1, off, s[0:3], 0 offset:624
	;; [unrolled: 1-line block ×4, first 2 shown]
.LBB120_759:
	s_or_b32 exec_lo, exec_lo, s4
	v_mov_b32_e32 v4, s23
	s_mov_b32 s4, exec_lo
	s_clause 0x3
	buffer_load_dword v1, v4, s[0:3], 0 offen
	buffer_load_dword v2, v4, s[0:3], 0 offen offset:4
	buffer_load_dword v3, v4, s[0:3], 0 offen offset:8
	;; [unrolled: 1-line block ×3, first 2 shown]
	s_waitcnt vmcnt(0)
	ds_write_b128 v120, v[1:4]
	s_waitcnt lgkmcnt(0)
	s_waitcnt_vscnt null, 0x0
	s_barrier
	buffer_gl0_inv
	v_cmpx_gt_u32_e32 40, v0
	s_cbranch_execz .LBB120_767
; %bb.760:
	ds_read_b128 v[1:4], v120
	v_cmp_ne_u32_e32 vcc_lo, 1, v121
	s_cbranch_vccnz .LBB120_762
; %bb.761:
	s_clause 0x3
	buffer_load_dword v122, v119, s[0:3], 0 offen offset:8
	buffer_load_dword v123, v119, s[0:3], 0 offen offset:12
	buffer_load_dword v126, v119, s[0:3], 0 offen
	buffer_load_dword v127, v119, s[0:3], 0 offen offset:4
	s_waitcnt vmcnt(2) lgkmcnt(0)
	v_mul_f64 v[128:129], v[3:4], v[122:123]
	v_mul_f64 v[122:123], v[1:2], v[122:123]
	s_waitcnt vmcnt(0)
	v_fma_f64 v[1:2], v[1:2], v[126:127], -v[128:129]
	v_fma_f64 v[3:4], v[3:4], v[126:127], v[122:123]
.LBB120_762:
	s_mov_b32 s8, exec_lo
	v_cmpx_ne_u32_e32 39, v0
	s_cbranch_execz .LBB120_766
; %bb.763:
	v_add_nc_u32_e32 v122, 0x3a0, v125
	v_add3_u32 v123, 0, v125, 16
	v_mov_b32_e32 v124, v0
	s_mov_b32 s64, 0
	.p2align	6
.LBB120_764:                            ; =>This Inner Loop Header: Depth=1
	s_clause 0x3
	buffer_load_dword v130, v123, s[0:3], 0 offen offset:8
	buffer_load_dword v131, v123, s[0:3], 0 offen offset:12
	buffer_load_dword v132, v123, s[0:3], 0 offen
	buffer_load_dword v133, v123, s[0:3], 0 offen offset:4
	ds_read_b128 v[126:129], v122
	v_add_nc_u32_e32 v124, 1, v124
	v_add_nc_u32_e32 v122, 16, v122
	;; [unrolled: 1-line block ×3, first 2 shown]
	v_cmp_lt_u32_e32 vcc_lo, 38, v124
	s_or_b32 s64, vcc_lo, s64
	s_waitcnt vmcnt(2) lgkmcnt(0)
	v_mul_f64 v[134:135], v[128:129], v[130:131]
	v_mul_f64 v[130:131], v[126:127], v[130:131]
	s_waitcnt vmcnt(0)
	v_fma_f64 v[126:127], v[126:127], v[132:133], -v[134:135]
	v_fma_f64 v[128:129], v[128:129], v[132:133], v[130:131]
	v_add_f64 v[1:2], v[1:2], v[126:127]
	v_add_f64 v[3:4], v[3:4], v[128:129]
	s_andn2_b32 exec_lo, exec_lo, s64
	s_cbranch_execnz .LBB120_764
; %bb.765:
	s_or_b32 exec_lo, exec_lo, s64
.LBB120_766:
	s_or_b32 exec_lo, exec_lo, s8
	v_mov_b32_e32 v122, 0
	ds_read_b128 v[126:129], v122 offset:640
	s_waitcnt lgkmcnt(0)
	v_mul_f64 v[122:123], v[3:4], v[128:129]
	v_mul_f64 v[128:129], v[1:2], v[128:129]
	v_fma_f64 v[1:2], v[1:2], v[126:127], -v[122:123]
	v_fma_f64 v[3:4], v[3:4], v[126:127], v[128:129]
	buffer_store_dword v2, off, s[0:3], 0 offset:644
	buffer_store_dword v1, off, s[0:3], 0 offset:640
	;; [unrolled: 1-line block ×4, first 2 shown]
.LBB120_767:
	s_or_b32 exec_lo, exec_lo, s4
	v_mov_b32_e32 v4, s22
	s_mov_b32 s4, exec_lo
	s_clause 0x3
	buffer_load_dword v1, v4, s[0:3], 0 offen
	buffer_load_dword v2, v4, s[0:3], 0 offen offset:4
	buffer_load_dword v3, v4, s[0:3], 0 offen offset:8
	;; [unrolled: 1-line block ×3, first 2 shown]
	s_waitcnt vmcnt(0)
	ds_write_b128 v120, v[1:4]
	s_waitcnt lgkmcnt(0)
	s_waitcnt_vscnt null, 0x0
	s_barrier
	buffer_gl0_inv
	v_cmpx_gt_u32_e32 41, v0
	s_cbranch_execz .LBB120_775
; %bb.768:
	ds_read_b128 v[1:4], v120
	v_cmp_ne_u32_e32 vcc_lo, 1, v121
	s_cbranch_vccnz .LBB120_770
; %bb.769:
	s_clause 0x3
	buffer_load_dword v122, v119, s[0:3], 0 offen offset:8
	buffer_load_dword v123, v119, s[0:3], 0 offen offset:12
	buffer_load_dword v126, v119, s[0:3], 0 offen
	buffer_load_dword v127, v119, s[0:3], 0 offen offset:4
	s_waitcnt vmcnt(2) lgkmcnt(0)
	v_mul_f64 v[128:129], v[3:4], v[122:123]
	v_mul_f64 v[122:123], v[1:2], v[122:123]
	s_waitcnt vmcnt(0)
	v_fma_f64 v[1:2], v[1:2], v[126:127], -v[128:129]
	v_fma_f64 v[3:4], v[3:4], v[126:127], v[122:123]
.LBB120_770:
	s_mov_b32 s8, exec_lo
	v_cmpx_ne_u32_e32 40, v0
	s_cbranch_execz .LBB120_774
; %bb.771:
	v_add_nc_u32_e32 v122, 0x3a0, v125
	v_add3_u32 v123, 0, v125, 16
	v_mov_b32_e32 v124, v0
	s_mov_b32 s64, 0
	.p2align	6
.LBB120_772:                            ; =>This Inner Loop Header: Depth=1
	s_clause 0x3
	buffer_load_dword v130, v123, s[0:3], 0 offen offset:8
	buffer_load_dword v131, v123, s[0:3], 0 offen offset:12
	buffer_load_dword v132, v123, s[0:3], 0 offen
	buffer_load_dword v133, v123, s[0:3], 0 offen offset:4
	ds_read_b128 v[126:129], v122
	v_add_nc_u32_e32 v124, 1, v124
	v_add_nc_u32_e32 v122, 16, v122
	;; [unrolled: 1-line block ×3, first 2 shown]
	v_cmp_lt_u32_e32 vcc_lo, 39, v124
	s_or_b32 s64, vcc_lo, s64
	s_waitcnt vmcnt(2) lgkmcnt(0)
	v_mul_f64 v[134:135], v[128:129], v[130:131]
	v_mul_f64 v[130:131], v[126:127], v[130:131]
	s_waitcnt vmcnt(0)
	v_fma_f64 v[126:127], v[126:127], v[132:133], -v[134:135]
	v_fma_f64 v[128:129], v[128:129], v[132:133], v[130:131]
	v_add_f64 v[1:2], v[1:2], v[126:127]
	v_add_f64 v[3:4], v[3:4], v[128:129]
	s_andn2_b32 exec_lo, exec_lo, s64
	s_cbranch_execnz .LBB120_772
; %bb.773:
	s_or_b32 exec_lo, exec_lo, s64
.LBB120_774:
	s_or_b32 exec_lo, exec_lo, s8
	v_mov_b32_e32 v122, 0
	ds_read_b128 v[126:129], v122 offset:656
	s_waitcnt lgkmcnt(0)
	v_mul_f64 v[122:123], v[3:4], v[128:129]
	v_mul_f64 v[128:129], v[1:2], v[128:129]
	v_fma_f64 v[1:2], v[1:2], v[126:127], -v[122:123]
	v_fma_f64 v[3:4], v[3:4], v[126:127], v[128:129]
	buffer_store_dword v2, off, s[0:3], 0 offset:660
	buffer_store_dword v1, off, s[0:3], 0 offset:656
	;; [unrolled: 1-line block ×4, first 2 shown]
.LBB120_775:
	s_or_b32 exec_lo, exec_lo, s4
	v_mov_b32_e32 v4, s21
	s_mov_b32 s4, exec_lo
	s_clause 0x3
	buffer_load_dword v1, v4, s[0:3], 0 offen
	buffer_load_dword v2, v4, s[0:3], 0 offen offset:4
	buffer_load_dword v3, v4, s[0:3], 0 offen offset:8
	buffer_load_dword v4, v4, s[0:3], 0 offen offset:12
	s_waitcnt vmcnt(0)
	ds_write_b128 v120, v[1:4]
	s_waitcnt lgkmcnt(0)
	s_waitcnt_vscnt null, 0x0
	s_barrier
	buffer_gl0_inv
	v_cmpx_gt_u32_e32 42, v0
	s_cbranch_execz .LBB120_783
; %bb.776:
	ds_read_b128 v[1:4], v120
	v_cmp_ne_u32_e32 vcc_lo, 1, v121
	s_cbranch_vccnz .LBB120_778
; %bb.777:
	s_clause 0x3
	buffer_load_dword v122, v119, s[0:3], 0 offen offset:8
	buffer_load_dword v123, v119, s[0:3], 0 offen offset:12
	buffer_load_dword v126, v119, s[0:3], 0 offen
	buffer_load_dword v127, v119, s[0:3], 0 offen offset:4
	s_waitcnt vmcnt(2) lgkmcnt(0)
	v_mul_f64 v[128:129], v[3:4], v[122:123]
	v_mul_f64 v[122:123], v[1:2], v[122:123]
	s_waitcnt vmcnt(0)
	v_fma_f64 v[1:2], v[1:2], v[126:127], -v[128:129]
	v_fma_f64 v[3:4], v[3:4], v[126:127], v[122:123]
.LBB120_778:
	s_mov_b32 s8, exec_lo
	v_cmpx_ne_u32_e32 41, v0
	s_cbranch_execz .LBB120_782
; %bb.779:
	v_add_nc_u32_e32 v122, 0x3a0, v125
	v_add3_u32 v123, 0, v125, 16
	v_mov_b32_e32 v124, v0
	s_mov_b32 s64, 0
	.p2align	6
.LBB120_780:                            ; =>This Inner Loop Header: Depth=1
	s_clause 0x3
	buffer_load_dword v130, v123, s[0:3], 0 offen offset:8
	buffer_load_dword v131, v123, s[0:3], 0 offen offset:12
	buffer_load_dword v132, v123, s[0:3], 0 offen
	buffer_load_dword v133, v123, s[0:3], 0 offen offset:4
	ds_read_b128 v[126:129], v122
	v_add_nc_u32_e32 v124, 1, v124
	v_add_nc_u32_e32 v122, 16, v122
	v_add_nc_u32_e32 v123, 16, v123
	v_cmp_lt_u32_e32 vcc_lo, 40, v124
	s_or_b32 s64, vcc_lo, s64
	s_waitcnt vmcnt(2) lgkmcnt(0)
	v_mul_f64 v[134:135], v[128:129], v[130:131]
	v_mul_f64 v[130:131], v[126:127], v[130:131]
	s_waitcnt vmcnt(0)
	v_fma_f64 v[126:127], v[126:127], v[132:133], -v[134:135]
	v_fma_f64 v[128:129], v[128:129], v[132:133], v[130:131]
	v_add_f64 v[1:2], v[1:2], v[126:127]
	v_add_f64 v[3:4], v[3:4], v[128:129]
	s_andn2_b32 exec_lo, exec_lo, s64
	s_cbranch_execnz .LBB120_780
; %bb.781:
	s_or_b32 exec_lo, exec_lo, s64
.LBB120_782:
	s_or_b32 exec_lo, exec_lo, s8
	v_mov_b32_e32 v122, 0
	ds_read_b128 v[126:129], v122 offset:672
	s_waitcnt lgkmcnt(0)
	v_mul_f64 v[122:123], v[3:4], v[128:129]
	v_mul_f64 v[128:129], v[1:2], v[128:129]
	v_fma_f64 v[1:2], v[1:2], v[126:127], -v[122:123]
	v_fma_f64 v[3:4], v[3:4], v[126:127], v[128:129]
	buffer_store_dword v2, off, s[0:3], 0 offset:676
	buffer_store_dword v1, off, s[0:3], 0 offset:672
	;; [unrolled: 1-line block ×4, first 2 shown]
.LBB120_783:
	s_or_b32 exec_lo, exec_lo, s4
	v_mov_b32_e32 v4, s20
	s_mov_b32 s4, exec_lo
	s_clause 0x3
	buffer_load_dword v1, v4, s[0:3], 0 offen
	buffer_load_dword v2, v4, s[0:3], 0 offen offset:4
	buffer_load_dword v3, v4, s[0:3], 0 offen offset:8
	;; [unrolled: 1-line block ×3, first 2 shown]
	s_waitcnt vmcnt(0)
	ds_write_b128 v120, v[1:4]
	s_waitcnt lgkmcnt(0)
	s_waitcnt_vscnt null, 0x0
	s_barrier
	buffer_gl0_inv
	v_cmpx_gt_u32_e32 43, v0
	s_cbranch_execz .LBB120_791
; %bb.784:
	ds_read_b128 v[1:4], v120
	v_cmp_ne_u32_e32 vcc_lo, 1, v121
	s_cbranch_vccnz .LBB120_786
; %bb.785:
	s_clause 0x3
	buffer_load_dword v122, v119, s[0:3], 0 offen offset:8
	buffer_load_dword v123, v119, s[0:3], 0 offen offset:12
	buffer_load_dword v126, v119, s[0:3], 0 offen
	buffer_load_dword v127, v119, s[0:3], 0 offen offset:4
	s_waitcnt vmcnt(2) lgkmcnt(0)
	v_mul_f64 v[128:129], v[3:4], v[122:123]
	v_mul_f64 v[122:123], v[1:2], v[122:123]
	s_waitcnt vmcnt(0)
	v_fma_f64 v[1:2], v[1:2], v[126:127], -v[128:129]
	v_fma_f64 v[3:4], v[3:4], v[126:127], v[122:123]
.LBB120_786:
	s_mov_b32 s8, exec_lo
	v_cmpx_ne_u32_e32 42, v0
	s_cbranch_execz .LBB120_790
; %bb.787:
	v_add_nc_u32_e32 v122, 0x3a0, v125
	v_add3_u32 v123, 0, v125, 16
	v_mov_b32_e32 v124, v0
	s_mov_b32 s64, 0
	.p2align	6
.LBB120_788:                            ; =>This Inner Loop Header: Depth=1
	s_clause 0x3
	buffer_load_dword v130, v123, s[0:3], 0 offen offset:8
	buffer_load_dword v131, v123, s[0:3], 0 offen offset:12
	buffer_load_dword v132, v123, s[0:3], 0 offen
	buffer_load_dword v133, v123, s[0:3], 0 offen offset:4
	ds_read_b128 v[126:129], v122
	v_add_nc_u32_e32 v124, 1, v124
	v_add_nc_u32_e32 v122, 16, v122
	;; [unrolled: 1-line block ×3, first 2 shown]
	v_cmp_lt_u32_e32 vcc_lo, 41, v124
	s_or_b32 s64, vcc_lo, s64
	s_waitcnt vmcnt(2) lgkmcnt(0)
	v_mul_f64 v[134:135], v[128:129], v[130:131]
	v_mul_f64 v[130:131], v[126:127], v[130:131]
	s_waitcnt vmcnt(0)
	v_fma_f64 v[126:127], v[126:127], v[132:133], -v[134:135]
	v_fma_f64 v[128:129], v[128:129], v[132:133], v[130:131]
	v_add_f64 v[1:2], v[1:2], v[126:127]
	v_add_f64 v[3:4], v[3:4], v[128:129]
	s_andn2_b32 exec_lo, exec_lo, s64
	s_cbranch_execnz .LBB120_788
; %bb.789:
	s_or_b32 exec_lo, exec_lo, s64
.LBB120_790:
	s_or_b32 exec_lo, exec_lo, s8
	v_mov_b32_e32 v122, 0
	ds_read_b128 v[126:129], v122 offset:688
	s_waitcnt lgkmcnt(0)
	v_mul_f64 v[122:123], v[3:4], v[128:129]
	v_mul_f64 v[128:129], v[1:2], v[128:129]
	v_fma_f64 v[1:2], v[1:2], v[126:127], -v[122:123]
	v_fma_f64 v[3:4], v[3:4], v[126:127], v[128:129]
	buffer_store_dword v2, off, s[0:3], 0 offset:692
	buffer_store_dword v1, off, s[0:3], 0 offset:688
	;; [unrolled: 1-line block ×4, first 2 shown]
.LBB120_791:
	s_or_b32 exec_lo, exec_lo, s4
	v_mov_b32_e32 v4, s19
	s_mov_b32 s4, exec_lo
	s_clause 0x3
	buffer_load_dword v1, v4, s[0:3], 0 offen
	buffer_load_dword v2, v4, s[0:3], 0 offen offset:4
	buffer_load_dword v3, v4, s[0:3], 0 offen offset:8
	;; [unrolled: 1-line block ×3, first 2 shown]
	s_waitcnt vmcnt(0)
	ds_write_b128 v120, v[1:4]
	s_waitcnt lgkmcnt(0)
	s_waitcnt_vscnt null, 0x0
	s_barrier
	buffer_gl0_inv
	v_cmpx_gt_u32_e32 44, v0
	s_cbranch_execz .LBB120_799
; %bb.792:
	ds_read_b128 v[1:4], v120
	v_cmp_ne_u32_e32 vcc_lo, 1, v121
	s_cbranch_vccnz .LBB120_794
; %bb.793:
	s_clause 0x3
	buffer_load_dword v122, v119, s[0:3], 0 offen offset:8
	buffer_load_dword v123, v119, s[0:3], 0 offen offset:12
	buffer_load_dword v126, v119, s[0:3], 0 offen
	buffer_load_dword v127, v119, s[0:3], 0 offen offset:4
	s_waitcnt vmcnt(2) lgkmcnt(0)
	v_mul_f64 v[128:129], v[3:4], v[122:123]
	v_mul_f64 v[122:123], v[1:2], v[122:123]
	s_waitcnt vmcnt(0)
	v_fma_f64 v[1:2], v[1:2], v[126:127], -v[128:129]
	v_fma_f64 v[3:4], v[3:4], v[126:127], v[122:123]
.LBB120_794:
	s_mov_b32 s8, exec_lo
	v_cmpx_ne_u32_e32 43, v0
	s_cbranch_execz .LBB120_798
; %bb.795:
	v_add_nc_u32_e32 v122, 0x3a0, v125
	v_add3_u32 v123, 0, v125, 16
	v_mov_b32_e32 v124, v0
	s_mov_b32 s64, 0
	.p2align	6
.LBB120_796:                            ; =>This Inner Loop Header: Depth=1
	s_clause 0x3
	buffer_load_dword v130, v123, s[0:3], 0 offen offset:8
	buffer_load_dword v131, v123, s[0:3], 0 offen offset:12
	buffer_load_dword v132, v123, s[0:3], 0 offen
	buffer_load_dword v133, v123, s[0:3], 0 offen offset:4
	ds_read_b128 v[126:129], v122
	v_add_nc_u32_e32 v124, 1, v124
	v_add_nc_u32_e32 v122, 16, v122
	;; [unrolled: 1-line block ×3, first 2 shown]
	v_cmp_lt_u32_e32 vcc_lo, 42, v124
	s_or_b32 s64, vcc_lo, s64
	s_waitcnt vmcnt(2) lgkmcnt(0)
	v_mul_f64 v[134:135], v[128:129], v[130:131]
	v_mul_f64 v[130:131], v[126:127], v[130:131]
	s_waitcnt vmcnt(0)
	v_fma_f64 v[126:127], v[126:127], v[132:133], -v[134:135]
	v_fma_f64 v[128:129], v[128:129], v[132:133], v[130:131]
	v_add_f64 v[1:2], v[1:2], v[126:127]
	v_add_f64 v[3:4], v[3:4], v[128:129]
	s_andn2_b32 exec_lo, exec_lo, s64
	s_cbranch_execnz .LBB120_796
; %bb.797:
	s_or_b32 exec_lo, exec_lo, s64
.LBB120_798:
	s_or_b32 exec_lo, exec_lo, s8
	v_mov_b32_e32 v122, 0
	ds_read_b128 v[126:129], v122 offset:704
	s_waitcnt lgkmcnt(0)
	v_mul_f64 v[122:123], v[3:4], v[128:129]
	v_mul_f64 v[128:129], v[1:2], v[128:129]
	v_fma_f64 v[1:2], v[1:2], v[126:127], -v[122:123]
	v_fma_f64 v[3:4], v[3:4], v[126:127], v[128:129]
	buffer_store_dword v2, off, s[0:3], 0 offset:708
	buffer_store_dword v1, off, s[0:3], 0 offset:704
	;; [unrolled: 1-line block ×4, first 2 shown]
.LBB120_799:
	s_or_b32 exec_lo, exec_lo, s4
	v_mov_b32_e32 v4, s18
	s_mov_b32 s4, exec_lo
	s_clause 0x3
	buffer_load_dword v1, v4, s[0:3], 0 offen
	buffer_load_dword v2, v4, s[0:3], 0 offen offset:4
	buffer_load_dword v3, v4, s[0:3], 0 offen offset:8
	buffer_load_dword v4, v4, s[0:3], 0 offen offset:12
	s_waitcnt vmcnt(0)
	ds_write_b128 v120, v[1:4]
	s_waitcnt lgkmcnt(0)
	s_waitcnt_vscnt null, 0x0
	s_barrier
	buffer_gl0_inv
	v_cmpx_gt_u32_e32 45, v0
	s_cbranch_execz .LBB120_807
; %bb.800:
	ds_read_b128 v[1:4], v120
	v_cmp_ne_u32_e32 vcc_lo, 1, v121
	s_cbranch_vccnz .LBB120_802
; %bb.801:
	s_clause 0x3
	buffer_load_dword v122, v119, s[0:3], 0 offen offset:8
	buffer_load_dword v123, v119, s[0:3], 0 offen offset:12
	buffer_load_dword v126, v119, s[0:3], 0 offen
	buffer_load_dword v127, v119, s[0:3], 0 offen offset:4
	s_waitcnt vmcnt(2) lgkmcnt(0)
	v_mul_f64 v[128:129], v[3:4], v[122:123]
	v_mul_f64 v[122:123], v[1:2], v[122:123]
	s_waitcnt vmcnt(0)
	v_fma_f64 v[1:2], v[1:2], v[126:127], -v[128:129]
	v_fma_f64 v[3:4], v[3:4], v[126:127], v[122:123]
.LBB120_802:
	s_mov_b32 s8, exec_lo
	v_cmpx_ne_u32_e32 44, v0
	s_cbranch_execz .LBB120_806
; %bb.803:
	v_add_nc_u32_e32 v122, 0x3a0, v125
	v_add3_u32 v123, 0, v125, 16
	v_mov_b32_e32 v124, v0
	s_mov_b32 s64, 0
	.p2align	6
.LBB120_804:                            ; =>This Inner Loop Header: Depth=1
	s_clause 0x3
	buffer_load_dword v130, v123, s[0:3], 0 offen offset:8
	buffer_load_dword v131, v123, s[0:3], 0 offen offset:12
	buffer_load_dword v132, v123, s[0:3], 0 offen
	buffer_load_dword v133, v123, s[0:3], 0 offen offset:4
	ds_read_b128 v[126:129], v122
	v_add_nc_u32_e32 v124, 1, v124
	v_add_nc_u32_e32 v122, 16, v122
	v_add_nc_u32_e32 v123, 16, v123
	v_cmp_lt_u32_e32 vcc_lo, 43, v124
	s_or_b32 s64, vcc_lo, s64
	s_waitcnt vmcnt(2) lgkmcnt(0)
	v_mul_f64 v[134:135], v[128:129], v[130:131]
	v_mul_f64 v[130:131], v[126:127], v[130:131]
	s_waitcnt vmcnt(0)
	v_fma_f64 v[126:127], v[126:127], v[132:133], -v[134:135]
	v_fma_f64 v[128:129], v[128:129], v[132:133], v[130:131]
	v_add_f64 v[1:2], v[1:2], v[126:127]
	v_add_f64 v[3:4], v[3:4], v[128:129]
	s_andn2_b32 exec_lo, exec_lo, s64
	s_cbranch_execnz .LBB120_804
; %bb.805:
	s_or_b32 exec_lo, exec_lo, s64
.LBB120_806:
	s_or_b32 exec_lo, exec_lo, s8
	v_mov_b32_e32 v122, 0
	ds_read_b128 v[126:129], v122 offset:720
	s_waitcnt lgkmcnt(0)
	v_mul_f64 v[122:123], v[3:4], v[128:129]
	v_mul_f64 v[128:129], v[1:2], v[128:129]
	v_fma_f64 v[1:2], v[1:2], v[126:127], -v[122:123]
	v_fma_f64 v[3:4], v[3:4], v[126:127], v[128:129]
	buffer_store_dword v2, off, s[0:3], 0 offset:724
	buffer_store_dword v1, off, s[0:3], 0 offset:720
	;; [unrolled: 1-line block ×4, first 2 shown]
.LBB120_807:
	s_or_b32 exec_lo, exec_lo, s4
	v_mov_b32_e32 v4, s17
	s_mov_b32 s4, exec_lo
	s_clause 0x3
	buffer_load_dword v1, v4, s[0:3], 0 offen
	buffer_load_dword v2, v4, s[0:3], 0 offen offset:4
	buffer_load_dword v3, v4, s[0:3], 0 offen offset:8
	;; [unrolled: 1-line block ×3, first 2 shown]
	s_waitcnt vmcnt(0)
	ds_write_b128 v120, v[1:4]
	s_waitcnt lgkmcnt(0)
	s_waitcnt_vscnt null, 0x0
	s_barrier
	buffer_gl0_inv
	v_cmpx_gt_u32_e32 46, v0
	s_cbranch_execz .LBB120_815
; %bb.808:
	ds_read_b128 v[1:4], v120
	v_cmp_ne_u32_e32 vcc_lo, 1, v121
	s_cbranch_vccnz .LBB120_810
; %bb.809:
	s_clause 0x3
	buffer_load_dword v122, v119, s[0:3], 0 offen offset:8
	buffer_load_dword v123, v119, s[0:3], 0 offen offset:12
	buffer_load_dword v126, v119, s[0:3], 0 offen
	buffer_load_dword v127, v119, s[0:3], 0 offen offset:4
	s_waitcnt vmcnt(2) lgkmcnt(0)
	v_mul_f64 v[128:129], v[3:4], v[122:123]
	v_mul_f64 v[122:123], v[1:2], v[122:123]
	s_waitcnt vmcnt(0)
	v_fma_f64 v[1:2], v[1:2], v[126:127], -v[128:129]
	v_fma_f64 v[3:4], v[3:4], v[126:127], v[122:123]
.LBB120_810:
	s_mov_b32 s8, exec_lo
	v_cmpx_ne_u32_e32 45, v0
	s_cbranch_execz .LBB120_814
; %bb.811:
	v_add_nc_u32_e32 v122, 0x3a0, v125
	v_add3_u32 v123, 0, v125, 16
	v_mov_b32_e32 v124, v0
	s_mov_b32 s64, 0
	.p2align	6
.LBB120_812:                            ; =>This Inner Loop Header: Depth=1
	s_clause 0x3
	buffer_load_dword v130, v123, s[0:3], 0 offen offset:8
	buffer_load_dword v131, v123, s[0:3], 0 offen offset:12
	buffer_load_dword v132, v123, s[0:3], 0 offen
	buffer_load_dword v133, v123, s[0:3], 0 offen offset:4
	ds_read_b128 v[126:129], v122
	v_add_nc_u32_e32 v124, 1, v124
	v_add_nc_u32_e32 v122, 16, v122
	v_add_nc_u32_e32 v123, 16, v123
	v_cmp_lt_u32_e32 vcc_lo, 44, v124
	s_or_b32 s64, vcc_lo, s64
	s_waitcnt vmcnt(2) lgkmcnt(0)
	v_mul_f64 v[134:135], v[128:129], v[130:131]
	v_mul_f64 v[130:131], v[126:127], v[130:131]
	s_waitcnt vmcnt(0)
	v_fma_f64 v[126:127], v[126:127], v[132:133], -v[134:135]
	v_fma_f64 v[128:129], v[128:129], v[132:133], v[130:131]
	v_add_f64 v[1:2], v[1:2], v[126:127]
	v_add_f64 v[3:4], v[3:4], v[128:129]
	s_andn2_b32 exec_lo, exec_lo, s64
	s_cbranch_execnz .LBB120_812
; %bb.813:
	s_or_b32 exec_lo, exec_lo, s64
.LBB120_814:
	s_or_b32 exec_lo, exec_lo, s8
	v_mov_b32_e32 v122, 0
	ds_read_b128 v[126:129], v122 offset:736
	s_waitcnt lgkmcnt(0)
	v_mul_f64 v[122:123], v[3:4], v[128:129]
	v_mul_f64 v[128:129], v[1:2], v[128:129]
	v_fma_f64 v[1:2], v[1:2], v[126:127], -v[122:123]
	v_fma_f64 v[3:4], v[3:4], v[126:127], v[128:129]
	buffer_store_dword v2, off, s[0:3], 0 offset:740
	buffer_store_dword v1, off, s[0:3], 0 offset:736
	;; [unrolled: 1-line block ×4, first 2 shown]
.LBB120_815:
	s_or_b32 exec_lo, exec_lo, s4
	v_mov_b32_e32 v4, s16
	s_mov_b32 s4, exec_lo
	s_clause 0x3
	buffer_load_dword v1, v4, s[0:3], 0 offen
	buffer_load_dword v2, v4, s[0:3], 0 offen offset:4
	buffer_load_dword v3, v4, s[0:3], 0 offen offset:8
	buffer_load_dword v4, v4, s[0:3], 0 offen offset:12
	s_waitcnt vmcnt(0)
	ds_write_b128 v120, v[1:4]
	s_waitcnt lgkmcnt(0)
	s_waitcnt_vscnt null, 0x0
	s_barrier
	buffer_gl0_inv
	v_cmpx_gt_u32_e32 47, v0
	s_cbranch_execz .LBB120_823
; %bb.816:
	ds_read_b128 v[1:4], v120
	v_cmp_ne_u32_e32 vcc_lo, 1, v121
	s_cbranch_vccnz .LBB120_818
; %bb.817:
	s_clause 0x3
	buffer_load_dword v122, v119, s[0:3], 0 offen offset:8
	buffer_load_dword v123, v119, s[0:3], 0 offen offset:12
	buffer_load_dword v126, v119, s[0:3], 0 offen
	buffer_load_dword v127, v119, s[0:3], 0 offen offset:4
	s_waitcnt vmcnt(2) lgkmcnt(0)
	v_mul_f64 v[128:129], v[3:4], v[122:123]
	v_mul_f64 v[122:123], v[1:2], v[122:123]
	s_waitcnt vmcnt(0)
	v_fma_f64 v[1:2], v[1:2], v[126:127], -v[128:129]
	v_fma_f64 v[3:4], v[3:4], v[126:127], v[122:123]
.LBB120_818:
	s_mov_b32 s8, exec_lo
	v_cmpx_ne_u32_e32 46, v0
	s_cbranch_execz .LBB120_822
; %bb.819:
	v_add_nc_u32_e32 v122, 0x3a0, v125
	v_add3_u32 v123, 0, v125, 16
	v_mov_b32_e32 v124, v0
	s_mov_b32 s64, 0
	.p2align	6
.LBB120_820:                            ; =>This Inner Loop Header: Depth=1
	s_clause 0x3
	buffer_load_dword v130, v123, s[0:3], 0 offen offset:8
	buffer_load_dword v131, v123, s[0:3], 0 offen offset:12
	buffer_load_dword v132, v123, s[0:3], 0 offen
	buffer_load_dword v133, v123, s[0:3], 0 offen offset:4
	ds_read_b128 v[126:129], v122
	v_add_nc_u32_e32 v124, 1, v124
	v_add_nc_u32_e32 v122, 16, v122
	;; [unrolled: 1-line block ×3, first 2 shown]
	v_cmp_lt_u32_e32 vcc_lo, 45, v124
	s_or_b32 s64, vcc_lo, s64
	s_waitcnt vmcnt(2) lgkmcnt(0)
	v_mul_f64 v[134:135], v[128:129], v[130:131]
	v_mul_f64 v[130:131], v[126:127], v[130:131]
	s_waitcnt vmcnt(0)
	v_fma_f64 v[126:127], v[126:127], v[132:133], -v[134:135]
	v_fma_f64 v[128:129], v[128:129], v[132:133], v[130:131]
	v_add_f64 v[1:2], v[1:2], v[126:127]
	v_add_f64 v[3:4], v[3:4], v[128:129]
	s_andn2_b32 exec_lo, exec_lo, s64
	s_cbranch_execnz .LBB120_820
; %bb.821:
	s_or_b32 exec_lo, exec_lo, s64
.LBB120_822:
	s_or_b32 exec_lo, exec_lo, s8
	v_mov_b32_e32 v122, 0
	ds_read_b128 v[126:129], v122 offset:752
	s_waitcnt lgkmcnt(0)
	v_mul_f64 v[122:123], v[3:4], v[128:129]
	v_mul_f64 v[128:129], v[1:2], v[128:129]
	v_fma_f64 v[1:2], v[1:2], v[126:127], -v[122:123]
	v_fma_f64 v[3:4], v[3:4], v[126:127], v[128:129]
	buffer_store_dword v2, off, s[0:3], 0 offset:756
	buffer_store_dword v1, off, s[0:3], 0 offset:752
	;; [unrolled: 1-line block ×4, first 2 shown]
.LBB120_823:
	s_or_b32 exec_lo, exec_lo, s4
	v_mov_b32_e32 v4, s15
	s_mov_b32 s4, exec_lo
	s_clause 0x3
	buffer_load_dword v1, v4, s[0:3], 0 offen
	buffer_load_dword v2, v4, s[0:3], 0 offen offset:4
	buffer_load_dword v3, v4, s[0:3], 0 offen offset:8
	;; [unrolled: 1-line block ×3, first 2 shown]
	s_waitcnt vmcnt(0)
	ds_write_b128 v120, v[1:4]
	s_waitcnt lgkmcnt(0)
	s_waitcnt_vscnt null, 0x0
	s_barrier
	buffer_gl0_inv
	v_cmpx_gt_u32_e32 48, v0
	s_cbranch_execz .LBB120_831
; %bb.824:
	ds_read_b128 v[1:4], v120
	v_cmp_ne_u32_e32 vcc_lo, 1, v121
	s_cbranch_vccnz .LBB120_826
; %bb.825:
	s_clause 0x3
	buffer_load_dword v122, v119, s[0:3], 0 offen offset:8
	buffer_load_dword v123, v119, s[0:3], 0 offen offset:12
	buffer_load_dword v126, v119, s[0:3], 0 offen
	buffer_load_dword v127, v119, s[0:3], 0 offen offset:4
	s_waitcnt vmcnt(2) lgkmcnt(0)
	v_mul_f64 v[128:129], v[3:4], v[122:123]
	v_mul_f64 v[122:123], v[1:2], v[122:123]
	s_waitcnt vmcnt(0)
	v_fma_f64 v[1:2], v[1:2], v[126:127], -v[128:129]
	v_fma_f64 v[3:4], v[3:4], v[126:127], v[122:123]
.LBB120_826:
	s_mov_b32 s8, exec_lo
	v_cmpx_ne_u32_e32 47, v0
	s_cbranch_execz .LBB120_830
; %bb.827:
	v_add_nc_u32_e32 v122, 0x3a0, v125
	v_add3_u32 v123, 0, v125, 16
	v_mov_b32_e32 v124, v0
	s_mov_b32 s64, 0
	.p2align	6
.LBB120_828:                            ; =>This Inner Loop Header: Depth=1
	s_clause 0x3
	buffer_load_dword v130, v123, s[0:3], 0 offen offset:8
	buffer_load_dword v131, v123, s[0:3], 0 offen offset:12
	buffer_load_dword v132, v123, s[0:3], 0 offen
	buffer_load_dword v133, v123, s[0:3], 0 offen offset:4
	ds_read_b128 v[126:129], v122
	v_add_nc_u32_e32 v124, 1, v124
	v_add_nc_u32_e32 v122, 16, v122
	;; [unrolled: 1-line block ×3, first 2 shown]
	v_cmp_lt_u32_e32 vcc_lo, 46, v124
	s_or_b32 s64, vcc_lo, s64
	s_waitcnt vmcnt(2) lgkmcnt(0)
	v_mul_f64 v[134:135], v[128:129], v[130:131]
	v_mul_f64 v[130:131], v[126:127], v[130:131]
	s_waitcnt vmcnt(0)
	v_fma_f64 v[126:127], v[126:127], v[132:133], -v[134:135]
	v_fma_f64 v[128:129], v[128:129], v[132:133], v[130:131]
	v_add_f64 v[1:2], v[1:2], v[126:127]
	v_add_f64 v[3:4], v[3:4], v[128:129]
	s_andn2_b32 exec_lo, exec_lo, s64
	s_cbranch_execnz .LBB120_828
; %bb.829:
	s_or_b32 exec_lo, exec_lo, s64
.LBB120_830:
	s_or_b32 exec_lo, exec_lo, s8
	v_mov_b32_e32 v122, 0
	ds_read_b128 v[126:129], v122 offset:768
	s_waitcnt lgkmcnt(0)
	v_mul_f64 v[122:123], v[3:4], v[128:129]
	v_mul_f64 v[128:129], v[1:2], v[128:129]
	v_fma_f64 v[1:2], v[1:2], v[126:127], -v[122:123]
	v_fma_f64 v[3:4], v[3:4], v[126:127], v[128:129]
	buffer_store_dword v2, off, s[0:3], 0 offset:772
	buffer_store_dword v1, off, s[0:3], 0 offset:768
	;; [unrolled: 1-line block ×4, first 2 shown]
.LBB120_831:
	s_or_b32 exec_lo, exec_lo, s4
	v_mov_b32_e32 v4, s14
	s_mov_b32 s4, exec_lo
	s_clause 0x3
	buffer_load_dword v1, v4, s[0:3], 0 offen
	buffer_load_dword v2, v4, s[0:3], 0 offen offset:4
	buffer_load_dword v3, v4, s[0:3], 0 offen offset:8
	buffer_load_dword v4, v4, s[0:3], 0 offen offset:12
	s_waitcnt vmcnt(0)
	ds_write_b128 v120, v[1:4]
	s_waitcnt lgkmcnt(0)
	s_waitcnt_vscnt null, 0x0
	s_barrier
	buffer_gl0_inv
	v_cmpx_gt_u32_e32 49, v0
	s_cbranch_execz .LBB120_839
; %bb.832:
	ds_read_b128 v[1:4], v120
	v_cmp_ne_u32_e32 vcc_lo, 1, v121
	s_cbranch_vccnz .LBB120_834
; %bb.833:
	s_clause 0x3
	buffer_load_dword v122, v119, s[0:3], 0 offen offset:8
	buffer_load_dword v123, v119, s[0:3], 0 offen offset:12
	buffer_load_dword v126, v119, s[0:3], 0 offen
	buffer_load_dword v127, v119, s[0:3], 0 offen offset:4
	s_waitcnt vmcnt(2) lgkmcnt(0)
	v_mul_f64 v[128:129], v[3:4], v[122:123]
	v_mul_f64 v[122:123], v[1:2], v[122:123]
	s_waitcnt vmcnt(0)
	v_fma_f64 v[1:2], v[1:2], v[126:127], -v[128:129]
	v_fma_f64 v[3:4], v[3:4], v[126:127], v[122:123]
.LBB120_834:
	s_mov_b32 s8, exec_lo
	v_cmpx_ne_u32_e32 48, v0
	s_cbranch_execz .LBB120_838
; %bb.835:
	v_add_nc_u32_e32 v122, 0x3a0, v125
	v_add3_u32 v123, 0, v125, 16
	v_mov_b32_e32 v124, v0
	s_mov_b32 s64, 0
	.p2align	6
.LBB120_836:                            ; =>This Inner Loop Header: Depth=1
	s_clause 0x3
	buffer_load_dword v130, v123, s[0:3], 0 offen offset:8
	buffer_load_dword v131, v123, s[0:3], 0 offen offset:12
	buffer_load_dword v132, v123, s[0:3], 0 offen
	buffer_load_dword v133, v123, s[0:3], 0 offen offset:4
	ds_read_b128 v[126:129], v122
	v_add_nc_u32_e32 v124, 1, v124
	v_add_nc_u32_e32 v122, 16, v122
	;; [unrolled: 1-line block ×3, first 2 shown]
	v_cmp_lt_u32_e32 vcc_lo, 47, v124
	s_or_b32 s64, vcc_lo, s64
	s_waitcnt vmcnt(2) lgkmcnt(0)
	v_mul_f64 v[134:135], v[128:129], v[130:131]
	v_mul_f64 v[130:131], v[126:127], v[130:131]
	s_waitcnt vmcnt(0)
	v_fma_f64 v[126:127], v[126:127], v[132:133], -v[134:135]
	v_fma_f64 v[128:129], v[128:129], v[132:133], v[130:131]
	v_add_f64 v[1:2], v[1:2], v[126:127]
	v_add_f64 v[3:4], v[3:4], v[128:129]
	s_andn2_b32 exec_lo, exec_lo, s64
	s_cbranch_execnz .LBB120_836
; %bb.837:
	s_or_b32 exec_lo, exec_lo, s64
.LBB120_838:
	s_or_b32 exec_lo, exec_lo, s8
	v_mov_b32_e32 v122, 0
	ds_read_b128 v[126:129], v122 offset:784
	s_waitcnt lgkmcnt(0)
	v_mul_f64 v[122:123], v[3:4], v[128:129]
	v_mul_f64 v[128:129], v[1:2], v[128:129]
	v_fma_f64 v[1:2], v[1:2], v[126:127], -v[122:123]
	v_fma_f64 v[3:4], v[3:4], v[126:127], v[128:129]
	buffer_store_dword v2, off, s[0:3], 0 offset:788
	buffer_store_dword v1, off, s[0:3], 0 offset:784
	;; [unrolled: 1-line block ×4, first 2 shown]
.LBB120_839:
	s_or_b32 exec_lo, exec_lo, s4
	v_mov_b32_e32 v4, s13
	s_mov_b32 s4, exec_lo
	s_clause 0x3
	buffer_load_dword v1, v4, s[0:3], 0 offen
	buffer_load_dword v2, v4, s[0:3], 0 offen offset:4
	buffer_load_dword v3, v4, s[0:3], 0 offen offset:8
	;; [unrolled: 1-line block ×3, first 2 shown]
	s_waitcnt vmcnt(0)
	ds_write_b128 v120, v[1:4]
	s_waitcnt lgkmcnt(0)
	s_waitcnt_vscnt null, 0x0
	s_barrier
	buffer_gl0_inv
	v_cmpx_gt_u32_e32 50, v0
	s_cbranch_execz .LBB120_847
; %bb.840:
	ds_read_b128 v[1:4], v120
	v_cmp_ne_u32_e32 vcc_lo, 1, v121
	s_cbranch_vccnz .LBB120_842
; %bb.841:
	s_clause 0x3
	buffer_load_dword v122, v119, s[0:3], 0 offen offset:8
	buffer_load_dword v123, v119, s[0:3], 0 offen offset:12
	buffer_load_dword v126, v119, s[0:3], 0 offen
	buffer_load_dword v127, v119, s[0:3], 0 offen offset:4
	s_waitcnt vmcnt(2) lgkmcnt(0)
	v_mul_f64 v[128:129], v[3:4], v[122:123]
	v_mul_f64 v[122:123], v[1:2], v[122:123]
	s_waitcnt vmcnt(0)
	v_fma_f64 v[1:2], v[1:2], v[126:127], -v[128:129]
	v_fma_f64 v[3:4], v[3:4], v[126:127], v[122:123]
.LBB120_842:
	s_mov_b32 s8, exec_lo
	v_cmpx_ne_u32_e32 49, v0
	s_cbranch_execz .LBB120_846
; %bb.843:
	v_add_nc_u32_e32 v122, 0x3a0, v125
	v_add3_u32 v123, 0, v125, 16
	v_mov_b32_e32 v124, v0
	s_mov_b32 s64, 0
	.p2align	6
.LBB120_844:                            ; =>This Inner Loop Header: Depth=1
	s_clause 0x3
	buffer_load_dword v130, v123, s[0:3], 0 offen offset:8
	buffer_load_dword v131, v123, s[0:3], 0 offen offset:12
	buffer_load_dword v132, v123, s[0:3], 0 offen
	buffer_load_dword v133, v123, s[0:3], 0 offen offset:4
	ds_read_b128 v[126:129], v122
	v_add_nc_u32_e32 v124, 1, v124
	v_add_nc_u32_e32 v122, 16, v122
	;; [unrolled: 1-line block ×3, first 2 shown]
	v_cmp_lt_u32_e32 vcc_lo, 48, v124
	s_or_b32 s64, vcc_lo, s64
	s_waitcnt vmcnt(2) lgkmcnt(0)
	v_mul_f64 v[134:135], v[128:129], v[130:131]
	v_mul_f64 v[130:131], v[126:127], v[130:131]
	s_waitcnt vmcnt(0)
	v_fma_f64 v[126:127], v[126:127], v[132:133], -v[134:135]
	v_fma_f64 v[128:129], v[128:129], v[132:133], v[130:131]
	v_add_f64 v[1:2], v[1:2], v[126:127]
	v_add_f64 v[3:4], v[3:4], v[128:129]
	s_andn2_b32 exec_lo, exec_lo, s64
	s_cbranch_execnz .LBB120_844
; %bb.845:
	s_or_b32 exec_lo, exec_lo, s64
.LBB120_846:
	s_or_b32 exec_lo, exec_lo, s8
	v_mov_b32_e32 v122, 0
	ds_read_b128 v[126:129], v122 offset:800
	s_waitcnt lgkmcnt(0)
	v_mul_f64 v[122:123], v[3:4], v[128:129]
	v_mul_f64 v[128:129], v[1:2], v[128:129]
	v_fma_f64 v[1:2], v[1:2], v[126:127], -v[122:123]
	v_fma_f64 v[3:4], v[3:4], v[126:127], v[128:129]
	buffer_store_dword v2, off, s[0:3], 0 offset:804
	buffer_store_dword v1, off, s[0:3], 0 offset:800
	;; [unrolled: 1-line block ×4, first 2 shown]
.LBB120_847:
	s_or_b32 exec_lo, exec_lo, s4
	v_mov_b32_e32 v4, s12
	s_mov_b32 s4, exec_lo
	s_clause 0x3
	buffer_load_dword v1, v4, s[0:3], 0 offen
	buffer_load_dword v2, v4, s[0:3], 0 offen offset:4
	buffer_load_dword v3, v4, s[0:3], 0 offen offset:8
	;; [unrolled: 1-line block ×3, first 2 shown]
	s_waitcnt vmcnt(0)
	ds_write_b128 v120, v[1:4]
	s_waitcnt lgkmcnt(0)
	s_waitcnt_vscnt null, 0x0
	s_barrier
	buffer_gl0_inv
	v_cmpx_gt_u32_e32 51, v0
	s_cbranch_execz .LBB120_855
; %bb.848:
	ds_read_b128 v[1:4], v120
	v_cmp_ne_u32_e32 vcc_lo, 1, v121
	s_cbranch_vccnz .LBB120_850
; %bb.849:
	s_clause 0x3
	buffer_load_dword v122, v119, s[0:3], 0 offen offset:8
	buffer_load_dword v123, v119, s[0:3], 0 offen offset:12
	buffer_load_dword v126, v119, s[0:3], 0 offen
	buffer_load_dword v127, v119, s[0:3], 0 offen offset:4
	s_waitcnt vmcnt(2) lgkmcnt(0)
	v_mul_f64 v[128:129], v[3:4], v[122:123]
	v_mul_f64 v[122:123], v[1:2], v[122:123]
	s_waitcnt vmcnt(0)
	v_fma_f64 v[1:2], v[1:2], v[126:127], -v[128:129]
	v_fma_f64 v[3:4], v[3:4], v[126:127], v[122:123]
.LBB120_850:
	s_mov_b32 s8, exec_lo
	v_cmpx_ne_u32_e32 50, v0
	s_cbranch_execz .LBB120_854
; %bb.851:
	v_add_nc_u32_e32 v122, 0x3a0, v125
	v_add3_u32 v123, 0, v125, 16
	v_mov_b32_e32 v124, v0
	s_mov_b32 s64, 0
	.p2align	6
.LBB120_852:                            ; =>This Inner Loop Header: Depth=1
	s_clause 0x3
	buffer_load_dword v130, v123, s[0:3], 0 offen offset:8
	buffer_load_dword v131, v123, s[0:3], 0 offen offset:12
	buffer_load_dword v132, v123, s[0:3], 0 offen
	buffer_load_dword v133, v123, s[0:3], 0 offen offset:4
	ds_read_b128 v[126:129], v122
	v_add_nc_u32_e32 v124, 1, v124
	v_add_nc_u32_e32 v122, 16, v122
	v_add_nc_u32_e32 v123, 16, v123
	v_cmp_lt_u32_e32 vcc_lo, 49, v124
	s_or_b32 s64, vcc_lo, s64
	s_waitcnt vmcnt(2) lgkmcnt(0)
	v_mul_f64 v[134:135], v[128:129], v[130:131]
	v_mul_f64 v[130:131], v[126:127], v[130:131]
	s_waitcnt vmcnt(0)
	v_fma_f64 v[126:127], v[126:127], v[132:133], -v[134:135]
	v_fma_f64 v[128:129], v[128:129], v[132:133], v[130:131]
	v_add_f64 v[1:2], v[1:2], v[126:127]
	v_add_f64 v[3:4], v[3:4], v[128:129]
	s_andn2_b32 exec_lo, exec_lo, s64
	s_cbranch_execnz .LBB120_852
; %bb.853:
	s_or_b32 exec_lo, exec_lo, s64
.LBB120_854:
	s_or_b32 exec_lo, exec_lo, s8
	v_mov_b32_e32 v122, 0
	ds_read_b128 v[126:129], v122 offset:816
	s_waitcnt lgkmcnt(0)
	v_mul_f64 v[122:123], v[3:4], v[128:129]
	v_mul_f64 v[128:129], v[1:2], v[128:129]
	v_fma_f64 v[1:2], v[1:2], v[126:127], -v[122:123]
	v_fma_f64 v[3:4], v[3:4], v[126:127], v[128:129]
	buffer_store_dword v2, off, s[0:3], 0 offset:820
	buffer_store_dword v1, off, s[0:3], 0 offset:816
	;; [unrolled: 1-line block ×4, first 2 shown]
.LBB120_855:
	s_or_b32 exec_lo, exec_lo, s4
	v_mov_b32_e32 v4, s11
	s_mov_b32 s4, exec_lo
	s_clause 0x3
	buffer_load_dword v1, v4, s[0:3], 0 offen
	buffer_load_dword v2, v4, s[0:3], 0 offen offset:4
	buffer_load_dword v3, v4, s[0:3], 0 offen offset:8
	;; [unrolled: 1-line block ×3, first 2 shown]
	s_waitcnt vmcnt(0)
	ds_write_b128 v120, v[1:4]
	s_waitcnt lgkmcnt(0)
	s_waitcnt_vscnt null, 0x0
	s_barrier
	buffer_gl0_inv
	v_cmpx_gt_u32_e32 52, v0
	s_cbranch_execz .LBB120_863
; %bb.856:
	ds_read_b128 v[1:4], v120
	v_cmp_ne_u32_e32 vcc_lo, 1, v121
	s_cbranch_vccnz .LBB120_858
; %bb.857:
	s_clause 0x3
	buffer_load_dword v122, v119, s[0:3], 0 offen offset:8
	buffer_load_dword v123, v119, s[0:3], 0 offen offset:12
	buffer_load_dword v126, v119, s[0:3], 0 offen
	buffer_load_dword v127, v119, s[0:3], 0 offen offset:4
	s_waitcnt vmcnt(2) lgkmcnt(0)
	v_mul_f64 v[128:129], v[3:4], v[122:123]
	v_mul_f64 v[122:123], v[1:2], v[122:123]
	s_waitcnt vmcnt(0)
	v_fma_f64 v[1:2], v[1:2], v[126:127], -v[128:129]
	v_fma_f64 v[3:4], v[3:4], v[126:127], v[122:123]
.LBB120_858:
	s_mov_b32 s8, exec_lo
	v_cmpx_ne_u32_e32 51, v0
	s_cbranch_execz .LBB120_862
; %bb.859:
	v_add_nc_u32_e32 v122, 0x3a0, v125
	v_add3_u32 v123, 0, v125, 16
	v_mov_b32_e32 v124, v0
	s_mov_b32 s64, 0
	.p2align	6
.LBB120_860:                            ; =>This Inner Loop Header: Depth=1
	s_clause 0x3
	buffer_load_dword v130, v123, s[0:3], 0 offen offset:8
	buffer_load_dword v131, v123, s[0:3], 0 offen offset:12
	buffer_load_dword v132, v123, s[0:3], 0 offen
	buffer_load_dword v133, v123, s[0:3], 0 offen offset:4
	ds_read_b128 v[126:129], v122
	v_add_nc_u32_e32 v124, 1, v124
	v_add_nc_u32_e32 v122, 16, v122
	v_add_nc_u32_e32 v123, 16, v123
	v_cmp_lt_u32_e32 vcc_lo, 50, v124
	s_or_b32 s64, vcc_lo, s64
	s_waitcnt vmcnt(2) lgkmcnt(0)
	v_mul_f64 v[134:135], v[128:129], v[130:131]
	v_mul_f64 v[130:131], v[126:127], v[130:131]
	s_waitcnt vmcnt(0)
	v_fma_f64 v[126:127], v[126:127], v[132:133], -v[134:135]
	v_fma_f64 v[128:129], v[128:129], v[132:133], v[130:131]
	v_add_f64 v[1:2], v[1:2], v[126:127]
	v_add_f64 v[3:4], v[3:4], v[128:129]
	s_andn2_b32 exec_lo, exec_lo, s64
	s_cbranch_execnz .LBB120_860
; %bb.861:
	s_or_b32 exec_lo, exec_lo, s64
.LBB120_862:
	s_or_b32 exec_lo, exec_lo, s8
	v_mov_b32_e32 v122, 0
	ds_read_b128 v[126:129], v122 offset:832
	s_waitcnt lgkmcnt(0)
	v_mul_f64 v[122:123], v[3:4], v[128:129]
	v_mul_f64 v[128:129], v[1:2], v[128:129]
	v_fma_f64 v[1:2], v[1:2], v[126:127], -v[122:123]
	v_fma_f64 v[3:4], v[3:4], v[126:127], v[128:129]
	buffer_store_dword v2, off, s[0:3], 0 offset:836
	buffer_store_dword v1, off, s[0:3], 0 offset:832
	buffer_store_dword v4, off, s[0:3], 0 offset:844
	buffer_store_dword v3, off, s[0:3], 0 offset:840
.LBB120_863:
	s_or_b32 exec_lo, exec_lo, s4
	v_mov_b32_e32 v4, s10
	s_mov_b32 s4, exec_lo
	s_clause 0x3
	buffer_load_dword v1, v4, s[0:3], 0 offen
	buffer_load_dword v2, v4, s[0:3], 0 offen offset:4
	buffer_load_dword v3, v4, s[0:3], 0 offen offset:8
	;; [unrolled: 1-line block ×3, first 2 shown]
	s_waitcnt vmcnt(0)
	ds_write_b128 v120, v[1:4]
	s_waitcnt lgkmcnt(0)
	s_waitcnt_vscnt null, 0x0
	s_barrier
	buffer_gl0_inv
	v_cmpx_gt_u32_e32 53, v0
	s_cbranch_execz .LBB120_871
; %bb.864:
	ds_read_b128 v[1:4], v120
	v_cmp_ne_u32_e32 vcc_lo, 1, v121
	s_cbranch_vccnz .LBB120_866
; %bb.865:
	s_clause 0x3
	buffer_load_dword v122, v119, s[0:3], 0 offen offset:8
	buffer_load_dword v123, v119, s[0:3], 0 offen offset:12
	buffer_load_dword v126, v119, s[0:3], 0 offen
	buffer_load_dword v127, v119, s[0:3], 0 offen offset:4
	s_waitcnt vmcnt(2) lgkmcnt(0)
	v_mul_f64 v[128:129], v[3:4], v[122:123]
	v_mul_f64 v[122:123], v[1:2], v[122:123]
	s_waitcnt vmcnt(0)
	v_fma_f64 v[1:2], v[1:2], v[126:127], -v[128:129]
	v_fma_f64 v[3:4], v[3:4], v[126:127], v[122:123]
.LBB120_866:
	s_mov_b32 s8, exec_lo
	v_cmpx_ne_u32_e32 52, v0
	s_cbranch_execz .LBB120_870
; %bb.867:
	v_add_nc_u32_e32 v122, 0x3a0, v125
	v_add3_u32 v123, 0, v125, 16
	v_mov_b32_e32 v124, v0
	s_mov_b32 s64, 0
	.p2align	6
.LBB120_868:                            ; =>This Inner Loop Header: Depth=1
	s_clause 0x3
	buffer_load_dword v130, v123, s[0:3], 0 offen offset:8
	buffer_load_dword v131, v123, s[0:3], 0 offen offset:12
	buffer_load_dword v132, v123, s[0:3], 0 offen
	buffer_load_dword v133, v123, s[0:3], 0 offen offset:4
	ds_read_b128 v[126:129], v122
	v_add_nc_u32_e32 v124, 1, v124
	v_add_nc_u32_e32 v122, 16, v122
	;; [unrolled: 1-line block ×3, first 2 shown]
	v_cmp_lt_u32_e32 vcc_lo, 51, v124
	s_or_b32 s64, vcc_lo, s64
	s_waitcnt vmcnt(2) lgkmcnt(0)
	v_mul_f64 v[134:135], v[128:129], v[130:131]
	v_mul_f64 v[130:131], v[126:127], v[130:131]
	s_waitcnt vmcnt(0)
	v_fma_f64 v[126:127], v[126:127], v[132:133], -v[134:135]
	v_fma_f64 v[128:129], v[128:129], v[132:133], v[130:131]
	v_add_f64 v[1:2], v[1:2], v[126:127]
	v_add_f64 v[3:4], v[3:4], v[128:129]
	s_andn2_b32 exec_lo, exec_lo, s64
	s_cbranch_execnz .LBB120_868
; %bb.869:
	s_or_b32 exec_lo, exec_lo, s64
.LBB120_870:
	s_or_b32 exec_lo, exec_lo, s8
	v_mov_b32_e32 v122, 0
	ds_read_b128 v[126:129], v122 offset:848
	s_waitcnt lgkmcnt(0)
	v_mul_f64 v[122:123], v[3:4], v[128:129]
	v_mul_f64 v[128:129], v[1:2], v[128:129]
	v_fma_f64 v[1:2], v[1:2], v[126:127], -v[122:123]
	v_fma_f64 v[3:4], v[3:4], v[126:127], v[128:129]
	buffer_store_dword v2, off, s[0:3], 0 offset:852
	buffer_store_dword v1, off, s[0:3], 0 offset:848
	;; [unrolled: 1-line block ×4, first 2 shown]
.LBB120_871:
	s_or_b32 exec_lo, exec_lo, s4
	v_mov_b32_e32 v4, s9
	s_mov_b32 s4, exec_lo
	s_clause 0x3
	buffer_load_dword v1, v4, s[0:3], 0 offen
	buffer_load_dword v2, v4, s[0:3], 0 offen offset:4
	buffer_load_dword v3, v4, s[0:3], 0 offen offset:8
	;; [unrolled: 1-line block ×3, first 2 shown]
	s_waitcnt vmcnt(0)
	ds_write_b128 v120, v[1:4]
	s_waitcnt lgkmcnt(0)
	s_waitcnt_vscnt null, 0x0
	s_barrier
	buffer_gl0_inv
	v_cmpx_gt_u32_e32 54, v0
	s_cbranch_execz .LBB120_879
; %bb.872:
	ds_read_b128 v[1:4], v120
	v_cmp_ne_u32_e32 vcc_lo, 1, v121
	s_cbranch_vccnz .LBB120_874
; %bb.873:
	s_clause 0x3
	buffer_load_dword v122, v119, s[0:3], 0 offen offset:8
	buffer_load_dword v123, v119, s[0:3], 0 offen offset:12
	buffer_load_dword v126, v119, s[0:3], 0 offen
	buffer_load_dword v127, v119, s[0:3], 0 offen offset:4
	s_waitcnt vmcnt(2) lgkmcnt(0)
	v_mul_f64 v[128:129], v[3:4], v[122:123]
	v_mul_f64 v[122:123], v[1:2], v[122:123]
	s_waitcnt vmcnt(0)
	v_fma_f64 v[1:2], v[1:2], v[126:127], -v[128:129]
	v_fma_f64 v[3:4], v[3:4], v[126:127], v[122:123]
.LBB120_874:
	s_mov_b32 s8, exec_lo
	v_cmpx_ne_u32_e32 53, v0
	s_cbranch_execz .LBB120_878
; %bb.875:
	v_add_nc_u32_e32 v122, 0x3a0, v125
	v_add3_u32 v123, 0, v125, 16
	v_mov_b32_e32 v124, v0
	s_mov_b32 s64, 0
	.p2align	6
.LBB120_876:                            ; =>This Inner Loop Header: Depth=1
	s_clause 0x3
	buffer_load_dword v130, v123, s[0:3], 0 offen offset:8
	buffer_load_dword v131, v123, s[0:3], 0 offen offset:12
	buffer_load_dword v132, v123, s[0:3], 0 offen
	buffer_load_dword v133, v123, s[0:3], 0 offen offset:4
	ds_read_b128 v[126:129], v122
	v_add_nc_u32_e32 v124, 1, v124
	v_add_nc_u32_e32 v122, 16, v122
	;; [unrolled: 1-line block ×3, first 2 shown]
	v_cmp_lt_u32_e32 vcc_lo, 52, v124
	s_or_b32 s64, vcc_lo, s64
	s_waitcnt vmcnt(2) lgkmcnt(0)
	v_mul_f64 v[134:135], v[128:129], v[130:131]
	v_mul_f64 v[130:131], v[126:127], v[130:131]
	s_waitcnt vmcnt(0)
	v_fma_f64 v[126:127], v[126:127], v[132:133], -v[134:135]
	v_fma_f64 v[128:129], v[128:129], v[132:133], v[130:131]
	v_add_f64 v[1:2], v[1:2], v[126:127]
	v_add_f64 v[3:4], v[3:4], v[128:129]
	s_andn2_b32 exec_lo, exec_lo, s64
	s_cbranch_execnz .LBB120_876
; %bb.877:
	s_or_b32 exec_lo, exec_lo, s64
.LBB120_878:
	s_or_b32 exec_lo, exec_lo, s8
	v_mov_b32_e32 v122, 0
	ds_read_b128 v[126:129], v122 offset:864
	s_waitcnt lgkmcnt(0)
	v_mul_f64 v[122:123], v[3:4], v[128:129]
	v_mul_f64 v[128:129], v[1:2], v[128:129]
	v_fma_f64 v[1:2], v[1:2], v[126:127], -v[122:123]
	v_fma_f64 v[3:4], v[3:4], v[126:127], v[128:129]
	buffer_store_dword v2, off, s[0:3], 0 offset:868
	buffer_store_dword v1, off, s[0:3], 0 offset:864
	buffer_store_dword v4, off, s[0:3], 0 offset:876
	buffer_store_dword v3, off, s[0:3], 0 offset:872
.LBB120_879:
	s_or_b32 exec_lo, exec_lo, s4
	v_mov_b32_e32 v4, s7
	v_cmp_gt_u32_e64 s4, 55, v0
	s_clause 0x3
	buffer_load_dword v1, v4, s[0:3], 0 offen
	buffer_load_dword v2, v4, s[0:3], 0 offen offset:4
	buffer_load_dword v3, v4, s[0:3], 0 offen offset:8
	;; [unrolled: 1-line block ×3, first 2 shown]
	s_waitcnt vmcnt(0)
	ds_write_b128 v120, v[1:4]
	s_waitcnt lgkmcnt(0)
	s_waitcnt_vscnt null, 0x0
	s_barrier
	buffer_gl0_inv
	s_and_saveexec_b32 s8, s4
	s_cbranch_execz .LBB120_887
; %bb.880:
	ds_read_b128 v[1:4], v120
	v_cmp_ne_u32_e32 vcc_lo, 1, v121
	s_cbranch_vccnz .LBB120_882
; %bb.881:
	s_clause 0x3
	buffer_load_dword v122, v119, s[0:3], 0 offen offset:8
	buffer_load_dword v123, v119, s[0:3], 0 offen offset:12
	buffer_load_dword v126, v119, s[0:3], 0 offen
	buffer_load_dword v127, v119, s[0:3], 0 offen offset:4
	s_waitcnt vmcnt(2) lgkmcnt(0)
	v_mul_f64 v[128:129], v[3:4], v[122:123]
	v_mul_f64 v[122:123], v[1:2], v[122:123]
	s_waitcnt vmcnt(0)
	v_fma_f64 v[1:2], v[1:2], v[126:127], -v[128:129]
	v_fma_f64 v[3:4], v[3:4], v[126:127], v[122:123]
.LBB120_882:
	s_mov_b32 s64, exec_lo
	v_cmpx_ne_u32_e32 54, v0
	s_cbranch_execz .LBB120_886
; %bb.883:
	v_add_nc_u32_e32 v122, 0x3a0, v125
	v_add3_u32 v123, 0, v125, 16
	v_mov_b32_e32 v124, v0
	s_mov_b32 s65, 0
	.p2align	6
.LBB120_884:                            ; =>This Inner Loop Header: Depth=1
	s_clause 0x3
	buffer_load_dword v130, v123, s[0:3], 0 offen offset:8
	buffer_load_dword v131, v123, s[0:3], 0 offen offset:12
	buffer_load_dword v132, v123, s[0:3], 0 offen
	buffer_load_dword v133, v123, s[0:3], 0 offen offset:4
	ds_read_b128 v[126:129], v122
	v_add_nc_u32_e32 v124, 1, v124
	v_add_nc_u32_e32 v122, 16, v122
	;; [unrolled: 1-line block ×3, first 2 shown]
	v_cmp_lt_u32_e32 vcc_lo, 53, v124
	s_or_b32 s65, vcc_lo, s65
	s_waitcnt vmcnt(2) lgkmcnt(0)
	v_mul_f64 v[134:135], v[128:129], v[130:131]
	v_mul_f64 v[130:131], v[126:127], v[130:131]
	s_waitcnt vmcnt(0)
	v_fma_f64 v[126:127], v[126:127], v[132:133], -v[134:135]
	v_fma_f64 v[128:129], v[128:129], v[132:133], v[130:131]
	v_add_f64 v[1:2], v[1:2], v[126:127]
	v_add_f64 v[3:4], v[3:4], v[128:129]
	s_andn2_b32 exec_lo, exec_lo, s65
	s_cbranch_execnz .LBB120_884
; %bb.885:
	s_or_b32 exec_lo, exec_lo, s65
.LBB120_886:
	s_or_b32 exec_lo, exec_lo, s64
	v_mov_b32_e32 v122, 0
	ds_read_b128 v[126:129], v122 offset:880
	s_waitcnt lgkmcnt(0)
	v_mul_f64 v[122:123], v[3:4], v[128:129]
	v_mul_f64 v[128:129], v[1:2], v[128:129]
	v_fma_f64 v[1:2], v[1:2], v[126:127], -v[122:123]
	v_fma_f64 v[3:4], v[3:4], v[126:127], v[128:129]
	buffer_store_dword v2, off, s[0:3], 0 offset:884
	buffer_store_dword v1, off, s[0:3], 0 offset:880
	;; [unrolled: 1-line block ×4, first 2 shown]
.LBB120_887:
	s_or_b32 exec_lo, exec_lo, s8
	v_mov_b32_e32 v4, s6
	s_mov_b32 s8, exec_lo
                                        ; implicit-def: $sgpr66
	s_clause 0x3
	buffer_load_dword v1, v4, s[0:3], 0 offen
	buffer_load_dword v2, v4, s[0:3], 0 offen offset:4
	buffer_load_dword v3, v4, s[0:3], 0 offen offset:8
	;; [unrolled: 1-line block ×3, first 2 shown]
	s_waitcnt vmcnt(0)
	ds_write_b128 v120, v[1:4]
	s_waitcnt lgkmcnt(0)
	s_waitcnt_vscnt null, 0x0
	s_barrier
	buffer_gl0_inv
                                        ; implicit-def: $vgpr1_vgpr2
	v_cmpx_ne_u32_e32 56, v0
	s_cbranch_execz .LBB120_895
; %bb.888:
	ds_read_b128 v[1:4], v120
	v_cmp_ne_u32_e32 vcc_lo, 1, v121
	s_cbranch_vccnz .LBB120_890
; %bb.889:
	s_clause 0x3
	buffer_load_dword v120, v119, s[0:3], 0 offen offset:8
	buffer_load_dword v121, v119, s[0:3], 0 offen offset:12
	buffer_load_dword v122, v119, s[0:3], 0 offen
	buffer_load_dword v123, v119, s[0:3], 0 offen offset:4
	s_waitcnt vmcnt(2) lgkmcnt(0)
	v_mul_f64 v[126:127], v[3:4], v[120:121]
	v_mul_f64 v[119:120], v[1:2], v[120:121]
	s_waitcnt vmcnt(0)
	v_fma_f64 v[1:2], v[1:2], v[122:123], -v[126:127]
	v_fma_f64 v[3:4], v[3:4], v[122:123], v[119:120]
.LBB120_890:
	s_and_saveexec_b32 s64, s4
	s_cbranch_execz .LBB120_894
; %bb.891:
	v_add_nc_u32_e32 v119, 0x3a0, v125
	v_add3_u32 v120, 0, v125, 16
	s_mov_b32 s4, 0
	.p2align	6
.LBB120_892:                            ; =>This Inner Loop Header: Depth=1
	s_clause 0x3
	buffer_load_dword v125, v120, s[0:3], 0 offen offset:8
	buffer_load_dword v126, v120, s[0:3], 0 offen offset:12
	buffer_load_dword v127, v120, s[0:3], 0 offen
	buffer_load_dword v128, v120, s[0:3], 0 offen offset:4
	ds_read_b128 v[121:124], v119
	v_add_nc_u32_e32 v0, 1, v0
	v_add_nc_u32_e32 v119, 16, v119
	;; [unrolled: 1-line block ×3, first 2 shown]
	v_cmp_lt_u32_e32 vcc_lo, 54, v0
	s_or_b32 s4, vcc_lo, s4
	s_waitcnt vmcnt(2) lgkmcnt(0)
	v_mul_f64 v[129:130], v[123:124], v[125:126]
	v_mul_f64 v[125:126], v[121:122], v[125:126]
	s_waitcnt vmcnt(0)
	v_fma_f64 v[121:122], v[121:122], v[127:128], -v[129:130]
	v_fma_f64 v[123:124], v[123:124], v[127:128], v[125:126]
	v_add_f64 v[1:2], v[1:2], v[121:122]
	v_add_f64 v[3:4], v[3:4], v[123:124]
	s_andn2_b32 exec_lo, exec_lo, s4
	s_cbranch_execnz .LBB120_892
; %bb.893:
	s_or_b32 exec_lo, exec_lo, s4
.LBB120_894:
	s_or_b32 exec_lo, exec_lo, s64
	v_mov_b32_e32 v0, 0
	s_movk_i32 s66, 0x388
	s_or_b32 s5, s5, exec_lo
	ds_read_b128 v[119:122], v0 offset:896
	s_waitcnt lgkmcnt(0)
	v_mul_f64 v[123:124], v[3:4], v[121:122]
	v_mul_f64 v[121:122], v[1:2], v[121:122]
	v_fma_f64 v[123:124], v[1:2], v[119:120], -v[123:124]
	v_fma_f64 v[1:2], v[3:4], v[119:120], v[121:122]
	buffer_store_dword v124, off, s[0:3], 0 offset:900
	buffer_store_dword v123, off, s[0:3], 0 offset:896
.LBB120_895:
	s_or_b32 exec_lo, exec_lo, s8
.LBB120_896:
	s_and_saveexec_b32 s4, s5
	s_cbranch_execz .LBB120_898
; %bb.897:
	v_mov_b32_e32 v0, s66
	buffer_store_dword v2, v0, s[0:3], 0 offen offset:4
	buffer_store_dword v1, v0, s[0:3], 0 offen
.LBB120_898:
	s_or_b32 exec_lo, exec_lo, s4
	s_clause 0x3
	buffer_load_dword v0, off, s[0:3], 0
	buffer_load_dword v1, off, s[0:3], 0 offset:4
	buffer_load_dword v2, off, s[0:3], 0 offset:8
	;; [unrolled: 1-line block ×3, first 2 shown]
	v_mov_b32_e32 v4, s63
	s_waitcnt vmcnt(0)
	flat_store_dwordx4 v[5:6], v[0:3]
	s_clause 0x3
	buffer_load_dword v0, v4, s[0:3], 0 offen
	buffer_load_dword v1, v4, s[0:3], 0 offen offset:4
	buffer_load_dword v2, v4, s[0:3], 0 offen offset:8
	buffer_load_dword v3, v4, s[0:3], 0 offen offset:12
	v_mov_b32_e32 v4, s62
	s_waitcnt vmcnt(0)
	flat_store_dwordx4 v[59:60], v[0:3]
	s_clause 0x3
	buffer_load_dword v0, v4, s[0:3], 0 offen
	buffer_load_dword v1, v4, s[0:3], 0 offen offset:4
	buffer_load_dword v2, v4, s[0:3], 0 offen offset:8
	buffer_load_dword v3, v4, s[0:3], 0 offen offset:12
	;; [unrolled: 8-line block ×56, first 2 shown]
	s_waitcnt vmcnt(0)
	flat_store_dwordx4 v[117:118], v[0:3]
.LBB120_899:
	s_endpgm
	.section	.rodata,"a",@progbits
	.p2align	6, 0x0
	.amdhsa_kernel _ZN9rocsolver6v33100L18trti2_kernel_smallILi57E19rocblas_complex_numIdEPKPS3_EEv13rocblas_fill_17rocblas_diagonal_T1_iil
		.amdhsa_group_segment_fixed_size 1824
		.amdhsa_private_segment_fixed_size 928
		.amdhsa_kernarg_size 32
		.amdhsa_user_sgpr_count 6
		.amdhsa_user_sgpr_private_segment_buffer 1
		.amdhsa_user_sgpr_dispatch_ptr 0
		.amdhsa_user_sgpr_queue_ptr 0
		.amdhsa_user_sgpr_kernarg_segment_ptr 1
		.amdhsa_user_sgpr_dispatch_id 0
		.amdhsa_user_sgpr_flat_scratch_init 0
		.amdhsa_user_sgpr_private_segment_size 0
		.amdhsa_wavefront_size32 1
		.amdhsa_uses_dynamic_stack 0
		.amdhsa_system_sgpr_private_segment_wavefront_offset 1
		.amdhsa_system_sgpr_workgroup_id_x 1
		.amdhsa_system_sgpr_workgroup_id_y 0
		.amdhsa_system_sgpr_workgroup_id_z 0
		.amdhsa_system_sgpr_workgroup_info 0
		.amdhsa_system_vgpr_workitem_id 0
		.amdhsa_next_free_vgpr 136
		.amdhsa_next_free_sgpr 90
		.amdhsa_reserve_vcc 1
		.amdhsa_reserve_flat_scratch 0
		.amdhsa_float_round_mode_32 0
		.amdhsa_float_round_mode_16_64 0
		.amdhsa_float_denorm_mode_32 3
		.amdhsa_float_denorm_mode_16_64 3
		.amdhsa_dx10_clamp 1
		.amdhsa_ieee_mode 1
		.amdhsa_fp16_overflow 0
		.amdhsa_workgroup_processor_mode 1
		.amdhsa_memory_ordered 1
		.amdhsa_forward_progress 1
		.amdhsa_shared_vgpr_count 0
		.amdhsa_exception_fp_ieee_invalid_op 0
		.amdhsa_exception_fp_denorm_src 0
		.amdhsa_exception_fp_ieee_div_zero 0
		.amdhsa_exception_fp_ieee_overflow 0
		.amdhsa_exception_fp_ieee_underflow 0
		.amdhsa_exception_fp_ieee_inexact 0
		.amdhsa_exception_int_div_zero 0
	.end_amdhsa_kernel
	.section	.text._ZN9rocsolver6v33100L18trti2_kernel_smallILi57E19rocblas_complex_numIdEPKPS3_EEv13rocblas_fill_17rocblas_diagonal_T1_iil,"axG",@progbits,_ZN9rocsolver6v33100L18trti2_kernel_smallILi57E19rocblas_complex_numIdEPKPS3_EEv13rocblas_fill_17rocblas_diagonal_T1_iil,comdat
.Lfunc_end120:
	.size	_ZN9rocsolver6v33100L18trti2_kernel_smallILi57E19rocblas_complex_numIdEPKPS3_EEv13rocblas_fill_17rocblas_diagonal_T1_iil, .Lfunc_end120-_ZN9rocsolver6v33100L18trti2_kernel_smallILi57E19rocblas_complex_numIdEPKPS3_EEv13rocblas_fill_17rocblas_diagonal_T1_iil
                                        ; -- End function
	.set _ZN9rocsolver6v33100L18trti2_kernel_smallILi57E19rocblas_complex_numIdEPKPS3_EEv13rocblas_fill_17rocblas_diagonal_T1_iil.num_vgpr, 136
	.set _ZN9rocsolver6v33100L18trti2_kernel_smallILi57E19rocblas_complex_numIdEPKPS3_EEv13rocblas_fill_17rocblas_diagonal_T1_iil.num_agpr, 0
	.set _ZN9rocsolver6v33100L18trti2_kernel_smallILi57E19rocblas_complex_numIdEPKPS3_EEv13rocblas_fill_17rocblas_diagonal_T1_iil.numbered_sgpr, 90
	.set _ZN9rocsolver6v33100L18trti2_kernel_smallILi57E19rocblas_complex_numIdEPKPS3_EEv13rocblas_fill_17rocblas_diagonal_T1_iil.num_named_barrier, 0
	.set _ZN9rocsolver6v33100L18trti2_kernel_smallILi57E19rocblas_complex_numIdEPKPS3_EEv13rocblas_fill_17rocblas_diagonal_T1_iil.private_seg_size, 928
	.set _ZN9rocsolver6v33100L18trti2_kernel_smallILi57E19rocblas_complex_numIdEPKPS3_EEv13rocblas_fill_17rocblas_diagonal_T1_iil.uses_vcc, 1
	.set _ZN9rocsolver6v33100L18trti2_kernel_smallILi57E19rocblas_complex_numIdEPKPS3_EEv13rocblas_fill_17rocblas_diagonal_T1_iil.uses_flat_scratch, 0
	.set _ZN9rocsolver6v33100L18trti2_kernel_smallILi57E19rocblas_complex_numIdEPKPS3_EEv13rocblas_fill_17rocblas_diagonal_T1_iil.has_dyn_sized_stack, 0
	.set _ZN9rocsolver6v33100L18trti2_kernel_smallILi57E19rocblas_complex_numIdEPKPS3_EEv13rocblas_fill_17rocblas_diagonal_T1_iil.has_recursion, 0
	.set _ZN9rocsolver6v33100L18trti2_kernel_smallILi57E19rocblas_complex_numIdEPKPS3_EEv13rocblas_fill_17rocblas_diagonal_T1_iil.has_indirect_call, 0
	.section	.AMDGPU.csdata,"",@progbits
; Kernel info:
; codeLenInByte = 58184
; TotalNumSgprs: 92
; NumVgprs: 136
; ScratchSize: 928
; MemoryBound: 0
; FloatMode: 240
; IeeeMode: 1
; LDSByteSize: 1824 bytes/workgroup (compile time only)
; SGPRBlocks: 0
; VGPRBlocks: 16
; NumSGPRsForWavesPerEU: 92
; NumVGPRsForWavesPerEU: 136
; Occupancy: 7
; WaveLimiterHint : 1
; COMPUTE_PGM_RSRC2:SCRATCH_EN: 1
; COMPUTE_PGM_RSRC2:USER_SGPR: 6
; COMPUTE_PGM_RSRC2:TRAP_HANDLER: 0
; COMPUTE_PGM_RSRC2:TGID_X_EN: 1
; COMPUTE_PGM_RSRC2:TGID_Y_EN: 0
; COMPUTE_PGM_RSRC2:TGID_Z_EN: 0
; COMPUTE_PGM_RSRC2:TIDIG_COMP_CNT: 0
	.section	.text._ZN9rocsolver6v33100L18trti2_kernel_smallILi58E19rocblas_complex_numIdEPKPS3_EEv13rocblas_fill_17rocblas_diagonal_T1_iil,"axG",@progbits,_ZN9rocsolver6v33100L18trti2_kernel_smallILi58E19rocblas_complex_numIdEPKPS3_EEv13rocblas_fill_17rocblas_diagonal_T1_iil,comdat
	.globl	_ZN9rocsolver6v33100L18trti2_kernel_smallILi58E19rocblas_complex_numIdEPKPS3_EEv13rocblas_fill_17rocblas_diagonal_T1_iil ; -- Begin function _ZN9rocsolver6v33100L18trti2_kernel_smallILi58E19rocblas_complex_numIdEPKPS3_EEv13rocblas_fill_17rocblas_diagonal_T1_iil
	.p2align	8
	.type	_ZN9rocsolver6v33100L18trti2_kernel_smallILi58E19rocblas_complex_numIdEPKPS3_EEv13rocblas_fill_17rocblas_diagonal_T1_iil,@function
_ZN9rocsolver6v33100L18trti2_kernel_smallILi58E19rocblas_complex_numIdEPKPS3_EEv13rocblas_fill_17rocblas_diagonal_T1_iil: ; @_ZN9rocsolver6v33100L18trti2_kernel_smallILi58E19rocblas_complex_numIdEPKPS3_EEv13rocblas_fill_17rocblas_diagonal_T1_iil
; %bb.0:
	s_add_u32 s0, s0, s7
	s_addc_u32 s1, s1, 0
	s_mov_b32 s7, exec_lo
	v_cmpx_gt_u32_e32 58, v0
	s_cbranch_execz .LBB121_915
; %bb.1:
	s_clause 0x1
	s_load_dwordx2 s[12:13], s[4:5], 0x10
	s_load_dwordx4 s[8:11], s[4:5], 0x0
	s_ashr_i32 s7, s6, 31
	v_lshlrev_b32_e32 v127, 4, v0
	s_lshl_b64 s[4:5], s[6:7], 3
	s_movk_i32 s14, 0xd0
	s_movk_i32 s15, 0xe0
	;; [unrolled: 1-line block ×15, first 2 shown]
	s_waitcnt lgkmcnt(0)
	s_ashr_i32 s7, s12, 31
	s_add_u32 s4, s10, s4
	s_addc_u32 s5, s11, s5
	s_mov_b32 s6, s12
	s_load_dwordx2 s[4:5], s[4:5], 0x0
	s_lshl_b64 s[6:7], s[6:7], 4
	v_add3_u32 v7, s13, s13, v0
	s_movk_i32 s10, 0x90
	s_movk_i32 s11, 0xa0
	;; [unrolled: 1-line block ×4, first 2 shown]
	v_ashrrev_i32_e32 v8, 31, v7
	s_movk_i32 s30, 0x1d0
	s_movk_i32 s31, 0x1e0
	;; [unrolled: 1-line block ×4, first 2 shown]
	v_lshlrev_b64 v[8:9], 4, v[7:8]
	v_add_nc_u32_e32 v7, s13, v7
	s_movk_i32 s67, 0x210
	s_movk_i32 s68, 0x220
	;; [unrolled: 1-line block ×6, first 2 shown]
	s_waitcnt lgkmcnt(0)
	s_add_u32 s6, s4, s6
	s_addc_u32 s7, s5, s7
	v_add_co_u32 v5, s4, s6, v127
	v_add_co_ci_u32_e64 v6, null, s7, 0, s4
	s_mov_b32 s4, s13
	s_ashr_i32 s5, s13, 31
	s_movk_i32 s73, 0x270
	flat_load_dwordx4 v[1:4], v[5:6]
	s_lshl_b64 s[4:5], s[4:5], 4
	s_cmpk_lg_i32 s9, 0x84
	v_add_co_u32 v59, vcc_lo, v5, s4
	v_add_co_ci_u32_e64 v60, null, s5, v6, vcc_lo
	v_add_co_u32 v57, vcc_lo, s6, v8
	v_add_co_ci_u32_e64 v58, null, s7, v9, vcc_lo
	v_ashrrev_i32_e32 v8, 31, v7
	s_movk_i32 s4, 0x50
	s_movk_i32 s5, 0x60
	;; [unrolled: 1-line block ×4, first 2 shown]
	v_lshlrev_b64 v[8:9], 4, v[7:8]
	v_add_nc_u32_e32 v7, s13, v7
	s_movk_i32 s76, 0x2a0
	s_movk_i32 s77, 0x2b0
	;; [unrolled: 1-line block ×4, first 2 shown]
	v_add_co_u32 v55, vcc_lo, s6, v8
	v_add_co_ci_u32_e64 v56, null, s7, v9, vcc_lo
	v_ashrrev_i32_e32 v8, 31, v7
	s_movk_i32 s80, 0x2e0
	s_movk_i32 s81, 0x2f0
	;; [unrolled: 1-line block ×4, first 2 shown]
	v_lshlrev_b64 v[8:9], 4, v[7:8]
	v_add_nc_u32_e32 v7, s13, v7
	s_movk_i32 s84, 0x320
	s_movk_i32 s85, 0x330
	;; [unrolled: 1-line block ×4, first 2 shown]
	v_add_co_u32 v53, vcc_lo, s6, v8
	v_add_co_ci_u32_e64 v54, null, s7, v9, vcc_lo
	v_ashrrev_i32_e32 v8, 31, v7
	s_movk_i32 s88, 0x360
	s_movk_i32 s89, 0x370
	;; [unrolled: 1-line block ×4, first 2 shown]
	v_lshlrev_b64 v[8:9], 4, v[7:8]
	v_add_nc_u32_e32 v7, s13, v7
	s_cselect_b32 s66, -1, 0
	s_cmpk_eq_i32 s9, 0x84
	s_waitcnt vmcnt(0) lgkmcnt(0)
	buffer_store_dword v4, off, s[0:3], 0 offset:12
	buffer_store_dword v3, off, s[0:3], 0 offset:8
	;; [unrolled: 1-line block ×3, first 2 shown]
	buffer_store_dword v1, off, s[0:3], 0
	flat_load_dwordx4 v[1:4], v[59:60]
	v_add_co_u32 v49, vcc_lo, s6, v8
	v_add_co_ci_u32_e64 v50, null, s7, v9, vcc_lo
	v_ashrrev_i32_e32 v8, 31, v7
	s_waitcnt vmcnt(0) lgkmcnt(0)
	buffer_store_dword v4, off, s[0:3], 0 offset:28
	buffer_store_dword v3, off, s[0:3], 0 offset:24
	buffer_store_dword v2, off, s[0:3], 0 offset:20
	buffer_store_dword v1, off, s[0:3], 0 offset:16
	flat_load_dwordx4 v[1:4], v[57:58]
	v_lshlrev_b64 v[8:9], 4, v[7:8]
	v_add_nc_u32_e32 v7, s13, v7
	s_waitcnt vmcnt(0) lgkmcnt(0)
	buffer_store_dword v4, off, s[0:3], 0 offset:44
	buffer_store_dword v3, off, s[0:3], 0 offset:40
	buffer_store_dword v2, off, s[0:3], 0 offset:36
	buffer_store_dword v1, off, s[0:3], 0 offset:32
	flat_load_dwordx4 v[1:4], v[55:56]
	v_add_co_u32 v47, vcc_lo, s6, v8
	v_add_co_ci_u32_e64 v48, null, s7, v9, vcc_lo
	v_ashrrev_i32_e32 v8, 31, v7
	s_waitcnt vmcnt(0) lgkmcnt(0)
	buffer_store_dword v4, off, s[0:3], 0 offset:60
	buffer_store_dword v3, off, s[0:3], 0 offset:56
	buffer_store_dword v2, off, s[0:3], 0 offset:52
	buffer_store_dword v1, off, s[0:3], 0 offset:48
	flat_load_dwordx4 v[1:4], v[53:54]
	v_lshlrev_b64 v[8:9], 4, v[7:8]
	v_add_nc_u32_e32 v7, s13, v7
	s_waitcnt vmcnt(0) lgkmcnt(0)
	buffer_store_dword v4, off, s[0:3], 0 offset:76
	buffer_store_dword v3, off, s[0:3], 0 offset:72
	buffer_store_dword v2, off, s[0:3], 0 offset:68
	buffer_store_dword v1, off, s[0:3], 0 offset:64
	flat_load_dwordx4 v[1:4], v[49:50]
	v_add_co_u32 v45, vcc_lo, s6, v8
	v_add_co_ci_u32_e64 v46, null, s7, v9, vcc_lo
	v_ashrrev_i32_e32 v8, 31, v7
	s_waitcnt vmcnt(0) lgkmcnt(0)
	buffer_store_dword v4, off, s[0:3], 0 offset:92
	buffer_store_dword v3, off, s[0:3], 0 offset:88
	buffer_store_dword v2, off, s[0:3], 0 offset:84
	buffer_store_dword v1, off, s[0:3], 0 offset:80
	flat_load_dwordx4 v[1:4], v[47:48]
	v_lshlrev_b64 v[8:9], 4, v[7:8]
	v_add_nc_u32_e32 v7, s13, v7
	s_waitcnt vmcnt(0) lgkmcnt(0)
	buffer_store_dword v4, off, s[0:3], 0 offset:108
	buffer_store_dword v3, off, s[0:3], 0 offset:104
	buffer_store_dword v2, off, s[0:3], 0 offset:100
	buffer_store_dword v1, off, s[0:3], 0 offset:96
	flat_load_dwordx4 v[1:4], v[45:46]
	v_add_co_u32 v43, vcc_lo, s6, v8
	v_add_co_ci_u32_e64 v44, null, s7, v9, vcc_lo
	v_ashrrev_i32_e32 v8, 31, v7
	s_waitcnt vmcnt(0) lgkmcnt(0)
	buffer_store_dword v4, off, s[0:3], 0 offset:124
	buffer_store_dword v3, off, s[0:3], 0 offset:120
	buffer_store_dword v2, off, s[0:3], 0 offset:116
	buffer_store_dword v1, off, s[0:3], 0 offset:112
	flat_load_dwordx4 v[1:4], v[43:44]
	v_lshlrev_b64 v[8:9], 4, v[7:8]
	v_add_nc_u32_e32 v7, s13, v7
	s_waitcnt vmcnt(0) lgkmcnt(0)
	buffer_store_dword v4, off, s[0:3], 0 offset:140
	buffer_store_dword v3, off, s[0:3], 0 offset:136
	buffer_store_dword v2, off, s[0:3], 0 offset:132
	buffer_store_dword v1, off, s[0:3], 0 offset:128
	v_add_co_u32 v41, vcc_lo, s6, v8
	v_add_co_ci_u32_e64 v42, null, s7, v9, vcc_lo
	v_ashrrev_i32_e32 v8, 31, v7
	flat_load_dwordx4 v[1:4], v[41:42]
	s_waitcnt vmcnt(0) lgkmcnt(0)
	buffer_store_dword v4, off, s[0:3], 0 offset:156
	buffer_store_dword v3, off, s[0:3], 0 offset:152
	buffer_store_dword v2, off, s[0:3], 0 offset:148
	buffer_store_dword v1, off, s[0:3], 0 offset:144
	v_lshlrev_b64 v[8:9], 4, v[7:8]
	v_add_nc_u32_e32 v7, s13, v7
	v_add_co_u32 v39, vcc_lo, s6, v8
	v_add_co_ci_u32_e64 v40, null, s7, v9, vcc_lo
	v_ashrrev_i32_e32 v8, 31, v7
	flat_load_dwordx4 v[1:4], v[39:40]
	s_waitcnt vmcnt(0) lgkmcnt(0)
	buffer_store_dword v4, off, s[0:3], 0 offset:172
	buffer_store_dword v3, off, s[0:3], 0 offset:168
	buffer_store_dword v2, off, s[0:3], 0 offset:164
	buffer_store_dword v1, off, s[0:3], 0 offset:160
	v_lshlrev_b64 v[8:9], 4, v[7:8]
	v_add_nc_u32_e32 v7, s13, v7
	;; [unrolled: 11-line block ×14, first 2 shown]
	v_add_co_u32 v11, vcc_lo, s6, v8
	v_add_co_ci_u32_e64 v12, null, s7, v9, vcc_lo
	v_ashrrev_i32_e32 v8, 31, v7
	v_add_nc_u32_e32 v33, s13, v7
	flat_load_dwordx4 v[1:4], v[11:12]
	s_waitcnt vmcnt(0) lgkmcnt(0)
	buffer_store_dword v4, off, s[0:3], 0 offset:380
	buffer_store_dword v3, off, s[0:3], 0 offset:376
	;; [unrolled: 1-line block ×4, first 2 shown]
	v_lshlrev_b64 v[9:10], 4, v[7:8]
	v_ashrrev_i32_e32 v34, 31, v33
	v_add_nc_u32_e32 v51, s13, v33
	v_add_co_u32 v9, vcc_lo, s6, v9
	v_add_co_ci_u32_e64 v10, null, s7, v10, vcc_lo
	v_lshlrev_b64 v[7:8], 4, v[33:34]
	v_ashrrev_i32_e32 v52, 31, v51
	v_add_nc_u32_e32 v61, s13, v51
	flat_load_dwordx4 v[1:4], v[9:10]
	s_waitcnt vmcnt(0) lgkmcnt(0)
	buffer_store_dword v4, off, s[0:3], 0 offset:396
	buffer_store_dword v3, off, s[0:3], 0 offset:392
	buffer_store_dword v2, off, s[0:3], 0 offset:388
	buffer_store_dword v1, off, s[0:3], 0 offset:384
	v_add_co_u32 v7, vcc_lo, s6, v7
	v_add_co_ci_u32_e64 v8, null, s7, v8, vcc_lo
	v_lshlrev_b64 v[33:34], 4, v[51:52]
	v_ashrrev_i32_e32 v62, 31, v61
	v_add_nc_u32_e32 v63, s13, v61
	flat_load_dwordx4 v[1:4], v[7:8]
	s_waitcnt vmcnt(0) lgkmcnt(0)
	buffer_store_dword v4, off, s[0:3], 0 offset:412
	buffer_store_dword v3, off, s[0:3], 0 offset:408
	buffer_store_dword v2, off, s[0:3], 0 offset:404
	buffer_store_dword v1, off, s[0:3], 0 offset:400
	;; [unrolled: 11-line block ×30, first 2 shown]
	v_add_co_u32 v113, vcc_lo, s6, v113
	v_add_co_ci_u32_e64 v114, null, s7, v114, vcc_lo
	v_lshlrev_b64 v[115:116], 4, v[117:118]
	v_ashrrev_i32_e32 v120, 31, v119
	flat_load_dwordx4 v[1:4], v[113:114]
	s_waitcnt vmcnt(0) lgkmcnt(0)
	buffer_store_dword v4, off, s[0:3], 0 offset:876
	buffer_store_dword v3, off, s[0:3], 0 offset:872
	buffer_store_dword v2, off, s[0:3], 0 offset:868
	buffer_store_dword v1, off, s[0:3], 0 offset:864
	v_add_co_u32 v115, vcc_lo, s6, v115
	v_add_co_ci_u32_e64 v116, null, s7, v116, vcc_lo
	v_lshlrev_b64 v[117:118], 4, v[119:120]
	v_add_nc_u32_e32 v119, s13, v119
	s_movk_i32 s13, 0xc0
	flat_load_dwordx4 v[1:4], v[115:116]
	s_waitcnt vmcnt(0) lgkmcnt(0)
	buffer_store_dword v4, off, s[0:3], 0 offset:892
	buffer_store_dword v3, off, s[0:3], 0 offset:888
	;; [unrolled: 1-line block ×4, first 2 shown]
	v_add_co_u32 v117, vcc_lo, s6, v117
	v_add_co_ci_u32_e64 v118, null, s7, v118, vcc_lo
	v_ashrrev_i32_e32 v120, 31, v119
	flat_load_dwordx4 v[1:4], v[117:118]
	s_waitcnt vmcnt(0) lgkmcnt(0)
	buffer_store_dword v4, off, s[0:3], 0 offset:908
	buffer_store_dword v3, off, s[0:3], 0 offset:904
	;; [unrolled: 1-line block ×4, first 2 shown]
	v_lshlrev_b64 v[119:120], 4, v[119:120]
	v_add_co_u32 v119, vcc_lo, s6, v119
	v_add_co_ci_u32_e64 v120, null, s7, v120, vcc_lo
	s_movk_i32 s6, 0x70
	s_movk_i32 s7, 0x80
	flat_load_dwordx4 v[1:4], v[119:120]
	s_waitcnt vmcnt(0) lgkmcnt(0)
	buffer_store_dword v4, off, s[0:3], 0 offset:924
	buffer_store_dword v3, off, s[0:3], 0 offset:920
	;; [unrolled: 1-line block ×4, first 2 shown]
	s_cbranch_scc1 .LBB121_7
; %bb.2:
	v_lshl_add_u32 v128, v0, 4, 0
                                        ; implicit-def: $vgpr123_vgpr124
                                        ; implicit-def: $vgpr3_vgpr4
	s_clause 0x3
	buffer_load_dword v121, v128, s[0:3], 0 offen
	buffer_load_dword v122, v128, s[0:3], 0 offen offset:4
	buffer_load_dword v125, v128, s[0:3], 0 offen offset:8
	buffer_load_dword v126, v128, s[0:3], 0 offen offset:12
	s_waitcnt vmcnt(0)
	v_cmp_ngt_f64_e64 s9, |v[121:122]|, |v[125:126]|
	s_and_saveexec_b32 s35, s9
	s_xor_b32 s9, exec_lo, s35
	s_cbranch_execz .LBB121_4
; %bb.3:
	v_div_scale_f64 v[1:2], null, v[125:126], v[125:126], v[121:122]
	v_div_scale_f64 v[129:130], vcc_lo, v[121:122], v[125:126], v[121:122]
	v_rcp_f64_e32 v[3:4], v[1:2]
	v_fma_f64 v[123:124], -v[1:2], v[3:4], 1.0
	v_fma_f64 v[3:4], v[3:4], v[123:124], v[3:4]
	v_fma_f64 v[123:124], -v[1:2], v[3:4], 1.0
	v_fma_f64 v[3:4], v[3:4], v[123:124], v[3:4]
	v_mul_f64 v[123:124], v[129:130], v[3:4]
	v_fma_f64 v[1:2], -v[1:2], v[123:124], v[129:130]
	v_div_fmas_f64 v[1:2], v[1:2], v[3:4], v[123:124]
	v_div_fixup_f64 v[1:2], v[1:2], v[125:126], v[121:122]
	v_fma_f64 v[3:4], v[121:122], v[1:2], v[125:126]
	v_div_scale_f64 v[121:122], null, v[3:4], v[3:4], 1.0
	v_div_scale_f64 v[129:130], vcc_lo, 1.0, v[3:4], 1.0
	v_rcp_f64_e32 v[123:124], v[121:122]
	v_fma_f64 v[125:126], -v[121:122], v[123:124], 1.0
	v_fma_f64 v[123:124], v[123:124], v[125:126], v[123:124]
	v_fma_f64 v[125:126], -v[121:122], v[123:124], 1.0
	v_fma_f64 v[123:124], v[123:124], v[125:126], v[123:124]
	v_mul_f64 v[125:126], v[129:130], v[123:124]
	v_fma_f64 v[121:122], -v[121:122], v[125:126], v[129:130]
	v_div_fmas_f64 v[121:122], v[121:122], v[123:124], v[125:126]
                                        ; implicit-def: $vgpr125_vgpr126
	v_div_fixup_f64 v[3:4], v[121:122], v[3:4], 1.0
                                        ; implicit-def: $vgpr121_vgpr122
	v_mul_f64 v[123:124], v[1:2], v[3:4]
	v_xor_b32_e32 v4, 0x80000000, v4
	v_xor_b32_e32 v2, 0x80000000, v124
	v_mov_b32_e32 v1, v123
.LBB121_4:
	s_andn2_saveexec_b32 s9, s9
	s_cbranch_execz .LBB121_6
; %bb.5:
	v_div_scale_f64 v[1:2], null, v[121:122], v[121:122], v[125:126]
	v_div_scale_f64 v[129:130], vcc_lo, v[125:126], v[121:122], v[125:126]
	v_rcp_f64_e32 v[3:4], v[1:2]
	v_fma_f64 v[123:124], -v[1:2], v[3:4], 1.0
	v_fma_f64 v[3:4], v[3:4], v[123:124], v[3:4]
	v_fma_f64 v[123:124], -v[1:2], v[3:4], 1.0
	v_fma_f64 v[3:4], v[3:4], v[123:124], v[3:4]
	v_mul_f64 v[123:124], v[129:130], v[3:4]
	v_fma_f64 v[1:2], -v[1:2], v[123:124], v[129:130]
	v_div_fmas_f64 v[1:2], v[1:2], v[3:4], v[123:124]
	v_div_fixup_f64 v[1:2], v[1:2], v[121:122], v[125:126]
	v_fma_f64 v[3:4], v[125:126], v[1:2], v[121:122]
	v_div_scale_f64 v[121:122], null, v[3:4], v[3:4], 1.0
	v_rcp_f64_e32 v[123:124], v[121:122]
	v_fma_f64 v[125:126], -v[121:122], v[123:124], 1.0
	v_fma_f64 v[123:124], v[123:124], v[125:126], v[123:124]
	v_fma_f64 v[125:126], -v[121:122], v[123:124], 1.0
	v_fma_f64 v[123:124], v[123:124], v[125:126], v[123:124]
	v_div_scale_f64 v[125:126], vcc_lo, 1.0, v[3:4], 1.0
	v_mul_f64 v[129:130], v[125:126], v[123:124]
	v_fma_f64 v[121:122], -v[121:122], v[129:130], v[125:126]
	v_div_fmas_f64 v[121:122], v[121:122], v[123:124], v[129:130]
	v_div_fixup_f64 v[123:124], v[121:122], v[3:4], 1.0
	v_mul_f64 v[3:4], v[1:2], -v[123:124]
	v_xor_b32_e32 v2, 0x80000000, v124
	v_mov_b32_e32 v1, v123
.LBB121_6:
	s_or_b32 exec_lo, exec_lo, s9
	buffer_store_dword v4, v128, s[0:3], 0 offen offset:12
	v_xor_b32_e32 v4, 0x80000000, v4
	buffer_store_dword v124, v128, s[0:3], 0 offen offset:4
	buffer_store_dword v123, v128, s[0:3], 0 offen
	buffer_store_dword v3, v128, s[0:3], 0 offen offset:8
	s_branch .LBB121_8
.LBB121_7:
	v_mov_b32_e32 v1, 0
	v_mov_b32_e32 v3, 0
	;; [unrolled: 1-line block ×4, first 2 shown]
.LBB121_8:
	v_add_nc_u32_e32 v122, 0x3a0, v127
	v_mov_b32_e32 v121, v127
	s_mov_b32 s65, 16
	s_mov_b32 s64, 32
	;; [unrolled: 1-line block ×56, first 2 shown]
	s_cmpk_eq_i32 s8, 0x79
	ds_write_b128 v127, v[1:4]
	s_cbranch_scc1 .LBB121_460
; %bb.9:
	v_mov_b32_e32 v4, s9
	v_cmp_eq_u32_e64 s4, 57, v0
	s_clause 0x3
	buffer_load_dword v1, v4, s[0:3], 0 offen
	buffer_load_dword v2, v4, s[0:3], 0 offen offset:4
	buffer_load_dword v3, v4, s[0:3], 0 offen offset:8
	;; [unrolled: 1-line block ×3, first 2 shown]
	s_waitcnt vmcnt(0)
	ds_write_b128 v122, v[1:4]
	s_waitcnt lgkmcnt(0)
	s_waitcnt_vscnt null, 0x0
	s_barrier
	buffer_gl0_inv
	s_and_saveexec_b32 s5, s4
	s_cbranch_execz .LBB121_13
; %bb.10:
	ds_read_b128 v[1:4], v122
	s_andn2_b32 vcc_lo, exec_lo, s66
	s_cbranch_vccnz .LBB121_12
; %bb.11:
	s_clause 0x3
	buffer_load_dword v123, v121, s[0:3], 0 offen offset:8
	buffer_load_dword v124, v121, s[0:3], 0 offen offset:12
	buffer_load_dword v125, v121, s[0:3], 0 offen
	buffer_load_dword v126, v121, s[0:3], 0 offen offset:4
	s_waitcnt vmcnt(2) lgkmcnt(0)
	v_mul_f64 v[128:129], v[3:4], v[123:124]
	v_mul_f64 v[123:124], v[1:2], v[123:124]
	s_waitcnt vmcnt(0)
	v_fma_f64 v[1:2], v[1:2], v[125:126], -v[128:129]
	v_fma_f64 v[3:4], v[3:4], v[125:126], v[123:124]
.LBB121_12:
	v_mov_b32_e32 v123, 0
	ds_read_b128 v[123:126], v123 offset:896
	s_waitcnt lgkmcnt(0)
	v_mul_f64 v[128:129], v[3:4], v[125:126]
	v_mul_f64 v[125:126], v[1:2], v[125:126]
	v_fma_f64 v[1:2], v[1:2], v[123:124], -v[128:129]
	v_fma_f64 v[3:4], v[3:4], v[123:124], v[125:126]
	buffer_store_dword v2, off, s[0:3], 0 offset:900
	buffer_store_dword v1, off, s[0:3], 0 offset:896
	;; [unrolled: 1-line block ×4, first 2 shown]
.LBB121_13:
	s_or_b32 exec_lo, exec_lo, s5
	v_mov_b32_e32 v4, s10
	v_cmp_lt_u32_e64 s5, 55, v0
	s_clause 0x3
	buffer_load_dword v1, v4, s[0:3], 0 offen
	buffer_load_dword v2, v4, s[0:3], 0 offen offset:4
	buffer_load_dword v3, v4, s[0:3], 0 offen offset:8
	;; [unrolled: 1-line block ×3, first 2 shown]
	s_waitcnt vmcnt(0)
	ds_write_b128 v122, v[1:4]
	s_waitcnt lgkmcnt(0)
	s_waitcnt_vscnt null, 0x0
	s_barrier
	buffer_gl0_inv
	s_and_saveexec_b32 s6, s5
	s_cbranch_execz .LBB121_19
; %bb.14:
	ds_read_b128 v[1:4], v122
	s_andn2_b32 vcc_lo, exec_lo, s66
	s_cbranch_vccnz .LBB121_16
; %bb.15:
	s_clause 0x3
	buffer_load_dword v123, v121, s[0:3], 0 offen offset:8
	buffer_load_dword v124, v121, s[0:3], 0 offen offset:12
	buffer_load_dword v125, v121, s[0:3], 0 offen
	buffer_load_dword v126, v121, s[0:3], 0 offen offset:4
	s_waitcnt vmcnt(2) lgkmcnt(0)
	v_mul_f64 v[128:129], v[3:4], v[123:124]
	v_mul_f64 v[123:124], v[1:2], v[123:124]
	s_waitcnt vmcnt(0)
	v_fma_f64 v[1:2], v[1:2], v[125:126], -v[128:129]
	v_fma_f64 v[3:4], v[3:4], v[125:126], v[123:124]
.LBB121_16:
	s_and_saveexec_b32 s8, s4
	s_cbranch_execz .LBB121_18
; %bb.17:
	s_clause 0x3
	buffer_load_dword v128, off, s[0:3], 0 offset:904
	buffer_load_dword v129, off, s[0:3], 0 offset:908
	;; [unrolled: 1-line block ×4, first 2 shown]
	v_mov_b32_e32 v123, 0
	ds_read_b128 v[123:126], v123 offset:1824
	s_waitcnt vmcnt(2) lgkmcnt(0)
	v_mul_f64 v[132:133], v[123:124], v[128:129]
	v_mul_f64 v[128:129], v[125:126], v[128:129]
	s_waitcnt vmcnt(0)
	v_fma_f64 v[125:126], v[125:126], v[130:131], v[132:133]
	v_fma_f64 v[123:124], v[123:124], v[130:131], -v[128:129]
	v_add_f64 v[3:4], v[3:4], v[125:126]
	v_add_f64 v[1:2], v[1:2], v[123:124]
.LBB121_18:
	s_or_b32 exec_lo, exec_lo, s8
	v_mov_b32_e32 v123, 0
	ds_read_b128 v[123:126], v123 offset:880
	s_waitcnt lgkmcnt(0)
	v_mul_f64 v[128:129], v[3:4], v[125:126]
	v_mul_f64 v[125:126], v[1:2], v[125:126]
	v_fma_f64 v[1:2], v[1:2], v[123:124], -v[128:129]
	v_fma_f64 v[3:4], v[3:4], v[123:124], v[125:126]
	buffer_store_dword v2, off, s[0:3], 0 offset:884
	buffer_store_dword v1, off, s[0:3], 0 offset:880
	;; [unrolled: 1-line block ×4, first 2 shown]
.LBB121_19:
	s_or_b32 exec_lo, exec_lo, s6
	v_mov_b32_e32 v4, s11
	v_cmp_lt_u32_e64 s4, 54, v0
	s_clause 0x3
	buffer_load_dword v1, v4, s[0:3], 0 offen
	buffer_load_dword v2, v4, s[0:3], 0 offen offset:4
	buffer_load_dword v3, v4, s[0:3], 0 offen offset:8
	;; [unrolled: 1-line block ×3, first 2 shown]
	s_waitcnt vmcnt(0)
	ds_write_b128 v122, v[1:4]
	s_waitcnt lgkmcnt(0)
	s_waitcnt_vscnt null, 0x0
	s_barrier
	buffer_gl0_inv
	s_and_saveexec_b32 s6, s4
	s_cbranch_execz .LBB121_27
; %bb.20:
	ds_read_b128 v[1:4], v122
	s_andn2_b32 vcc_lo, exec_lo, s66
	s_cbranch_vccnz .LBB121_22
; %bb.21:
	s_clause 0x3
	buffer_load_dword v123, v121, s[0:3], 0 offen offset:8
	buffer_load_dword v124, v121, s[0:3], 0 offen offset:12
	buffer_load_dword v125, v121, s[0:3], 0 offen
	buffer_load_dword v126, v121, s[0:3], 0 offen offset:4
	s_waitcnt vmcnt(2) lgkmcnt(0)
	v_mul_f64 v[128:129], v[3:4], v[123:124]
	v_mul_f64 v[123:124], v[1:2], v[123:124]
	s_waitcnt vmcnt(0)
	v_fma_f64 v[1:2], v[1:2], v[125:126], -v[128:129]
	v_fma_f64 v[3:4], v[3:4], v[125:126], v[123:124]
.LBB121_22:
	s_and_saveexec_b32 s8, s5
	s_cbranch_execz .LBB121_26
; %bb.23:
	v_subrev_nc_u32_e32 v123, 55, v0
	s_movk_i32 s67, 0x710
	s_mov_b32 s5, 0
	s_mov_b32 s68, s10
	.p2align	6
.LBB121_24:                             ; =>This Inner Loop Header: Depth=1
	v_mov_b32_e32 v126, s68
	v_add_nc_u32_e32 v123, -1, v123
	s_add_i32 s68, s68, 16
	s_clause 0x3
	buffer_load_dword v124, v126, s[0:3], 0 offen offset:8
	buffer_load_dword v125, v126, s[0:3], 0 offen offset:12
	buffer_load_dword v132, v126, s[0:3], 0 offen
	buffer_load_dword v133, v126, s[0:3], 0 offen offset:4
	v_mov_b32_e32 v126, s67
	v_cmp_eq_u32_e32 vcc_lo, 0, v123
	s_add_i32 s67, s67, 16
	ds_read_b128 v[128:131], v126
	s_or_b32 s5, vcc_lo, s5
	s_waitcnt vmcnt(2) lgkmcnt(0)
	v_mul_f64 v[134:135], v[130:131], v[124:125]
	v_mul_f64 v[124:125], v[128:129], v[124:125]
	s_waitcnt vmcnt(0)
	v_fma_f64 v[128:129], v[128:129], v[132:133], -v[134:135]
	v_fma_f64 v[124:125], v[130:131], v[132:133], v[124:125]
	v_add_f64 v[1:2], v[1:2], v[128:129]
	v_add_f64 v[3:4], v[3:4], v[124:125]
	s_andn2_b32 exec_lo, exec_lo, s5
	s_cbranch_execnz .LBB121_24
; %bb.25:
	s_or_b32 exec_lo, exec_lo, s5
.LBB121_26:
	s_or_b32 exec_lo, exec_lo, s8
	v_mov_b32_e32 v123, 0
	ds_read_b128 v[123:126], v123 offset:864
	s_waitcnt lgkmcnt(0)
	v_mul_f64 v[128:129], v[3:4], v[125:126]
	v_mul_f64 v[125:126], v[1:2], v[125:126]
	v_fma_f64 v[1:2], v[1:2], v[123:124], -v[128:129]
	v_fma_f64 v[3:4], v[3:4], v[123:124], v[125:126]
	buffer_store_dword v2, off, s[0:3], 0 offset:868
	buffer_store_dword v1, off, s[0:3], 0 offset:864
	;; [unrolled: 1-line block ×4, first 2 shown]
.LBB121_27:
	s_or_b32 exec_lo, exec_lo, s6
	v_mov_b32_e32 v4, s12
	v_cmp_lt_u32_e64 s5, 53, v0
	s_clause 0x3
	buffer_load_dword v1, v4, s[0:3], 0 offen
	buffer_load_dword v2, v4, s[0:3], 0 offen offset:4
	buffer_load_dword v3, v4, s[0:3], 0 offen offset:8
	;; [unrolled: 1-line block ×3, first 2 shown]
	s_waitcnt vmcnt(0)
	ds_write_b128 v122, v[1:4]
	s_waitcnt lgkmcnt(0)
	s_waitcnt_vscnt null, 0x0
	s_barrier
	buffer_gl0_inv
	s_and_saveexec_b32 s6, s5
	s_cbranch_execz .LBB121_35
; %bb.28:
	ds_read_b128 v[1:4], v122
	s_andn2_b32 vcc_lo, exec_lo, s66
	s_cbranch_vccnz .LBB121_30
; %bb.29:
	s_clause 0x3
	buffer_load_dword v123, v121, s[0:3], 0 offen offset:8
	buffer_load_dword v124, v121, s[0:3], 0 offen offset:12
	buffer_load_dword v125, v121, s[0:3], 0 offen
	buffer_load_dword v126, v121, s[0:3], 0 offen offset:4
	s_waitcnt vmcnt(2) lgkmcnt(0)
	v_mul_f64 v[128:129], v[3:4], v[123:124]
	v_mul_f64 v[123:124], v[1:2], v[123:124]
	s_waitcnt vmcnt(0)
	v_fma_f64 v[1:2], v[1:2], v[125:126], -v[128:129]
	v_fma_f64 v[3:4], v[3:4], v[125:126], v[123:124]
.LBB121_30:
	s_and_saveexec_b32 s8, s4
	s_cbranch_execz .LBB121_34
; %bb.31:
	v_subrev_nc_u32_e32 v123, 54, v0
	s_movk_i32 s67, 0x700
	s_mov_b32 s4, 0
	s_mov_b32 s68, s11
	.p2align	6
.LBB121_32:                             ; =>This Inner Loop Header: Depth=1
	v_mov_b32_e32 v126, s68
	v_add_nc_u32_e32 v123, -1, v123
	s_add_i32 s68, s68, 16
	s_clause 0x3
	buffer_load_dword v124, v126, s[0:3], 0 offen offset:8
	buffer_load_dword v125, v126, s[0:3], 0 offen offset:12
	buffer_load_dword v132, v126, s[0:3], 0 offen
	buffer_load_dword v133, v126, s[0:3], 0 offen offset:4
	v_mov_b32_e32 v126, s67
	v_cmp_eq_u32_e32 vcc_lo, 0, v123
	s_add_i32 s67, s67, 16
	ds_read_b128 v[128:131], v126
	s_or_b32 s4, vcc_lo, s4
	s_waitcnt vmcnt(2) lgkmcnt(0)
	v_mul_f64 v[134:135], v[130:131], v[124:125]
	v_mul_f64 v[124:125], v[128:129], v[124:125]
	s_waitcnt vmcnt(0)
	v_fma_f64 v[128:129], v[128:129], v[132:133], -v[134:135]
	v_fma_f64 v[124:125], v[130:131], v[132:133], v[124:125]
	v_add_f64 v[1:2], v[1:2], v[128:129]
	v_add_f64 v[3:4], v[3:4], v[124:125]
	s_andn2_b32 exec_lo, exec_lo, s4
	s_cbranch_execnz .LBB121_32
; %bb.33:
	s_or_b32 exec_lo, exec_lo, s4
.LBB121_34:
	s_or_b32 exec_lo, exec_lo, s8
	v_mov_b32_e32 v123, 0
	ds_read_b128 v[123:126], v123 offset:848
	s_waitcnt lgkmcnt(0)
	v_mul_f64 v[128:129], v[3:4], v[125:126]
	v_mul_f64 v[125:126], v[1:2], v[125:126]
	v_fma_f64 v[1:2], v[1:2], v[123:124], -v[128:129]
	v_fma_f64 v[3:4], v[3:4], v[123:124], v[125:126]
	buffer_store_dword v2, off, s[0:3], 0 offset:852
	buffer_store_dword v1, off, s[0:3], 0 offset:848
	;; [unrolled: 1-line block ×4, first 2 shown]
.LBB121_35:
	s_or_b32 exec_lo, exec_lo, s6
	v_mov_b32_e32 v4, s13
	v_cmp_lt_u32_e64 s4, 52, v0
	s_clause 0x3
	buffer_load_dword v1, v4, s[0:3], 0 offen
	buffer_load_dword v2, v4, s[0:3], 0 offen offset:4
	buffer_load_dword v3, v4, s[0:3], 0 offen offset:8
	;; [unrolled: 1-line block ×3, first 2 shown]
	s_waitcnt vmcnt(0)
	ds_write_b128 v122, v[1:4]
	s_waitcnt lgkmcnt(0)
	s_waitcnt_vscnt null, 0x0
	s_barrier
	buffer_gl0_inv
	s_and_saveexec_b32 s6, s4
	s_cbranch_execz .LBB121_43
; %bb.36:
	ds_read_b128 v[1:4], v122
	s_andn2_b32 vcc_lo, exec_lo, s66
	s_cbranch_vccnz .LBB121_38
; %bb.37:
	s_clause 0x3
	buffer_load_dword v123, v121, s[0:3], 0 offen offset:8
	buffer_load_dword v124, v121, s[0:3], 0 offen offset:12
	buffer_load_dword v125, v121, s[0:3], 0 offen
	buffer_load_dword v126, v121, s[0:3], 0 offen offset:4
	s_waitcnt vmcnt(2) lgkmcnt(0)
	v_mul_f64 v[128:129], v[3:4], v[123:124]
	v_mul_f64 v[123:124], v[1:2], v[123:124]
	s_waitcnt vmcnt(0)
	v_fma_f64 v[1:2], v[1:2], v[125:126], -v[128:129]
	v_fma_f64 v[3:4], v[3:4], v[125:126], v[123:124]
.LBB121_38:
	s_and_saveexec_b32 s8, s5
	s_cbranch_execz .LBB121_42
; %bb.39:
	v_subrev_nc_u32_e32 v123, 53, v0
	s_movk_i32 s67, 0x6f0
	s_mov_b32 s5, 0
	s_mov_b32 s68, s12
	.p2align	6
.LBB121_40:                             ; =>This Inner Loop Header: Depth=1
	v_mov_b32_e32 v126, s68
	v_add_nc_u32_e32 v123, -1, v123
	s_add_i32 s68, s68, 16
	s_clause 0x3
	buffer_load_dword v124, v126, s[0:3], 0 offen offset:8
	buffer_load_dword v125, v126, s[0:3], 0 offen offset:12
	buffer_load_dword v132, v126, s[0:3], 0 offen
	buffer_load_dword v133, v126, s[0:3], 0 offen offset:4
	v_mov_b32_e32 v126, s67
	v_cmp_eq_u32_e32 vcc_lo, 0, v123
	s_add_i32 s67, s67, 16
	ds_read_b128 v[128:131], v126
	s_or_b32 s5, vcc_lo, s5
	s_waitcnt vmcnt(2) lgkmcnt(0)
	v_mul_f64 v[134:135], v[130:131], v[124:125]
	v_mul_f64 v[124:125], v[128:129], v[124:125]
	s_waitcnt vmcnt(0)
	v_fma_f64 v[128:129], v[128:129], v[132:133], -v[134:135]
	v_fma_f64 v[124:125], v[130:131], v[132:133], v[124:125]
	v_add_f64 v[1:2], v[1:2], v[128:129]
	v_add_f64 v[3:4], v[3:4], v[124:125]
	s_andn2_b32 exec_lo, exec_lo, s5
	s_cbranch_execnz .LBB121_40
; %bb.41:
	s_or_b32 exec_lo, exec_lo, s5
.LBB121_42:
	s_or_b32 exec_lo, exec_lo, s8
	v_mov_b32_e32 v123, 0
	ds_read_b128 v[123:126], v123 offset:832
	s_waitcnt lgkmcnt(0)
	v_mul_f64 v[128:129], v[3:4], v[125:126]
	v_mul_f64 v[125:126], v[1:2], v[125:126]
	v_fma_f64 v[1:2], v[1:2], v[123:124], -v[128:129]
	v_fma_f64 v[3:4], v[3:4], v[123:124], v[125:126]
	buffer_store_dword v2, off, s[0:3], 0 offset:836
	buffer_store_dword v1, off, s[0:3], 0 offset:832
	;; [unrolled: 1-line block ×4, first 2 shown]
.LBB121_43:
	s_or_b32 exec_lo, exec_lo, s6
	v_mov_b32_e32 v4, s14
	v_cmp_lt_u32_e64 s5, 51, v0
	s_clause 0x3
	buffer_load_dword v1, v4, s[0:3], 0 offen
	buffer_load_dword v2, v4, s[0:3], 0 offen offset:4
	buffer_load_dword v3, v4, s[0:3], 0 offen offset:8
	buffer_load_dword v4, v4, s[0:3], 0 offen offset:12
	s_waitcnt vmcnt(0)
	ds_write_b128 v122, v[1:4]
	s_waitcnt lgkmcnt(0)
	s_waitcnt_vscnt null, 0x0
	s_barrier
	buffer_gl0_inv
	s_and_saveexec_b32 s6, s5
	s_cbranch_execz .LBB121_51
; %bb.44:
	ds_read_b128 v[1:4], v122
	s_andn2_b32 vcc_lo, exec_lo, s66
	s_cbranch_vccnz .LBB121_46
; %bb.45:
	s_clause 0x3
	buffer_load_dword v123, v121, s[0:3], 0 offen offset:8
	buffer_load_dword v124, v121, s[0:3], 0 offen offset:12
	buffer_load_dword v125, v121, s[0:3], 0 offen
	buffer_load_dword v126, v121, s[0:3], 0 offen offset:4
	s_waitcnt vmcnt(2) lgkmcnt(0)
	v_mul_f64 v[128:129], v[3:4], v[123:124]
	v_mul_f64 v[123:124], v[1:2], v[123:124]
	s_waitcnt vmcnt(0)
	v_fma_f64 v[1:2], v[1:2], v[125:126], -v[128:129]
	v_fma_f64 v[3:4], v[3:4], v[125:126], v[123:124]
.LBB121_46:
	s_and_saveexec_b32 s8, s4
	s_cbranch_execz .LBB121_50
; %bb.47:
	v_subrev_nc_u32_e32 v123, 52, v0
	s_movk_i32 s67, 0x6e0
	s_mov_b32 s4, 0
	s_mov_b32 s68, s13
	.p2align	6
.LBB121_48:                             ; =>This Inner Loop Header: Depth=1
	v_mov_b32_e32 v126, s68
	v_add_nc_u32_e32 v123, -1, v123
	s_add_i32 s68, s68, 16
	s_clause 0x3
	buffer_load_dword v124, v126, s[0:3], 0 offen offset:8
	buffer_load_dword v125, v126, s[0:3], 0 offen offset:12
	buffer_load_dword v132, v126, s[0:3], 0 offen
	buffer_load_dword v133, v126, s[0:3], 0 offen offset:4
	v_mov_b32_e32 v126, s67
	v_cmp_eq_u32_e32 vcc_lo, 0, v123
	s_add_i32 s67, s67, 16
	ds_read_b128 v[128:131], v126
	s_or_b32 s4, vcc_lo, s4
	s_waitcnt vmcnt(2) lgkmcnt(0)
	v_mul_f64 v[134:135], v[130:131], v[124:125]
	v_mul_f64 v[124:125], v[128:129], v[124:125]
	s_waitcnt vmcnt(0)
	v_fma_f64 v[128:129], v[128:129], v[132:133], -v[134:135]
	v_fma_f64 v[124:125], v[130:131], v[132:133], v[124:125]
	v_add_f64 v[1:2], v[1:2], v[128:129]
	v_add_f64 v[3:4], v[3:4], v[124:125]
	s_andn2_b32 exec_lo, exec_lo, s4
	s_cbranch_execnz .LBB121_48
; %bb.49:
	s_or_b32 exec_lo, exec_lo, s4
.LBB121_50:
	s_or_b32 exec_lo, exec_lo, s8
	v_mov_b32_e32 v123, 0
	ds_read_b128 v[123:126], v123 offset:816
	s_waitcnt lgkmcnt(0)
	v_mul_f64 v[128:129], v[3:4], v[125:126]
	v_mul_f64 v[125:126], v[1:2], v[125:126]
	v_fma_f64 v[1:2], v[1:2], v[123:124], -v[128:129]
	v_fma_f64 v[3:4], v[3:4], v[123:124], v[125:126]
	buffer_store_dword v2, off, s[0:3], 0 offset:820
	buffer_store_dword v1, off, s[0:3], 0 offset:816
	buffer_store_dword v4, off, s[0:3], 0 offset:828
	buffer_store_dword v3, off, s[0:3], 0 offset:824
.LBB121_51:
	s_or_b32 exec_lo, exec_lo, s6
	v_mov_b32_e32 v4, s15
	v_cmp_lt_u32_e64 s4, 50, v0
	s_clause 0x3
	buffer_load_dword v1, v4, s[0:3], 0 offen
	buffer_load_dword v2, v4, s[0:3], 0 offen offset:4
	buffer_load_dword v3, v4, s[0:3], 0 offen offset:8
	;; [unrolled: 1-line block ×3, first 2 shown]
	s_waitcnt vmcnt(0)
	ds_write_b128 v122, v[1:4]
	s_waitcnt lgkmcnt(0)
	s_waitcnt_vscnt null, 0x0
	s_barrier
	buffer_gl0_inv
	s_and_saveexec_b32 s6, s4
	s_cbranch_execz .LBB121_59
; %bb.52:
	ds_read_b128 v[1:4], v122
	s_andn2_b32 vcc_lo, exec_lo, s66
	s_cbranch_vccnz .LBB121_54
; %bb.53:
	s_clause 0x3
	buffer_load_dword v123, v121, s[0:3], 0 offen offset:8
	buffer_load_dword v124, v121, s[0:3], 0 offen offset:12
	buffer_load_dword v125, v121, s[0:3], 0 offen
	buffer_load_dword v126, v121, s[0:3], 0 offen offset:4
	s_waitcnt vmcnt(2) lgkmcnt(0)
	v_mul_f64 v[128:129], v[3:4], v[123:124]
	v_mul_f64 v[123:124], v[1:2], v[123:124]
	s_waitcnt vmcnt(0)
	v_fma_f64 v[1:2], v[1:2], v[125:126], -v[128:129]
	v_fma_f64 v[3:4], v[3:4], v[125:126], v[123:124]
.LBB121_54:
	s_and_saveexec_b32 s8, s5
	s_cbranch_execz .LBB121_58
; %bb.55:
	v_subrev_nc_u32_e32 v123, 51, v0
	s_movk_i32 s67, 0x6d0
	s_mov_b32 s5, 0
	s_mov_b32 s68, s14
	.p2align	6
.LBB121_56:                             ; =>This Inner Loop Header: Depth=1
	v_mov_b32_e32 v126, s68
	v_add_nc_u32_e32 v123, -1, v123
	s_add_i32 s68, s68, 16
	s_clause 0x3
	buffer_load_dword v124, v126, s[0:3], 0 offen offset:8
	buffer_load_dword v125, v126, s[0:3], 0 offen offset:12
	buffer_load_dword v132, v126, s[0:3], 0 offen
	buffer_load_dword v133, v126, s[0:3], 0 offen offset:4
	v_mov_b32_e32 v126, s67
	v_cmp_eq_u32_e32 vcc_lo, 0, v123
	s_add_i32 s67, s67, 16
	ds_read_b128 v[128:131], v126
	s_or_b32 s5, vcc_lo, s5
	s_waitcnt vmcnt(2) lgkmcnt(0)
	v_mul_f64 v[134:135], v[130:131], v[124:125]
	v_mul_f64 v[124:125], v[128:129], v[124:125]
	s_waitcnt vmcnt(0)
	v_fma_f64 v[128:129], v[128:129], v[132:133], -v[134:135]
	v_fma_f64 v[124:125], v[130:131], v[132:133], v[124:125]
	v_add_f64 v[1:2], v[1:2], v[128:129]
	v_add_f64 v[3:4], v[3:4], v[124:125]
	s_andn2_b32 exec_lo, exec_lo, s5
	s_cbranch_execnz .LBB121_56
; %bb.57:
	s_or_b32 exec_lo, exec_lo, s5
.LBB121_58:
	s_or_b32 exec_lo, exec_lo, s8
	v_mov_b32_e32 v123, 0
	ds_read_b128 v[123:126], v123 offset:800
	s_waitcnt lgkmcnt(0)
	v_mul_f64 v[128:129], v[3:4], v[125:126]
	v_mul_f64 v[125:126], v[1:2], v[125:126]
	v_fma_f64 v[1:2], v[1:2], v[123:124], -v[128:129]
	v_fma_f64 v[3:4], v[3:4], v[123:124], v[125:126]
	buffer_store_dword v2, off, s[0:3], 0 offset:804
	buffer_store_dword v1, off, s[0:3], 0 offset:800
	;; [unrolled: 1-line block ×4, first 2 shown]
.LBB121_59:
	s_or_b32 exec_lo, exec_lo, s6
	v_mov_b32_e32 v4, s16
	v_cmp_lt_u32_e64 s5, 49, v0
	s_clause 0x3
	buffer_load_dword v1, v4, s[0:3], 0 offen
	buffer_load_dword v2, v4, s[0:3], 0 offen offset:4
	buffer_load_dword v3, v4, s[0:3], 0 offen offset:8
	;; [unrolled: 1-line block ×3, first 2 shown]
	s_waitcnt vmcnt(0)
	ds_write_b128 v122, v[1:4]
	s_waitcnt lgkmcnt(0)
	s_waitcnt_vscnt null, 0x0
	s_barrier
	buffer_gl0_inv
	s_and_saveexec_b32 s6, s5
	s_cbranch_execz .LBB121_67
; %bb.60:
	ds_read_b128 v[1:4], v122
	s_andn2_b32 vcc_lo, exec_lo, s66
	s_cbranch_vccnz .LBB121_62
; %bb.61:
	s_clause 0x3
	buffer_load_dword v123, v121, s[0:3], 0 offen offset:8
	buffer_load_dword v124, v121, s[0:3], 0 offen offset:12
	buffer_load_dword v125, v121, s[0:3], 0 offen
	buffer_load_dword v126, v121, s[0:3], 0 offen offset:4
	s_waitcnt vmcnt(2) lgkmcnt(0)
	v_mul_f64 v[128:129], v[3:4], v[123:124]
	v_mul_f64 v[123:124], v[1:2], v[123:124]
	s_waitcnt vmcnt(0)
	v_fma_f64 v[1:2], v[1:2], v[125:126], -v[128:129]
	v_fma_f64 v[3:4], v[3:4], v[125:126], v[123:124]
.LBB121_62:
	s_and_saveexec_b32 s8, s4
	s_cbranch_execz .LBB121_66
; %bb.63:
	v_subrev_nc_u32_e32 v123, 50, v0
	s_movk_i32 s67, 0x6c0
	s_mov_b32 s4, 0
	s_mov_b32 s68, s15
	.p2align	6
.LBB121_64:                             ; =>This Inner Loop Header: Depth=1
	v_mov_b32_e32 v126, s68
	v_add_nc_u32_e32 v123, -1, v123
	s_add_i32 s68, s68, 16
	s_clause 0x3
	buffer_load_dword v124, v126, s[0:3], 0 offen offset:8
	buffer_load_dword v125, v126, s[0:3], 0 offen offset:12
	buffer_load_dword v132, v126, s[0:3], 0 offen
	buffer_load_dword v133, v126, s[0:3], 0 offen offset:4
	v_mov_b32_e32 v126, s67
	v_cmp_eq_u32_e32 vcc_lo, 0, v123
	s_add_i32 s67, s67, 16
	ds_read_b128 v[128:131], v126
	s_or_b32 s4, vcc_lo, s4
	s_waitcnt vmcnt(2) lgkmcnt(0)
	v_mul_f64 v[134:135], v[130:131], v[124:125]
	v_mul_f64 v[124:125], v[128:129], v[124:125]
	s_waitcnt vmcnt(0)
	v_fma_f64 v[128:129], v[128:129], v[132:133], -v[134:135]
	v_fma_f64 v[124:125], v[130:131], v[132:133], v[124:125]
	v_add_f64 v[1:2], v[1:2], v[128:129]
	v_add_f64 v[3:4], v[3:4], v[124:125]
	s_andn2_b32 exec_lo, exec_lo, s4
	s_cbranch_execnz .LBB121_64
; %bb.65:
	s_or_b32 exec_lo, exec_lo, s4
.LBB121_66:
	s_or_b32 exec_lo, exec_lo, s8
	v_mov_b32_e32 v123, 0
	ds_read_b128 v[123:126], v123 offset:784
	s_waitcnt lgkmcnt(0)
	v_mul_f64 v[128:129], v[3:4], v[125:126]
	v_mul_f64 v[125:126], v[1:2], v[125:126]
	v_fma_f64 v[1:2], v[1:2], v[123:124], -v[128:129]
	v_fma_f64 v[3:4], v[3:4], v[123:124], v[125:126]
	buffer_store_dword v2, off, s[0:3], 0 offset:788
	buffer_store_dword v1, off, s[0:3], 0 offset:784
	buffer_store_dword v4, off, s[0:3], 0 offset:796
	buffer_store_dword v3, off, s[0:3], 0 offset:792
.LBB121_67:
	s_or_b32 exec_lo, exec_lo, s6
	v_mov_b32_e32 v4, s17
	v_cmp_lt_u32_e64 s4, 48, v0
	s_clause 0x3
	buffer_load_dword v1, v4, s[0:3], 0 offen
	buffer_load_dword v2, v4, s[0:3], 0 offen offset:4
	buffer_load_dword v3, v4, s[0:3], 0 offen offset:8
	;; [unrolled: 1-line block ×3, first 2 shown]
	s_waitcnt vmcnt(0)
	ds_write_b128 v122, v[1:4]
	s_waitcnt lgkmcnt(0)
	s_waitcnt_vscnt null, 0x0
	s_barrier
	buffer_gl0_inv
	s_and_saveexec_b32 s6, s4
	s_cbranch_execz .LBB121_75
; %bb.68:
	ds_read_b128 v[1:4], v122
	s_andn2_b32 vcc_lo, exec_lo, s66
	s_cbranch_vccnz .LBB121_70
; %bb.69:
	s_clause 0x3
	buffer_load_dword v123, v121, s[0:3], 0 offen offset:8
	buffer_load_dword v124, v121, s[0:3], 0 offen offset:12
	buffer_load_dword v125, v121, s[0:3], 0 offen
	buffer_load_dword v126, v121, s[0:3], 0 offen offset:4
	s_waitcnt vmcnt(2) lgkmcnt(0)
	v_mul_f64 v[128:129], v[3:4], v[123:124]
	v_mul_f64 v[123:124], v[1:2], v[123:124]
	s_waitcnt vmcnt(0)
	v_fma_f64 v[1:2], v[1:2], v[125:126], -v[128:129]
	v_fma_f64 v[3:4], v[3:4], v[125:126], v[123:124]
.LBB121_70:
	s_and_saveexec_b32 s8, s5
	s_cbranch_execz .LBB121_74
; %bb.71:
	v_subrev_nc_u32_e32 v123, 49, v0
	s_movk_i32 s67, 0x6b0
	s_mov_b32 s5, 0
	s_mov_b32 s68, s16
	.p2align	6
.LBB121_72:                             ; =>This Inner Loop Header: Depth=1
	v_mov_b32_e32 v126, s68
	v_add_nc_u32_e32 v123, -1, v123
	s_add_i32 s68, s68, 16
	s_clause 0x3
	buffer_load_dword v124, v126, s[0:3], 0 offen offset:8
	buffer_load_dword v125, v126, s[0:3], 0 offen offset:12
	buffer_load_dword v132, v126, s[0:3], 0 offen
	buffer_load_dword v133, v126, s[0:3], 0 offen offset:4
	v_mov_b32_e32 v126, s67
	v_cmp_eq_u32_e32 vcc_lo, 0, v123
	s_add_i32 s67, s67, 16
	ds_read_b128 v[128:131], v126
	s_or_b32 s5, vcc_lo, s5
	s_waitcnt vmcnt(2) lgkmcnt(0)
	v_mul_f64 v[134:135], v[130:131], v[124:125]
	v_mul_f64 v[124:125], v[128:129], v[124:125]
	s_waitcnt vmcnt(0)
	v_fma_f64 v[128:129], v[128:129], v[132:133], -v[134:135]
	v_fma_f64 v[124:125], v[130:131], v[132:133], v[124:125]
	v_add_f64 v[1:2], v[1:2], v[128:129]
	v_add_f64 v[3:4], v[3:4], v[124:125]
	s_andn2_b32 exec_lo, exec_lo, s5
	s_cbranch_execnz .LBB121_72
; %bb.73:
	s_or_b32 exec_lo, exec_lo, s5
.LBB121_74:
	s_or_b32 exec_lo, exec_lo, s8
	v_mov_b32_e32 v123, 0
	ds_read_b128 v[123:126], v123 offset:768
	s_waitcnt lgkmcnt(0)
	v_mul_f64 v[128:129], v[3:4], v[125:126]
	v_mul_f64 v[125:126], v[1:2], v[125:126]
	v_fma_f64 v[1:2], v[1:2], v[123:124], -v[128:129]
	v_fma_f64 v[3:4], v[3:4], v[123:124], v[125:126]
	buffer_store_dword v2, off, s[0:3], 0 offset:772
	buffer_store_dword v1, off, s[0:3], 0 offset:768
	;; [unrolled: 1-line block ×4, first 2 shown]
.LBB121_75:
	s_or_b32 exec_lo, exec_lo, s6
	v_mov_b32_e32 v4, s18
	v_cmp_lt_u32_e64 s5, 47, v0
	s_clause 0x3
	buffer_load_dword v1, v4, s[0:3], 0 offen
	buffer_load_dword v2, v4, s[0:3], 0 offen offset:4
	buffer_load_dword v3, v4, s[0:3], 0 offen offset:8
	;; [unrolled: 1-line block ×3, first 2 shown]
	s_waitcnt vmcnt(0)
	ds_write_b128 v122, v[1:4]
	s_waitcnt lgkmcnt(0)
	s_waitcnt_vscnt null, 0x0
	s_barrier
	buffer_gl0_inv
	s_and_saveexec_b32 s6, s5
	s_cbranch_execz .LBB121_83
; %bb.76:
	ds_read_b128 v[1:4], v122
	s_andn2_b32 vcc_lo, exec_lo, s66
	s_cbranch_vccnz .LBB121_78
; %bb.77:
	s_clause 0x3
	buffer_load_dword v123, v121, s[0:3], 0 offen offset:8
	buffer_load_dword v124, v121, s[0:3], 0 offen offset:12
	buffer_load_dword v125, v121, s[0:3], 0 offen
	buffer_load_dword v126, v121, s[0:3], 0 offen offset:4
	s_waitcnt vmcnt(2) lgkmcnt(0)
	v_mul_f64 v[128:129], v[3:4], v[123:124]
	v_mul_f64 v[123:124], v[1:2], v[123:124]
	s_waitcnt vmcnt(0)
	v_fma_f64 v[1:2], v[1:2], v[125:126], -v[128:129]
	v_fma_f64 v[3:4], v[3:4], v[125:126], v[123:124]
.LBB121_78:
	s_and_saveexec_b32 s8, s4
	s_cbranch_execz .LBB121_82
; %bb.79:
	v_subrev_nc_u32_e32 v123, 48, v0
	s_movk_i32 s67, 0x6a0
	s_mov_b32 s4, 0
	s_mov_b32 s68, s17
	.p2align	6
.LBB121_80:                             ; =>This Inner Loop Header: Depth=1
	v_mov_b32_e32 v126, s68
	v_add_nc_u32_e32 v123, -1, v123
	s_add_i32 s68, s68, 16
	s_clause 0x3
	buffer_load_dword v124, v126, s[0:3], 0 offen offset:8
	buffer_load_dword v125, v126, s[0:3], 0 offen offset:12
	buffer_load_dword v132, v126, s[0:3], 0 offen
	buffer_load_dword v133, v126, s[0:3], 0 offen offset:4
	v_mov_b32_e32 v126, s67
	v_cmp_eq_u32_e32 vcc_lo, 0, v123
	s_add_i32 s67, s67, 16
	ds_read_b128 v[128:131], v126
	s_or_b32 s4, vcc_lo, s4
	s_waitcnt vmcnt(2) lgkmcnt(0)
	v_mul_f64 v[134:135], v[130:131], v[124:125]
	v_mul_f64 v[124:125], v[128:129], v[124:125]
	s_waitcnt vmcnt(0)
	v_fma_f64 v[128:129], v[128:129], v[132:133], -v[134:135]
	v_fma_f64 v[124:125], v[130:131], v[132:133], v[124:125]
	v_add_f64 v[1:2], v[1:2], v[128:129]
	v_add_f64 v[3:4], v[3:4], v[124:125]
	s_andn2_b32 exec_lo, exec_lo, s4
	s_cbranch_execnz .LBB121_80
; %bb.81:
	s_or_b32 exec_lo, exec_lo, s4
.LBB121_82:
	s_or_b32 exec_lo, exec_lo, s8
	v_mov_b32_e32 v123, 0
	ds_read_b128 v[123:126], v123 offset:752
	s_waitcnt lgkmcnt(0)
	v_mul_f64 v[128:129], v[3:4], v[125:126]
	v_mul_f64 v[125:126], v[1:2], v[125:126]
	v_fma_f64 v[1:2], v[1:2], v[123:124], -v[128:129]
	v_fma_f64 v[3:4], v[3:4], v[123:124], v[125:126]
	buffer_store_dword v2, off, s[0:3], 0 offset:756
	buffer_store_dword v1, off, s[0:3], 0 offset:752
	;; [unrolled: 1-line block ×4, first 2 shown]
.LBB121_83:
	s_or_b32 exec_lo, exec_lo, s6
	v_mov_b32_e32 v4, s19
	v_cmp_lt_u32_e64 s4, 46, v0
	s_clause 0x3
	buffer_load_dword v1, v4, s[0:3], 0 offen
	buffer_load_dword v2, v4, s[0:3], 0 offen offset:4
	buffer_load_dword v3, v4, s[0:3], 0 offen offset:8
	;; [unrolled: 1-line block ×3, first 2 shown]
	s_waitcnt vmcnt(0)
	ds_write_b128 v122, v[1:4]
	s_waitcnt lgkmcnt(0)
	s_waitcnt_vscnt null, 0x0
	s_barrier
	buffer_gl0_inv
	s_and_saveexec_b32 s6, s4
	s_cbranch_execz .LBB121_91
; %bb.84:
	ds_read_b128 v[1:4], v122
	s_andn2_b32 vcc_lo, exec_lo, s66
	s_cbranch_vccnz .LBB121_86
; %bb.85:
	s_clause 0x3
	buffer_load_dword v123, v121, s[0:3], 0 offen offset:8
	buffer_load_dword v124, v121, s[0:3], 0 offen offset:12
	buffer_load_dword v125, v121, s[0:3], 0 offen
	buffer_load_dword v126, v121, s[0:3], 0 offen offset:4
	s_waitcnt vmcnt(2) lgkmcnt(0)
	v_mul_f64 v[128:129], v[3:4], v[123:124]
	v_mul_f64 v[123:124], v[1:2], v[123:124]
	s_waitcnt vmcnt(0)
	v_fma_f64 v[1:2], v[1:2], v[125:126], -v[128:129]
	v_fma_f64 v[3:4], v[3:4], v[125:126], v[123:124]
.LBB121_86:
	s_and_saveexec_b32 s8, s5
	s_cbranch_execz .LBB121_90
; %bb.87:
	v_subrev_nc_u32_e32 v123, 47, v0
	s_movk_i32 s67, 0x690
	s_mov_b32 s5, 0
	s_mov_b32 s68, s18
	.p2align	6
.LBB121_88:                             ; =>This Inner Loop Header: Depth=1
	v_mov_b32_e32 v126, s68
	v_add_nc_u32_e32 v123, -1, v123
	s_add_i32 s68, s68, 16
	s_clause 0x3
	buffer_load_dword v124, v126, s[0:3], 0 offen offset:8
	buffer_load_dword v125, v126, s[0:3], 0 offen offset:12
	buffer_load_dword v132, v126, s[0:3], 0 offen
	buffer_load_dword v133, v126, s[0:3], 0 offen offset:4
	v_mov_b32_e32 v126, s67
	v_cmp_eq_u32_e32 vcc_lo, 0, v123
	s_add_i32 s67, s67, 16
	ds_read_b128 v[128:131], v126
	s_or_b32 s5, vcc_lo, s5
	s_waitcnt vmcnt(2) lgkmcnt(0)
	v_mul_f64 v[134:135], v[130:131], v[124:125]
	v_mul_f64 v[124:125], v[128:129], v[124:125]
	s_waitcnt vmcnt(0)
	v_fma_f64 v[128:129], v[128:129], v[132:133], -v[134:135]
	v_fma_f64 v[124:125], v[130:131], v[132:133], v[124:125]
	v_add_f64 v[1:2], v[1:2], v[128:129]
	v_add_f64 v[3:4], v[3:4], v[124:125]
	s_andn2_b32 exec_lo, exec_lo, s5
	s_cbranch_execnz .LBB121_88
; %bb.89:
	s_or_b32 exec_lo, exec_lo, s5
.LBB121_90:
	s_or_b32 exec_lo, exec_lo, s8
	v_mov_b32_e32 v123, 0
	ds_read_b128 v[123:126], v123 offset:736
	s_waitcnt lgkmcnt(0)
	v_mul_f64 v[128:129], v[3:4], v[125:126]
	v_mul_f64 v[125:126], v[1:2], v[125:126]
	v_fma_f64 v[1:2], v[1:2], v[123:124], -v[128:129]
	v_fma_f64 v[3:4], v[3:4], v[123:124], v[125:126]
	buffer_store_dword v2, off, s[0:3], 0 offset:740
	buffer_store_dword v1, off, s[0:3], 0 offset:736
	;; [unrolled: 1-line block ×4, first 2 shown]
.LBB121_91:
	s_or_b32 exec_lo, exec_lo, s6
	v_mov_b32_e32 v4, s20
	v_cmp_lt_u32_e64 s5, 45, v0
	s_clause 0x3
	buffer_load_dword v1, v4, s[0:3], 0 offen
	buffer_load_dword v2, v4, s[0:3], 0 offen offset:4
	buffer_load_dword v3, v4, s[0:3], 0 offen offset:8
	;; [unrolled: 1-line block ×3, first 2 shown]
	s_waitcnt vmcnt(0)
	ds_write_b128 v122, v[1:4]
	s_waitcnt lgkmcnt(0)
	s_waitcnt_vscnt null, 0x0
	s_barrier
	buffer_gl0_inv
	s_and_saveexec_b32 s6, s5
	s_cbranch_execz .LBB121_99
; %bb.92:
	ds_read_b128 v[1:4], v122
	s_andn2_b32 vcc_lo, exec_lo, s66
	s_cbranch_vccnz .LBB121_94
; %bb.93:
	s_clause 0x3
	buffer_load_dword v123, v121, s[0:3], 0 offen offset:8
	buffer_load_dword v124, v121, s[0:3], 0 offen offset:12
	buffer_load_dword v125, v121, s[0:3], 0 offen
	buffer_load_dword v126, v121, s[0:3], 0 offen offset:4
	s_waitcnt vmcnt(2) lgkmcnt(0)
	v_mul_f64 v[128:129], v[3:4], v[123:124]
	v_mul_f64 v[123:124], v[1:2], v[123:124]
	s_waitcnt vmcnt(0)
	v_fma_f64 v[1:2], v[1:2], v[125:126], -v[128:129]
	v_fma_f64 v[3:4], v[3:4], v[125:126], v[123:124]
.LBB121_94:
	s_and_saveexec_b32 s8, s4
	s_cbranch_execz .LBB121_98
; %bb.95:
	v_subrev_nc_u32_e32 v123, 46, v0
	s_movk_i32 s67, 0x680
	s_mov_b32 s4, 0
	s_mov_b32 s68, s19
	.p2align	6
.LBB121_96:                             ; =>This Inner Loop Header: Depth=1
	v_mov_b32_e32 v126, s68
	v_add_nc_u32_e32 v123, -1, v123
	s_add_i32 s68, s68, 16
	s_clause 0x3
	buffer_load_dword v124, v126, s[0:3], 0 offen offset:8
	buffer_load_dword v125, v126, s[0:3], 0 offen offset:12
	buffer_load_dword v132, v126, s[0:3], 0 offen
	buffer_load_dword v133, v126, s[0:3], 0 offen offset:4
	v_mov_b32_e32 v126, s67
	v_cmp_eq_u32_e32 vcc_lo, 0, v123
	s_add_i32 s67, s67, 16
	ds_read_b128 v[128:131], v126
	s_or_b32 s4, vcc_lo, s4
	s_waitcnt vmcnt(2) lgkmcnt(0)
	v_mul_f64 v[134:135], v[130:131], v[124:125]
	v_mul_f64 v[124:125], v[128:129], v[124:125]
	s_waitcnt vmcnt(0)
	v_fma_f64 v[128:129], v[128:129], v[132:133], -v[134:135]
	v_fma_f64 v[124:125], v[130:131], v[132:133], v[124:125]
	v_add_f64 v[1:2], v[1:2], v[128:129]
	v_add_f64 v[3:4], v[3:4], v[124:125]
	s_andn2_b32 exec_lo, exec_lo, s4
	s_cbranch_execnz .LBB121_96
; %bb.97:
	s_or_b32 exec_lo, exec_lo, s4
.LBB121_98:
	s_or_b32 exec_lo, exec_lo, s8
	v_mov_b32_e32 v123, 0
	ds_read_b128 v[123:126], v123 offset:720
	s_waitcnt lgkmcnt(0)
	v_mul_f64 v[128:129], v[3:4], v[125:126]
	v_mul_f64 v[125:126], v[1:2], v[125:126]
	v_fma_f64 v[1:2], v[1:2], v[123:124], -v[128:129]
	v_fma_f64 v[3:4], v[3:4], v[123:124], v[125:126]
	buffer_store_dword v2, off, s[0:3], 0 offset:724
	buffer_store_dword v1, off, s[0:3], 0 offset:720
	;; [unrolled: 1-line block ×4, first 2 shown]
.LBB121_99:
	s_or_b32 exec_lo, exec_lo, s6
	v_mov_b32_e32 v4, s21
	v_cmp_lt_u32_e64 s4, 44, v0
	s_clause 0x3
	buffer_load_dword v1, v4, s[0:3], 0 offen
	buffer_load_dword v2, v4, s[0:3], 0 offen offset:4
	buffer_load_dword v3, v4, s[0:3], 0 offen offset:8
	;; [unrolled: 1-line block ×3, first 2 shown]
	s_waitcnt vmcnt(0)
	ds_write_b128 v122, v[1:4]
	s_waitcnt lgkmcnt(0)
	s_waitcnt_vscnt null, 0x0
	s_barrier
	buffer_gl0_inv
	s_and_saveexec_b32 s6, s4
	s_cbranch_execz .LBB121_107
; %bb.100:
	ds_read_b128 v[1:4], v122
	s_andn2_b32 vcc_lo, exec_lo, s66
	s_cbranch_vccnz .LBB121_102
; %bb.101:
	s_clause 0x3
	buffer_load_dword v123, v121, s[0:3], 0 offen offset:8
	buffer_load_dword v124, v121, s[0:3], 0 offen offset:12
	buffer_load_dword v125, v121, s[0:3], 0 offen
	buffer_load_dword v126, v121, s[0:3], 0 offen offset:4
	s_waitcnt vmcnt(2) lgkmcnt(0)
	v_mul_f64 v[128:129], v[3:4], v[123:124]
	v_mul_f64 v[123:124], v[1:2], v[123:124]
	s_waitcnt vmcnt(0)
	v_fma_f64 v[1:2], v[1:2], v[125:126], -v[128:129]
	v_fma_f64 v[3:4], v[3:4], v[125:126], v[123:124]
.LBB121_102:
	s_and_saveexec_b32 s8, s5
	s_cbranch_execz .LBB121_106
; %bb.103:
	v_subrev_nc_u32_e32 v123, 45, v0
	s_movk_i32 s67, 0x670
	s_mov_b32 s5, 0
	s_mov_b32 s68, s20
	.p2align	6
.LBB121_104:                            ; =>This Inner Loop Header: Depth=1
	v_mov_b32_e32 v126, s68
	v_add_nc_u32_e32 v123, -1, v123
	s_add_i32 s68, s68, 16
	s_clause 0x3
	buffer_load_dword v124, v126, s[0:3], 0 offen offset:8
	buffer_load_dword v125, v126, s[0:3], 0 offen offset:12
	buffer_load_dword v132, v126, s[0:3], 0 offen
	buffer_load_dword v133, v126, s[0:3], 0 offen offset:4
	v_mov_b32_e32 v126, s67
	v_cmp_eq_u32_e32 vcc_lo, 0, v123
	s_add_i32 s67, s67, 16
	ds_read_b128 v[128:131], v126
	s_or_b32 s5, vcc_lo, s5
	s_waitcnt vmcnt(2) lgkmcnt(0)
	v_mul_f64 v[134:135], v[130:131], v[124:125]
	v_mul_f64 v[124:125], v[128:129], v[124:125]
	s_waitcnt vmcnt(0)
	v_fma_f64 v[128:129], v[128:129], v[132:133], -v[134:135]
	v_fma_f64 v[124:125], v[130:131], v[132:133], v[124:125]
	v_add_f64 v[1:2], v[1:2], v[128:129]
	v_add_f64 v[3:4], v[3:4], v[124:125]
	s_andn2_b32 exec_lo, exec_lo, s5
	s_cbranch_execnz .LBB121_104
; %bb.105:
	s_or_b32 exec_lo, exec_lo, s5
.LBB121_106:
	s_or_b32 exec_lo, exec_lo, s8
	v_mov_b32_e32 v123, 0
	ds_read_b128 v[123:126], v123 offset:704
	s_waitcnt lgkmcnt(0)
	v_mul_f64 v[128:129], v[3:4], v[125:126]
	v_mul_f64 v[125:126], v[1:2], v[125:126]
	v_fma_f64 v[1:2], v[1:2], v[123:124], -v[128:129]
	v_fma_f64 v[3:4], v[3:4], v[123:124], v[125:126]
	buffer_store_dword v2, off, s[0:3], 0 offset:708
	buffer_store_dword v1, off, s[0:3], 0 offset:704
	;; [unrolled: 1-line block ×4, first 2 shown]
.LBB121_107:
	s_or_b32 exec_lo, exec_lo, s6
	v_mov_b32_e32 v4, s22
	v_cmp_lt_u32_e64 s5, 43, v0
	s_clause 0x3
	buffer_load_dword v1, v4, s[0:3], 0 offen
	buffer_load_dword v2, v4, s[0:3], 0 offen offset:4
	buffer_load_dword v3, v4, s[0:3], 0 offen offset:8
	;; [unrolled: 1-line block ×3, first 2 shown]
	s_waitcnt vmcnt(0)
	ds_write_b128 v122, v[1:4]
	s_waitcnt lgkmcnt(0)
	s_waitcnt_vscnt null, 0x0
	s_barrier
	buffer_gl0_inv
	s_and_saveexec_b32 s6, s5
	s_cbranch_execz .LBB121_115
; %bb.108:
	ds_read_b128 v[1:4], v122
	s_andn2_b32 vcc_lo, exec_lo, s66
	s_cbranch_vccnz .LBB121_110
; %bb.109:
	s_clause 0x3
	buffer_load_dword v123, v121, s[0:3], 0 offen offset:8
	buffer_load_dword v124, v121, s[0:3], 0 offen offset:12
	buffer_load_dword v125, v121, s[0:3], 0 offen
	buffer_load_dword v126, v121, s[0:3], 0 offen offset:4
	s_waitcnt vmcnt(2) lgkmcnt(0)
	v_mul_f64 v[128:129], v[3:4], v[123:124]
	v_mul_f64 v[123:124], v[1:2], v[123:124]
	s_waitcnt vmcnt(0)
	v_fma_f64 v[1:2], v[1:2], v[125:126], -v[128:129]
	v_fma_f64 v[3:4], v[3:4], v[125:126], v[123:124]
.LBB121_110:
	s_and_saveexec_b32 s8, s4
	s_cbranch_execz .LBB121_114
; %bb.111:
	v_subrev_nc_u32_e32 v123, 44, v0
	s_movk_i32 s67, 0x660
	s_mov_b32 s4, 0
	s_mov_b32 s68, s21
	.p2align	6
.LBB121_112:                            ; =>This Inner Loop Header: Depth=1
	v_mov_b32_e32 v126, s68
	v_add_nc_u32_e32 v123, -1, v123
	s_add_i32 s68, s68, 16
	s_clause 0x3
	buffer_load_dword v124, v126, s[0:3], 0 offen offset:8
	buffer_load_dword v125, v126, s[0:3], 0 offen offset:12
	buffer_load_dword v132, v126, s[0:3], 0 offen
	buffer_load_dword v133, v126, s[0:3], 0 offen offset:4
	v_mov_b32_e32 v126, s67
	v_cmp_eq_u32_e32 vcc_lo, 0, v123
	s_add_i32 s67, s67, 16
	ds_read_b128 v[128:131], v126
	s_or_b32 s4, vcc_lo, s4
	s_waitcnt vmcnt(2) lgkmcnt(0)
	v_mul_f64 v[134:135], v[130:131], v[124:125]
	v_mul_f64 v[124:125], v[128:129], v[124:125]
	s_waitcnt vmcnt(0)
	v_fma_f64 v[128:129], v[128:129], v[132:133], -v[134:135]
	v_fma_f64 v[124:125], v[130:131], v[132:133], v[124:125]
	v_add_f64 v[1:2], v[1:2], v[128:129]
	v_add_f64 v[3:4], v[3:4], v[124:125]
	s_andn2_b32 exec_lo, exec_lo, s4
	s_cbranch_execnz .LBB121_112
; %bb.113:
	s_or_b32 exec_lo, exec_lo, s4
.LBB121_114:
	s_or_b32 exec_lo, exec_lo, s8
	v_mov_b32_e32 v123, 0
	ds_read_b128 v[123:126], v123 offset:688
	s_waitcnt lgkmcnt(0)
	v_mul_f64 v[128:129], v[3:4], v[125:126]
	v_mul_f64 v[125:126], v[1:2], v[125:126]
	v_fma_f64 v[1:2], v[1:2], v[123:124], -v[128:129]
	v_fma_f64 v[3:4], v[3:4], v[123:124], v[125:126]
	buffer_store_dword v2, off, s[0:3], 0 offset:692
	buffer_store_dword v1, off, s[0:3], 0 offset:688
	;; [unrolled: 1-line block ×4, first 2 shown]
.LBB121_115:
	s_or_b32 exec_lo, exec_lo, s6
	v_mov_b32_e32 v4, s23
	v_cmp_lt_u32_e64 s4, 42, v0
	s_clause 0x3
	buffer_load_dword v1, v4, s[0:3], 0 offen
	buffer_load_dword v2, v4, s[0:3], 0 offen offset:4
	buffer_load_dword v3, v4, s[0:3], 0 offen offset:8
	;; [unrolled: 1-line block ×3, first 2 shown]
	s_waitcnt vmcnt(0)
	ds_write_b128 v122, v[1:4]
	s_waitcnt lgkmcnt(0)
	s_waitcnt_vscnt null, 0x0
	s_barrier
	buffer_gl0_inv
	s_and_saveexec_b32 s6, s4
	s_cbranch_execz .LBB121_123
; %bb.116:
	ds_read_b128 v[1:4], v122
	s_andn2_b32 vcc_lo, exec_lo, s66
	s_cbranch_vccnz .LBB121_118
; %bb.117:
	s_clause 0x3
	buffer_load_dword v123, v121, s[0:3], 0 offen offset:8
	buffer_load_dword v124, v121, s[0:3], 0 offen offset:12
	buffer_load_dword v125, v121, s[0:3], 0 offen
	buffer_load_dword v126, v121, s[0:3], 0 offen offset:4
	s_waitcnt vmcnt(2) lgkmcnt(0)
	v_mul_f64 v[128:129], v[3:4], v[123:124]
	v_mul_f64 v[123:124], v[1:2], v[123:124]
	s_waitcnt vmcnt(0)
	v_fma_f64 v[1:2], v[1:2], v[125:126], -v[128:129]
	v_fma_f64 v[3:4], v[3:4], v[125:126], v[123:124]
.LBB121_118:
	s_and_saveexec_b32 s8, s5
	s_cbranch_execz .LBB121_122
; %bb.119:
	v_subrev_nc_u32_e32 v123, 43, v0
	s_movk_i32 s67, 0x650
	s_mov_b32 s5, 0
	s_mov_b32 s68, s22
	.p2align	6
.LBB121_120:                            ; =>This Inner Loop Header: Depth=1
	v_mov_b32_e32 v126, s68
	v_add_nc_u32_e32 v123, -1, v123
	s_add_i32 s68, s68, 16
	s_clause 0x3
	buffer_load_dword v124, v126, s[0:3], 0 offen offset:8
	buffer_load_dword v125, v126, s[0:3], 0 offen offset:12
	buffer_load_dword v132, v126, s[0:3], 0 offen
	buffer_load_dword v133, v126, s[0:3], 0 offen offset:4
	v_mov_b32_e32 v126, s67
	v_cmp_eq_u32_e32 vcc_lo, 0, v123
	s_add_i32 s67, s67, 16
	ds_read_b128 v[128:131], v126
	s_or_b32 s5, vcc_lo, s5
	s_waitcnt vmcnt(2) lgkmcnt(0)
	v_mul_f64 v[134:135], v[130:131], v[124:125]
	v_mul_f64 v[124:125], v[128:129], v[124:125]
	s_waitcnt vmcnt(0)
	v_fma_f64 v[128:129], v[128:129], v[132:133], -v[134:135]
	v_fma_f64 v[124:125], v[130:131], v[132:133], v[124:125]
	v_add_f64 v[1:2], v[1:2], v[128:129]
	v_add_f64 v[3:4], v[3:4], v[124:125]
	s_andn2_b32 exec_lo, exec_lo, s5
	s_cbranch_execnz .LBB121_120
; %bb.121:
	s_or_b32 exec_lo, exec_lo, s5
.LBB121_122:
	s_or_b32 exec_lo, exec_lo, s8
	v_mov_b32_e32 v123, 0
	ds_read_b128 v[123:126], v123 offset:672
	s_waitcnt lgkmcnt(0)
	v_mul_f64 v[128:129], v[3:4], v[125:126]
	v_mul_f64 v[125:126], v[1:2], v[125:126]
	v_fma_f64 v[1:2], v[1:2], v[123:124], -v[128:129]
	v_fma_f64 v[3:4], v[3:4], v[123:124], v[125:126]
	buffer_store_dword v2, off, s[0:3], 0 offset:676
	buffer_store_dword v1, off, s[0:3], 0 offset:672
	;; [unrolled: 1-line block ×4, first 2 shown]
.LBB121_123:
	s_or_b32 exec_lo, exec_lo, s6
	v_mov_b32_e32 v4, s24
	v_cmp_lt_u32_e64 s5, 41, v0
	s_clause 0x3
	buffer_load_dword v1, v4, s[0:3], 0 offen
	buffer_load_dword v2, v4, s[0:3], 0 offen offset:4
	buffer_load_dword v3, v4, s[0:3], 0 offen offset:8
	;; [unrolled: 1-line block ×3, first 2 shown]
	s_waitcnt vmcnt(0)
	ds_write_b128 v122, v[1:4]
	s_waitcnt lgkmcnt(0)
	s_waitcnt_vscnt null, 0x0
	s_barrier
	buffer_gl0_inv
	s_and_saveexec_b32 s6, s5
	s_cbranch_execz .LBB121_131
; %bb.124:
	ds_read_b128 v[1:4], v122
	s_andn2_b32 vcc_lo, exec_lo, s66
	s_cbranch_vccnz .LBB121_126
; %bb.125:
	s_clause 0x3
	buffer_load_dword v123, v121, s[0:3], 0 offen offset:8
	buffer_load_dword v124, v121, s[0:3], 0 offen offset:12
	buffer_load_dword v125, v121, s[0:3], 0 offen
	buffer_load_dword v126, v121, s[0:3], 0 offen offset:4
	s_waitcnt vmcnt(2) lgkmcnt(0)
	v_mul_f64 v[128:129], v[3:4], v[123:124]
	v_mul_f64 v[123:124], v[1:2], v[123:124]
	s_waitcnt vmcnt(0)
	v_fma_f64 v[1:2], v[1:2], v[125:126], -v[128:129]
	v_fma_f64 v[3:4], v[3:4], v[125:126], v[123:124]
.LBB121_126:
	s_and_saveexec_b32 s8, s4
	s_cbranch_execz .LBB121_130
; %bb.127:
	v_subrev_nc_u32_e32 v123, 42, v0
	s_movk_i32 s67, 0x640
	s_mov_b32 s4, 0
	s_mov_b32 s68, s23
	.p2align	6
.LBB121_128:                            ; =>This Inner Loop Header: Depth=1
	v_mov_b32_e32 v126, s68
	v_add_nc_u32_e32 v123, -1, v123
	s_add_i32 s68, s68, 16
	s_clause 0x3
	buffer_load_dword v124, v126, s[0:3], 0 offen offset:8
	buffer_load_dword v125, v126, s[0:3], 0 offen offset:12
	buffer_load_dword v132, v126, s[0:3], 0 offen
	buffer_load_dword v133, v126, s[0:3], 0 offen offset:4
	v_mov_b32_e32 v126, s67
	v_cmp_eq_u32_e32 vcc_lo, 0, v123
	s_add_i32 s67, s67, 16
	ds_read_b128 v[128:131], v126
	s_or_b32 s4, vcc_lo, s4
	s_waitcnt vmcnt(2) lgkmcnt(0)
	v_mul_f64 v[134:135], v[130:131], v[124:125]
	v_mul_f64 v[124:125], v[128:129], v[124:125]
	s_waitcnt vmcnt(0)
	v_fma_f64 v[128:129], v[128:129], v[132:133], -v[134:135]
	v_fma_f64 v[124:125], v[130:131], v[132:133], v[124:125]
	v_add_f64 v[1:2], v[1:2], v[128:129]
	v_add_f64 v[3:4], v[3:4], v[124:125]
	s_andn2_b32 exec_lo, exec_lo, s4
	s_cbranch_execnz .LBB121_128
; %bb.129:
	s_or_b32 exec_lo, exec_lo, s4
.LBB121_130:
	s_or_b32 exec_lo, exec_lo, s8
	v_mov_b32_e32 v123, 0
	ds_read_b128 v[123:126], v123 offset:656
	s_waitcnt lgkmcnt(0)
	v_mul_f64 v[128:129], v[3:4], v[125:126]
	v_mul_f64 v[125:126], v[1:2], v[125:126]
	v_fma_f64 v[1:2], v[1:2], v[123:124], -v[128:129]
	v_fma_f64 v[3:4], v[3:4], v[123:124], v[125:126]
	buffer_store_dword v2, off, s[0:3], 0 offset:660
	buffer_store_dword v1, off, s[0:3], 0 offset:656
	;; [unrolled: 1-line block ×4, first 2 shown]
.LBB121_131:
	s_or_b32 exec_lo, exec_lo, s6
	v_mov_b32_e32 v4, s25
	v_cmp_lt_u32_e64 s4, 40, v0
	s_clause 0x3
	buffer_load_dword v1, v4, s[0:3], 0 offen
	buffer_load_dword v2, v4, s[0:3], 0 offen offset:4
	buffer_load_dword v3, v4, s[0:3], 0 offen offset:8
	;; [unrolled: 1-line block ×3, first 2 shown]
	s_waitcnt vmcnt(0)
	ds_write_b128 v122, v[1:4]
	s_waitcnt lgkmcnt(0)
	s_waitcnt_vscnt null, 0x0
	s_barrier
	buffer_gl0_inv
	s_and_saveexec_b32 s6, s4
	s_cbranch_execz .LBB121_139
; %bb.132:
	ds_read_b128 v[1:4], v122
	s_andn2_b32 vcc_lo, exec_lo, s66
	s_cbranch_vccnz .LBB121_134
; %bb.133:
	s_clause 0x3
	buffer_load_dword v123, v121, s[0:3], 0 offen offset:8
	buffer_load_dword v124, v121, s[0:3], 0 offen offset:12
	buffer_load_dword v125, v121, s[0:3], 0 offen
	buffer_load_dword v126, v121, s[0:3], 0 offen offset:4
	s_waitcnt vmcnt(2) lgkmcnt(0)
	v_mul_f64 v[128:129], v[3:4], v[123:124]
	v_mul_f64 v[123:124], v[1:2], v[123:124]
	s_waitcnt vmcnt(0)
	v_fma_f64 v[1:2], v[1:2], v[125:126], -v[128:129]
	v_fma_f64 v[3:4], v[3:4], v[125:126], v[123:124]
.LBB121_134:
	s_and_saveexec_b32 s8, s5
	s_cbranch_execz .LBB121_138
; %bb.135:
	v_subrev_nc_u32_e32 v123, 41, v0
	s_movk_i32 s67, 0x630
	s_mov_b32 s5, 0
	s_mov_b32 s68, s24
	.p2align	6
.LBB121_136:                            ; =>This Inner Loop Header: Depth=1
	v_mov_b32_e32 v126, s68
	v_add_nc_u32_e32 v123, -1, v123
	s_add_i32 s68, s68, 16
	s_clause 0x3
	buffer_load_dword v124, v126, s[0:3], 0 offen offset:8
	buffer_load_dword v125, v126, s[0:3], 0 offen offset:12
	buffer_load_dword v132, v126, s[0:3], 0 offen
	buffer_load_dword v133, v126, s[0:3], 0 offen offset:4
	v_mov_b32_e32 v126, s67
	v_cmp_eq_u32_e32 vcc_lo, 0, v123
	s_add_i32 s67, s67, 16
	ds_read_b128 v[128:131], v126
	s_or_b32 s5, vcc_lo, s5
	s_waitcnt vmcnt(2) lgkmcnt(0)
	v_mul_f64 v[134:135], v[130:131], v[124:125]
	v_mul_f64 v[124:125], v[128:129], v[124:125]
	s_waitcnt vmcnt(0)
	v_fma_f64 v[128:129], v[128:129], v[132:133], -v[134:135]
	v_fma_f64 v[124:125], v[130:131], v[132:133], v[124:125]
	v_add_f64 v[1:2], v[1:2], v[128:129]
	v_add_f64 v[3:4], v[3:4], v[124:125]
	s_andn2_b32 exec_lo, exec_lo, s5
	s_cbranch_execnz .LBB121_136
; %bb.137:
	s_or_b32 exec_lo, exec_lo, s5
.LBB121_138:
	s_or_b32 exec_lo, exec_lo, s8
	v_mov_b32_e32 v123, 0
	ds_read_b128 v[123:126], v123 offset:640
	s_waitcnt lgkmcnt(0)
	v_mul_f64 v[128:129], v[3:4], v[125:126]
	v_mul_f64 v[125:126], v[1:2], v[125:126]
	v_fma_f64 v[1:2], v[1:2], v[123:124], -v[128:129]
	v_fma_f64 v[3:4], v[3:4], v[123:124], v[125:126]
	buffer_store_dword v2, off, s[0:3], 0 offset:644
	buffer_store_dword v1, off, s[0:3], 0 offset:640
	;; [unrolled: 1-line block ×4, first 2 shown]
.LBB121_139:
	s_or_b32 exec_lo, exec_lo, s6
	v_mov_b32_e32 v4, s26
	v_cmp_lt_u32_e64 s5, 39, v0
	s_clause 0x3
	buffer_load_dword v1, v4, s[0:3], 0 offen
	buffer_load_dword v2, v4, s[0:3], 0 offen offset:4
	buffer_load_dword v3, v4, s[0:3], 0 offen offset:8
	;; [unrolled: 1-line block ×3, first 2 shown]
	s_waitcnt vmcnt(0)
	ds_write_b128 v122, v[1:4]
	s_waitcnt lgkmcnt(0)
	s_waitcnt_vscnt null, 0x0
	s_barrier
	buffer_gl0_inv
	s_and_saveexec_b32 s6, s5
	s_cbranch_execz .LBB121_147
; %bb.140:
	ds_read_b128 v[1:4], v122
	s_andn2_b32 vcc_lo, exec_lo, s66
	s_cbranch_vccnz .LBB121_142
; %bb.141:
	s_clause 0x3
	buffer_load_dword v123, v121, s[0:3], 0 offen offset:8
	buffer_load_dword v124, v121, s[0:3], 0 offen offset:12
	buffer_load_dword v125, v121, s[0:3], 0 offen
	buffer_load_dword v126, v121, s[0:3], 0 offen offset:4
	s_waitcnt vmcnt(2) lgkmcnt(0)
	v_mul_f64 v[128:129], v[3:4], v[123:124]
	v_mul_f64 v[123:124], v[1:2], v[123:124]
	s_waitcnt vmcnt(0)
	v_fma_f64 v[1:2], v[1:2], v[125:126], -v[128:129]
	v_fma_f64 v[3:4], v[3:4], v[125:126], v[123:124]
.LBB121_142:
	s_and_saveexec_b32 s8, s4
	s_cbranch_execz .LBB121_146
; %bb.143:
	v_subrev_nc_u32_e32 v123, 40, v0
	s_movk_i32 s67, 0x620
	s_mov_b32 s4, 0
	s_mov_b32 s68, s25
	.p2align	6
.LBB121_144:                            ; =>This Inner Loop Header: Depth=1
	v_mov_b32_e32 v126, s68
	v_add_nc_u32_e32 v123, -1, v123
	s_add_i32 s68, s68, 16
	s_clause 0x3
	buffer_load_dword v124, v126, s[0:3], 0 offen offset:8
	buffer_load_dword v125, v126, s[0:3], 0 offen offset:12
	buffer_load_dword v132, v126, s[0:3], 0 offen
	buffer_load_dword v133, v126, s[0:3], 0 offen offset:4
	v_mov_b32_e32 v126, s67
	v_cmp_eq_u32_e32 vcc_lo, 0, v123
	s_add_i32 s67, s67, 16
	ds_read_b128 v[128:131], v126
	s_or_b32 s4, vcc_lo, s4
	s_waitcnt vmcnt(2) lgkmcnt(0)
	v_mul_f64 v[134:135], v[130:131], v[124:125]
	v_mul_f64 v[124:125], v[128:129], v[124:125]
	s_waitcnt vmcnt(0)
	v_fma_f64 v[128:129], v[128:129], v[132:133], -v[134:135]
	v_fma_f64 v[124:125], v[130:131], v[132:133], v[124:125]
	v_add_f64 v[1:2], v[1:2], v[128:129]
	v_add_f64 v[3:4], v[3:4], v[124:125]
	s_andn2_b32 exec_lo, exec_lo, s4
	s_cbranch_execnz .LBB121_144
; %bb.145:
	s_or_b32 exec_lo, exec_lo, s4
.LBB121_146:
	s_or_b32 exec_lo, exec_lo, s8
	v_mov_b32_e32 v123, 0
	ds_read_b128 v[123:126], v123 offset:624
	s_waitcnt lgkmcnt(0)
	v_mul_f64 v[128:129], v[3:4], v[125:126]
	v_mul_f64 v[125:126], v[1:2], v[125:126]
	v_fma_f64 v[1:2], v[1:2], v[123:124], -v[128:129]
	v_fma_f64 v[3:4], v[3:4], v[123:124], v[125:126]
	buffer_store_dword v2, off, s[0:3], 0 offset:628
	buffer_store_dword v1, off, s[0:3], 0 offset:624
	buffer_store_dword v4, off, s[0:3], 0 offset:636
	buffer_store_dword v3, off, s[0:3], 0 offset:632
.LBB121_147:
	s_or_b32 exec_lo, exec_lo, s6
	v_mov_b32_e32 v4, s27
	v_cmp_lt_u32_e64 s4, 38, v0
	s_clause 0x3
	buffer_load_dword v1, v4, s[0:3], 0 offen
	buffer_load_dword v2, v4, s[0:3], 0 offen offset:4
	buffer_load_dword v3, v4, s[0:3], 0 offen offset:8
	;; [unrolled: 1-line block ×3, first 2 shown]
	s_waitcnt vmcnt(0)
	ds_write_b128 v122, v[1:4]
	s_waitcnt lgkmcnt(0)
	s_waitcnt_vscnt null, 0x0
	s_barrier
	buffer_gl0_inv
	s_and_saveexec_b32 s6, s4
	s_cbranch_execz .LBB121_155
; %bb.148:
	ds_read_b128 v[1:4], v122
	s_andn2_b32 vcc_lo, exec_lo, s66
	s_cbranch_vccnz .LBB121_150
; %bb.149:
	s_clause 0x3
	buffer_load_dword v123, v121, s[0:3], 0 offen offset:8
	buffer_load_dword v124, v121, s[0:3], 0 offen offset:12
	buffer_load_dword v125, v121, s[0:3], 0 offen
	buffer_load_dword v126, v121, s[0:3], 0 offen offset:4
	s_waitcnt vmcnt(2) lgkmcnt(0)
	v_mul_f64 v[128:129], v[3:4], v[123:124]
	v_mul_f64 v[123:124], v[1:2], v[123:124]
	s_waitcnt vmcnt(0)
	v_fma_f64 v[1:2], v[1:2], v[125:126], -v[128:129]
	v_fma_f64 v[3:4], v[3:4], v[125:126], v[123:124]
.LBB121_150:
	s_and_saveexec_b32 s8, s5
	s_cbranch_execz .LBB121_154
; %bb.151:
	v_subrev_nc_u32_e32 v123, 39, v0
	s_movk_i32 s67, 0x610
	s_mov_b32 s5, 0
	s_mov_b32 s68, s26
	.p2align	6
.LBB121_152:                            ; =>This Inner Loop Header: Depth=1
	v_mov_b32_e32 v126, s68
	v_add_nc_u32_e32 v123, -1, v123
	s_add_i32 s68, s68, 16
	s_clause 0x3
	buffer_load_dword v124, v126, s[0:3], 0 offen offset:8
	buffer_load_dword v125, v126, s[0:3], 0 offen offset:12
	buffer_load_dword v132, v126, s[0:3], 0 offen
	buffer_load_dword v133, v126, s[0:3], 0 offen offset:4
	v_mov_b32_e32 v126, s67
	v_cmp_eq_u32_e32 vcc_lo, 0, v123
	s_add_i32 s67, s67, 16
	ds_read_b128 v[128:131], v126
	s_or_b32 s5, vcc_lo, s5
	s_waitcnt vmcnt(2) lgkmcnt(0)
	v_mul_f64 v[134:135], v[130:131], v[124:125]
	v_mul_f64 v[124:125], v[128:129], v[124:125]
	s_waitcnt vmcnt(0)
	v_fma_f64 v[128:129], v[128:129], v[132:133], -v[134:135]
	v_fma_f64 v[124:125], v[130:131], v[132:133], v[124:125]
	v_add_f64 v[1:2], v[1:2], v[128:129]
	v_add_f64 v[3:4], v[3:4], v[124:125]
	s_andn2_b32 exec_lo, exec_lo, s5
	s_cbranch_execnz .LBB121_152
; %bb.153:
	s_or_b32 exec_lo, exec_lo, s5
.LBB121_154:
	s_or_b32 exec_lo, exec_lo, s8
	v_mov_b32_e32 v123, 0
	ds_read_b128 v[123:126], v123 offset:608
	s_waitcnt lgkmcnt(0)
	v_mul_f64 v[128:129], v[3:4], v[125:126]
	v_mul_f64 v[125:126], v[1:2], v[125:126]
	v_fma_f64 v[1:2], v[1:2], v[123:124], -v[128:129]
	v_fma_f64 v[3:4], v[3:4], v[123:124], v[125:126]
	buffer_store_dword v2, off, s[0:3], 0 offset:612
	buffer_store_dword v1, off, s[0:3], 0 offset:608
	;; [unrolled: 1-line block ×4, first 2 shown]
.LBB121_155:
	s_or_b32 exec_lo, exec_lo, s6
	v_mov_b32_e32 v4, s28
	v_cmp_lt_u32_e64 s5, 37, v0
	s_clause 0x3
	buffer_load_dword v1, v4, s[0:3], 0 offen
	buffer_load_dword v2, v4, s[0:3], 0 offen offset:4
	buffer_load_dword v3, v4, s[0:3], 0 offen offset:8
	;; [unrolled: 1-line block ×3, first 2 shown]
	s_waitcnt vmcnt(0)
	ds_write_b128 v122, v[1:4]
	s_waitcnt lgkmcnt(0)
	s_waitcnt_vscnt null, 0x0
	s_barrier
	buffer_gl0_inv
	s_and_saveexec_b32 s6, s5
	s_cbranch_execz .LBB121_163
; %bb.156:
	ds_read_b128 v[1:4], v122
	s_andn2_b32 vcc_lo, exec_lo, s66
	s_cbranch_vccnz .LBB121_158
; %bb.157:
	s_clause 0x3
	buffer_load_dword v123, v121, s[0:3], 0 offen offset:8
	buffer_load_dword v124, v121, s[0:3], 0 offen offset:12
	buffer_load_dword v125, v121, s[0:3], 0 offen
	buffer_load_dword v126, v121, s[0:3], 0 offen offset:4
	s_waitcnt vmcnt(2) lgkmcnt(0)
	v_mul_f64 v[128:129], v[3:4], v[123:124]
	v_mul_f64 v[123:124], v[1:2], v[123:124]
	s_waitcnt vmcnt(0)
	v_fma_f64 v[1:2], v[1:2], v[125:126], -v[128:129]
	v_fma_f64 v[3:4], v[3:4], v[125:126], v[123:124]
.LBB121_158:
	s_and_saveexec_b32 s8, s4
	s_cbranch_execz .LBB121_162
; %bb.159:
	v_subrev_nc_u32_e32 v123, 38, v0
	s_movk_i32 s67, 0x600
	s_mov_b32 s4, 0
	s_mov_b32 s68, s27
	.p2align	6
.LBB121_160:                            ; =>This Inner Loop Header: Depth=1
	v_mov_b32_e32 v126, s68
	v_add_nc_u32_e32 v123, -1, v123
	s_add_i32 s68, s68, 16
	s_clause 0x3
	buffer_load_dword v124, v126, s[0:3], 0 offen offset:8
	buffer_load_dword v125, v126, s[0:3], 0 offen offset:12
	buffer_load_dword v132, v126, s[0:3], 0 offen
	buffer_load_dword v133, v126, s[0:3], 0 offen offset:4
	v_mov_b32_e32 v126, s67
	v_cmp_eq_u32_e32 vcc_lo, 0, v123
	s_add_i32 s67, s67, 16
	ds_read_b128 v[128:131], v126
	s_or_b32 s4, vcc_lo, s4
	s_waitcnt vmcnt(2) lgkmcnt(0)
	v_mul_f64 v[134:135], v[130:131], v[124:125]
	v_mul_f64 v[124:125], v[128:129], v[124:125]
	s_waitcnt vmcnt(0)
	v_fma_f64 v[128:129], v[128:129], v[132:133], -v[134:135]
	v_fma_f64 v[124:125], v[130:131], v[132:133], v[124:125]
	v_add_f64 v[1:2], v[1:2], v[128:129]
	v_add_f64 v[3:4], v[3:4], v[124:125]
	s_andn2_b32 exec_lo, exec_lo, s4
	s_cbranch_execnz .LBB121_160
; %bb.161:
	s_or_b32 exec_lo, exec_lo, s4
.LBB121_162:
	s_or_b32 exec_lo, exec_lo, s8
	v_mov_b32_e32 v123, 0
	ds_read_b128 v[123:126], v123 offset:592
	s_waitcnt lgkmcnt(0)
	v_mul_f64 v[128:129], v[3:4], v[125:126]
	v_mul_f64 v[125:126], v[1:2], v[125:126]
	v_fma_f64 v[1:2], v[1:2], v[123:124], -v[128:129]
	v_fma_f64 v[3:4], v[3:4], v[123:124], v[125:126]
	buffer_store_dword v2, off, s[0:3], 0 offset:596
	buffer_store_dword v1, off, s[0:3], 0 offset:592
	;; [unrolled: 1-line block ×4, first 2 shown]
.LBB121_163:
	s_or_b32 exec_lo, exec_lo, s6
	v_mov_b32_e32 v4, s29
	v_cmp_lt_u32_e64 s4, 36, v0
	s_clause 0x3
	buffer_load_dword v1, v4, s[0:3], 0 offen
	buffer_load_dword v2, v4, s[0:3], 0 offen offset:4
	buffer_load_dword v3, v4, s[0:3], 0 offen offset:8
	buffer_load_dword v4, v4, s[0:3], 0 offen offset:12
	s_waitcnt vmcnt(0)
	ds_write_b128 v122, v[1:4]
	s_waitcnt lgkmcnt(0)
	s_waitcnt_vscnt null, 0x0
	s_barrier
	buffer_gl0_inv
	s_and_saveexec_b32 s6, s4
	s_cbranch_execz .LBB121_171
; %bb.164:
	ds_read_b128 v[1:4], v122
	s_andn2_b32 vcc_lo, exec_lo, s66
	s_cbranch_vccnz .LBB121_166
; %bb.165:
	s_clause 0x3
	buffer_load_dword v123, v121, s[0:3], 0 offen offset:8
	buffer_load_dword v124, v121, s[0:3], 0 offen offset:12
	buffer_load_dword v125, v121, s[0:3], 0 offen
	buffer_load_dword v126, v121, s[0:3], 0 offen offset:4
	s_waitcnt vmcnt(2) lgkmcnt(0)
	v_mul_f64 v[128:129], v[3:4], v[123:124]
	v_mul_f64 v[123:124], v[1:2], v[123:124]
	s_waitcnt vmcnt(0)
	v_fma_f64 v[1:2], v[1:2], v[125:126], -v[128:129]
	v_fma_f64 v[3:4], v[3:4], v[125:126], v[123:124]
.LBB121_166:
	s_and_saveexec_b32 s8, s5
	s_cbranch_execz .LBB121_170
; %bb.167:
	v_subrev_nc_u32_e32 v123, 37, v0
	s_movk_i32 s67, 0x5f0
	s_mov_b32 s5, 0
	s_mov_b32 s68, s28
	.p2align	6
.LBB121_168:                            ; =>This Inner Loop Header: Depth=1
	v_mov_b32_e32 v126, s68
	v_add_nc_u32_e32 v123, -1, v123
	s_add_i32 s68, s68, 16
	s_clause 0x3
	buffer_load_dword v124, v126, s[0:3], 0 offen offset:8
	buffer_load_dword v125, v126, s[0:3], 0 offen offset:12
	buffer_load_dword v132, v126, s[0:3], 0 offen
	buffer_load_dword v133, v126, s[0:3], 0 offen offset:4
	v_mov_b32_e32 v126, s67
	v_cmp_eq_u32_e32 vcc_lo, 0, v123
	s_add_i32 s67, s67, 16
	ds_read_b128 v[128:131], v126
	s_or_b32 s5, vcc_lo, s5
	s_waitcnt vmcnt(2) lgkmcnt(0)
	v_mul_f64 v[134:135], v[130:131], v[124:125]
	v_mul_f64 v[124:125], v[128:129], v[124:125]
	s_waitcnt vmcnt(0)
	v_fma_f64 v[128:129], v[128:129], v[132:133], -v[134:135]
	v_fma_f64 v[124:125], v[130:131], v[132:133], v[124:125]
	v_add_f64 v[1:2], v[1:2], v[128:129]
	v_add_f64 v[3:4], v[3:4], v[124:125]
	s_andn2_b32 exec_lo, exec_lo, s5
	s_cbranch_execnz .LBB121_168
; %bb.169:
	s_or_b32 exec_lo, exec_lo, s5
.LBB121_170:
	s_or_b32 exec_lo, exec_lo, s8
	v_mov_b32_e32 v123, 0
	ds_read_b128 v[123:126], v123 offset:576
	s_waitcnt lgkmcnt(0)
	v_mul_f64 v[128:129], v[3:4], v[125:126]
	v_mul_f64 v[125:126], v[1:2], v[125:126]
	v_fma_f64 v[1:2], v[1:2], v[123:124], -v[128:129]
	v_fma_f64 v[3:4], v[3:4], v[123:124], v[125:126]
	buffer_store_dword v2, off, s[0:3], 0 offset:580
	buffer_store_dword v1, off, s[0:3], 0 offset:576
	;; [unrolled: 1-line block ×4, first 2 shown]
.LBB121_171:
	s_or_b32 exec_lo, exec_lo, s6
	v_mov_b32_e32 v4, s30
	v_cmp_lt_u32_e64 s5, 35, v0
	s_clause 0x3
	buffer_load_dword v1, v4, s[0:3], 0 offen
	buffer_load_dword v2, v4, s[0:3], 0 offen offset:4
	buffer_load_dword v3, v4, s[0:3], 0 offen offset:8
	;; [unrolled: 1-line block ×3, first 2 shown]
	s_waitcnt vmcnt(0)
	ds_write_b128 v122, v[1:4]
	s_waitcnt lgkmcnt(0)
	s_waitcnt_vscnt null, 0x0
	s_barrier
	buffer_gl0_inv
	s_and_saveexec_b32 s6, s5
	s_cbranch_execz .LBB121_179
; %bb.172:
	ds_read_b128 v[1:4], v122
	s_andn2_b32 vcc_lo, exec_lo, s66
	s_cbranch_vccnz .LBB121_174
; %bb.173:
	s_clause 0x3
	buffer_load_dword v123, v121, s[0:3], 0 offen offset:8
	buffer_load_dword v124, v121, s[0:3], 0 offen offset:12
	buffer_load_dword v125, v121, s[0:3], 0 offen
	buffer_load_dword v126, v121, s[0:3], 0 offen offset:4
	s_waitcnt vmcnt(2) lgkmcnt(0)
	v_mul_f64 v[128:129], v[3:4], v[123:124]
	v_mul_f64 v[123:124], v[1:2], v[123:124]
	s_waitcnt vmcnt(0)
	v_fma_f64 v[1:2], v[1:2], v[125:126], -v[128:129]
	v_fma_f64 v[3:4], v[3:4], v[125:126], v[123:124]
.LBB121_174:
	s_and_saveexec_b32 s8, s4
	s_cbranch_execz .LBB121_178
; %bb.175:
	v_subrev_nc_u32_e32 v123, 36, v0
	s_movk_i32 s67, 0x5e0
	s_mov_b32 s4, 0
	s_mov_b32 s68, s29
	.p2align	6
.LBB121_176:                            ; =>This Inner Loop Header: Depth=1
	v_mov_b32_e32 v126, s68
	v_add_nc_u32_e32 v123, -1, v123
	s_add_i32 s68, s68, 16
	s_clause 0x3
	buffer_load_dword v124, v126, s[0:3], 0 offen offset:8
	buffer_load_dword v125, v126, s[0:3], 0 offen offset:12
	buffer_load_dword v132, v126, s[0:3], 0 offen
	buffer_load_dword v133, v126, s[0:3], 0 offen offset:4
	v_mov_b32_e32 v126, s67
	v_cmp_eq_u32_e32 vcc_lo, 0, v123
	s_add_i32 s67, s67, 16
	ds_read_b128 v[128:131], v126
	s_or_b32 s4, vcc_lo, s4
	s_waitcnt vmcnt(2) lgkmcnt(0)
	v_mul_f64 v[134:135], v[130:131], v[124:125]
	v_mul_f64 v[124:125], v[128:129], v[124:125]
	s_waitcnt vmcnt(0)
	v_fma_f64 v[128:129], v[128:129], v[132:133], -v[134:135]
	v_fma_f64 v[124:125], v[130:131], v[132:133], v[124:125]
	v_add_f64 v[1:2], v[1:2], v[128:129]
	v_add_f64 v[3:4], v[3:4], v[124:125]
	s_andn2_b32 exec_lo, exec_lo, s4
	s_cbranch_execnz .LBB121_176
; %bb.177:
	s_or_b32 exec_lo, exec_lo, s4
.LBB121_178:
	s_or_b32 exec_lo, exec_lo, s8
	v_mov_b32_e32 v123, 0
	ds_read_b128 v[123:126], v123 offset:560
	s_waitcnt lgkmcnt(0)
	v_mul_f64 v[128:129], v[3:4], v[125:126]
	v_mul_f64 v[125:126], v[1:2], v[125:126]
	v_fma_f64 v[1:2], v[1:2], v[123:124], -v[128:129]
	v_fma_f64 v[3:4], v[3:4], v[123:124], v[125:126]
	buffer_store_dword v2, off, s[0:3], 0 offset:564
	buffer_store_dword v1, off, s[0:3], 0 offset:560
	;; [unrolled: 1-line block ×4, first 2 shown]
.LBB121_179:
	s_or_b32 exec_lo, exec_lo, s6
	v_mov_b32_e32 v4, s31
	v_cmp_lt_u32_e64 s4, 34, v0
	s_clause 0x3
	buffer_load_dword v1, v4, s[0:3], 0 offen
	buffer_load_dword v2, v4, s[0:3], 0 offen offset:4
	buffer_load_dword v3, v4, s[0:3], 0 offen offset:8
	buffer_load_dword v4, v4, s[0:3], 0 offen offset:12
	s_waitcnt vmcnt(0)
	ds_write_b128 v122, v[1:4]
	s_waitcnt lgkmcnt(0)
	s_waitcnt_vscnt null, 0x0
	s_barrier
	buffer_gl0_inv
	s_and_saveexec_b32 s6, s4
	s_cbranch_execz .LBB121_187
; %bb.180:
	ds_read_b128 v[1:4], v122
	s_andn2_b32 vcc_lo, exec_lo, s66
	s_cbranch_vccnz .LBB121_182
; %bb.181:
	s_clause 0x3
	buffer_load_dword v123, v121, s[0:3], 0 offen offset:8
	buffer_load_dword v124, v121, s[0:3], 0 offen offset:12
	buffer_load_dword v125, v121, s[0:3], 0 offen
	buffer_load_dword v126, v121, s[0:3], 0 offen offset:4
	s_waitcnt vmcnt(2) lgkmcnt(0)
	v_mul_f64 v[128:129], v[3:4], v[123:124]
	v_mul_f64 v[123:124], v[1:2], v[123:124]
	s_waitcnt vmcnt(0)
	v_fma_f64 v[1:2], v[1:2], v[125:126], -v[128:129]
	v_fma_f64 v[3:4], v[3:4], v[125:126], v[123:124]
.LBB121_182:
	s_and_saveexec_b32 s8, s5
	s_cbranch_execz .LBB121_186
; %bb.183:
	v_subrev_nc_u32_e32 v123, 35, v0
	s_movk_i32 s67, 0x5d0
	s_mov_b32 s5, 0
	s_mov_b32 s68, s30
	.p2align	6
.LBB121_184:                            ; =>This Inner Loop Header: Depth=1
	v_mov_b32_e32 v126, s68
	v_add_nc_u32_e32 v123, -1, v123
	s_add_i32 s68, s68, 16
	s_clause 0x3
	buffer_load_dword v124, v126, s[0:3], 0 offen offset:8
	buffer_load_dword v125, v126, s[0:3], 0 offen offset:12
	buffer_load_dword v132, v126, s[0:3], 0 offen
	buffer_load_dword v133, v126, s[0:3], 0 offen offset:4
	v_mov_b32_e32 v126, s67
	v_cmp_eq_u32_e32 vcc_lo, 0, v123
	s_add_i32 s67, s67, 16
	ds_read_b128 v[128:131], v126
	s_or_b32 s5, vcc_lo, s5
	s_waitcnt vmcnt(2) lgkmcnt(0)
	v_mul_f64 v[134:135], v[130:131], v[124:125]
	v_mul_f64 v[124:125], v[128:129], v[124:125]
	s_waitcnt vmcnt(0)
	v_fma_f64 v[128:129], v[128:129], v[132:133], -v[134:135]
	v_fma_f64 v[124:125], v[130:131], v[132:133], v[124:125]
	v_add_f64 v[1:2], v[1:2], v[128:129]
	v_add_f64 v[3:4], v[3:4], v[124:125]
	s_andn2_b32 exec_lo, exec_lo, s5
	s_cbranch_execnz .LBB121_184
; %bb.185:
	s_or_b32 exec_lo, exec_lo, s5
.LBB121_186:
	s_or_b32 exec_lo, exec_lo, s8
	v_mov_b32_e32 v123, 0
	ds_read_b128 v[123:126], v123 offset:544
	s_waitcnt lgkmcnt(0)
	v_mul_f64 v[128:129], v[3:4], v[125:126]
	v_mul_f64 v[125:126], v[1:2], v[125:126]
	v_fma_f64 v[1:2], v[1:2], v[123:124], -v[128:129]
	v_fma_f64 v[3:4], v[3:4], v[123:124], v[125:126]
	buffer_store_dword v2, off, s[0:3], 0 offset:548
	buffer_store_dword v1, off, s[0:3], 0 offset:544
	buffer_store_dword v4, off, s[0:3], 0 offset:556
	buffer_store_dword v3, off, s[0:3], 0 offset:552
.LBB121_187:
	s_or_b32 exec_lo, exec_lo, s6
	v_mov_b32_e32 v4, s33
	v_cmp_lt_u32_e64 s5, 33, v0
	s_clause 0x3
	buffer_load_dword v1, v4, s[0:3], 0 offen
	buffer_load_dword v2, v4, s[0:3], 0 offen offset:4
	buffer_load_dword v3, v4, s[0:3], 0 offen offset:8
	;; [unrolled: 1-line block ×3, first 2 shown]
	s_waitcnt vmcnt(0)
	ds_write_b128 v122, v[1:4]
	s_waitcnt lgkmcnt(0)
	s_waitcnt_vscnt null, 0x0
	s_barrier
	buffer_gl0_inv
	s_and_saveexec_b32 s6, s5
	s_cbranch_execz .LBB121_195
; %bb.188:
	ds_read_b128 v[1:4], v122
	s_andn2_b32 vcc_lo, exec_lo, s66
	s_cbranch_vccnz .LBB121_190
; %bb.189:
	s_clause 0x3
	buffer_load_dword v123, v121, s[0:3], 0 offen offset:8
	buffer_load_dword v124, v121, s[0:3], 0 offen offset:12
	buffer_load_dword v125, v121, s[0:3], 0 offen
	buffer_load_dword v126, v121, s[0:3], 0 offen offset:4
	s_waitcnt vmcnt(2) lgkmcnt(0)
	v_mul_f64 v[128:129], v[3:4], v[123:124]
	v_mul_f64 v[123:124], v[1:2], v[123:124]
	s_waitcnt vmcnt(0)
	v_fma_f64 v[1:2], v[1:2], v[125:126], -v[128:129]
	v_fma_f64 v[3:4], v[3:4], v[125:126], v[123:124]
.LBB121_190:
	s_and_saveexec_b32 s8, s4
	s_cbranch_execz .LBB121_194
; %bb.191:
	v_subrev_nc_u32_e32 v123, 34, v0
	s_movk_i32 s67, 0x5c0
	s_mov_b32 s4, 0
	s_mov_b32 s68, s31
	.p2align	6
.LBB121_192:                            ; =>This Inner Loop Header: Depth=1
	v_mov_b32_e32 v126, s68
	v_add_nc_u32_e32 v123, -1, v123
	s_add_i32 s68, s68, 16
	s_clause 0x3
	buffer_load_dword v124, v126, s[0:3], 0 offen offset:8
	buffer_load_dword v125, v126, s[0:3], 0 offen offset:12
	buffer_load_dword v132, v126, s[0:3], 0 offen
	buffer_load_dword v133, v126, s[0:3], 0 offen offset:4
	v_mov_b32_e32 v126, s67
	v_cmp_eq_u32_e32 vcc_lo, 0, v123
	s_add_i32 s67, s67, 16
	ds_read_b128 v[128:131], v126
	s_or_b32 s4, vcc_lo, s4
	s_waitcnt vmcnt(2) lgkmcnt(0)
	v_mul_f64 v[134:135], v[130:131], v[124:125]
	v_mul_f64 v[124:125], v[128:129], v[124:125]
	s_waitcnt vmcnt(0)
	v_fma_f64 v[128:129], v[128:129], v[132:133], -v[134:135]
	v_fma_f64 v[124:125], v[130:131], v[132:133], v[124:125]
	v_add_f64 v[1:2], v[1:2], v[128:129]
	v_add_f64 v[3:4], v[3:4], v[124:125]
	s_andn2_b32 exec_lo, exec_lo, s4
	s_cbranch_execnz .LBB121_192
; %bb.193:
	s_or_b32 exec_lo, exec_lo, s4
.LBB121_194:
	s_or_b32 exec_lo, exec_lo, s8
	v_mov_b32_e32 v123, 0
	ds_read_b128 v[123:126], v123 offset:528
	s_waitcnt lgkmcnt(0)
	v_mul_f64 v[128:129], v[3:4], v[125:126]
	v_mul_f64 v[125:126], v[1:2], v[125:126]
	v_fma_f64 v[1:2], v[1:2], v[123:124], -v[128:129]
	v_fma_f64 v[3:4], v[3:4], v[123:124], v[125:126]
	buffer_store_dword v2, off, s[0:3], 0 offset:532
	buffer_store_dword v1, off, s[0:3], 0 offset:528
	;; [unrolled: 1-line block ×4, first 2 shown]
.LBB121_195:
	s_or_b32 exec_lo, exec_lo, s6
	v_mov_b32_e32 v4, s34
	v_cmp_lt_u32_e64 s4, 32, v0
	s_clause 0x3
	buffer_load_dword v1, v4, s[0:3], 0 offen
	buffer_load_dword v2, v4, s[0:3], 0 offen offset:4
	buffer_load_dword v3, v4, s[0:3], 0 offen offset:8
	;; [unrolled: 1-line block ×3, first 2 shown]
	s_waitcnt vmcnt(0)
	ds_write_b128 v122, v[1:4]
	s_waitcnt lgkmcnt(0)
	s_waitcnt_vscnt null, 0x0
	s_barrier
	buffer_gl0_inv
	s_and_saveexec_b32 s6, s4
	s_cbranch_execz .LBB121_203
; %bb.196:
	ds_read_b128 v[1:4], v122
	s_andn2_b32 vcc_lo, exec_lo, s66
	s_cbranch_vccnz .LBB121_198
; %bb.197:
	s_clause 0x3
	buffer_load_dword v123, v121, s[0:3], 0 offen offset:8
	buffer_load_dword v124, v121, s[0:3], 0 offen offset:12
	buffer_load_dword v125, v121, s[0:3], 0 offen
	buffer_load_dword v126, v121, s[0:3], 0 offen offset:4
	s_waitcnt vmcnt(2) lgkmcnt(0)
	v_mul_f64 v[128:129], v[3:4], v[123:124]
	v_mul_f64 v[123:124], v[1:2], v[123:124]
	s_waitcnt vmcnt(0)
	v_fma_f64 v[1:2], v[1:2], v[125:126], -v[128:129]
	v_fma_f64 v[3:4], v[3:4], v[125:126], v[123:124]
.LBB121_198:
	s_and_saveexec_b32 s8, s5
	s_cbranch_execz .LBB121_202
; %bb.199:
	v_subrev_nc_u32_e32 v123, 33, v0
	s_movk_i32 s67, 0x5b0
	s_mov_b32 s5, 0
	s_mov_b32 s68, s33
	.p2align	6
.LBB121_200:                            ; =>This Inner Loop Header: Depth=1
	v_mov_b32_e32 v126, s68
	v_add_nc_u32_e32 v123, -1, v123
	s_add_i32 s68, s68, 16
	s_clause 0x3
	buffer_load_dword v124, v126, s[0:3], 0 offen offset:8
	buffer_load_dword v125, v126, s[0:3], 0 offen offset:12
	buffer_load_dword v132, v126, s[0:3], 0 offen
	buffer_load_dword v133, v126, s[0:3], 0 offen offset:4
	v_mov_b32_e32 v126, s67
	v_cmp_eq_u32_e32 vcc_lo, 0, v123
	s_add_i32 s67, s67, 16
	ds_read_b128 v[128:131], v126
	s_or_b32 s5, vcc_lo, s5
	s_waitcnt vmcnt(2) lgkmcnt(0)
	v_mul_f64 v[134:135], v[130:131], v[124:125]
	v_mul_f64 v[124:125], v[128:129], v[124:125]
	s_waitcnt vmcnt(0)
	v_fma_f64 v[128:129], v[128:129], v[132:133], -v[134:135]
	v_fma_f64 v[124:125], v[130:131], v[132:133], v[124:125]
	v_add_f64 v[1:2], v[1:2], v[128:129]
	v_add_f64 v[3:4], v[3:4], v[124:125]
	s_andn2_b32 exec_lo, exec_lo, s5
	s_cbranch_execnz .LBB121_200
; %bb.201:
	s_or_b32 exec_lo, exec_lo, s5
.LBB121_202:
	s_or_b32 exec_lo, exec_lo, s8
	v_mov_b32_e32 v123, 0
	ds_read_b128 v[123:126], v123 offset:512
	s_waitcnt lgkmcnt(0)
	v_mul_f64 v[128:129], v[3:4], v[125:126]
	v_mul_f64 v[125:126], v[1:2], v[125:126]
	v_fma_f64 v[1:2], v[1:2], v[123:124], -v[128:129]
	v_fma_f64 v[3:4], v[3:4], v[123:124], v[125:126]
	buffer_store_dword v2, off, s[0:3], 0 offset:516
	buffer_store_dword v1, off, s[0:3], 0 offset:512
	buffer_store_dword v4, off, s[0:3], 0 offset:524
	buffer_store_dword v3, off, s[0:3], 0 offset:520
.LBB121_203:
	s_or_b32 exec_lo, exec_lo, s6
	v_mov_b32_e32 v4, s35
	v_cmp_lt_u32_e64 s5, 31, v0
	s_clause 0x3
	buffer_load_dword v1, v4, s[0:3], 0 offen
	buffer_load_dword v2, v4, s[0:3], 0 offen offset:4
	buffer_load_dword v3, v4, s[0:3], 0 offen offset:8
	;; [unrolled: 1-line block ×3, first 2 shown]
	s_waitcnt vmcnt(0)
	ds_write_b128 v122, v[1:4]
	s_waitcnt lgkmcnt(0)
	s_waitcnt_vscnt null, 0x0
	s_barrier
	buffer_gl0_inv
	s_and_saveexec_b32 s6, s5
	s_cbranch_execz .LBB121_211
; %bb.204:
	ds_read_b128 v[1:4], v122
	s_andn2_b32 vcc_lo, exec_lo, s66
	s_cbranch_vccnz .LBB121_206
; %bb.205:
	s_clause 0x3
	buffer_load_dword v123, v121, s[0:3], 0 offen offset:8
	buffer_load_dword v124, v121, s[0:3], 0 offen offset:12
	buffer_load_dword v125, v121, s[0:3], 0 offen
	buffer_load_dword v126, v121, s[0:3], 0 offen offset:4
	s_waitcnt vmcnt(2) lgkmcnt(0)
	v_mul_f64 v[128:129], v[3:4], v[123:124]
	v_mul_f64 v[123:124], v[1:2], v[123:124]
	s_waitcnt vmcnt(0)
	v_fma_f64 v[1:2], v[1:2], v[125:126], -v[128:129]
	v_fma_f64 v[3:4], v[3:4], v[125:126], v[123:124]
.LBB121_206:
	s_and_saveexec_b32 s8, s4
	s_cbranch_execz .LBB121_210
; %bb.207:
	v_subrev_nc_u32_e32 v123, 32, v0
	s_movk_i32 s67, 0x5a0
	s_mov_b32 s4, 0
	s_mov_b32 s68, s34
	.p2align	6
.LBB121_208:                            ; =>This Inner Loop Header: Depth=1
	v_mov_b32_e32 v126, s68
	v_add_nc_u32_e32 v123, -1, v123
	s_add_i32 s68, s68, 16
	s_clause 0x3
	buffer_load_dword v124, v126, s[0:3], 0 offen offset:8
	buffer_load_dword v125, v126, s[0:3], 0 offen offset:12
	buffer_load_dword v132, v126, s[0:3], 0 offen
	buffer_load_dword v133, v126, s[0:3], 0 offen offset:4
	v_mov_b32_e32 v126, s67
	v_cmp_eq_u32_e32 vcc_lo, 0, v123
	s_add_i32 s67, s67, 16
	ds_read_b128 v[128:131], v126
	s_or_b32 s4, vcc_lo, s4
	s_waitcnt vmcnt(2) lgkmcnt(0)
	v_mul_f64 v[134:135], v[130:131], v[124:125]
	v_mul_f64 v[124:125], v[128:129], v[124:125]
	s_waitcnt vmcnt(0)
	v_fma_f64 v[128:129], v[128:129], v[132:133], -v[134:135]
	v_fma_f64 v[124:125], v[130:131], v[132:133], v[124:125]
	v_add_f64 v[1:2], v[1:2], v[128:129]
	v_add_f64 v[3:4], v[3:4], v[124:125]
	s_andn2_b32 exec_lo, exec_lo, s4
	s_cbranch_execnz .LBB121_208
; %bb.209:
	s_or_b32 exec_lo, exec_lo, s4
.LBB121_210:
	s_or_b32 exec_lo, exec_lo, s8
	v_mov_b32_e32 v123, 0
	ds_read_b128 v[123:126], v123 offset:496
	s_waitcnt lgkmcnt(0)
	v_mul_f64 v[128:129], v[3:4], v[125:126]
	v_mul_f64 v[125:126], v[1:2], v[125:126]
	v_fma_f64 v[1:2], v[1:2], v[123:124], -v[128:129]
	v_fma_f64 v[3:4], v[3:4], v[123:124], v[125:126]
	buffer_store_dword v2, off, s[0:3], 0 offset:500
	buffer_store_dword v1, off, s[0:3], 0 offset:496
	;; [unrolled: 1-line block ×4, first 2 shown]
.LBB121_211:
	s_or_b32 exec_lo, exec_lo, s6
	v_mov_b32_e32 v4, s36
	v_cmp_lt_u32_e64 s4, 30, v0
	s_clause 0x3
	buffer_load_dword v1, v4, s[0:3], 0 offen
	buffer_load_dword v2, v4, s[0:3], 0 offen offset:4
	buffer_load_dword v3, v4, s[0:3], 0 offen offset:8
	;; [unrolled: 1-line block ×3, first 2 shown]
	s_waitcnt vmcnt(0)
	ds_write_b128 v122, v[1:4]
	s_waitcnt lgkmcnt(0)
	s_waitcnt_vscnt null, 0x0
	s_barrier
	buffer_gl0_inv
	s_and_saveexec_b32 s6, s4
	s_cbranch_execz .LBB121_219
; %bb.212:
	ds_read_b128 v[1:4], v122
	s_andn2_b32 vcc_lo, exec_lo, s66
	s_cbranch_vccnz .LBB121_214
; %bb.213:
	s_clause 0x3
	buffer_load_dword v123, v121, s[0:3], 0 offen offset:8
	buffer_load_dword v124, v121, s[0:3], 0 offen offset:12
	buffer_load_dword v125, v121, s[0:3], 0 offen
	buffer_load_dword v126, v121, s[0:3], 0 offen offset:4
	s_waitcnt vmcnt(2) lgkmcnt(0)
	v_mul_f64 v[128:129], v[3:4], v[123:124]
	v_mul_f64 v[123:124], v[1:2], v[123:124]
	s_waitcnt vmcnt(0)
	v_fma_f64 v[1:2], v[1:2], v[125:126], -v[128:129]
	v_fma_f64 v[3:4], v[3:4], v[125:126], v[123:124]
.LBB121_214:
	s_and_saveexec_b32 s8, s5
	s_cbranch_execz .LBB121_218
; %bb.215:
	v_subrev_nc_u32_e32 v123, 31, v0
	s_movk_i32 s67, 0x590
	s_mov_b32 s5, 0
	s_mov_b32 s68, s35
	.p2align	6
.LBB121_216:                            ; =>This Inner Loop Header: Depth=1
	v_mov_b32_e32 v126, s68
	v_add_nc_u32_e32 v123, -1, v123
	s_add_i32 s68, s68, 16
	s_clause 0x3
	buffer_load_dword v124, v126, s[0:3], 0 offen offset:8
	buffer_load_dword v125, v126, s[0:3], 0 offen offset:12
	buffer_load_dword v132, v126, s[0:3], 0 offen
	buffer_load_dword v133, v126, s[0:3], 0 offen offset:4
	v_mov_b32_e32 v126, s67
	v_cmp_eq_u32_e32 vcc_lo, 0, v123
	s_add_i32 s67, s67, 16
	ds_read_b128 v[128:131], v126
	s_or_b32 s5, vcc_lo, s5
	s_waitcnt vmcnt(2) lgkmcnt(0)
	v_mul_f64 v[134:135], v[130:131], v[124:125]
	v_mul_f64 v[124:125], v[128:129], v[124:125]
	s_waitcnt vmcnt(0)
	v_fma_f64 v[128:129], v[128:129], v[132:133], -v[134:135]
	v_fma_f64 v[124:125], v[130:131], v[132:133], v[124:125]
	v_add_f64 v[1:2], v[1:2], v[128:129]
	v_add_f64 v[3:4], v[3:4], v[124:125]
	s_andn2_b32 exec_lo, exec_lo, s5
	s_cbranch_execnz .LBB121_216
; %bb.217:
	s_or_b32 exec_lo, exec_lo, s5
.LBB121_218:
	s_or_b32 exec_lo, exec_lo, s8
	v_mov_b32_e32 v123, 0
	ds_read_b128 v[123:126], v123 offset:480
	s_waitcnt lgkmcnt(0)
	v_mul_f64 v[128:129], v[3:4], v[125:126]
	v_mul_f64 v[125:126], v[1:2], v[125:126]
	v_fma_f64 v[1:2], v[1:2], v[123:124], -v[128:129]
	v_fma_f64 v[3:4], v[3:4], v[123:124], v[125:126]
	buffer_store_dword v2, off, s[0:3], 0 offset:484
	buffer_store_dword v1, off, s[0:3], 0 offset:480
	;; [unrolled: 1-line block ×4, first 2 shown]
.LBB121_219:
	s_or_b32 exec_lo, exec_lo, s6
	v_mov_b32_e32 v4, s37
	v_cmp_lt_u32_e64 s5, 29, v0
	s_clause 0x3
	buffer_load_dword v1, v4, s[0:3], 0 offen
	buffer_load_dword v2, v4, s[0:3], 0 offen offset:4
	buffer_load_dword v3, v4, s[0:3], 0 offen offset:8
	;; [unrolled: 1-line block ×3, first 2 shown]
	s_waitcnt vmcnt(0)
	ds_write_b128 v122, v[1:4]
	s_waitcnt lgkmcnt(0)
	s_waitcnt_vscnt null, 0x0
	s_barrier
	buffer_gl0_inv
	s_and_saveexec_b32 s6, s5
	s_cbranch_execz .LBB121_227
; %bb.220:
	ds_read_b128 v[1:4], v122
	s_andn2_b32 vcc_lo, exec_lo, s66
	s_cbranch_vccnz .LBB121_222
; %bb.221:
	s_clause 0x3
	buffer_load_dword v123, v121, s[0:3], 0 offen offset:8
	buffer_load_dword v124, v121, s[0:3], 0 offen offset:12
	buffer_load_dword v125, v121, s[0:3], 0 offen
	buffer_load_dword v126, v121, s[0:3], 0 offen offset:4
	s_waitcnt vmcnt(2) lgkmcnt(0)
	v_mul_f64 v[128:129], v[3:4], v[123:124]
	v_mul_f64 v[123:124], v[1:2], v[123:124]
	s_waitcnt vmcnt(0)
	v_fma_f64 v[1:2], v[1:2], v[125:126], -v[128:129]
	v_fma_f64 v[3:4], v[3:4], v[125:126], v[123:124]
.LBB121_222:
	s_and_saveexec_b32 s8, s4
	s_cbranch_execz .LBB121_226
; %bb.223:
	v_subrev_nc_u32_e32 v123, 30, v0
	s_movk_i32 s67, 0x580
	s_mov_b32 s4, 0
	s_mov_b32 s68, s36
	.p2align	6
.LBB121_224:                            ; =>This Inner Loop Header: Depth=1
	v_mov_b32_e32 v126, s68
	v_add_nc_u32_e32 v123, -1, v123
	s_add_i32 s68, s68, 16
	s_clause 0x3
	buffer_load_dword v124, v126, s[0:3], 0 offen offset:8
	buffer_load_dword v125, v126, s[0:3], 0 offen offset:12
	buffer_load_dword v132, v126, s[0:3], 0 offen
	buffer_load_dword v133, v126, s[0:3], 0 offen offset:4
	v_mov_b32_e32 v126, s67
	v_cmp_eq_u32_e32 vcc_lo, 0, v123
	s_add_i32 s67, s67, 16
	ds_read_b128 v[128:131], v126
	s_or_b32 s4, vcc_lo, s4
	s_waitcnt vmcnt(2) lgkmcnt(0)
	v_mul_f64 v[134:135], v[130:131], v[124:125]
	v_mul_f64 v[124:125], v[128:129], v[124:125]
	s_waitcnt vmcnt(0)
	v_fma_f64 v[128:129], v[128:129], v[132:133], -v[134:135]
	v_fma_f64 v[124:125], v[130:131], v[132:133], v[124:125]
	v_add_f64 v[1:2], v[1:2], v[128:129]
	v_add_f64 v[3:4], v[3:4], v[124:125]
	s_andn2_b32 exec_lo, exec_lo, s4
	s_cbranch_execnz .LBB121_224
; %bb.225:
	s_or_b32 exec_lo, exec_lo, s4
.LBB121_226:
	s_or_b32 exec_lo, exec_lo, s8
	v_mov_b32_e32 v123, 0
	ds_read_b128 v[123:126], v123 offset:464
	s_waitcnt lgkmcnt(0)
	v_mul_f64 v[128:129], v[3:4], v[125:126]
	v_mul_f64 v[125:126], v[1:2], v[125:126]
	v_fma_f64 v[1:2], v[1:2], v[123:124], -v[128:129]
	v_fma_f64 v[3:4], v[3:4], v[123:124], v[125:126]
	buffer_store_dword v2, off, s[0:3], 0 offset:468
	buffer_store_dword v1, off, s[0:3], 0 offset:464
	;; [unrolled: 1-line block ×4, first 2 shown]
.LBB121_227:
	s_or_b32 exec_lo, exec_lo, s6
	v_mov_b32_e32 v4, s38
	v_cmp_lt_u32_e64 s4, 28, v0
	s_clause 0x3
	buffer_load_dword v1, v4, s[0:3], 0 offen
	buffer_load_dword v2, v4, s[0:3], 0 offen offset:4
	buffer_load_dword v3, v4, s[0:3], 0 offen offset:8
	;; [unrolled: 1-line block ×3, first 2 shown]
	s_waitcnt vmcnt(0)
	ds_write_b128 v122, v[1:4]
	s_waitcnt lgkmcnt(0)
	s_waitcnt_vscnt null, 0x0
	s_barrier
	buffer_gl0_inv
	s_and_saveexec_b32 s6, s4
	s_cbranch_execz .LBB121_235
; %bb.228:
	ds_read_b128 v[1:4], v122
	s_andn2_b32 vcc_lo, exec_lo, s66
	s_cbranch_vccnz .LBB121_230
; %bb.229:
	s_clause 0x3
	buffer_load_dword v123, v121, s[0:3], 0 offen offset:8
	buffer_load_dword v124, v121, s[0:3], 0 offen offset:12
	buffer_load_dword v125, v121, s[0:3], 0 offen
	buffer_load_dword v126, v121, s[0:3], 0 offen offset:4
	s_waitcnt vmcnt(2) lgkmcnt(0)
	v_mul_f64 v[128:129], v[3:4], v[123:124]
	v_mul_f64 v[123:124], v[1:2], v[123:124]
	s_waitcnt vmcnt(0)
	v_fma_f64 v[1:2], v[1:2], v[125:126], -v[128:129]
	v_fma_f64 v[3:4], v[3:4], v[125:126], v[123:124]
.LBB121_230:
	s_and_saveexec_b32 s8, s5
	s_cbranch_execz .LBB121_234
; %bb.231:
	v_subrev_nc_u32_e32 v123, 29, v0
	s_movk_i32 s67, 0x570
	s_mov_b32 s5, 0
	s_mov_b32 s68, s37
	.p2align	6
.LBB121_232:                            ; =>This Inner Loop Header: Depth=1
	v_mov_b32_e32 v126, s68
	v_add_nc_u32_e32 v123, -1, v123
	s_add_i32 s68, s68, 16
	s_clause 0x3
	buffer_load_dword v124, v126, s[0:3], 0 offen offset:8
	buffer_load_dword v125, v126, s[0:3], 0 offen offset:12
	buffer_load_dword v132, v126, s[0:3], 0 offen
	buffer_load_dword v133, v126, s[0:3], 0 offen offset:4
	v_mov_b32_e32 v126, s67
	v_cmp_eq_u32_e32 vcc_lo, 0, v123
	s_add_i32 s67, s67, 16
	ds_read_b128 v[128:131], v126
	s_or_b32 s5, vcc_lo, s5
	s_waitcnt vmcnt(2) lgkmcnt(0)
	v_mul_f64 v[134:135], v[130:131], v[124:125]
	v_mul_f64 v[124:125], v[128:129], v[124:125]
	s_waitcnt vmcnt(0)
	v_fma_f64 v[128:129], v[128:129], v[132:133], -v[134:135]
	v_fma_f64 v[124:125], v[130:131], v[132:133], v[124:125]
	v_add_f64 v[1:2], v[1:2], v[128:129]
	v_add_f64 v[3:4], v[3:4], v[124:125]
	s_andn2_b32 exec_lo, exec_lo, s5
	s_cbranch_execnz .LBB121_232
; %bb.233:
	s_or_b32 exec_lo, exec_lo, s5
.LBB121_234:
	s_or_b32 exec_lo, exec_lo, s8
	v_mov_b32_e32 v123, 0
	ds_read_b128 v[123:126], v123 offset:448
	s_waitcnt lgkmcnt(0)
	v_mul_f64 v[128:129], v[3:4], v[125:126]
	v_mul_f64 v[125:126], v[1:2], v[125:126]
	v_fma_f64 v[1:2], v[1:2], v[123:124], -v[128:129]
	v_fma_f64 v[3:4], v[3:4], v[123:124], v[125:126]
	buffer_store_dword v2, off, s[0:3], 0 offset:452
	buffer_store_dword v1, off, s[0:3], 0 offset:448
	;; [unrolled: 1-line block ×4, first 2 shown]
.LBB121_235:
	s_or_b32 exec_lo, exec_lo, s6
	v_mov_b32_e32 v4, s39
	v_cmp_lt_u32_e64 s5, 27, v0
	s_clause 0x3
	buffer_load_dword v1, v4, s[0:3], 0 offen
	buffer_load_dword v2, v4, s[0:3], 0 offen offset:4
	buffer_load_dword v3, v4, s[0:3], 0 offen offset:8
	;; [unrolled: 1-line block ×3, first 2 shown]
	s_waitcnt vmcnt(0)
	ds_write_b128 v122, v[1:4]
	s_waitcnt lgkmcnt(0)
	s_waitcnt_vscnt null, 0x0
	s_barrier
	buffer_gl0_inv
	s_and_saveexec_b32 s6, s5
	s_cbranch_execz .LBB121_243
; %bb.236:
	ds_read_b128 v[1:4], v122
	s_andn2_b32 vcc_lo, exec_lo, s66
	s_cbranch_vccnz .LBB121_238
; %bb.237:
	s_clause 0x3
	buffer_load_dword v123, v121, s[0:3], 0 offen offset:8
	buffer_load_dword v124, v121, s[0:3], 0 offen offset:12
	buffer_load_dword v125, v121, s[0:3], 0 offen
	buffer_load_dword v126, v121, s[0:3], 0 offen offset:4
	s_waitcnt vmcnt(2) lgkmcnt(0)
	v_mul_f64 v[128:129], v[3:4], v[123:124]
	v_mul_f64 v[123:124], v[1:2], v[123:124]
	s_waitcnt vmcnt(0)
	v_fma_f64 v[1:2], v[1:2], v[125:126], -v[128:129]
	v_fma_f64 v[3:4], v[3:4], v[125:126], v[123:124]
.LBB121_238:
	s_and_saveexec_b32 s8, s4
	s_cbranch_execz .LBB121_242
; %bb.239:
	v_subrev_nc_u32_e32 v123, 28, v0
	s_movk_i32 s67, 0x560
	s_mov_b32 s4, 0
	s_mov_b32 s68, s38
	.p2align	6
.LBB121_240:                            ; =>This Inner Loop Header: Depth=1
	v_mov_b32_e32 v126, s68
	v_add_nc_u32_e32 v123, -1, v123
	s_add_i32 s68, s68, 16
	s_clause 0x3
	buffer_load_dword v124, v126, s[0:3], 0 offen offset:8
	buffer_load_dword v125, v126, s[0:3], 0 offen offset:12
	buffer_load_dword v132, v126, s[0:3], 0 offen
	buffer_load_dword v133, v126, s[0:3], 0 offen offset:4
	v_mov_b32_e32 v126, s67
	v_cmp_eq_u32_e32 vcc_lo, 0, v123
	s_add_i32 s67, s67, 16
	ds_read_b128 v[128:131], v126
	s_or_b32 s4, vcc_lo, s4
	s_waitcnt vmcnt(2) lgkmcnt(0)
	v_mul_f64 v[134:135], v[130:131], v[124:125]
	v_mul_f64 v[124:125], v[128:129], v[124:125]
	s_waitcnt vmcnt(0)
	v_fma_f64 v[128:129], v[128:129], v[132:133], -v[134:135]
	v_fma_f64 v[124:125], v[130:131], v[132:133], v[124:125]
	v_add_f64 v[1:2], v[1:2], v[128:129]
	v_add_f64 v[3:4], v[3:4], v[124:125]
	s_andn2_b32 exec_lo, exec_lo, s4
	s_cbranch_execnz .LBB121_240
; %bb.241:
	s_or_b32 exec_lo, exec_lo, s4
.LBB121_242:
	s_or_b32 exec_lo, exec_lo, s8
	v_mov_b32_e32 v123, 0
	ds_read_b128 v[123:126], v123 offset:432
	s_waitcnt lgkmcnt(0)
	v_mul_f64 v[128:129], v[3:4], v[125:126]
	v_mul_f64 v[125:126], v[1:2], v[125:126]
	v_fma_f64 v[1:2], v[1:2], v[123:124], -v[128:129]
	v_fma_f64 v[3:4], v[3:4], v[123:124], v[125:126]
	buffer_store_dword v2, off, s[0:3], 0 offset:436
	buffer_store_dword v1, off, s[0:3], 0 offset:432
	;; [unrolled: 1-line block ×4, first 2 shown]
.LBB121_243:
	s_or_b32 exec_lo, exec_lo, s6
	v_mov_b32_e32 v4, s40
	v_cmp_lt_u32_e64 s4, 26, v0
	s_clause 0x3
	buffer_load_dword v1, v4, s[0:3], 0 offen
	buffer_load_dword v2, v4, s[0:3], 0 offen offset:4
	buffer_load_dword v3, v4, s[0:3], 0 offen offset:8
	;; [unrolled: 1-line block ×3, first 2 shown]
	s_waitcnt vmcnt(0)
	ds_write_b128 v122, v[1:4]
	s_waitcnt lgkmcnt(0)
	s_waitcnt_vscnt null, 0x0
	s_barrier
	buffer_gl0_inv
	s_and_saveexec_b32 s6, s4
	s_cbranch_execz .LBB121_251
; %bb.244:
	ds_read_b128 v[1:4], v122
	s_andn2_b32 vcc_lo, exec_lo, s66
	s_cbranch_vccnz .LBB121_246
; %bb.245:
	s_clause 0x3
	buffer_load_dword v123, v121, s[0:3], 0 offen offset:8
	buffer_load_dword v124, v121, s[0:3], 0 offen offset:12
	buffer_load_dword v125, v121, s[0:3], 0 offen
	buffer_load_dword v126, v121, s[0:3], 0 offen offset:4
	s_waitcnt vmcnt(2) lgkmcnt(0)
	v_mul_f64 v[128:129], v[3:4], v[123:124]
	v_mul_f64 v[123:124], v[1:2], v[123:124]
	s_waitcnt vmcnt(0)
	v_fma_f64 v[1:2], v[1:2], v[125:126], -v[128:129]
	v_fma_f64 v[3:4], v[3:4], v[125:126], v[123:124]
.LBB121_246:
	s_and_saveexec_b32 s8, s5
	s_cbranch_execz .LBB121_250
; %bb.247:
	v_subrev_nc_u32_e32 v123, 27, v0
	s_movk_i32 s67, 0x550
	s_mov_b32 s5, 0
	s_mov_b32 s68, s39
	.p2align	6
.LBB121_248:                            ; =>This Inner Loop Header: Depth=1
	v_mov_b32_e32 v126, s68
	v_add_nc_u32_e32 v123, -1, v123
	s_add_i32 s68, s68, 16
	s_clause 0x3
	buffer_load_dword v124, v126, s[0:3], 0 offen offset:8
	buffer_load_dword v125, v126, s[0:3], 0 offen offset:12
	buffer_load_dword v132, v126, s[0:3], 0 offen
	buffer_load_dword v133, v126, s[0:3], 0 offen offset:4
	v_mov_b32_e32 v126, s67
	v_cmp_eq_u32_e32 vcc_lo, 0, v123
	s_add_i32 s67, s67, 16
	ds_read_b128 v[128:131], v126
	s_or_b32 s5, vcc_lo, s5
	s_waitcnt vmcnt(2) lgkmcnt(0)
	v_mul_f64 v[134:135], v[130:131], v[124:125]
	v_mul_f64 v[124:125], v[128:129], v[124:125]
	s_waitcnt vmcnt(0)
	v_fma_f64 v[128:129], v[128:129], v[132:133], -v[134:135]
	v_fma_f64 v[124:125], v[130:131], v[132:133], v[124:125]
	v_add_f64 v[1:2], v[1:2], v[128:129]
	v_add_f64 v[3:4], v[3:4], v[124:125]
	s_andn2_b32 exec_lo, exec_lo, s5
	s_cbranch_execnz .LBB121_248
; %bb.249:
	s_or_b32 exec_lo, exec_lo, s5
.LBB121_250:
	s_or_b32 exec_lo, exec_lo, s8
	v_mov_b32_e32 v123, 0
	ds_read_b128 v[123:126], v123 offset:416
	s_waitcnt lgkmcnt(0)
	v_mul_f64 v[128:129], v[3:4], v[125:126]
	v_mul_f64 v[125:126], v[1:2], v[125:126]
	v_fma_f64 v[1:2], v[1:2], v[123:124], -v[128:129]
	v_fma_f64 v[3:4], v[3:4], v[123:124], v[125:126]
	buffer_store_dword v2, off, s[0:3], 0 offset:420
	buffer_store_dword v1, off, s[0:3], 0 offset:416
	;; [unrolled: 1-line block ×4, first 2 shown]
.LBB121_251:
	s_or_b32 exec_lo, exec_lo, s6
	v_mov_b32_e32 v4, s41
	v_cmp_lt_u32_e64 s5, 25, v0
	s_clause 0x3
	buffer_load_dword v1, v4, s[0:3], 0 offen
	buffer_load_dword v2, v4, s[0:3], 0 offen offset:4
	buffer_load_dword v3, v4, s[0:3], 0 offen offset:8
	;; [unrolled: 1-line block ×3, first 2 shown]
	s_waitcnt vmcnt(0)
	ds_write_b128 v122, v[1:4]
	s_waitcnt lgkmcnt(0)
	s_waitcnt_vscnt null, 0x0
	s_barrier
	buffer_gl0_inv
	s_and_saveexec_b32 s6, s5
	s_cbranch_execz .LBB121_259
; %bb.252:
	ds_read_b128 v[1:4], v122
	s_andn2_b32 vcc_lo, exec_lo, s66
	s_cbranch_vccnz .LBB121_254
; %bb.253:
	s_clause 0x3
	buffer_load_dword v123, v121, s[0:3], 0 offen offset:8
	buffer_load_dword v124, v121, s[0:3], 0 offen offset:12
	buffer_load_dword v125, v121, s[0:3], 0 offen
	buffer_load_dword v126, v121, s[0:3], 0 offen offset:4
	s_waitcnt vmcnt(2) lgkmcnt(0)
	v_mul_f64 v[128:129], v[3:4], v[123:124]
	v_mul_f64 v[123:124], v[1:2], v[123:124]
	s_waitcnt vmcnt(0)
	v_fma_f64 v[1:2], v[1:2], v[125:126], -v[128:129]
	v_fma_f64 v[3:4], v[3:4], v[125:126], v[123:124]
.LBB121_254:
	s_and_saveexec_b32 s8, s4
	s_cbranch_execz .LBB121_258
; %bb.255:
	v_subrev_nc_u32_e32 v123, 26, v0
	s_movk_i32 s67, 0x540
	s_mov_b32 s4, 0
	s_mov_b32 s68, s40
	.p2align	6
.LBB121_256:                            ; =>This Inner Loop Header: Depth=1
	v_mov_b32_e32 v126, s68
	v_add_nc_u32_e32 v123, -1, v123
	s_add_i32 s68, s68, 16
	s_clause 0x3
	buffer_load_dword v124, v126, s[0:3], 0 offen offset:8
	buffer_load_dword v125, v126, s[0:3], 0 offen offset:12
	buffer_load_dword v132, v126, s[0:3], 0 offen
	buffer_load_dword v133, v126, s[0:3], 0 offen offset:4
	v_mov_b32_e32 v126, s67
	v_cmp_eq_u32_e32 vcc_lo, 0, v123
	s_add_i32 s67, s67, 16
	ds_read_b128 v[128:131], v126
	s_or_b32 s4, vcc_lo, s4
	s_waitcnt vmcnt(2) lgkmcnt(0)
	v_mul_f64 v[134:135], v[130:131], v[124:125]
	v_mul_f64 v[124:125], v[128:129], v[124:125]
	s_waitcnt vmcnt(0)
	v_fma_f64 v[128:129], v[128:129], v[132:133], -v[134:135]
	v_fma_f64 v[124:125], v[130:131], v[132:133], v[124:125]
	v_add_f64 v[1:2], v[1:2], v[128:129]
	v_add_f64 v[3:4], v[3:4], v[124:125]
	s_andn2_b32 exec_lo, exec_lo, s4
	s_cbranch_execnz .LBB121_256
; %bb.257:
	s_or_b32 exec_lo, exec_lo, s4
.LBB121_258:
	s_or_b32 exec_lo, exec_lo, s8
	v_mov_b32_e32 v123, 0
	ds_read_b128 v[123:126], v123 offset:400
	s_waitcnt lgkmcnt(0)
	v_mul_f64 v[128:129], v[3:4], v[125:126]
	v_mul_f64 v[125:126], v[1:2], v[125:126]
	v_fma_f64 v[1:2], v[1:2], v[123:124], -v[128:129]
	v_fma_f64 v[3:4], v[3:4], v[123:124], v[125:126]
	buffer_store_dword v2, off, s[0:3], 0 offset:404
	buffer_store_dword v1, off, s[0:3], 0 offset:400
	;; [unrolled: 1-line block ×4, first 2 shown]
.LBB121_259:
	s_or_b32 exec_lo, exec_lo, s6
	v_mov_b32_e32 v4, s42
	v_cmp_lt_u32_e64 s4, 24, v0
	s_clause 0x3
	buffer_load_dword v1, v4, s[0:3], 0 offen
	buffer_load_dword v2, v4, s[0:3], 0 offen offset:4
	buffer_load_dword v3, v4, s[0:3], 0 offen offset:8
	;; [unrolled: 1-line block ×3, first 2 shown]
	s_waitcnt vmcnt(0)
	ds_write_b128 v122, v[1:4]
	s_waitcnt lgkmcnt(0)
	s_waitcnt_vscnt null, 0x0
	s_barrier
	buffer_gl0_inv
	s_and_saveexec_b32 s6, s4
	s_cbranch_execz .LBB121_267
; %bb.260:
	ds_read_b128 v[1:4], v122
	s_andn2_b32 vcc_lo, exec_lo, s66
	s_cbranch_vccnz .LBB121_262
; %bb.261:
	s_clause 0x3
	buffer_load_dword v123, v121, s[0:3], 0 offen offset:8
	buffer_load_dword v124, v121, s[0:3], 0 offen offset:12
	buffer_load_dword v125, v121, s[0:3], 0 offen
	buffer_load_dword v126, v121, s[0:3], 0 offen offset:4
	s_waitcnt vmcnt(2) lgkmcnt(0)
	v_mul_f64 v[128:129], v[3:4], v[123:124]
	v_mul_f64 v[123:124], v[1:2], v[123:124]
	s_waitcnt vmcnt(0)
	v_fma_f64 v[1:2], v[1:2], v[125:126], -v[128:129]
	v_fma_f64 v[3:4], v[3:4], v[125:126], v[123:124]
.LBB121_262:
	s_and_saveexec_b32 s8, s5
	s_cbranch_execz .LBB121_266
; %bb.263:
	v_subrev_nc_u32_e32 v123, 25, v0
	s_movk_i32 s67, 0x530
	s_mov_b32 s5, 0
	s_mov_b32 s68, s41
	.p2align	6
.LBB121_264:                            ; =>This Inner Loop Header: Depth=1
	v_mov_b32_e32 v126, s68
	v_add_nc_u32_e32 v123, -1, v123
	s_add_i32 s68, s68, 16
	s_clause 0x3
	buffer_load_dword v124, v126, s[0:3], 0 offen offset:8
	buffer_load_dword v125, v126, s[0:3], 0 offen offset:12
	buffer_load_dword v132, v126, s[0:3], 0 offen
	buffer_load_dword v133, v126, s[0:3], 0 offen offset:4
	v_mov_b32_e32 v126, s67
	v_cmp_eq_u32_e32 vcc_lo, 0, v123
	s_add_i32 s67, s67, 16
	ds_read_b128 v[128:131], v126
	s_or_b32 s5, vcc_lo, s5
	s_waitcnt vmcnt(2) lgkmcnt(0)
	v_mul_f64 v[134:135], v[130:131], v[124:125]
	v_mul_f64 v[124:125], v[128:129], v[124:125]
	s_waitcnt vmcnt(0)
	v_fma_f64 v[128:129], v[128:129], v[132:133], -v[134:135]
	v_fma_f64 v[124:125], v[130:131], v[132:133], v[124:125]
	v_add_f64 v[1:2], v[1:2], v[128:129]
	v_add_f64 v[3:4], v[3:4], v[124:125]
	s_andn2_b32 exec_lo, exec_lo, s5
	s_cbranch_execnz .LBB121_264
; %bb.265:
	s_or_b32 exec_lo, exec_lo, s5
.LBB121_266:
	s_or_b32 exec_lo, exec_lo, s8
	v_mov_b32_e32 v123, 0
	ds_read_b128 v[123:126], v123 offset:384
	s_waitcnt lgkmcnt(0)
	v_mul_f64 v[128:129], v[3:4], v[125:126]
	v_mul_f64 v[125:126], v[1:2], v[125:126]
	v_fma_f64 v[1:2], v[1:2], v[123:124], -v[128:129]
	v_fma_f64 v[3:4], v[3:4], v[123:124], v[125:126]
	buffer_store_dword v2, off, s[0:3], 0 offset:388
	buffer_store_dword v1, off, s[0:3], 0 offset:384
	;; [unrolled: 1-line block ×4, first 2 shown]
.LBB121_267:
	s_or_b32 exec_lo, exec_lo, s6
	v_mov_b32_e32 v4, s43
	v_cmp_lt_u32_e64 s5, 23, v0
	s_clause 0x3
	buffer_load_dword v1, v4, s[0:3], 0 offen
	buffer_load_dword v2, v4, s[0:3], 0 offen offset:4
	buffer_load_dword v3, v4, s[0:3], 0 offen offset:8
	;; [unrolled: 1-line block ×3, first 2 shown]
	s_waitcnt vmcnt(0)
	ds_write_b128 v122, v[1:4]
	s_waitcnt lgkmcnt(0)
	s_waitcnt_vscnt null, 0x0
	s_barrier
	buffer_gl0_inv
	s_and_saveexec_b32 s6, s5
	s_cbranch_execz .LBB121_275
; %bb.268:
	ds_read_b128 v[1:4], v122
	s_andn2_b32 vcc_lo, exec_lo, s66
	s_cbranch_vccnz .LBB121_270
; %bb.269:
	s_clause 0x3
	buffer_load_dword v123, v121, s[0:3], 0 offen offset:8
	buffer_load_dword v124, v121, s[0:3], 0 offen offset:12
	buffer_load_dword v125, v121, s[0:3], 0 offen
	buffer_load_dword v126, v121, s[0:3], 0 offen offset:4
	s_waitcnt vmcnt(2) lgkmcnt(0)
	v_mul_f64 v[128:129], v[3:4], v[123:124]
	v_mul_f64 v[123:124], v[1:2], v[123:124]
	s_waitcnt vmcnt(0)
	v_fma_f64 v[1:2], v[1:2], v[125:126], -v[128:129]
	v_fma_f64 v[3:4], v[3:4], v[125:126], v[123:124]
.LBB121_270:
	s_and_saveexec_b32 s8, s4
	s_cbranch_execz .LBB121_274
; %bb.271:
	v_subrev_nc_u32_e32 v123, 24, v0
	s_movk_i32 s67, 0x520
	s_mov_b32 s4, 0
	s_mov_b32 s68, s42
	.p2align	6
.LBB121_272:                            ; =>This Inner Loop Header: Depth=1
	v_mov_b32_e32 v126, s68
	v_add_nc_u32_e32 v123, -1, v123
	s_add_i32 s68, s68, 16
	s_clause 0x3
	buffer_load_dword v124, v126, s[0:3], 0 offen offset:8
	buffer_load_dword v125, v126, s[0:3], 0 offen offset:12
	buffer_load_dword v132, v126, s[0:3], 0 offen
	buffer_load_dword v133, v126, s[0:3], 0 offen offset:4
	v_mov_b32_e32 v126, s67
	v_cmp_eq_u32_e32 vcc_lo, 0, v123
	s_add_i32 s67, s67, 16
	ds_read_b128 v[128:131], v126
	s_or_b32 s4, vcc_lo, s4
	s_waitcnt vmcnt(2) lgkmcnt(0)
	v_mul_f64 v[134:135], v[130:131], v[124:125]
	v_mul_f64 v[124:125], v[128:129], v[124:125]
	s_waitcnt vmcnt(0)
	v_fma_f64 v[128:129], v[128:129], v[132:133], -v[134:135]
	v_fma_f64 v[124:125], v[130:131], v[132:133], v[124:125]
	v_add_f64 v[1:2], v[1:2], v[128:129]
	v_add_f64 v[3:4], v[3:4], v[124:125]
	s_andn2_b32 exec_lo, exec_lo, s4
	s_cbranch_execnz .LBB121_272
; %bb.273:
	s_or_b32 exec_lo, exec_lo, s4
.LBB121_274:
	s_or_b32 exec_lo, exec_lo, s8
	v_mov_b32_e32 v123, 0
	ds_read_b128 v[123:126], v123 offset:368
	s_waitcnt lgkmcnt(0)
	v_mul_f64 v[128:129], v[3:4], v[125:126]
	v_mul_f64 v[125:126], v[1:2], v[125:126]
	v_fma_f64 v[1:2], v[1:2], v[123:124], -v[128:129]
	v_fma_f64 v[3:4], v[3:4], v[123:124], v[125:126]
	buffer_store_dword v2, off, s[0:3], 0 offset:372
	buffer_store_dword v1, off, s[0:3], 0 offset:368
	;; [unrolled: 1-line block ×4, first 2 shown]
.LBB121_275:
	s_or_b32 exec_lo, exec_lo, s6
	v_mov_b32_e32 v4, s44
	v_cmp_lt_u32_e64 s4, 22, v0
	s_clause 0x3
	buffer_load_dword v1, v4, s[0:3], 0 offen
	buffer_load_dword v2, v4, s[0:3], 0 offen offset:4
	buffer_load_dword v3, v4, s[0:3], 0 offen offset:8
	;; [unrolled: 1-line block ×3, first 2 shown]
	s_waitcnt vmcnt(0)
	ds_write_b128 v122, v[1:4]
	s_waitcnt lgkmcnt(0)
	s_waitcnt_vscnt null, 0x0
	s_barrier
	buffer_gl0_inv
	s_and_saveexec_b32 s6, s4
	s_cbranch_execz .LBB121_283
; %bb.276:
	ds_read_b128 v[1:4], v122
	s_andn2_b32 vcc_lo, exec_lo, s66
	s_cbranch_vccnz .LBB121_278
; %bb.277:
	s_clause 0x3
	buffer_load_dword v123, v121, s[0:3], 0 offen offset:8
	buffer_load_dword v124, v121, s[0:3], 0 offen offset:12
	buffer_load_dword v125, v121, s[0:3], 0 offen
	buffer_load_dword v126, v121, s[0:3], 0 offen offset:4
	s_waitcnt vmcnt(2) lgkmcnt(0)
	v_mul_f64 v[128:129], v[3:4], v[123:124]
	v_mul_f64 v[123:124], v[1:2], v[123:124]
	s_waitcnt vmcnt(0)
	v_fma_f64 v[1:2], v[1:2], v[125:126], -v[128:129]
	v_fma_f64 v[3:4], v[3:4], v[125:126], v[123:124]
.LBB121_278:
	s_and_saveexec_b32 s8, s5
	s_cbranch_execz .LBB121_282
; %bb.279:
	v_subrev_nc_u32_e32 v123, 23, v0
	s_movk_i32 s67, 0x510
	s_mov_b32 s5, 0
	s_mov_b32 s68, s43
	.p2align	6
.LBB121_280:                            ; =>This Inner Loop Header: Depth=1
	v_mov_b32_e32 v126, s68
	v_add_nc_u32_e32 v123, -1, v123
	s_add_i32 s68, s68, 16
	s_clause 0x3
	buffer_load_dword v124, v126, s[0:3], 0 offen offset:8
	buffer_load_dword v125, v126, s[0:3], 0 offen offset:12
	buffer_load_dword v132, v126, s[0:3], 0 offen
	buffer_load_dword v133, v126, s[0:3], 0 offen offset:4
	v_mov_b32_e32 v126, s67
	v_cmp_eq_u32_e32 vcc_lo, 0, v123
	s_add_i32 s67, s67, 16
	ds_read_b128 v[128:131], v126
	s_or_b32 s5, vcc_lo, s5
	s_waitcnt vmcnt(2) lgkmcnt(0)
	v_mul_f64 v[134:135], v[130:131], v[124:125]
	v_mul_f64 v[124:125], v[128:129], v[124:125]
	s_waitcnt vmcnt(0)
	v_fma_f64 v[128:129], v[128:129], v[132:133], -v[134:135]
	v_fma_f64 v[124:125], v[130:131], v[132:133], v[124:125]
	v_add_f64 v[1:2], v[1:2], v[128:129]
	v_add_f64 v[3:4], v[3:4], v[124:125]
	s_andn2_b32 exec_lo, exec_lo, s5
	s_cbranch_execnz .LBB121_280
; %bb.281:
	s_or_b32 exec_lo, exec_lo, s5
.LBB121_282:
	s_or_b32 exec_lo, exec_lo, s8
	v_mov_b32_e32 v123, 0
	ds_read_b128 v[123:126], v123 offset:352
	s_waitcnt lgkmcnt(0)
	v_mul_f64 v[128:129], v[3:4], v[125:126]
	v_mul_f64 v[125:126], v[1:2], v[125:126]
	v_fma_f64 v[1:2], v[1:2], v[123:124], -v[128:129]
	v_fma_f64 v[3:4], v[3:4], v[123:124], v[125:126]
	buffer_store_dword v2, off, s[0:3], 0 offset:356
	buffer_store_dword v1, off, s[0:3], 0 offset:352
	;; [unrolled: 1-line block ×4, first 2 shown]
.LBB121_283:
	s_or_b32 exec_lo, exec_lo, s6
	v_mov_b32_e32 v4, s45
	v_cmp_lt_u32_e64 s5, 21, v0
	s_clause 0x3
	buffer_load_dword v1, v4, s[0:3], 0 offen
	buffer_load_dword v2, v4, s[0:3], 0 offen offset:4
	buffer_load_dword v3, v4, s[0:3], 0 offen offset:8
	;; [unrolled: 1-line block ×3, first 2 shown]
	s_waitcnt vmcnt(0)
	ds_write_b128 v122, v[1:4]
	s_waitcnt lgkmcnt(0)
	s_waitcnt_vscnt null, 0x0
	s_barrier
	buffer_gl0_inv
	s_and_saveexec_b32 s6, s5
	s_cbranch_execz .LBB121_291
; %bb.284:
	ds_read_b128 v[1:4], v122
	s_andn2_b32 vcc_lo, exec_lo, s66
	s_cbranch_vccnz .LBB121_286
; %bb.285:
	s_clause 0x3
	buffer_load_dword v123, v121, s[0:3], 0 offen offset:8
	buffer_load_dword v124, v121, s[0:3], 0 offen offset:12
	buffer_load_dword v125, v121, s[0:3], 0 offen
	buffer_load_dword v126, v121, s[0:3], 0 offen offset:4
	s_waitcnt vmcnt(2) lgkmcnt(0)
	v_mul_f64 v[128:129], v[3:4], v[123:124]
	v_mul_f64 v[123:124], v[1:2], v[123:124]
	s_waitcnt vmcnt(0)
	v_fma_f64 v[1:2], v[1:2], v[125:126], -v[128:129]
	v_fma_f64 v[3:4], v[3:4], v[125:126], v[123:124]
.LBB121_286:
	s_and_saveexec_b32 s8, s4
	s_cbranch_execz .LBB121_290
; %bb.287:
	v_subrev_nc_u32_e32 v123, 22, v0
	s_movk_i32 s67, 0x500
	s_mov_b32 s4, 0
	s_mov_b32 s68, s44
	.p2align	6
.LBB121_288:                            ; =>This Inner Loop Header: Depth=1
	v_mov_b32_e32 v126, s68
	v_add_nc_u32_e32 v123, -1, v123
	s_add_i32 s68, s68, 16
	s_clause 0x3
	buffer_load_dword v124, v126, s[0:3], 0 offen offset:8
	buffer_load_dword v125, v126, s[0:3], 0 offen offset:12
	buffer_load_dword v132, v126, s[0:3], 0 offen
	buffer_load_dword v133, v126, s[0:3], 0 offen offset:4
	v_mov_b32_e32 v126, s67
	v_cmp_eq_u32_e32 vcc_lo, 0, v123
	s_add_i32 s67, s67, 16
	ds_read_b128 v[128:131], v126
	s_or_b32 s4, vcc_lo, s4
	s_waitcnt vmcnt(2) lgkmcnt(0)
	v_mul_f64 v[134:135], v[130:131], v[124:125]
	v_mul_f64 v[124:125], v[128:129], v[124:125]
	s_waitcnt vmcnt(0)
	v_fma_f64 v[128:129], v[128:129], v[132:133], -v[134:135]
	v_fma_f64 v[124:125], v[130:131], v[132:133], v[124:125]
	v_add_f64 v[1:2], v[1:2], v[128:129]
	v_add_f64 v[3:4], v[3:4], v[124:125]
	s_andn2_b32 exec_lo, exec_lo, s4
	s_cbranch_execnz .LBB121_288
; %bb.289:
	s_or_b32 exec_lo, exec_lo, s4
.LBB121_290:
	s_or_b32 exec_lo, exec_lo, s8
	v_mov_b32_e32 v123, 0
	ds_read_b128 v[123:126], v123 offset:336
	s_waitcnt lgkmcnt(0)
	v_mul_f64 v[128:129], v[3:4], v[125:126]
	v_mul_f64 v[125:126], v[1:2], v[125:126]
	v_fma_f64 v[1:2], v[1:2], v[123:124], -v[128:129]
	v_fma_f64 v[3:4], v[3:4], v[123:124], v[125:126]
	buffer_store_dword v2, off, s[0:3], 0 offset:340
	buffer_store_dword v1, off, s[0:3], 0 offset:336
	;; [unrolled: 1-line block ×4, first 2 shown]
.LBB121_291:
	s_or_b32 exec_lo, exec_lo, s6
	v_mov_b32_e32 v4, s46
	v_cmp_lt_u32_e64 s4, 20, v0
	s_clause 0x3
	buffer_load_dword v1, v4, s[0:3], 0 offen
	buffer_load_dword v2, v4, s[0:3], 0 offen offset:4
	buffer_load_dword v3, v4, s[0:3], 0 offen offset:8
	;; [unrolled: 1-line block ×3, first 2 shown]
	s_waitcnt vmcnt(0)
	ds_write_b128 v122, v[1:4]
	s_waitcnt lgkmcnt(0)
	s_waitcnt_vscnt null, 0x0
	s_barrier
	buffer_gl0_inv
	s_and_saveexec_b32 s6, s4
	s_cbranch_execz .LBB121_299
; %bb.292:
	ds_read_b128 v[1:4], v122
	s_andn2_b32 vcc_lo, exec_lo, s66
	s_cbranch_vccnz .LBB121_294
; %bb.293:
	s_clause 0x3
	buffer_load_dword v123, v121, s[0:3], 0 offen offset:8
	buffer_load_dword v124, v121, s[0:3], 0 offen offset:12
	buffer_load_dword v125, v121, s[0:3], 0 offen
	buffer_load_dword v126, v121, s[0:3], 0 offen offset:4
	s_waitcnt vmcnt(2) lgkmcnt(0)
	v_mul_f64 v[128:129], v[3:4], v[123:124]
	v_mul_f64 v[123:124], v[1:2], v[123:124]
	s_waitcnt vmcnt(0)
	v_fma_f64 v[1:2], v[1:2], v[125:126], -v[128:129]
	v_fma_f64 v[3:4], v[3:4], v[125:126], v[123:124]
.LBB121_294:
	s_and_saveexec_b32 s8, s5
	s_cbranch_execz .LBB121_298
; %bb.295:
	v_subrev_nc_u32_e32 v123, 21, v0
	s_movk_i32 s67, 0x4f0
	s_mov_b32 s5, 0
	s_mov_b32 s68, s45
	.p2align	6
.LBB121_296:                            ; =>This Inner Loop Header: Depth=1
	v_mov_b32_e32 v126, s68
	v_add_nc_u32_e32 v123, -1, v123
	s_add_i32 s68, s68, 16
	s_clause 0x3
	buffer_load_dword v124, v126, s[0:3], 0 offen offset:8
	buffer_load_dword v125, v126, s[0:3], 0 offen offset:12
	buffer_load_dword v132, v126, s[0:3], 0 offen
	buffer_load_dword v133, v126, s[0:3], 0 offen offset:4
	v_mov_b32_e32 v126, s67
	v_cmp_eq_u32_e32 vcc_lo, 0, v123
	s_add_i32 s67, s67, 16
	ds_read_b128 v[128:131], v126
	s_or_b32 s5, vcc_lo, s5
	s_waitcnt vmcnt(2) lgkmcnt(0)
	v_mul_f64 v[134:135], v[130:131], v[124:125]
	v_mul_f64 v[124:125], v[128:129], v[124:125]
	s_waitcnt vmcnt(0)
	v_fma_f64 v[128:129], v[128:129], v[132:133], -v[134:135]
	v_fma_f64 v[124:125], v[130:131], v[132:133], v[124:125]
	v_add_f64 v[1:2], v[1:2], v[128:129]
	v_add_f64 v[3:4], v[3:4], v[124:125]
	s_andn2_b32 exec_lo, exec_lo, s5
	s_cbranch_execnz .LBB121_296
; %bb.297:
	s_or_b32 exec_lo, exec_lo, s5
.LBB121_298:
	s_or_b32 exec_lo, exec_lo, s8
	v_mov_b32_e32 v123, 0
	ds_read_b128 v[123:126], v123 offset:320
	s_waitcnt lgkmcnt(0)
	v_mul_f64 v[128:129], v[3:4], v[125:126]
	v_mul_f64 v[125:126], v[1:2], v[125:126]
	v_fma_f64 v[1:2], v[1:2], v[123:124], -v[128:129]
	v_fma_f64 v[3:4], v[3:4], v[123:124], v[125:126]
	buffer_store_dword v2, off, s[0:3], 0 offset:324
	buffer_store_dword v1, off, s[0:3], 0 offset:320
	;; [unrolled: 1-line block ×4, first 2 shown]
.LBB121_299:
	s_or_b32 exec_lo, exec_lo, s6
	v_mov_b32_e32 v4, s47
	v_cmp_lt_u32_e64 s5, 19, v0
	s_clause 0x3
	buffer_load_dword v1, v4, s[0:3], 0 offen
	buffer_load_dword v2, v4, s[0:3], 0 offen offset:4
	buffer_load_dword v3, v4, s[0:3], 0 offen offset:8
	;; [unrolled: 1-line block ×3, first 2 shown]
	s_waitcnt vmcnt(0)
	ds_write_b128 v122, v[1:4]
	s_waitcnt lgkmcnt(0)
	s_waitcnt_vscnt null, 0x0
	s_barrier
	buffer_gl0_inv
	s_and_saveexec_b32 s6, s5
	s_cbranch_execz .LBB121_307
; %bb.300:
	ds_read_b128 v[1:4], v122
	s_andn2_b32 vcc_lo, exec_lo, s66
	s_cbranch_vccnz .LBB121_302
; %bb.301:
	s_clause 0x3
	buffer_load_dword v123, v121, s[0:3], 0 offen offset:8
	buffer_load_dword v124, v121, s[0:3], 0 offen offset:12
	buffer_load_dword v125, v121, s[0:3], 0 offen
	buffer_load_dword v126, v121, s[0:3], 0 offen offset:4
	s_waitcnt vmcnt(2) lgkmcnt(0)
	v_mul_f64 v[128:129], v[3:4], v[123:124]
	v_mul_f64 v[123:124], v[1:2], v[123:124]
	s_waitcnt vmcnt(0)
	v_fma_f64 v[1:2], v[1:2], v[125:126], -v[128:129]
	v_fma_f64 v[3:4], v[3:4], v[125:126], v[123:124]
.LBB121_302:
	s_and_saveexec_b32 s8, s4
	s_cbranch_execz .LBB121_306
; %bb.303:
	v_subrev_nc_u32_e32 v123, 20, v0
	s_movk_i32 s67, 0x4e0
	s_mov_b32 s4, 0
	s_mov_b32 s68, s46
	.p2align	6
.LBB121_304:                            ; =>This Inner Loop Header: Depth=1
	v_mov_b32_e32 v126, s68
	v_add_nc_u32_e32 v123, -1, v123
	s_add_i32 s68, s68, 16
	s_clause 0x3
	buffer_load_dword v124, v126, s[0:3], 0 offen offset:8
	buffer_load_dword v125, v126, s[0:3], 0 offen offset:12
	buffer_load_dword v132, v126, s[0:3], 0 offen
	buffer_load_dword v133, v126, s[0:3], 0 offen offset:4
	v_mov_b32_e32 v126, s67
	v_cmp_eq_u32_e32 vcc_lo, 0, v123
	s_add_i32 s67, s67, 16
	ds_read_b128 v[128:131], v126
	s_or_b32 s4, vcc_lo, s4
	s_waitcnt vmcnt(2) lgkmcnt(0)
	v_mul_f64 v[134:135], v[130:131], v[124:125]
	v_mul_f64 v[124:125], v[128:129], v[124:125]
	s_waitcnt vmcnt(0)
	v_fma_f64 v[128:129], v[128:129], v[132:133], -v[134:135]
	v_fma_f64 v[124:125], v[130:131], v[132:133], v[124:125]
	v_add_f64 v[1:2], v[1:2], v[128:129]
	v_add_f64 v[3:4], v[3:4], v[124:125]
	s_andn2_b32 exec_lo, exec_lo, s4
	s_cbranch_execnz .LBB121_304
; %bb.305:
	s_or_b32 exec_lo, exec_lo, s4
.LBB121_306:
	s_or_b32 exec_lo, exec_lo, s8
	v_mov_b32_e32 v123, 0
	ds_read_b128 v[123:126], v123 offset:304
	s_waitcnt lgkmcnt(0)
	v_mul_f64 v[128:129], v[3:4], v[125:126]
	v_mul_f64 v[125:126], v[1:2], v[125:126]
	v_fma_f64 v[1:2], v[1:2], v[123:124], -v[128:129]
	v_fma_f64 v[3:4], v[3:4], v[123:124], v[125:126]
	buffer_store_dword v2, off, s[0:3], 0 offset:308
	buffer_store_dword v1, off, s[0:3], 0 offset:304
	;; [unrolled: 1-line block ×4, first 2 shown]
.LBB121_307:
	s_or_b32 exec_lo, exec_lo, s6
	v_mov_b32_e32 v4, s48
	v_cmp_lt_u32_e64 s4, 18, v0
	s_clause 0x3
	buffer_load_dword v1, v4, s[0:3], 0 offen
	buffer_load_dword v2, v4, s[0:3], 0 offen offset:4
	buffer_load_dword v3, v4, s[0:3], 0 offen offset:8
	;; [unrolled: 1-line block ×3, first 2 shown]
	s_waitcnt vmcnt(0)
	ds_write_b128 v122, v[1:4]
	s_waitcnt lgkmcnt(0)
	s_waitcnt_vscnt null, 0x0
	s_barrier
	buffer_gl0_inv
	s_and_saveexec_b32 s6, s4
	s_cbranch_execz .LBB121_315
; %bb.308:
	ds_read_b128 v[1:4], v122
	s_andn2_b32 vcc_lo, exec_lo, s66
	s_cbranch_vccnz .LBB121_310
; %bb.309:
	s_clause 0x3
	buffer_load_dword v123, v121, s[0:3], 0 offen offset:8
	buffer_load_dword v124, v121, s[0:3], 0 offen offset:12
	buffer_load_dword v125, v121, s[0:3], 0 offen
	buffer_load_dword v126, v121, s[0:3], 0 offen offset:4
	s_waitcnt vmcnt(2) lgkmcnt(0)
	v_mul_f64 v[128:129], v[3:4], v[123:124]
	v_mul_f64 v[123:124], v[1:2], v[123:124]
	s_waitcnt vmcnt(0)
	v_fma_f64 v[1:2], v[1:2], v[125:126], -v[128:129]
	v_fma_f64 v[3:4], v[3:4], v[125:126], v[123:124]
.LBB121_310:
	s_and_saveexec_b32 s8, s5
	s_cbranch_execz .LBB121_314
; %bb.311:
	v_subrev_nc_u32_e32 v123, 19, v0
	s_movk_i32 s67, 0x4d0
	s_mov_b32 s5, 0
	s_mov_b32 s68, s47
	.p2align	6
.LBB121_312:                            ; =>This Inner Loop Header: Depth=1
	v_mov_b32_e32 v126, s68
	v_add_nc_u32_e32 v123, -1, v123
	s_add_i32 s68, s68, 16
	s_clause 0x3
	buffer_load_dword v124, v126, s[0:3], 0 offen offset:8
	buffer_load_dword v125, v126, s[0:3], 0 offen offset:12
	buffer_load_dword v132, v126, s[0:3], 0 offen
	buffer_load_dword v133, v126, s[0:3], 0 offen offset:4
	v_mov_b32_e32 v126, s67
	v_cmp_eq_u32_e32 vcc_lo, 0, v123
	s_add_i32 s67, s67, 16
	ds_read_b128 v[128:131], v126
	s_or_b32 s5, vcc_lo, s5
	s_waitcnt vmcnt(2) lgkmcnt(0)
	v_mul_f64 v[134:135], v[130:131], v[124:125]
	v_mul_f64 v[124:125], v[128:129], v[124:125]
	s_waitcnt vmcnt(0)
	v_fma_f64 v[128:129], v[128:129], v[132:133], -v[134:135]
	v_fma_f64 v[124:125], v[130:131], v[132:133], v[124:125]
	v_add_f64 v[1:2], v[1:2], v[128:129]
	v_add_f64 v[3:4], v[3:4], v[124:125]
	s_andn2_b32 exec_lo, exec_lo, s5
	s_cbranch_execnz .LBB121_312
; %bb.313:
	s_or_b32 exec_lo, exec_lo, s5
.LBB121_314:
	s_or_b32 exec_lo, exec_lo, s8
	v_mov_b32_e32 v123, 0
	ds_read_b128 v[123:126], v123 offset:288
	s_waitcnt lgkmcnt(0)
	v_mul_f64 v[128:129], v[3:4], v[125:126]
	v_mul_f64 v[125:126], v[1:2], v[125:126]
	v_fma_f64 v[1:2], v[1:2], v[123:124], -v[128:129]
	v_fma_f64 v[3:4], v[3:4], v[123:124], v[125:126]
	buffer_store_dword v2, off, s[0:3], 0 offset:292
	buffer_store_dword v1, off, s[0:3], 0 offset:288
	buffer_store_dword v4, off, s[0:3], 0 offset:300
	buffer_store_dword v3, off, s[0:3], 0 offset:296
.LBB121_315:
	s_or_b32 exec_lo, exec_lo, s6
	v_mov_b32_e32 v4, s49
	v_cmp_lt_u32_e64 s5, 17, v0
	s_clause 0x3
	buffer_load_dword v1, v4, s[0:3], 0 offen
	buffer_load_dword v2, v4, s[0:3], 0 offen offset:4
	buffer_load_dword v3, v4, s[0:3], 0 offen offset:8
	;; [unrolled: 1-line block ×3, first 2 shown]
	s_waitcnt vmcnt(0)
	ds_write_b128 v122, v[1:4]
	s_waitcnt lgkmcnt(0)
	s_waitcnt_vscnt null, 0x0
	s_barrier
	buffer_gl0_inv
	s_and_saveexec_b32 s6, s5
	s_cbranch_execz .LBB121_323
; %bb.316:
	ds_read_b128 v[1:4], v122
	s_andn2_b32 vcc_lo, exec_lo, s66
	s_cbranch_vccnz .LBB121_318
; %bb.317:
	s_clause 0x3
	buffer_load_dword v123, v121, s[0:3], 0 offen offset:8
	buffer_load_dword v124, v121, s[0:3], 0 offen offset:12
	buffer_load_dword v125, v121, s[0:3], 0 offen
	buffer_load_dword v126, v121, s[0:3], 0 offen offset:4
	s_waitcnt vmcnt(2) lgkmcnt(0)
	v_mul_f64 v[128:129], v[3:4], v[123:124]
	v_mul_f64 v[123:124], v[1:2], v[123:124]
	s_waitcnt vmcnt(0)
	v_fma_f64 v[1:2], v[1:2], v[125:126], -v[128:129]
	v_fma_f64 v[3:4], v[3:4], v[125:126], v[123:124]
.LBB121_318:
	s_and_saveexec_b32 s8, s4
	s_cbranch_execz .LBB121_322
; %bb.319:
	v_subrev_nc_u32_e32 v123, 18, v0
	s_movk_i32 s67, 0x4c0
	s_mov_b32 s4, 0
	s_mov_b32 s68, s48
	.p2align	6
.LBB121_320:                            ; =>This Inner Loop Header: Depth=1
	v_mov_b32_e32 v126, s68
	v_add_nc_u32_e32 v123, -1, v123
	s_add_i32 s68, s68, 16
	s_clause 0x3
	buffer_load_dword v124, v126, s[0:3], 0 offen offset:8
	buffer_load_dword v125, v126, s[0:3], 0 offen offset:12
	buffer_load_dword v132, v126, s[0:3], 0 offen
	buffer_load_dword v133, v126, s[0:3], 0 offen offset:4
	v_mov_b32_e32 v126, s67
	v_cmp_eq_u32_e32 vcc_lo, 0, v123
	s_add_i32 s67, s67, 16
	ds_read_b128 v[128:131], v126
	s_or_b32 s4, vcc_lo, s4
	s_waitcnt vmcnt(2) lgkmcnt(0)
	v_mul_f64 v[134:135], v[130:131], v[124:125]
	v_mul_f64 v[124:125], v[128:129], v[124:125]
	s_waitcnt vmcnt(0)
	v_fma_f64 v[128:129], v[128:129], v[132:133], -v[134:135]
	v_fma_f64 v[124:125], v[130:131], v[132:133], v[124:125]
	v_add_f64 v[1:2], v[1:2], v[128:129]
	v_add_f64 v[3:4], v[3:4], v[124:125]
	s_andn2_b32 exec_lo, exec_lo, s4
	s_cbranch_execnz .LBB121_320
; %bb.321:
	s_or_b32 exec_lo, exec_lo, s4
.LBB121_322:
	s_or_b32 exec_lo, exec_lo, s8
	v_mov_b32_e32 v123, 0
	ds_read_b128 v[123:126], v123 offset:272
	s_waitcnt lgkmcnt(0)
	v_mul_f64 v[128:129], v[3:4], v[125:126]
	v_mul_f64 v[125:126], v[1:2], v[125:126]
	v_fma_f64 v[1:2], v[1:2], v[123:124], -v[128:129]
	v_fma_f64 v[3:4], v[3:4], v[123:124], v[125:126]
	buffer_store_dword v2, off, s[0:3], 0 offset:276
	buffer_store_dword v1, off, s[0:3], 0 offset:272
	;; [unrolled: 1-line block ×4, first 2 shown]
.LBB121_323:
	s_or_b32 exec_lo, exec_lo, s6
	v_mov_b32_e32 v4, s50
	v_cmp_lt_u32_e64 s4, 16, v0
	s_clause 0x3
	buffer_load_dword v1, v4, s[0:3], 0 offen
	buffer_load_dword v2, v4, s[0:3], 0 offen offset:4
	buffer_load_dword v3, v4, s[0:3], 0 offen offset:8
	buffer_load_dword v4, v4, s[0:3], 0 offen offset:12
	s_waitcnt vmcnt(0)
	ds_write_b128 v122, v[1:4]
	s_waitcnt lgkmcnt(0)
	s_waitcnt_vscnt null, 0x0
	s_barrier
	buffer_gl0_inv
	s_and_saveexec_b32 s6, s4
	s_cbranch_execz .LBB121_331
; %bb.324:
	ds_read_b128 v[1:4], v122
	s_andn2_b32 vcc_lo, exec_lo, s66
	s_cbranch_vccnz .LBB121_326
; %bb.325:
	s_clause 0x3
	buffer_load_dword v123, v121, s[0:3], 0 offen offset:8
	buffer_load_dword v124, v121, s[0:3], 0 offen offset:12
	buffer_load_dword v125, v121, s[0:3], 0 offen
	buffer_load_dword v126, v121, s[0:3], 0 offen offset:4
	s_waitcnt vmcnt(2) lgkmcnt(0)
	v_mul_f64 v[128:129], v[3:4], v[123:124]
	v_mul_f64 v[123:124], v[1:2], v[123:124]
	s_waitcnt vmcnt(0)
	v_fma_f64 v[1:2], v[1:2], v[125:126], -v[128:129]
	v_fma_f64 v[3:4], v[3:4], v[125:126], v[123:124]
.LBB121_326:
	s_and_saveexec_b32 s8, s5
	s_cbranch_execz .LBB121_330
; %bb.327:
	v_subrev_nc_u32_e32 v123, 17, v0
	s_movk_i32 s67, 0x4b0
	s_mov_b32 s5, 0
	s_mov_b32 s68, s49
	.p2align	6
.LBB121_328:                            ; =>This Inner Loop Header: Depth=1
	v_mov_b32_e32 v126, s68
	v_add_nc_u32_e32 v123, -1, v123
	s_add_i32 s68, s68, 16
	s_clause 0x3
	buffer_load_dword v124, v126, s[0:3], 0 offen offset:8
	buffer_load_dword v125, v126, s[0:3], 0 offen offset:12
	buffer_load_dword v132, v126, s[0:3], 0 offen
	buffer_load_dword v133, v126, s[0:3], 0 offen offset:4
	v_mov_b32_e32 v126, s67
	v_cmp_eq_u32_e32 vcc_lo, 0, v123
	s_add_i32 s67, s67, 16
	ds_read_b128 v[128:131], v126
	s_or_b32 s5, vcc_lo, s5
	s_waitcnt vmcnt(2) lgkmcnt(0)
	v_mul_f64 v[134:135], v[130:131], v[124:125]
	v_mul_f64 v[124:125], v[128:129], v[124:125]
	s_waitcnt vmcnt(0)
	v_fma_f64 v[128:129], v[128:129], v[132:133], -v[134:135]
	v_fma_f64 v[124:125], v[130:131], v[132:133], v[124:125]
	v_add_f64 v[1:2], v[1:2], v[128:129]
	v_add_f64 v[3:4], v[3:4], v[124:125]
	s_andn2_b32 exec_lo, exec_lo, s5
	s_cbranch_execnz .LBB121_328
; %bb.329:
	s_or_b32 exec_lo, exec_lo, s5
.LBB121_330:
	s_or_b32 exec_lo, exec_lo, s8
	v_mov_b32_e32 v123, 0
	ds_read_b128 v[123:126], v123 offset:256
	s_waitcnt lgkmcnt(0)
	v_mul_f64 v[128:129], v[3:4], v[125:126]
	v_mul_f64 v[125:126], v[1:2], v[125:126]
	v_fma_f64 v[1:2], v[1:2], v[123:124], -v[128:129]
	v_fma_f64 v[3:4], v[3:4], v[123:124], v[125:126]
	buffer_store_dword v2, off, s[0:3], 0 offset:260
	buffer_store_dword v1, off, s[0:3], 0 offset:256
	;; [unrolled: 1-line block ×4, first 2 shown]
.LBB121_331:
	s_or_b32 exec_lo, exec_lo, s6
	v_mov_b32_e32 v4, s51
	v_cmp_lt_u32_e64 s5, 15, v0
	s_clause 0x3
	buffer_load_dword v1, v4, s[0:3], 0 offen
	buffer_load_dword v2, v4, s[0:3], 0 offen offset:4
	buffer_load_dword v3, v4, s[0:3], 0 offen offset:8
	;; [unrolled: 1-line block ×3, first 2 shown]
	s_waitcnt vmcnt(0)
	ds_write_b128 v122, v[1:4]
	s_waitcnt lgkmcnt(0)
	s_waitcnt_vscnt null, 0x0
	s_barrier
	buffer_gl0_inv
	s_and_saveexec_b32 s6, s5
	s_cbranch_execz .LBB121_339
; %bb.332:
	ds_read_b128 v[1:4], v122
	s_andn2_b32 vcc_lo, exec_lo, s66
	s_cbranch_vccnz .LBB121_334
; %bb.333:
	s_clause 0x3
	buffer_load_dword v123, v121, s[0:3], 0 offen offset:8
	buffer_load_dword v124, v121, s[0:3], 0 offen offset:12
	buffer_load_dword v125, v121, s[0:3], 0 offen
	buffer_load_dword v126, v121, s[0:3], 0 offen offset:4
	s_waitcnt vmcnt(2) lgkmcnt(0)
	v_mul_f64 v[128:129], v[3:4], v[123:124]
	v_mul_f64 v[123:124], v[1:2], v[123:124]
	s_waitcnt vmcnt(0)
	v_fma_f64 v[1:2], v[1:2], v[125:126], -v[128:129]
	v_fma_f64 v[3:4], v[3:4], v[125:126], v[123:124]
.LBB121_334:
	s_and_saveexec_b32 s8, s4
	s_cbranch_execz .LBB121_338
; %bb.335:
	v_add_nc_u32_e32 v123, -16, v0
	s_movk_i32 s67, 0x4a0
	s_mov_b32 s4, 0
	s_mov_b32 s68, s50
	.p2align	6
.LBB121_336:                            ; =>This Inner Loop Header: Depth=1
	v_mov_b32_e32 v126, s68
	v_add_nc_u32_e32 v123, -1, v123
	s_add_i32 s68, s68, 16
	s_clause 0x3
	buffer_load_dword v124, v126, s[0:3], 0 offen offset:8
	buffer_load_dword v125, v126, s[0:3], 0 offen offset:12
	buffer_load_dword v132, v126, s[0:3], 0 offen
	buffer_load_dword v133, v126, s[0:3], 0 offen offset:4
	v_mov_b32_e32 v126, s67
	v_cmp_eq_u32_e32 vcc_lo, 0, v123
	s_add_i32 s67, s67, 16
	ds_read_b128 v[128:131], v126
	s_or_b32 s4, vcc_lo, s4
	s_waitcnt vmcnt(2) lgkmcnt(0)
	v_mul_f64 v[134:135], v[130:131], v[124:125]
	v_mul_f64 v[124:125], v[128:129], v[124:125]
	s_waitcnt vmcnt(0)
	v_fma_f64 v[128:129], v[128:129], v[132:133], -v[134:135]
	v_fma_f64 v[124:125], v[130:131], v[132:133], v[124:125]
	v_add_f64 v[1:2], v[1:2], v[128:129]
	v_add_f64 v[3:4], v[3:4], v[124:125]
	s_andn2_b32 exec_lo, exec_lo, s4
	s_cbranch_execnz .LBB121_336
; %bb.337:
	s_or_b32 exec_lo, exec_lo, s4
.LBB121_338:
	s_or_b32 exec_lo, exec_lo, s8
	v_mov_b32_e32 v123, 0
	ds_read_b128 v[123:126], v123 offset:240
	s_waitcnt lgkmcnt(0)
	v_mul_f64 v[128:129], v[3:4], v[125:126]
	v_mul_f64 v[125:126], v[1:2], v[125:126]
	v_fma_f64 v[1:2], v[1:2], v[123:124], -v[128:129]
	v_fma_f64 v[3:4], v[3:4], v[123:124], v[125:126]
	buffer_store_dword v2, off, s[0:3], 0 offset:244
	buffer_store_dword v1, off, s[0:3], 0 offset:240
	;; [unrolled: 1-line block ×4, first 2 shown]
.LBB121_339:
	s_or_b32 exec_lo, exec_lo, s6
	v_mov_b32_e32 v4, s52
	v_cmp_lt_u32_e64 s4, 14, v0
	s_clause 0x3
	buffer_load_dword v1, v4, s[0:3], 0 offen
	buffer_load_dword v2, v4, s[0:3], 0 offen offset:4
	buffer_load_dword v3, v4, s[0:3], 0 offen offset:8
	buffer_load_dword v4, v4, s[0:3], 0 offen offset:12
	s_waitcnt vmcnt(0)
	ds_write_b128 v122, v[1:4]
	s_waitcnt lgkmcnt(0)
	s_waitcnt_vscnt null, 0x0
	s_barrier
	buffer_gl0_inv
	s_and_saveexec_b32 s6, s4
	s_cbranch_execz .LBB121_347
; %bb.340:
	ds_read_b128 v[1:4], v122
	s_andn2_b32 vcc_lo, exec_lo, s66
	s_cbranch_vccnz .LBB121_342
; %bb.341:
	s_clause 0x3
	buffer_load_dword v123, v121, s[0:3], 0 offen offset:8
	buffer_load_dword v124, v121, s[0:3], 0 offen offset:12
	buffer_load_dword v125, v121, s[0:3], 0 offen
	buffer_load_dword v126, v121, s[0:3], 0 offen offset:4
	s_waitcnt vmcnt(2) lgkmcnt(0)
	v_mul_f64 v[128:129], v[3:4], v[123:124]
	v_mul_f64 v[123:124], v[1:2], v[123:124]
	s_waitcnt vmcnt(0)
	v_fma_f64 v[1:2], v[1:2], v[125:126], -v[128:129]
	v_fma_f64 v[3:4], v[3:4], v[125:126], v[123:124]
.LBB121_342:
	s_and_saveexec_b32 s8, s5
	s_cbranch_execz .LBB121_346
; %bb.343:
	v_add_nc_u32_e32 v123, -15, v0
	s_movk_i32 s67, 0x490
	s_mov_b32 s5, 0
	s_mov_b32 s68, s51
	.p2align	6
.LBB121_344:                            ; =>This Inner Loop Header: Depth=1
	v_mov_b32_e32 v126, s68
	v_add_nc_u32_e32 v123, -1, v123
	s_add_i32 s68, s68, 16
	s_clause 0x3
	buffer_load_dword v124, v126, s[0:3], 0 offen offset:8
	buffer_load_dword v125, v126, s[0:3], 0 offen offset:12
	buffer_load_dword v132, v126, s[0:3], 0 offen
	buffer_load_dword v133, v126, s[0:3], 0 offen offset:4
	v_mov_b32_e32 v126, s67
	v_cmp_eq_u32_e32 vcc_lo, 0, v123
	s_add_i32 s67, s67, 16
	ds_read_b128 v[128:131], v126
	s_or_b32 s5, vcc_lo, s5
	s_waitcnt vmcnt(2) lgkmcnt(0)
	v_mul_f64 v[134:135], v[130:131], v[124:125]
	v_mul_f64 v[124:125], v[128:129], v[124:125]
	s_waitcnt vmcnt(0)
	v_fma_f64 v[128:129], v[128:129], v[132:133], -v[134:135]
	v_fma_f64 v[124:125], v[130:131], v[132:133], v[124:125]
	v_add_f64 v[1:2], v[1:2], v[128:129]
	v_add_f64 v[3:4], v[3:4], v[124:125]
	s_andn2_b32 exec_lo, exec_lo, s5
	s_cbranch_execnz .LBB121_344
; %bb.345:
	s_or_b32 exec_lo, exec_lo, s5
.LBB121_346:
	s_or_b32 exec_lo, exec_lo, s8
	v_mov_b32_e32 v123, 0
	ds_read_b128 v[123:126], v123 offset:224
	s_waitcnt lgkmcnt(0)
	v_mul_f64 v[128:129], v[3:4], v[125:126]
	v_mul_f64 v[125:126], v[1:2], v[125:126]
	v_fma_f64 v[1:2], v[1:2], v[123:124], -v[128:129]
	v_fma_f64 v[3:4], v[3:4], v[123:124], v[125:126]
	buffer_store_dword v2, off, s[0:3], 0 offset:228
	buffer_store_dword v1, off, s[0:3], 0 offset:224
	;; [unrolled: 1-line block ×4, first 2 shown]
.LBB121_347:
	s_or_b32 exec_lo, exec_lo, s6
	v_mov_b32_e32 v4, s53
	v_cmp_lt_u32_e64 s5, 13, v0
	s_clause 0x3
	buffer_load_dword v1, v4, s[0:3], 0 offen
	buffer_load_dword v2, v4, s[0:3], 0 offen offset:4
	buffer_load_dword v3, v4, s[0:3], 0 offen offset:8
	;; [unrolled: 1-line block ×3, first 2 shown]
	s_waitcnt vmcnt(0)
	ds_write_b128 v122, v[1:4]
	s_waitcnt lgkmcnt(0)
	s_waitcnt_vscnt null, 0x0
	s_barrier
	buffer_gl0_inv
	s_and_saveexec_b32 s6, s5
	s_cbranch_execz .LBB121_355
; %bb.348:
	ds_read_b128 v[1:4], v122
	s_andn2_b32 vcc_lo, exec_lo, s66
	s_cbranch_vccnz .LBB121_350
; %bb.349:
	s_clause 0x3
	buffer_load_dword v123, v121, s[0:3], 0 offen offset:8
	buffer_load_dword v124, v121, s[0:3], 0 offen offset:12
	buffer_load_dword v125, v121, s[0:3], 0 offen
	buffer_load_dword v126, v121, s[0:3], 0 offen offset:4
	s_waitcnt vmcnt(2) lgkmcnt(0)
	v_mul_f64 v[128:129], v[3:4], v[123:124]
	v_mul_f64 v[123:124], v[1:2], v[123:124]
	s_waitcnt vmcnt(0)
	v_fma_f64 v[1:2], v[1:2], v[125:126], -v[128:129]
	v_fma_f64 v[3:4], v[3:4], v[125:126], v[123:124]
.LBB121_350:
	s_and_saveexec_b32 s8, s4
	s_cbranch_execz .LBB121_354
; %bb.351:
	v_add_nc_u32_e32 v123, -14, v0
	s_movk_i32 s67, 0x480
	s_mov_b32 s4, 0
	s_mov_b32 s68, s52
	.p2align	6
.LBB121_352:                            ; =>This Inner Loop Header: Depth=1
	v_mov_b32_e32 v126, s68
	v_add_nc_u32_e32 v123, -1, v123
	s_add_i32 s68, s68, 16
	s_clause 0x3
	buffer_load_dword v124, v126, s[0:3], 0 offen offset:8
	buffer_load_dword v125, v126, s[0:3], 0 offen offset:12
	buffer_load_dword v132, v126, s[0:3], 0 offen
	buffer_load_dword v133, v126, s[0:3], 0 offen offset:4
	v_mov_b32_e32 v126, s67
	v_cmp_eq_u32_e32 vcc_lo, 0, v123
	s_add_i32 s67, s67, 16
	ds_read_b128 v[128:131], v126
	s_or_b32 s4, vcc_lo, s4
	s_waitcnt vmcnt(2) lgkmcnt(0)
	v_mul_f64 v[134:135], v[130:131], v[124:125]
	v_mul_f64 v[124:125], v[128:129], v[124:125]
	s_waitcnt vmcnt(0)
	v_fma_f64 v[128:129], v[128:129], v[132:133], -v[134:135]
	v_fma_f64 v[124:125], v[130:131], v[132:133], v[124:125]
	v_add_f64 v[1:2], v[1:2], v[128:129]
	v_add_f64 v[3:4], v[3:4], v[124:125]
	s_andn2_b32 exec_lo, exec_lo, s4
	s_cbranch_execnz .LBB121_352
; %bb.353:
	s_or_b32 exec_lo, exec_lo, s4
.LBB121_354:
	s_or_b32 exec_lo, exec_lo, s8
	v_mov_b32_e32 v123, 0
	ds_read_b128 v[123:126], v123 offset:208
	s_waitcnt lgkmcnt(0)
	v_mul_f64 v[128:129], v[3:4], v[125:126]
	v_mul_f64 v[125:126], v[1:2], v[125:126]
	v_fma_f64 v[1:2], v[1:2], v[123:124], -v[128:129]
	v_fma_f64 v[3:4], v[3:4], v[123:124], v[125:126]
	buffer_store_dword v2, off, s[0:3], 0 offset:212
	buffer_store_dword v1, off, s[0:3], 0 offset:208
	;; [unrolled: 1-line block ×4, first 2 shown]
.LBB121_355:
	s_or_b32 exec_lo, exec_lo, s6
	v_mov_b32_e32 v4, s54
	v_cmp_lt_u32_e64 s4, 12, v0
	s_clause 0x3
	buffer_load_dword v1, v4, s[0:3], 0 offen
	buffer_load_dword v2, v4, s[0:3], 0 offen offset:4
	buffer_load_dword v3, v4, s[0:3], 0 offen offset:8
	;; [unrolled: 1-line block ×3, first 2 shown]
	s_waitcnt vmcnt(0)
	ds_write_b128 v122, v[1:4]
	s_waitcnt lgkmcnt(0)
	s_waitcnt_vscnt null, 0x0
	s_barrier
	buffer_gl0_inv
	s_and_saveexec_b32 s6, s4
	s_cbranch_execz .LBB121_363
; %bb.356:
	ds_read_b128 v[1:4], v122
	s_andn2_b32 vcc_lo, exec_lo, s66
	s_cbranch_vccnz .LBB121_358
; %bb.357:
	s_clause 0x3
	buffer_load_dword v123, v121, s[0:3], 0 offen offset:8
	buffer_load_dword v124, v121, s[0:3], 0 offen offset:12
	buffer_load_dword v125, v121, s[0:3], 0 offen
	buffer_load_dword v126, v121, s[0:3], 0 offen offset:4
	s_waitcnt vmcnt(2) lgkmcnt(0)
	v_mul_f64 v[128:129], v[3:4], v[123:124]
	v_mul_f64 v[123:124], v[1:2], v[123:124]
	s_waitcnt vmcnt(0)
	v_fma_f64 v[1:2], v[1:2], v[125:126], -v[128:129]
	v_fma_f64 v[3:4], v[3:4], v[125:126], v[123:124]
.LBB121_358:
	s_and_saveexec_b32 s8, s5
	s_cbranch_execz .LBB121_362
; %bb.359:
	v_add_nc_u32_e32 v123, -13, v0
	s_movk_i32 s67, 0x470
	s_mov_b32 s5, 0
	s_mov_b32 s68, s53
	.p2align	6
.LBB121_360:                            ; =>This Inner Loop Header: Depth=1
	v_mov_b32_e32 v126, s68
	v_add_nc_u32_e32 v123, -1, v123
	s_add_i32 s68, s68, 16
	s_clause 0x3
	buffer_load_dword v124, v126, s[0:3], 0 offen offset:8
	buffer_load_dword v125, v126, s[0:3], 0 offen offset:12
	buffer_load_dword v132, v126, s[0:3], 0 offen
	buffer_load_dword v133, v126, s[0:3], 0 offen offset:4
	v_mov_b32_e32 v126, s67
	v_cmp_eq_u32_e32 vcc_lo, 0, v123
	s_add_i32 s67, s67, 16
	ds_read_b128 v[128:131], v126
	s_or_b32 s5, vcc_lo, s5
	s_waitcnt vmcnt(2) lgkmcnt(0)
	v_mul_f64 v[134:135], v[130:131], v[124:125]
	v_mul_f64 v[124:125], v[128:129], v[124:125]
	s_waitcnt vmcnt(0)
	v_fma_f64 v[128:129], v[128:129], v[132:133], -v[134:135]
	v_fma_f64 v[124:125], v[130:131], v[132:133], v[124:125]
	v_add_f64 v[1:2], v[1:2], v[128:129]
	v_add_f64 v[3:4], v[3:4], v[124:125]
	s_andn2_b32 exec_lo, exec_lo, s5
	s_cbranch_execnz .LBB121_360
; %bb.361:
	s_or_b32 exec_lo, exec_lo, s5
.LBB121_362:
	s_or_b32 exec_lo, exec_lo, s8
	v_mov_b32_e32 v123, 0
	ds_read_b128 v[123:126], v123 offset:192
	s_waitcnt lgkmcnt(0)
	v_mul_f64 v[128:129], v[3:4], v[125:126]
	v_mul_f64 v[125:126], v[1:2], v[125:126]
	v_fma_f64 v[1:2], v[1:2], v[123:124], -v[128:129]
	v_fma_f64 v[3:4], v[3:4], v[123:124], v[125:126]
	buffer_store_dword v2, off, s[0:3], 0 offset:196
	buffer_store_dword v1, off, s[0:3], 0 offset:192
	;; [unrolled: 1-line block ×4, first 2 shown]
.LBB121_363:
	s_or_b32 exec_lo, exec_lo, s6
	v_mov_b32_e32 v4, s55
	v_cmp_lt_u32_e64 s5, 11, v0
	s_clause 0x3
	buffer_load_dword v1, v4, s[0:3], 0 offen
	buffer_load_dword v2, v4, s[0:3], 0 offen offset:4
	buffer_load_dword v3, v4, s[0:3], 0 offen offset:8
	;; [unrolled: 1-line block ×3, first 2 shown]
	s_waitcnt vmcnt(0)
	ds_write_b128 v122, v[1:4]
	s_waitcnt lgkmcnt(0)
	s_waitcnt_vscnt null, 0x0
	s_barrier
	buffer_gl0_inv
	s_and_saveexec_b32 s6, s5
	s_cbranch_execz .LBB121_371
; %bb.364:
	ds_read_b128 v[1:4], v122
	s_andn2_b32 vcc_lo, exec_lo, s66
	s_cbranch_vccnz .LBB121_366
; %bb.365:
	s_clause 0x3
	buffer_load_dword v123, v121, s[0:3], 0 offen offset:8
	buffer_load_dword v124, v121, s[0:3], 0 offen offset:12
	buffer_load_dword v125, v121, s[0:3], 0 offen
	buffer_load_dword v126, v121, s[0:3], 0 offen offset:4
	s_waitcnt vmcnt(2) lgkmcnt(0)
	v_mul_f64 v[128:129], v[3:4], v[123:124]
	v_mul_f64 v[123:124], v[1:2], v[123:124]
	s_waitcnt vmcnt(0)
	v_fma_f64 v[1:2], v[1:2], v[125:126], -v[128:129]
	v_fma_f64 v[3:4], v[3:4], v[125:126], v[123:124]
.LBB121_366:
	s_and_saveexec_b32 s8, s4
	s_cbranch_execz .LBB121_370
; %bb.367:
	v_add_nc_u32_e32 v123, -12, v0
	s_movk_i32 s67, 0x460
	s_mov_b32 s4, 0
	s_mov_b32 s68, s54
	.p2align	6
.LBB121_368:                            ; =>This Inner Loop Header: Depth=1
	v_mov_b32_e32 v126, s68
	v_add_nc_u32_e32 v123, -1, v123
	s_add_i32 s68, s68, 16
	s_clause 0x3
	buffer_load_dword v124, v126, s[0:3], 0 offen offset:8
	buffer_load_dword v125, v126, s[0:3], 0 offen offset:12
	buffer_load_dword v132, v126, s[0:3], 0 offen
	buffer_load_dword v133, v126, s[0:3], 0 offen offset:4
	v_mov_b32_e32 v126, s67
	v_cmp_eq_u32_e32 vcc_lo, 0, v123
	s_add_i32 s67, s67, 16
	ds_read_b128 v[128:131], v126
	s_or_b32 s4, vcc_lo, s4
	s_waitcnt vmcnt(2) lgkmcnt(0)
	v_mul_f64 v[134:135], v[130:131], v[124:125]
	v_mul_f64 v[124:125], v[128:129], v[124:125]
	s_waitcnt vmcnt(0)
	v_fma_f64 v[128:129], v[128:129], v[132:133], -v[134:135]
	v_fma_f64 v[124:125], v[130:131], v[132:133], v[124:125]
	v_add_f64 v[1:2], v[1:2], v[128:129]
	v_add_f64 v[3:4], v[3:4], v[124:125]
	s_andn2_b32 exec_lo, exec_lo, s4
	s_cbranch_execnz .LBB121_368
; %bb.369:
	s_or_b32 exec_lo, exec_lo, s4
.LBB121_370:
	s_or_b32 exec_lo, exec_lo, s8
	v_mov_b32_e32 v123, 0
	ds_read_b128 v[123:126], v123 offset:176
	s_waitcnt lgkmcnt(0)
	v_mul_f64 v[128:129], v[3:4], v[125:126]
	v_mul_f64 v[125:126], v[1:2], v[125:126]
	v_fma_f64 v[1:2], v[1:2], v[123:124], -v[128:129]
	v_fma_f64 v[3:4], v[3:4], v[123:124], v[125:126]
	buffer_store_dword v2, off, s[0:3], 0 offset:180
	buffer_store_dword v1, off, s[0:3], 0 offset:176
	;; [unrolled: 1-line block ×4, first 2 shown]
.LBB121_371:
	s_or_b32 exec_lo, exec_lo, s6
	v_mov_b32_e32 v4, s56
	v_cmp_lt_u32_e64 s4, 10, v0
	s_clause 0x3
	buffer_load_dword v1, v4, s[0:3], 0 offen
	buffer_load_dword v2, v4, s[0:3], 0 offen offset:4
	buffer_load_dword v3, v4, s[0:3], 0 offen offset:8
	;; [unrolled: 1-line block ×3, first 2 shown]
	s_waitcnt vmcnt(0)
	ds_write_b128 v122, v[1:4]
	s_waitcnt lgkmcnt(0)
	s_waitcnt_vscnt null, 0x0
	s_barrier
	buffer_gl0_inv
	s_and_saveexec_b32 s6, s4
	s_cbranch_execz .LBB121_379
; %bb.372:
	ds_read_b128 v[1:4], v122
	s_andn2_b32 vcc_lo, exec_lo, s66
	s_cbranch_vccnz .LBB121_374
; %bb.373:
	s_clause 0x3
	buffer_load_dword v123, v121, s[0:3], 0 offen offset:8
	buffer_load_dword v124, v121, s[0:3], 0 offen offset:12
	buffer_load_dword v125, v121, s[0:3], 0 offen
	buffer_load_dword v126, v121, s[0:3], 0 offen offset:4
	s_waitcnt vmcnt(2) lgkmcnt(0)
	v_mul_f64 v[128:129], v[3:4], v[123:124]
	v_mul_f64 v[123:124], v[1:2], v[123:124]
	s_waitcnt vmcnt(0)
	v_fma_f64 v[1:2], v[1:2], v[125:126], -v[128:129]
	v_fma_f64 v[3:4], v[3:4], v[125:126], v[123:124]
.LBB121_374:
	s_and_saveexec_b32 s8, s5
	s_cbranch_execz .LBB121_378
; %bb.375:
	v_add_nc_u32_e32 v123, -11, v0
	s_movk_i32 s67, 0x450
	s_mov_b32 s5, 0
	s_mov_b32 s68, s55
	.p2align	6
.LBB121_376:                            ; =>This Inner Loop Header: Depth=1
	v_mov_b32_e32 v126, s68
	v_add_nc_u32_e32 v123, -1, v123
	s_add_i32 s68, s68, 16
	s_clause 0x3
	buffer_load_dword v124, v126, s[0:3], 0 offen offset:8
	buffer_load_dword v125, v126, s[0:3], 0 offen offset:12
	buffer_load_dword v132, v126, s[0:3], 0 offen
	buffer_load_dword v133, v126, s[0:3], 0 offen offset:4
	v_mov_b32_e32 v126, s67
	v_cmp_eq_u32_e32 vcc_lo, 0, v123
	s_add_i32 s67, s67, 16
	ds_read_b128 v[128:131], v126
	s_or_b32 s5, vcc_lo, s5
	s_waitcnt vmcnt(2) lgkmcnt(0)
	v_mul_f64 v[134:135], v[130:131], v[124:125]
	v_mul_f64 v[124:125], v[128:129], v[124:125]
	s_waitcnt vmcnt(0)
	v_fma_f64 v[128:129], v[128:129], v[132:133], -v[134:135]
	v_fma_f64 v[124:125], v[130:131], v[132:133], v[124:125]
	v_add_f64 v[1:2], v[1:2], v[128:129]
	v_add_f64 v[3:4], v[3:4], v[124:125]
	s_andn2_b32 exec_lo, exec_lo, s5
	s_cbranch_execnz .LBB121_376
; %bb.377:
	s_or_b32 exec_lo, exec_lo, s5
.LBB121_378:
	s_or_b32 exec_lo, exec_lo, s8
	v_mov_b32_e32 v123, 0
	ds_read_b128 v[123:126], v123 offset:160
	s_waitcnt lgkmcnt(0)
	v_mul_f64 v[128:129], v[3:4], v[125:126]
	v_mul_f64 v[125:126], v[1:2], v[125:126]
	v_fma_f64 v[1:2], v[1:2], v[123:124], -v[128:129]
	v_fma_f64 v[3:4], v[3:4], v[123:124], v[125:126]
	buffer_store_dword v2, off, s[0:3], 0 offset:164
	buffer_store_dword v1, off, s[0:3], 0 offset:160
	;; [unrolled: 1-line block ×4, first 2 shown]
.LBB121_379:
	s_or_b32 exec_lo, exec_lo, s6
	v_mov_b32_e32 v4, s57
	v_cmp_lt_u32_e64 s5, 9, v0
	s_clause 0x3
	buffer_load_dword v1, v4, s[0:3], 0 offen
	buffer_load_dword v2, v4, s[0:3], 0 offen offset:4
	buffer_load_dword v3, v4, s[0:3], 0 offen offset:8
	;; [unrolled: 1-line block ×3, first 2 shown]
	s_waitcnt vmcnt(0)
	ds_write_b128 v122, v[1:4]
	s_waitcnt lgkmcnt(0)
	s_waitcnt_vscnt null, 0x0
	s_barrier
	buffer_gl0_inv
	s_and_saveexec_b32 s6, s5
	s_cbranch_execz .LBB121_387
; %bb.380:
	ds_read_b128 v[1:4], v122
	s_andn2_b32 vcc_lo, exec_lo, s66
	s_cbranch_vccnz .LBB121_382
; %bb.381:
	s_clause 0x3
	buffer_load_dword v123, v121, s[0:3], 0 offen offset:8
	buffer_load_dword v124, v121, s[0:3], 0 offen offset:12
	buffer_load_dword v125, v121, s[0:3], 0 offen
	buffer_load_dword v126, v121, s[0:3], 0 offen offset:4
	s_waitcnt vmcnt(2) lgkmcnt(0)
	v_mul_f64 v[128:129], v[3:4], v[123:124]
	v_mul_f64 v[123:124], v[1:2], v[123:124]
	s_waitcnt vmcnt(0)
	v_fma_f64 v[1:2], v[1:2], v[125:126], -v[128:129]
	v_fma_f64 v[3:4], v[3:4], v[125:126], v[123:124]
.LBB121_382:
	s_and_saveexec_b32 s8, s4
	s_cbranch_execz .LBB121_386
; %bb.383:
	v_add_nc_u32_e32 v123, -10, v0
	s_movk_i32 s67, 0x440
	s_mov_b32 s4, 0
	s_mov_b32 s68, s56
	.p2align	6
.LBB121_384:                            ; =>This Inner Loop Header: Depth=1
	v_mov_b32_e32 v126, s68
	v_add_nc_u32_e32 v123, -1, v123
	s_add_i32 s68, s68, 16
	s_clause 0x3
	buffer_load_dword v124, v126, s[0:3], 0 offen offset:8
	buffer_load_dword v125, v126, s[0:3], 0 offen offset:12
	buffer_load_dword v132, v126, s[0:3], 0 offen
	buffer_load_dword v133, v126, s[0:3], 0 offen offset:4
	v_mov_b32_e32 v126, s67
	v_cmp_eq_u32_e32 vcc_lo, 0, v123
	s_add_i32 s67, s67, 16
	ds_read_b128 v[128:131], v126
	s_or_b32 s4, vcc_lo, s4
	s_waitcnt vmcnt(2) lgkmcnt(0)
	v_mul_f64 v[134:135], v[130:131], v[124:125]
	v_mul_f64 v[124:125], v[128:129], v[124:125]
	s_waitcnt vmcnt(0)
	v_fma_f64 v[128:129], v[128:129], v[132:133], -v[134:135]
	v_fma_f64 v[124:125], v[130:131], v[132:133], v[124:125]
	v_add_f64 v[1:2], v[1:2], v[128:129]
	v_add_f64 v[3:4], v[3:4], v[124:125]
	s_andn2_b32 exec_lo, exec_lo, s4
	s_cbranch_execnz .LBB121_384
; %bb.385:
	s_or_b32 exec_lo, exec_lo, s4
.LBB121_386:
	s_or_b32 exec_lo, exec_lo, s8
	v_mov_b32_e32 v123, 0
	ds_read_b128 v[123:126], v123 offset:144
	s_waitcnt lgkmcnt(0)
	v_mul_f64 v[128:129], v[3:4], v[125:126]
	v_mul_f64 v[125:126], v[1:2], v[125:126]
	v_fma_f64 v[1:2], v[1:2], v[123:124], -v[128:129]
	v_fma_f64 v[3:4], v[3:4], v[123:124], v[125:126]
	buffer_store_dword v2, off, s[0:3], 0 offset:148
	buffer_store_dword v1, off, s[0:3], 0 offset:144
	;; [unrolled: 1-line block ×4, first 2 shown]
.LBB121_387:
	s_or_b32 exec_lo, exec_lo, s6
	v_mov_b32_e32 v4, s58
	v_cmp_lt_u32_e64 s4, 8, v0
	s_clause 0x3
	buffer_load_dword v1, v4, s[0:3], 0 offen
	buffer_load_dword v2, v4, s[0:3], 0 offen offset:4
	buffer_load_dword v3, v4, s[0:3], 0 offen offset:8
	;; [unrolled: 1-line block ×3, first 2 shown]
	s_waitcnt vmcnt(0)
	ds_write_b128 v122, v[1:4]
	s_waitcnt lgkmcnt(0)
	s_waitcnt_vscnt null, 0x0
	s_barrier
	buffer_gl0_inv
	s_and_saveexec_b32 s6, s4
	s_cbranch_execz .LBB121_395
; %bb.388:
	ds_read_b128 v[1:4], v122
	s_andn2_b32 vcc_lo, exec_lo, s66
	s_cbranch_vccnz .LBB121_390
; %bb.389:
	s_clause 0x3
	buffer_load_dword v123, v121, s[0:3], 0 offen offset:8
	buffer_load_dword v124, v121, s[0:3], 0 offen offset:12
	buffer_load_dword v125, v121, s[0:3], 0 offen
	buffer_load_dword v126, v121, s[0:3], 0 offen offset:4
	s_waitcnt vmcnt(2) lgkmcnt(0)
	v_mul_f64 v[128:129], v[3:4], v[123:124]
	v_mul_f64 v[123:124], v[1:2], v[123:124]
	s_waitcnt vmcnt(0)
	v_fma_f64 v[1:2], v[1:2], v[125:126], -v[128:129]
	v_fma_f64 v[3:4], v[3:4], v[125:126], v[123:124]
.LBB121_390:
	s_and_saveexec_b32 s8, s5
	s_cbranch_execz .LBB121_394
; %bb.391:
	v_add_nc_u32_e32 v123, -9, v0
	s_movk_i32 s67, 0x430
	s_mov_b32 s5, 0
	s_mov_b32 s68, s57
	.p2align	6
.LBB121_392:                            ; =>This Inner Loop Header: Depth=1
	v_mov_b32_e32 v126, s68
	v_add_nc_u32_e32 v123, -1, v123
	s_add_i32 s68, s68, 16
	s_clause 0x3
	buffer_load_dword v124, v126, s[0:3], 0 offen offset:8
	buffer_load_dword v125, v126, s[0:3], 0 offen offset:12
	buffer_load_dword v132, v126, s[0:3], 0 offen
	buffer_load_dword v133, v126, s[0:3], 0 offen offset:4
	v_mov_b32_e32 v126, s67
	v_cmp_eq_u32_e32 vcc_lo, 0, v123
	s_add_i32 s67, s67, 16
	ds_read_b128 v[128:131], v126
	s_or_b32 s5, vcc_lo, s5
	s_waitcnt vmcnt(2) lgkmcnt(0)
	v_mul_f64 v[134:135], v[130:131], v[124:125]
	v_mul_f64 v[124:125], v[128:129], v[124:125]
	s_waitcnt vmcnt(0)
	v_fma_f64 v[128:129], v[128:129], v[132:133], -v[134:135]
	v_fma_f64 v[124:125], v[130:131], v[132:133], v[124:125]
	v_add_f64 v[1:2], v[1:2], v[128:129]
	v_add_f64 v[3:4], v[3:4], v[124:125]
	s_andn2_b32 exec_lo, exec_lo, s5
	s_cbranch_execnz .LBB121_392
; %bb.393:
	s_or_b32 exec_lo, exec_lo, s5
.LBB121_394:
	s_or_b32 exec_lo, exec_lo, s8
	v_mov_b32_e32 v123, 0
	ds_read_b128 v[123:126], v123 offset:128
	s_waitcnt lgkmcnt(0)
	v_mul_f64 v[128:129], v[3:4], v[125:126]
	v_mul_f64 v[125:126], v[1:2], v[125:126]
	v_fma_f64 v[1:2], v[1:2], v[123:124], -v[128:129]
	v_fma_f64 v[3:4], v[3:4], v[123:124], v[125:126]
	buffer_store_dword v2, off, s[0:3], 0 offset:132
	buffer_store_dword v1, off, s[0:3], 0 offset:128
	;; [unrolled: 1-line block ×4, first 2 shown]
.LBB121_395:
	s_or_b32 exec_lo, exec_lo, s6
	v_mov_b32_e32 v4, s59
	v_cmp_lt_u32_e64 s5, 7, v0
	s_clause 0x3
	buffer_load_dword v1, v4, s[0:3], 0 offen
	buffer_load_dword v2, v4, s[0:3], 0 offen offset:4
	buffer_load_dword v3, v4, s[0:3], 0 offen offset:8
	;; [unrolled: 1-line block ×3, first 2 shown]
	s_waitcnt vmcnt(0)
	ds_write_b128 v122, v[1:4]
	s_waitcnt lgkmcnt(0)
	s_waitcnt_vscnt null, 0x0
	s_barrier
	buffer_gl0_inv
	s_and_saveexec_b32 s6, s5
	s_cbranch_execz .LBB121_403
; %bb.396:
	ds_read_b128 v[1:4], v122
	s_andn2_b32 vcc_lo, exec_lo, s66
	s_cbranch_vccnz .LBB121_398
; %bb.397:
	s_clause 0x3
	buffer_load_dword v123, v121, s[0:3], 0 offen offset:8
	buffer_load_dword v124, v121, s[0:3], 0 offen offset:12
	buffer_load_dword v125, v121, s[0:3], 0 offen
	buffer_load_dword v126, v121, s[0:3], 0 offen offset:4
	s_waitcnt vmcnt(2) lgkmcnt(0)
	v_mul_f64 v[128:129], v[3:4], v[123:124]
	v_mul_f64 v[123:124], v[1:2], v[123:124]
	s_waitcnt vmcnt(0)
	v_fma_f64 v[1:2], v[1:2], v[125:126], -v[128:129]
	v_fma_f64 v[3:4], v[3:4], v[125:126], v[123:124]
.LBB121_398:
	s_and_saveexec_b32 s8, s4
	s_cbranch_execz .LBB121_402
; %bb.399:
	v_add_nc_u32_e32 v123, -8, v0
	s_movk_i32 s67, 0x420
	s_mov_b32 s4, 0
	s_mov_b32 s68, s58
	.p2align	6
.LBB121_400:                            ; =>This Inner Loop Header: Depth=1
	v_mov_b32_e32 v126, s68
	v_add_nc_u32_e32 v123, -1, v123
	s_add_i32 s68, s68, 16
	s_clause 0x3
	buffer_load_dword v124, v126, s[0:3], 0 offen offset:8
	buffer_load_dword v125, v126, s[0:3], 0 offen offset:12
	buffer_load_dword v132, v126, s[0:3], 0 offen
	buffer_load_dword v133, v126, s[0:3], 0 offen offset:4
	v_mov_b32_e32 v126, s67
	v_cmp_eq_u32_e32 vcc_lo, 0, v123
	s_add_i32 s67, s67, 16
	ds_read_b128 v[128:131], v126
	s_or_b32 s4, vcc_lo, s4
	s_waitcnt vmcnt(2) lgkmcnt(0)
	v_mul_f64 v[134:135], v[130:131], v[124:125]
	v_mul_f64 v[124:125], v[128:129], v[124:125]
	s_waitcnt vmcnt(0)
	v_fma_f64 v[128:129], v[128:129], v[132:133], -v[134:135]
	v_fma_f64 v[124:125], v[130:131], v[132:133], v[124:125]
	v_add_f64 v[1:2], v[1:2], v[128:129]
	v_add_f64 v[3:4], v[3:4], v[124:125]
	s_andn2_b32 exec_lo, exec_lo, s4
	s_cbranch_execnz .LBB121_400
; %bb.401:
	s_or_b32 exec_lo, exec_lo, s4
.LBB121_402:
	s_or_b32 exec_lo, exec_lo, s8
	v_mov_b32_e32 v123, 0
	ds_read_b128 v[123:126], v123 offset:112
	s_waitcnt lgkmcnt(0)
	v_mul_f64 v[128:129], v[3:4], v[125:126]
	v_mul_f64 v[125:126], v[1:2], v[125:126]
	v_fma_f64 v[1:2], v[1:2], v[123:124], -v[128:129]
	v_fma_f64 v[3:4], v[3:4], v[123:124], v[125:126]
	buffer_store_dword v2, off, s[0:3], 0 offset:116
	buffer_store_dword v1, off, s[0:3], 0 offset:112
	;; [unrolled: 1-line block ×4, first 2 shown]
.LBB121_403:
	s_or_b32 exec_lo, exec_lo, s6
	v_mov_b32_e32 v4, s60
	v_cmp_lt_u32_e64 s4, 6, v0
	s_clause 0x3
	buffer_load_dword v1, v4, s[0:3], 0 offen
	buffer_load_dword v2, v4, s[0:3], 0 offen offset:4
	buffer_load_dword v3, v4, s[0:3], 0 offen offset:8
	;; [unrolled: 1-line block ×3, first 2 shown]
	s_waitcnt vmcnt(0)
	ds_write_b128 v122, v[1:4]
	s_waitcnt lgkmcnt(0)
	s_waitcnt_vscnt null, 0x0
	s_barrier
	buffer_gl0_inv
	s_and_saveexec_b32 s6, s4
	s_cbranch_execz .LBB121_411
; %bb.404:
	ds_read_b128 v[1:4], v122
	s_andn2_b32 vcc_lo, exec_lo, s66
	s_cbranch_vccnz .LBB121_406
; %bb.405:
	s_clause 0x3
	buffer_load_dword v123, v121, s[0:3], 0 offen offset:8
	buffer_load_dword v124, v121, s[0:3], 0 offen offset:12
	buffer_load_dword v125, v121, s[0:3], 0 offen
	buffer_load_dword v126, v121, s[0:3], 0 offen offset:4
	s_waitcnt vmcnt(2) lgkmcnt(0)
	v_mul_f64 v[128:129], v[3:4], v[123:124]
	v_mul_f64 v[123:124], v[1:2], v[123:124]
	s_waitcnt vmcnt(0)
	v_fma_f64 v[1:2], v[1:2], v[125:126], -v[128:129]
	v_fma_f64 v[3:4], v[3:4], v[125:126], v[123:124]
.LBB121_406:
	s_and_saveexec_b32 s8, s5
	s_cbranch_execz .LBB121_410
; %bb.407:
	v_add_nc_u32_e32 v123, -7, v0
	s_movk_i32 s67, 0x410
	s_mov_b32 s5, 0
	s_mov_b32 s68, s59
	.p2align	6
.LBB121_408:                            ; =>This Inner Loop Header: Depth=1
	v_mov_b32_e32 v126, s68
	v_add_nc_u32_e32 v123, -1, v123
	s_add_i32 s68, s68, 16
	s_clause 0x3
	buffer_load_dword v124, v126, s[0:3], 0 offen offset:8
	buffer_load_dword v125, v126, s[0:3], 0 offen offset:12
	buffer_load_dword v132, v126, s[0:3], 0 offen
	buffer_load_dword v133, v126, s[0:3], 0 offen offset:4
	v_mov_b32_e32 v126, s67
	v_cmp_eq_u32_e32 vcc_lo, 0, v123
	s_add_i32 s67, s67, 16
	ds_read_b128 v[128:131], v126
	s_or_b32 s5, vcc_lo, s5
	s_waitcnt vmcnt(2) lgkmcnt(0)
	v_mul_f64 v[134:135], v[130:131], v[124:125]
	v_mul_f64 v[124:125], v[128:129], v[124:125]
	s_waitcnt vmcnt(0)
	v_fma_f64 v[128:129], v[128:129], v[132:133], -v[134:135]
	v_fma_f64 v[124:125], v[130:131], v[132:133], v[124:125]
	v_add_f64 v[1:2], v[1:2], v[128:129]
	v_add_f64 v[3:4], v[3:4], v[124:125]
	s_andn2_b32 exec_lo, exec_lo, s5
	s_cbranch_execnz .LBB121_408
; %bb.409:
	s_or_b32 exec_lo, exec_lo, s5
.LBB121_410:
	s_or_b32 exec_lo, exec_lo, s8
	v_mov_b32_e32 v123, 0
	ds_read_b128 v[123:126], v123 offset:96
	s_waitcnt lgkmcnt(0)
	v_mul_f64 v[128:129], v[3:4], v[125:126]
	v_mul_f64 v[125:126], v[1:2], v[125:126]
	v_fma_f64 v[1:2], v[1:2], v[123:124], -v[128:129]
	v_fma_f64 v[3:4], v[3:4], v[123:124], v[125:126]
	buffer_store_dword v2, off, s[0:3], 0 offset:100
	buffer_store_dword v1, off, s[0:3], 0 offset:96
	;; [unrolled: 1-line block ×4, first 2 shown]
.LBB121_411:
	s_or_b32 exec_lo, exec_lo, s6
	v_mov_b32_e32 v4, s61
	v_cmp_lt_u32_e64 s5, 5, v0
	s_clause 0x3
	buffer_load_dword v1, v4, s[0:3], 0 offen
	buffer_load_dword v2, v4, s[0:3], 0 offen offset:4
	buffer_load_dword v3, v4, s[0:3], 0 offen offset:8
	;; [unrolled: 1-line block ×3, first 2 shown]
	s_waitcnt vmcnt(0)
	ds_write_b128 v122, v[1:4]
	s_waitcnt lgkmcnt(0)
	s_waitcnt_vscnt null, 0x0
	s_barrier
	buffer_gl0_inv
	s_and_saveexec_b32 s6, s5
	s_cbranch_execz .LBB121_419
; %bb.412:
	ds_read_b128 v[1:4], v122
	s_andn2_b32 vcc_lo, exec_lo, s66
	s_cbranch_vccnz .LBB121_414
; %bb.413:
	s_clause 0x3
	buffer_load_dword v123, v121, s[0:3], 0 offen offset:8
	buffer_load_dword v124, v121, s[0:3], 0 offen offset:12
	buffer_load_dword v125, v121, s[0:3], 0 offen
	buffer_load_dword v126, v121, s[0:3], 0 offen offset:4
	s_waitcnt vmcnt(2) lgkmcnt(0)
	v_mul_f64 v[128:129], v[3:4], v[123:124]
	v_mul_f64 v[123:124], v[1:2], v[123:124]
	s_waitcnt vmcnt(0)
	v_fma_f64 v[1:2], v[1:2], v[125:126], -v[128:129]
	v_fma_f64 v[3:4], v[3:4], v[125:126], v[123:124]
.LBB121_414:
	s_and_saveexec_b32 s8, s4
	s_cbranch_execz .LBB121_418
; %bb.415:
	v_add_nc_u32_e32 v123, -6, v0
	s_movk_i32 s67, 0x400
	s_mov_b32 s4, 0
	s_mov_b32 s68, s60
	.p2align	6
.LBB121_416:                            ; =>This Inner Loop Header: Depth=1
	v_mov_b32_e32 v126, s68
	v_add_nc_u32_e32 v123, -1, v123
	s_add_i32 s68, s68, 16
	s_clause 0x3
	buffer_load_dword v124, v126, s[0:3], 0 offen offset:8
	buffer_load_dword v125, v126, s[0:3], 0 offen offset:12
	buffer_load_dword v132, v126, s[0:3], 0 offen
	buffer_load_dword v133, v126, s[0:3], 0 offen offset:4
	v_mov_b32_e32 v126, s67
	v_cmp_eq_u32_e32 vcc_lo, 0, v123
	s_add_i32 s67, s67, 16
	ds_read_b128 v[128:131], v126
	s_or_b32 s4, vcc_lo, s4
	s_waitcnt vmcnt(2) lgkmcnt(0)
	v_mul_f64 v[134:135], v[130:131], v[124:125]
	v_mul_f64 v[124:125], v[128:129], v[124:125]
	s_waitcnt vmcnt(0)
	v_fma_f64 v[128:129], v[128:129], v[132:133], -v[134:135]
	v_fma_f64 v[124:125], v[130:131], v[132:133], v[124:125]
	v_add_f64 v[1:2], v[1:2], v[128:129]
	v_add_f64 v[3:4], v[3:4], v[124:125]
	s_andn2_b32 exec_lo, exec_lo, s4
	s_cbranch_execnz .LBB121_416
; %bb.417:
	s_or_b32 exec_lo, exec_lo, s4
.LBB121_418:
	s_or_b32 exec_lo, exec_lo, s8
	v_mov_b32_e32 v123, 0
	ds_read_b128 v[123:126], v123 offset:80
	s_waitcnt lgkmcnt(0)
	v_mul_f64 v[128:129], v[3:4], v[125:126]
	v_mul_f64 v[125:126], v[1:2], v[125:126]
	v_fma_f64 v[1:2], v[1:2], v[123:124], -v[128:129]
	v_fma_f64 v[3:4], v[3:4], v[123:124], v[125:126]
	buffer_store_dword v2, off, s[0:3], 0 offset:84
	buffer_store_dword v1, off, s[0:3], 0 offset:80
	;; [unrolled: 1-line block ×4, first 2 shown]
.LBB121_419:
	s_or_b32 exec_lo, exec_lo, s6
	v_mov_b32_e32 v4, s62
	v_cmp_lt_u32_e64 s4, 4, v0
	s_clause 0x3
	buffer_load_dword v1, v4, s[0:3], 0 offen
	buffer_load_dword v2, v4, s[0:3], 0 offen offset:4
	buffer_load_dword v3, v4, s[0:3], 0 offen offset:8
	;; [unrolled: 1-line block ×3, first 2 shown]
	s_waitcnt vmcnt(0)
	ds_write_b128 v122, v[1:4]
	s_waitcnt lgkmcnt(0)
	s_waitcnt_vscnt null, 0x0
	s_barrier
	buffer_gl0_inv
	s_and_saveexec_b32 s6, s4
	s_cbranch_execz .LBB121_427
; %bb.420:
	ds_read_b128 v[1:4], v122
	s_andn2_b32 vcc_lo, exec_lo, s66
	s_cbranch_vccnz .LBB121_422
; %bb.421:
	s_clause 0x3
	buffer_load_dword v123, v121, s[0:3], 0 offen offset:8
	buffer_load_dword v124, v121, s[0:3], 0 offen offset:12
	buffer_load_dword v125, v121, s[0:3], 0 offen
	buffer_load_dword v126, v121, s[0:3], 0 offen offset:4
	s_waitcnt vmcnt(2) lgkmcnt(0)
	v_mul_f64 v[128:129], v[3:4], v[123:124]
	v_mul_f64 v[123:124], v[1:2], v[123:124]
	s_waitcnt vmcnt(0)
	v_fma_f64 v[1:2], v[1:2], v[125:126], -v[128:129]
	v_fma_f64 v[3:4], v[3:4], v[125:126], v[123:124]
.LBB121_422:
	s_and_saveexec_b32 s8, s5
	s_cbranch_execz .LBB121_426
; %bb.423:
	v_add_nc_u32_e32 v123, -5, v0
	s_movk_i32 s67, 0x3f0
	s_mov_b32 s5, 0
	s_mov_b32 s68, s61
	.p2align	6
.LBB121_424:                            ; =>This Inner Loop Header: Depth=1
	v_mov_b32_e32 v126, s68
	v_add_nc_u32_e32 v123, -1, v123
	s_add_i32 s68, s68, 16
	s_clause 0x3
	buffer_load_dword v124, v126, s[0:3], 0 offen offset:8
	buffer_load_dword v125, v126, s[0:3], 0 offen offset:12
	buffer_load_dword v132, v126, s[0:3], 0 offen
	buffer_load_dword v133, v126, s[0:3], 0 offen offset:4
	v_mov_b32_e32 v126, s67
	v_cmp_eq_u32_e32 vcc_lo, 0, v123
	s_add_i32 s67, s67, 16
	ds_read_b128 v[128:131], v126
	s_or_b32 s5, vcc_lo, s5
	s_waitcnt vmcnt(2) lgkmcnt(0)
	v_mul_f64 v[134:135], v[130:131], v[124:125]
	v_mul_f64 v[124:125], v[128:129], v[124:125]
	s_waitcnt vmcnt(0)
	v_fma_f64 v[128:129], v[128:129], v[132:133], -v[134:135]
	v_fma_f64 v[124:125], v[130:131], v[132:133], v[124:125]
	v_add_f64 v[1:2], v[1:2], v[128:129]
	v_add_f64 v[3:4], v[3:4], v[124:125]
	s_andn2_b32 exec_lo, exec_lo, s5
	s_cbranch_execnz .LBB121_424
; %bb.425:
	s_or_b32 exec_lo, exec_lo, s5
.LBB121_426:
	s_or_b32 exec_lo, exec_lo, s8
	v_mov_b32_e32 v123, 0
	ds_read_b128 v[123:126], v123 offset:64
	s_waitcnt lgkmcnt(0)
	v_mul_f64 v[128:129], v[3:4], v[125:126]
	v_mul_f64 v[125:126], v[1:2], v[125:126]
	v_fma_f64 v[1:2], v[1:2], v[123:124], -v[128:129]
	v_fma_f64 v[3:4], v[3:4], v[123:124], v[125:126]
	buffer_store_dword v2, off, s[0:3], 0 offset:68
	buffer_store_dword v1, off, s[0:3], 0 offset:64
	;; [unrolled: 1-line block ×4, first 2 shown]
.LBB121_427:
	s_or_b32 exec_lo, exec_lo, s6
	v_mov_b32_e32 v4, s63
	v_cmp_lt_u32_e64 s5, 3, v0
	s_clause 0x3
	buffer_load_dword v1, v4, s[0:3], 0 offen
	buffer_load_dword v2, v4, s[0:3], 0 offen offset:4
	buffer_load_dword v3, v4, s[0:3], 0 offen offset:8
	;; [unrolled: 1-line block ×3, first 2 shown]
	s_waitcnt vmcnt(0)
	ds_write_b128 v122, v[1:4]
	s_waitcnt lgkmcnt(0)
	s_waitcnt_vscnt null, 0x0
	s_barrier
	buffer_gl0_inv
	s_and_saveexec_b32 s6, s5
	s_cbranch_execz .LBB121_435
; %bb.428:
	ds_read_b128 v[1:4], v122
	s_andn2_b32 vcc_lo, exec_lo, s66
	s_cbranch_vccnz .LBB121_430
; %bb.429:
	s_clause 0x3
	buffer_load_dword v123, v121, s[0:3], 0 offen offset:8
	buffer_load_dword v124, v121, s[0:3], 0 offen offset:12
	buffer_load_dword v125, v121, s[0:3], 0 offen
	buffer_load_dword v126, v121, s[0:3], 0 offen offset:4
	s_waitcnt vmcnt(2) lgkmcnt(0)
	v_mul_f64 v[128:129], v[3:4], v[123:124]
	v_mul_f64 v[123:124], v[1:2], v[123:124]
	s_waitcnt vmcnt(0)
	v_fma_f64 v[1:2], v[1:2], v[125:126], -v[128:129]
	v_fma_f64 v[3:4], v[3:4], v[125:126], v[123:124]
.LBB121_430:
	s_and_saveexec_b32 s8, s4
	s_cbranch_execz .LBB121_434
; %bb.431:
	v_add_nc_u32_e32 v123, -4, v0
	s_movk_i32 s67, 0x3e0
	s_mov_b32 s4, 0
	s_mov_b32 s68, s62
	.p2align	6
.LBB121_432:                            ; =>This Inner Loop Header: Depth=1
	v_mov_b32_e32 v126, s68
	v_add_nc_u32_e32 v123, -1, v123
	s_add_i32 s68, s68, 16
	s_clause 0x3
	buffer_load_dword v124, v126, s[0:3], 0 offen offset:8
	buffer_load_dword v125, v126, s[0:3], 0 offen offset:12
	buffer_load_dword v132, v126, s[0:3], 0 offen
	buffer_load_dword v133, v126, s[0:3], 0 offen offset:4
	v_mov_b32_e32 v126, s67
	v_cmp_eq_u32_e32 vcc_lo, 0, v123
	s_add_i32 s67, s67, 16
	ds_read_b128 v[128:131], v126
	s_or_b32 s4, vcc_lo, s4
	s_waitcnt vmcnt(2) lgkmcnt(0)
	v_mul_f64 v[134:135], v[130:131], v[124:125]
	v_mul_f64 v[124:125], v[128:129], v[124:125]
	s_waitcnt vmcnt(0)
	v_fma_f64 v[128:129], v[128:129], v[132:133], -v[134:135]
	v_fma_f64 v[124:125], v[130:131], v[132:133], v[124:125]
	v_add_f64 v[1:2], v[1:2], v[128:129]
	v_add_f64 v[3:4], v[3:4], v[124:125]
	s_andn2_b32 exec_lo, exec_lo, s4
	s_cbranch_execnz .LBB121_432
; %bb.433:
	s_or_b32 exec_lo, exec_lo, s4
.LBB121_434:
	s_or_b32 exec_lo, exec_lo, s8
	v_mov_b32_e32 v123, 0
	ds_read_b128 v[123:126], v123 offset:48
	s_waitcnt lgkmcnt(0)
	v_mul_f64 v[128:129], v[3:4], v[125:126]
	v_mul_f64 v[125:126], v[1:2], v[125:126]
	v_fma_f64 v[1:2], v[1:2], v[123:124], -v[128:129]
	v_fma_f64 v[3:4], v[3:4], v[123:124], v[125:126]
	buffer_store_dword v2, off, s[0:3], 0 offset:52
	buffer_store_dword v1, off, s[0:3], 0 offset:48
	;; [unrolled: 1-line block ×4, first 2 shown]
.LBB121_435:
	s_or_b32 exec_lo, exec_lo, s6
	v_mov_b32_e32 v4, s64
	v_cmp_lt_u32_e64 s6, 2, v0
	s_clause 0x3
	buffer_load_dword v1, v4, s[0:3], 0 offen
	buffer_load_dword v2, v4, s[0:3], 0 offen offset:4
	buffer_load_dword v3, v4, s[0:3], 0 offen offset:8
	;; [unrolled: 1-line block ×3, first 2 shown]
	s_waitcnt vmcnt(0)
	ds_write_b128 v122, v[1:4]
	s_waitcnt lgkmcnt(0)
	s_waitcnt_vscnt null, 0x0
	s_barrier
	buffer_gl0_inv
	s_and_saveexec_b32 s4, s6
	s_cbranch_execz .LBB121_443
; %bb.436:
	ds_read_b128 v[1:4], v122
	s_andn2_b32 vcc_lo, exec_lo, s66
	s_cbranch_vccnz .LBB121_438
; %bb.437:
	s_clause 0x3
	buffer_load_dword v123, v121, s[0:3], 0 offen offset:8
	buffer_load_dword v124, v121, s[0:3], 0 offen offset:12
	buffer_load_dword v125, v121, s[0:3], 0 offen
	buffer_load_dword v126, v121, s[0:3], 0 offen offset:4
	s_waitcnt vmcnt(2) lgkmcnt(0)
	v_mul_f64 v[128:129], v[3:4], v[123:124]
	v_mul_f64 v[123:124], v[1:2], v[123:124]
	s_waitcnt vmcnt(0)
	v_fma_f64 v[1:2], v[1:2], v[125:126], -v[128:129]
	v_fma_f64 v[3:4], v[3:4], v[125:126], v[123:124]
.LBB121_438:
	s_and_saveexec_b32 s8, s5
	s_cbranch_execz .LBB121_442
; %bb.439:
	v_add_nc_u32_e32 v123, -3, v0
	s_movk_i32 s67, 0x3d0
	s_mov_b32 s5, 0
	s_mov_b32 s68, s63
	.p2align	6
.LBB121_440:                            ; =>This Inner Loop Header: Depth=1
	v_mov_b32_e32 v126, s68
	v_add_nc_u32_e32 v123, -1, v123
	s_add_i32 s68, s68, 16
	s_clause 0x3
	buffer_load_dword v124, v126, s[0:3], 0 offen offset:8
	buffer_load_dword v125, v126, s[0:3], 0 offen offset:12
	buffer_load_dword v132, v126, s[0:3], 0 offen
	buffer_load_dword v133, v126, s[0:3], 0 offen offset:4
	v_mov_b32_e32 v126, s67
	v_cmp_eq_u32_e32 vcc_lo, 0, v123
	s_add_i32 s67, s67, 16
	ds_read_b128 v[128:131], v126
	s_or_b32 s5, vcc_lo, s5
	s_waitcnt vmcnt(2) lgkmcnt(0)
	v_mul_f64 v[134:135], v[130:131], v[124:125]
	v_mul_f64 v[124:125], v[128:129], v[124:125]
	s_waitcnt vmcnt(0)
	v_fma_f64 v[128:129], v[128:129], v[132:133], -v[134:135]
	v_fma_f64 v[124:125], v[130:131], v[132:133], v[124:125]
	v_add_f64 v[1:2], v[1:2], v[128:129]
	v_add_f64 v[3:4], v[3:4], v[124:125]
	s_andn2_b32 exec_lo, exec_lo, s5
	s_cbranch_execnz .LBB121_440
; %bb.441:
	s_or_b32 exec_lo, exec_lo, s5
.LBB121_442:
	s_or_b32 exec_lo, exec_lo, s8
	v_mov_b32_e32 v123, 0
	ds_read_b128 v[123:126], v123 offset:32
	s_waitcnt lgkmcnt(0)
	v_mul_f64 v[128:129], v[3:4], v[125:126]
	v_mul_f64 v[125:126], v[1:2], v[125:126]
	v_fma_f64 v[1:2], v[1:2], v[123:124], -v[128:129]
	v_fma_f64 v[3:4], v[3:4], v[123:124], v[125:126]
	buffer_store_dword v2, off, s[0:3], 0 offset:36
	buffer_store_dword v1, off, s[0:3], 0 offset:32
	;; [unrolled: 1-line block ×4, first 2 shown]
.LBB121_443:
	s_or_b32 exec_lo, exec_lo, s4
	v_mov_b32_e32 v4, s65
	v_cmp_lt_u32_e64 s4, 1, v0
	s_clause 0x3
	buffer_load_dword v1, v4, s[0:3], 0 offen
	buffer_load_dword v2, v4, s[0:3], 0 offen offset:4
	buffer_load_dword v3, v4, s[0:3], 0 offen offset:8
	;; [unrolled: 1-line block ×3, first 2 shown]
	s_waitcnt vmcnt(0)
	ds_write_b128 v122, v[1:4]
	s_waitcnt lgkmcnt(0)
	s_waitcnt_vscnt null, 0x0
	s_barrier
	buffer_gl0_inv
	s_and_saveexec_b32 s5, s4
	s_cbranch_execz .LBB121_451
; %bb.444:
	ds_read_b128 v[1:4], v122
	s_andn2_b32 vcc_lo, exec_lo, s66
	s_cbranch_vccnz .LBB121_446
; %bb.445:
	s_clause 0x3
	buffer_load_dword v123, v121, s[0:3], 0 offen offset:8
	buffer_load_dword v124, v121, s[0:3], 0 offen offset:12
	buffer_load_dword v125, v121, s[0:3], 0 offen
	buffer_load_dword v126, v121, s[0:3], 0 offen offset:4
	s_waitcnt vmcnt(2) lgkmcnt(0)
	v_mul_f64 v[128:129], v[3:4], v[123:124]
	v_mul_f64 v[123:124], v[1:2], v[123:124]
	s_waitcnt vmcnt(0)
	v_fma_f64 v[1:2], v[1:2], v[125:126], -v[128:129]
	v_fma_f64 v[3:4], v[3:4], v[125:126], v[123:124]
.LBB121_446:
	s_and_saveexec_b32 s8, s6
	s_cbranch_execz .LBB121_450
; %bb.447:
	v_add_nc_u32_e32 v123, -2, v0
	s_movk_i32 s67, 0x3c0
	s_mov_b32 s6, 0
	s_mov_b32 s68, s64
	.p2align	6
.LBB121_448:                            ; =>This Inner Loop Header: Depth=1
	v_mov_b32_e32 v126, s68
	v_add_nc_u32_e32 v123, -1, v123
	s_add_i32 s68, s68, 16
	s_clause 0x3
	buffer_load_dword v124, v126, s[0:3], 0 offen offset:8
	buffer_load_dword v125, v126, s[0:3], 0 offen offset:12
	buffer_load_dword v132, v126, s[0:3], 0 offen
	buffer_load_dword v133, v126, s[0:3], 0 offen offset:4
	v_mov_b32_e32 v126, s67
	v_cmp_eq_u32_e32 vcc_lo, 0, v123
	s_add_i32 s67, s67, 16
	ds_read_b128 v[128:131], v126
	s_or_b32 s6, vcc_lo, s6
	s_waitcnt vmcnt(2) lgkmcnt(0)
	v_mul_f64 v[134:135], v[130:131], v[124:125]
	v_mul_f64 v[124:125], v[128:129], v[124:125]
	s_waitcnt vmcnt(0)
	v_fma_f64 v[128:129], v[128:129], v[132:133], -v[134:135]
	v_fma_f64 v[124:125], v[130:131], v[132:133], v[124:125]
	v_add_f64 v[1:2], v[1:2], v[128:129]
	v_add_f64 v[3:4], v[3:4], v[124:125]
	s_andn2_b32 exec_lo, exec_lo, s6
	s_cbranch_execnz .LBB121_448
; %bb.449:
	s_or_b32 exec_lo, exec_lo, s6
.LBB121_450:
	s_or_b32 exec_lo, exec_lo, s8
	v_mov_b32_e32 v123, 0
	ds_read_b128 v[123:126], v123 offset:16
	s_waitcnt lgkmcnt(0)
	v_mul_f64 v[128:129], v[3:4], v[125:126]
	v_mul_f64 v[125:126], v[1:2], v[125:126]
	v_fma_f64 v[1:2], v[1:2], v[123:124], -v[128:129]
	v_fma_f64 v[3:4], v[3:4], v[123:124], v[125:126]
	buffer_store_dword v2, off, s[0:3], 0 offset:20
	buffer_store_dword v1, off, s[0:3], 0 offset:16
	;; [unrolled: 1-line block ×4, first 2 shown]
.LBB121_451:
	s_or_b32 exec_lo, exec_lo, s5
	s_clause 0x3
	buffer_load_dword v1, off, s[0:3], 0
	buffer_load_dword v2, off, s[0:3], 0 offset:4
	buffer_load_dword v3, off, s[0:3], 0 offset:8
	;; [unrolled: 1-line block ×3, first 2 shown]
	s_mov_b32 s6, 0
	s_mov_b32 s5, 0
	s_mov_b32 s8, exec_lo
                                        ; implicit-def: $sgpr67
	s_waitcnt vmcnt(0)
	ds_write_b128 v122, v[1:4]
	s_waitcnt lgkmcnt(0)
	s_waitcnt_vscnt null, 0x0
	s_barrier
	buffer_gl0_inv
                                        ; implicit-def: $vgpr1_vgpr2
	v_cmpx_ne_u32_e32 0, v0
	s_cbranch_execz .LBB121_459
; %bb.452:
	ds_read_b128 v[1:4], v122
	s_andn2_b32 vcc_lo, exec_lo, s66
	s_cbranch_vccnz .LBB121_454
; %bb.453:
	s_clause 0x3
	buffer_load_dword v123, v121, s[0:3], 0 offen offset:8
	buffer_load_dword v124, v121, s[0:3], 0 offen offset:12
	buffer_load_dword v125, v121, s[0:3], 0 offen
	buffer_load_dword v126, v121, s[0:3], 0 offen offset:4
	s_waitcnt vmcnt(2) lgkmcnt(0)
	v_mul_f64 v[128:129], v[3:4], v[123:124]
	v_mul_f64 v[123:124], v[1:2], v[123:124]
	s_waitcnt vmcnt(0)
	v_fma_f64 v[1:2], v[1:2], v[125:126], -v[128:129]
	v_fma_f64 v[3:4], v[3:4], v[125:126], v[123:124]
.LBB121_454:
	s_and_saveexec_b32 s5, s4
	s_cbranch_execz .LBB121_458
; %bb.455:
	v_add_nc_u32_e32 v123, -1, v0
	s_movk_i32 s67, 0x3b0
	s_mov_b32 s4, 0
	s_mov_b32 s68, s65
	.p2align	6
.LBB121_456:                            ; =>This Inner Loop Header: Depth=1
	v_mov_b32_e32 v126, s68
	v_add_nc_u32_e32 v123, -1, v123
	s_add_i32 s68, s68, 16
	s_clause 0x3
	buffer_load_dword v124, v126, s[0:3], 0 offen offset:8
	buffer_load_dword v125, v126, s[0:3], 0 offen offset:12
	buffer_load_dword v132, v126, s[0:3], 0 offen
	buffer_load_dword v133, v126, s[0:3], 0 offen offset:4
	v_mov_b32_e32 v126, s67
	v_cmp_eq_u32_e32 vcc_lo, 0, v123
	s_add_i32 s67, s67, 16
	ds_read_b128 v[128:131], v126
	s_or_b32 s4, vcc_lo, s4
	s_waitcnt vmcnt(2) lgkmcnt(0)
	v_mul_f64 v[134:135], v[130:131], v[124:125]
	v_mul_f64 v[124:125], v[128:129], v[124:125]
	s_waitcnt vmcnt(0)
	v_fma_f64 v[128:129], v[128:129], v[132:133], -v[134:135]
	v_fma_f64 v[124:125], v[130:131], v[132:133], v[124:125]
	v_add_f64 v[1:2], v[1:2], v[128:129]
	v_add_f64 v[3:4], v[3:4], v[124:125]
	s_andn2_b32 exec_lo, exec_lo, s4
	s_cbranch_execnz .LBB121_456
; %bb.457:
	s_or_b32 exec_lo, exec_lo, s4
.LBB121_458:
	s_or_b32 exec_lo, exec_lo, s5
	v_mov_b32_e32 v123, 0
	s_mov_b32 s5, exec_lo
	s_or_b32 s67, 0, 8
	ds_read_b128 v[123:126], v123
	s_waitcnt lgkmcnt(0)
	v_mul_f64 v[128:129], v[3:4], v[125:126]
	v_mul_f64 v[125:126], v[1:2], v[125:126]
	v_fma_f64 v[128:129], v[1:2], v[123:124], -v[128:129]
	v_fma_f64 v[1:2], v[3:4], v[123:124], v[125:126]
	buffer_store_dword v129, off, s[0:3], 0 offset:4
	buffer_store_dword v128, off, s[0:3], 0
.LBB121_459:
	s_or_b32 exec_lo, exec_lo, s8
	s_and_b32 vcc_lo, exec_lo, s6
	s_cbranch_vccnz .LBB121_461
	s_branch .LBB121_912
.LBB121_460:
	s_mov_b32 s5, 0
                                        ; implicit-def: $vgpr1_vgpr2
                                        ; implicit-def: $sgpr67
	s_cbranch_execz .LBB121_912
.LBB121_461:
	v_mov_b32_e32 v4, s65
	v_cmp_eq_u32_e64 s4, 0, v0
	v_cndmask_b32_e64 v123, 0, 1, s66
	s_clause 0x3
	buffer_load_dword v1, v4, s[0:3], 0 offen
	buffer_load_dword v2, v4, s[0:3], 0 offen offset:4
	buffer_load_dword v3, v4, s[0:3], 0 offen offset:8
	;; [unrolled: 1-line block ×3, first 2 shown]
	s_waitcnt vmcnt(0)
	ds_write_b128 v122, v[1:4]
	s_waitcnt lgkmcnt(0)
	s_waitcnt_vscnt null, 0x0
	s_barrier
	buffer_gl0_inv
	s_and_saveexec_b32 s6, s4
	s_cbranch_execz .LBB121_465
; %bb.462:
	ds_read_b128 v[1:4], v122
	s_andn2_b32 vcc_lo, exec_lo, s66
	s_cbranch_vccnz .LBB121_464
; %bb.463:
	s_clause 0x3
	buffer_load_dword v124, v121, s[0:3], 0 offen offset:8
	buffer_load_dword v125, v121, s[0:3], 0 offen offset:12
	buffer_load_dword v128, v121, s[0:3], 0 offen
	buffer_load_dword v129, v121, s[0:3], 0 offen offset:4
	s_waitcnt vmcnt(2) lgkmcnt(0)
	v_mul_f64 v[130:131], v[3:4], v[124:125]
	v_mul_f64 v[124:125], v[1:2], v[124:125]
	s_waitcnt vmcnt(0)
	v_fma_f64 v[1:2], v[1:2], v[128:129], -v[130:131]
	v_fma_f64 v[3:4], v[3:4], v[128:129], v[124:125]
.LBB121_464:
	v_mov_b32_e32 v124, 0
	ds_read_b128 v[128:131], v124 offset:16
	s_waitcnt lgkmcnt(0)
	v_mul_f64 v[124:125], v[3:4], v[130:131]
	v_mul_f64 v[130:131], v[1:2], v[130:131]
	v_fma_f64 v[1:2], v[1:2], v[128:129], -v[124:125]
	v_fma_f64 v[3:4], v[3:4], v[128:129], v[130:131]
	buffer_store_dword v2, off, s[0:3], 0 offset:20
	buffer_store_dword v1, off, s[0:3], 0 offset:16
	;; [unrolled: 1-line block ×4, first 2 shown]
.LBB121_465:
	s_or_b32 exec_lo, exec_lo, s6
	v_mov_b32_e32 v4, s64
	s_mov_b32 s6, exec_lo
	s_clause 0x3
	buffer_load_dword v1, v4, s[0:3], 0 offen
	buffer_load_dword v2, v4, s[0:3], 0 offen offset:4
	buffer_load_dword v3, v4, s[0:3], 0 offen offset:8
	buffer_load_dword v4, v4, s[0:3], 0 offen offset:12
	s_waitcnt vmcnt(0)
	ds_write_b128 v122, v[1:4]
	s_waitcnt lgkmcnt(0)
	s_waitcnt_vscnt null, 0x0
	s_barrier
	buffer_gl0_inv
	v_cmpx_gt_u32_e32 2, v0
	s_cbranch_execz .LBB121_471
; %bb.466:
	ds_read_b128 v[1:4], v122
	v_cmp_ne_u32_e32 vcc_lo, 1, v123
	s_cbranch_vccnz .LBB121_468
; %bb.467:
	s_clause 0x3
	buffer_load_dword v124, v121, s[0:3], 0 offen offset:8
	buffer_load_dword v125, v121, s[0:3], 0 offen offset:12
	buffer_load_dword v128, v121, s[0:3], 0 offen
	buffer_load_dword v129, v121, s[0:3], 0 offen offset:4
	s_waitcnt vmcnt(2) lgkmcnt(0)
	v_mul_f64 v[130:131], v[3:4], v[124:125]
	v_mul_f64 v[124:125], v[1:2], v[124:125]
	s_waitcnt vmcnt(0)
	v_fma_f64 v[1:2], v[1:2], v[128:129], -v[130:131]
	v_fma_f64 v[3:4], v[3:4], v[128:129], v[124:125]
.LBB121_468:
	s_and_saveexec_b32 s8, s4
	s_cbranch_execz .LBB121_470
; %bb.469:
	s_clause 0x3
	buffer_load_dword v124, off, s[0:3], 0 offset:24
	buffer_load_dword v125, off, s[0:3], 0 offset:28
	buffer_load_dword v132, off, s[0:3], 0 offset:16
	buffer_load_dword v133, off, s[0:3], 0 offset:20
	v_mov_b32_e32 v126, 0
	ds_read_b128 v[128:131], v126 offset:944
	s_waitcnt vmcnt(2) lgkmcnt(0)
	v_mul_f64 v[134:135], v[130:131], v[124:125]
	v_mul_f64 v[124:125], v[128:129], v[124:125]
	s_waitcnt vmcnt(0)
	v_fma_f64 v[128:129], v[128:129], v[132:133], -v[134:135]
	v_fma_f64 v[124:125], v[130:131], v[132:133], v[124:125]
	v_add_f64 v[1:2], v[1:2], v[128:129]
	v_add_f64 v[3:4], v[3:4], v[124:125]
.LBB121_470:
	s_or_b32 exec_lo, exec_lo, s8
	v_mov_b32_e32 v124, 0
	ds_read_b128 v[128:131], v124 offset:32
	s_waitcnt lgkmcnt(0)
	v_mul_f64 v[124:125], v[3:4], v[130:131]
	v_mul_f64 v[130:131], v[1:2], v[130:131]
	v_fma_f64 v[1:2], v[1:2], v[128:129], -v[124:125]
	v_fma_f64 v[3:4], v[3:4], v[128:129], v[130:131]
	buffer_store_dword v2, off, s[0:3], 0 offset:36
	buffer_store_dword v1, off, s[0:3], 0 offset:32
	;; [unrolled: 1-line block ×4, first 2 shown]
.LBB121_471:
	s_or_b32 exec_lo, exec_lo, s6
	v_mov_b32_e32 v4, s63
	s_mov_b32 s6, exec_lo
	s_clause 0x3
	buffer_load_dword v1, v4, s[0:3], 0 offen
	buffer_load_dword v2, v4, s[0:3], 0 offen offset:4
	buffer_load_dword v3, v4, s[0:3], 0 offen offset:8
	buffer_load_dword v4, v4, s[0:3], 0 offen offset:12
	s_waitcnt vmcnt(0)
	ds_write_b128 v122, v[1:4]
	s_waitcnt lgkmcnt(0)
	s_waitcnt_vscnt null, 0x0
	s_barrier
	buffer_gl0_inv
	v_cmpx_gt_u32_e32 3, v0
	s_cbranch_execz .LBB121_479
; %bb.472:
	ds_read_b128 v[1:4], v122
	v_cmp_ne_u32_e32 vcc_lo, 1, v123
	s_cbranch_vccnz .LBB121_474
; %bb.473:
	s_clause 0x3
	buffer_load_dword v124, v121, s[0:3], 0 offen offset:8
	buffer_load_dword v125, v121, s[0:3], 0 offen offset:12
	buffer_load_dword v128, v121, s[0:3], 0 offen
	buffer_load_dword v129, v121, s[0:3], 0 offen offset:4
	s_waitcnt vmcnt(2) lgkmcnt(0)
	v_mul_f64 v[130:131], v[3:4], v[124:125]
	v_mul_f64 v[124:125], v[1:2], v[124:125]
	s_waitcnt vmcnt(0)
	v_fma_f64 v[1:2], v[1:2], v[128:129], -v[130:131]
	v_fma_f64 v[3:4], v[3:4], v[128:129], v[124:125]
.LBB121_474:
	s_mov_b32 s8, exec_lo
	v_cmpx_ne_u32_e32 2, v0
	s_cbranch_execz .LBB121_478
; %bb.475:
	s_clause 0x3
	buffer_load_dword v124, v121, s[0:3], 0 offen offset:24
	buffer_load_dword v125, v121, s[0:3], 0 offen offset:28
	;; [unrolled: 1-line block ×4, first 2 shown]
	ds_read_b128 v[128:131], v122 offset:16
	s_waitcnt vmcnt(2) lgkmcnt(0)
	v_mul_f64 v[134:135], v[130:131], v[124:125]
	v_mul_f64 v[124:125], v[128:129], v[124:125]
	s_waitcnt vmcnt(0)
	v_fma_f64 v[128:129], v[128:129], v[132:133], -v[134:135]
	v_fma_f64 v[124:125], v[130:131], v[132:133], v[124:125]
	v_add_f64 v[1:2], v[1:2], v[128:129]
	v_add_f64 v[3:4], v[3:4], v[124:125]
	s_and_saveexec_b32 s66, s4
	s_cbranch_execz .LBB121_477
; %bb.476:
	s_clause 0x3
	buffer_load_dword v124, off, s[0:3], 0 offset:40
	buffer_load_dword v125, off, s[0:3], 0 offset:44
	;; [unrolled: 1-line block ×4, first 2 shown]
	v_mov_b32_e32 v126, 0
	ds_read_b128 v[128:131], v126 offset:960
	s_waitcnt vmcnt(2) lgkmcnt(0)
	v_mul_f64 v[134:135], v[128:129], v[124:125]
	v_mul_f64 v[124:125], v[130:131], v[124:125]
	s_waitcnt vmcnt(0)
	v_fma_f64 v[130:131], v[130:131], v[132:133], v[134:135]
	v_fma_f64 v[124:125], v[128:129], v[132:133], -v[124:125]
	v_add_f64 v[3:4], v[3:4], v[130:131]
	v_add_f64 v[1:2], v[1:2], v[124:125]
.LBB121_477:
	s_or_b32 exec_lo, exec_lo, s66
.LBB121_478:
	s_or_b32 exec_lo, exec_lo, s8
	v_mov_b32_e32 v124, 0
	ds_read_b128 v[128:131], v124 offset:48
	s_waitcnt lgkmcnt(0)
	v_mul_f64 v[124:125], v[3:4], v[130:131]
	v_mul_f64 v[130:131], v[1:2], v[130:131]
	v_fma_f64 v[1:2], v[1:2], v[128:129], -v[124:125]
	v_fma_f64 v[3:4], v[3:4], v[128:129], v[130:131]
	buffer_store_dword v2, off, s[0:3], 0 offset:52
	buffer_store_dword v1, off, s[0:3], 0 offset:48
	;; [unrolled: 1-line block ×4, first 2 shown]
.LBB121_479:
	s_or_b32 exec_lo, exec_lo, s6
	v_mov_b32_e32 v4, s62
	s_mov_b32 s4, exec_lo
	s_clause 0x3
	buffer_load_dword v1, v4, s[0:3], 0 offen
	buffer_load_dword v2, v4, s[0:3], 0 offen offset:4
	buffer_load_dword v3, v4, s[0:3], 0 offen offset:8
	;; [unrolled: 1-line block ×3, first 2 shown]
	s_waitcnt vmcnt(0)
	ds_write_b128 v122, v[1:4]
	s_waitcnt lgkmcnt(0)
	s_waitcnt_vscnt null, 0x0
	s_barrier
	buffer_gl0_inv
	v_cmpx_gt_u32_e32 4, v0
	s_cbranch_execz .LBB121_487
; %bb.480:
	ds_read_b128 v[1:4], v122
	v_cmp_ne_u32_e32 vcc_lo, 1, v123
	s_cbranch_vccnz .LBB121_482
; %bb.481:
	s_clause 0x3
	buffer_load_dword v124, v121, s[0:3], 0 offen offset:8
	buffer_load_dword v125, v121, s[0:3], 0 offen offset:12
	buffer_load_dword v128, v121, s[0:3], 0 offen
	buffer_load_dword v129, v121, s[0:3], 0 offen offset:4
	s_waitcnt vmcnt(2) lgkmcnt(0)
	v_mul_f64 v[130:131], v[3:4], v[124:125]
	v_mul_f64 v[124:125], v[1:2], v[124:125]
	s_waitcnt vmcnt(0)
	v_fma_f64 v[1:2], v[1:2], v[128:129], -v[130:131]
	v_fma_f64 v[3:4], v[3:4], v[128:129], v[124:125]
.LBB121_482:
	s_mov_b32 s6, exec_lo
	v_cmpx_ne_u32_e32 3, v0
	s_cbranch_execz .LBB121_486
; %bb.483:
	v_add_nc_u32_e32 v124, 0x3b0, v127
	v_add3_u32 v125, 0, v127, 16
	v_mov_b32_e32 v126, v0
	s_mov_b32 s8, 0
	.p2align	6
.LBB121_484:                            ; =>This Inner Loop Header: Depth=1
	s_clause 0x3
	buffer_load_dword v132, v125, s[0:3], 0 offen offset:8
	buffer_load_dword v133, v125, s[0:3], 0 offen offset:12
	buffer_load_dword v134, v125, s[0:3], 0 offen
	buffer_load_dword v135, v125, s[0:3], 0 offen offset:4
	ds_read_b128 v[128:131], v124
	v_add_nc_u32_e32 v126, 1, v126
	v_add_nc_u32_e32 v124, 16, v124
	;; [unrolled: 1-line block ×3, first 2 shown]
	v_cmp_lt_u32_e32 vcc_lo, 2, v126
	s_or_b32 s8, vcc_lo, s8
	s_waitcnt vmcnt(2) lgkmcnt(0)
	v_mul_f64 v[136:137], v[130:131], v[132:133]
	v_mul_f64 v[132:133], v[128:129], v[132:133]
	s_waitcnt vmcnt(0)
	v_fma_f64 v[128:129], v[128:129], v[134:135], -v[136:137]
	v_fma_f64 v[130:131], v[130:131], v[134:135], v[132:133]
	v_add_f64 v[1:2], v[1:2], v[128:129]
	v_add_f64 v[3:4], v[3:4], v[130:131]
	s_andn2_b32 exec_lo, exec_lo, s8
	s_cbranch_execnz .LBB121_484
; %bb.485:
	s_or_b32 exec_lo, exec_lo, s8
.LBB121_486:
	s_or_b32 exec_lo, exec_lo, s6
	v_mov_b32_e32 v124, 0
	ds_read_b128 v[128:131], v124 offset:64
	s_waitcnt lgkmcnt(0)
	v_mul_f64 v[124:125], v[3:4], v[130:131]
	v_mul_f64 v[130:131], v[1:2], v[130:131]
	v_fma_f64 v[1:2], v[1:2], v[128:129], -v[124:125]
	v_fma_f64 v[3:4], v[3:4], v[128:129], v[130:131]
	buffer_store_dword v2, off, s[0:3], 0 offset:68
	buffer_store_dword v1, off, s[0:3], 0 offset:64
	;; [unrolled: 1-line block ×4, first 2 shown]
.LBB121_487:
	s_or_b32 exec_lo, exec_lo, s4
	v_mov_b32_e32 v4, s61
	s_mov_b32 s4, exec_lo
	s_clause 0x3
	buffer_load_dword v1, v4, s[0:3], 0 offen
	buffer_load_dword v2, v4, s[0:3], 0 offen offset:4
	buffer_load_dword v3, v4, s[0:3], 0 offen offset:8
	;; [unrolled: 1-line block ×3, first 2 shown]
	s_waitcnt vmcnt(0)
	ds_write_b128 v122, v[1:4]
	s_waitcnt lgkmcnt(0)
	s_waitcnt_vscnt null, 0x0
	s_barrier
	buffer_gl0_inv
	v_cmpx_gt_u32_e32 5, v0
	s_cbranch_execz .LBB121_495
; %bb.488:
	ds_read_b128 v[1:4], v122
	v_cmp_ne_u32_e32 vcc_lo, 1, v123
	s_cbranch_vccnz .LBB121_490
; %bb.489:
	s_clause 0x3
	buffer_load_dword v124, v121, s[0:3], 0 offen offset:8
	buffer_load_dword v125, v121, s[0:3], 0 offen offset:12
	buffer_load_dword v128, v121, s[0:3], 0 offen
	buffer_load_dword v129, v121, s[0:3], 0 offen offset:4
	s_waitcnt vmcnt(2) lgkmcnt(0)
	v_mul_f64 v[130:131], v[3:4], v[124:125]
	v_mul_f64 v[124:125], v[1:2], v[124:125]
	s_waitcnt vmcnt(0)
	v_fma_f64 v[1:2], v[1:2], v[128:129], -v[130:131]
	v_fma_f64 v[3:4], v[3:4], v[128:129], v[124:125]
.LBB121_490:
	s_mov_b32 s6, exec_lo
	v_cmpx_ne_u32_e32 4, v0
	s_cbranch_execz .LBB121_494
; %bb.491:
	v_add_nc_u32_e32 v124, 0x3b0, v127
	v_add3_u32 v125, 0, v127, 16
	v_mov_b32_e32 v126, v0
	s_mov_b32 s8, 0
	.p2align	6
.LBB121_492:                            ; =>This Inner Loop Header: Depth=1
	s_clause 0x3
	buffer_load_dword v132, v125, s[0:3], 0 offen offset:8
	buffer_load_dword v133, v125, s[0:3], 0 offen offset:12
	buffer_load_dword v134, v125, s[0:3], 0 offen
	buffer_load_dword v135, v125, s[0:3], 0 offen offset:4
	ds_read_b128 v[128:131], v124
	v_add_nc_u32_e32 v126, 1, v126
	v_add_nc_u32_e32 v124, 16, v124
	;; [unrolled: 1-line block ×3, first 2 shown]
	v_cmp_lt_u32_e32 vcc_lo, 3, v126
	s_or_b32 s8, vcc_lo, s8
	s_waitcnt vmcnt(2) lgkmcnt(0)
	v_mul_f64 v[136:137], v[130:131], v[132:133]
	v_mul_f64 v[132:133], v[128:129], v[132:133]
	s_waitcnt vmcnt(0)
	v_fma_f64 v[128:129], v[128:129], v[134:135], -v[136:137]
	v_fma_f64 v[130:131], v[130:131], v[134:135], v[132:133]
	v_add_f64 v[1:2], v[1:2], v[128:129]
	v_add_f64 v[3:4], v[3:4], v[130:131]
	s_andn2_b32 exec_lo, exec_lo, s8
	s_cbranch_execnz .LBB121_492
; %bb.493:
	s_or_b32 exec_lo, exec_lo, s8
.LBB121_494:
	s_or_b32 exec_lo, exec_lo, s6
	v_mov_b32_e32 v124, 0
	ds_read_b128 v[128:131], v124 offset:80
	s_waitcnt lgkmcnt(0)
	v_mul_f64 v[124:125], v[3:4], v[130:131]
	v_mul_f64 v[130:131], v[1:2], v[130:131]
	v_fma_f64 v[1:2], v[1:2], v[128:129], -v[124:125]
	v_fma_f64 v[3:4], v[3:4], v[128:129], v[130:131]
	buffer_store_dword v2, off, s[0:3], 0 offset:84
	buffer_store_dword v1, off, s[0:3], 0 offset:80
	;; [unrolled: 1-line block ×4, first 2 shown]
.LBB121_495:
	s_or_b32 exec_lo, exec_lo, s4
	v_mov_b32_e32 v4, s60
	s_mov_b32 s4, exec_lo
	s_clause 0x3
	buffer_load_dword v1, v4, s[0:3], 0 offen
	buffer_load_dword v2, v4, s[0:3], 0 offen offset:4
	buffer_load_dword v3, v4, s[0:3], 0 offen offset:8
	;; [unrolled: 1-line block ×3, first 2 shown]
	s_waitcnt vmcnt(0)
	ds_write_b128 v122, v[1:4]
	s_waitcnt lgkmcnt(0)
	s_waitcnt_vscnt null, 0x0
	s_barrier
	buffer_gl0_inv
	v_cmpx_gt_u32_e32 6, v0
	s_cbranch_execz .LBB121_503
; %bb.496:
	ds_read_b128 v[1:4], v122
	v_cmp_ne_u32_e32 vcc_lo, 1, v123
	s_cbranch_vccnz .LBB121_498
; %bb.497:
	s_clause 0x3
	buffer_load_dword v124, v121, s[0:3], 0 offen offset:8
	buffer_load_dword v125, v121, s[0:3], 0 offen offset:12
	buffer_load_dword v128, v121, s[0:3], 0 offen
	buffer_load_dword v129, v121, s[0:3], 0 offen offset:4
	s_waitcnt vmcnt(2) lgkmcnt(0)
	v_mul_f64 v[130:131], v[3:4], v[124:125]
	v_mul_f64 v[124:125], v[1:2], v[124:125]
	s_waitcnt vmcnt(0)
	v_fma_f64 v[1:2], v[1:2], v[128:129], -v[130:131]
	v_fma_f64 v[3:4], v[3:4], v[128:129], v[124:125]
.LBB121_498:
	s_mov_b32 s6, exec_lo
	v_cmpx_ne_u32_e32 5, v0
	s_cbranch_execz .LBB121_502
; %bb.499:
	v_add_nc_u32_e32 v124, 0x3b0, v127
	v_add3_u32 v125, 0, v127, 16
	v_mov_b32_e32 v126, v0
	s_mov_b32 s8, 0
	.p2align	6
.LBB121_500:                            ; =>This Inner Loop Header: Depth=1
	s_clause 0x3
	buffer_load_dword v132, v125, s[0:3], 0 offen offset:8
	buffer_load_dword v133, v125, s[0:3], 0 offen offset:12
	buffer_load_dword v134, v125, s[0:3], 0 offen
	buffer_load_dword v135, v125, s[0:3], 0 offen offset:4
	ds_read_b128 v[128:131], v124
	v_add_nc_u32_e32 v126, 1, v126
	v_add_nc_u32_e32 v124, 16, v124
	;; [unrolled: 1-line block ×3, first 2 shown]
	v_cmp_lt_u32_e32 vcc_lo, 4, v126
	s_or_b32 s8, vcc_lo, s8
	s_waitcnt vmcnt(2) lgkmcnt(0)
	v_mul_f64 v[136:137], v[130:131], v[132:133]
	v_mul_f64 v[132:133], v[128:129], v[132:133]
	s_waitcnt vmcnt(0)
	v_fma_f64 v[128:129], v[128:129], v[134:135], -v[136:137]
	v_fma_f64 v[130:131], v[130:131], v[134:135], v[132:133]
	v_add_f64 v[1:2], v[1:2], v[128:129]
	v_add_f64 v[3:4], v[3:4], v[130:131]
	s_andn2_b32 exec_lo, exec_lo, s8
	s_cbranch_execnz .LBB121_500
; %bb.501:
	s_or_b32 exec_lo, exec_lo, s8
.LBB121_502:
	s_or_b32 exec_lo, exec_lo, s6
	v_mov_b32_e32 v124, 0
	ds_read_b128 v[128:131], v124 offset:96
	s_waitcnt lgkmcnt(0)
	v_mul_f64 v[124:125], v[3:4], v[130:131]
	v_mul_f64 v[130:131], v[1:2], v[130:131]
	v_fma_f64 v[1:2], v[1:2], v[128:129], -v[124:125]
	v_fma_f64 v[3:4], v[3:4], v[128:129], v[130:131]
	buffer_store_dword v2, off, s[0:3], 0 offset:100
	buffer_store_dword v1, off, s[0:3], 0 offset:96
	;; [unrolled: 1-line block ×4, first 2 shown]
.LBB121_503:
	s_or_b32 exec_lo, exec_lo, s4
	v_mov_b32_e32 v4, s59
	s_mov_b32 s4, exec_lo
	s_clause 0x3
	buffer_load_dword v1, v4, s[0:3], 0 offen
	buffer_load_dword v2, v4, s[0:3], 0 offen offset:4
	buffer_load_dword v3, v4, s[0:3], 0 offen offset:8
	buffer_load_dword v4, v4, s[0:3], 0 offen offset:12
	s_waitcnt vmcnt(0)
	ds_write_b128 v122, v[1:4]
	s_waitcnt lgkmcnt(0)
	s_waitcnt_vscnt null, 0x0
	s_barrier
	buffer_gl0_inv
	v_cmpx_gt_u32_e32 7, v0
	s_cbranch_execz .LBB121_511
; %bb.504:
	ds_read_b128 v[1:4], v122
	v_cmp_ne_u32_e32 vcc_lo, 1, v123
	s_cbranch_vccnz .LBB121_506
; %bb.505:
	s_clause 0x3
	buffer_load_dword v124, v121, s[0:3], 0 offen offset:8
	buffer_load_dword v125, v121, s[0:3], 0 offen offset:12
	buffer_load_dword v128, v121, s[0:3], 0 offen
	buffer_load_dword v129, v121, s[0:3], 0 offen offset:4
	s_waitcnt vmcnt(2) lgkmcnt(0)
	v_mul_f64 v[130:131], v[3:4], v[124:125]
	v_mul_f64 v[124:125], v[1:2], v[124:125]
	s_waitcnt vmcnt(0)
	v_fma_f64 v[1:2], v[1:2], v[128:129], -v[130:131]
	v_fma_f64 v[3:4], v[3:4], v[128:129], v[124:125]
.LBB121_506:
	s_mov_b32 s6, exec_lo
	v_cmpx_ne_u32_e32 6, v0
	s_cbranch_execz .LBB121_510
; %bb.507:
	v_add_nc_u32_e32 v124, 0x3b0, v127
	v_add3_u32 v125, 0, v127, 16
	v_mov_b32_e32 v126, v0
	s_mov_b32 s8, 0
	.p2align	6
.LBB121_508:                            ; =>This Inner Loop Header: Depth=1
	s_clause 0x3
	buffer_load_dword v132, v125, s[0:3], 0 offen offset:8
	buffer_load_dword v133, v125, s[0:3], 0 offen offset:12
	buffer_load_dword v134, v125, s[0:3], 0 offen
	buffer_load_dword v135, v125, s[0:3], 0 offen offset:4
	ds_read_b128 v[128:131], v124
	v_add_nc_u32_e32 v126, 1, v126
	v_add_nc_u32_e32 v124, 16, v124
	;; [unrolled: 1-line block ×3, first 2 shown]
	v_cmp_lt_u32_e32 vcc_lo, 5, v126
	s_or_b32 s8, vcc_lo, s8
	s_waitcnt vmcnt(2) lgkmcnt(0)
	v_mul_f64 v[136:137], v[130:131], v[132:133]
	v_mul_f64 v[132:133], v[128:129], v[132:133]
	s_waitcnt vmcnt(0)
	v_fma_f64 v[128:129], v[128:129], v[134:135], -v[136:137]
	v_fma_f64 v[130:131], v[130:131], v[134:135], v[132:133]
	v_add_f64 v[1:2], v[1:2], v[128:129]
	v_add_f64 v[3:4], v[3:4], v[130:131]
	s_andn2_b32 exec_lo, exec_lo, s8
	s_cbranch_execnz .LBB121_508
; %bb.509:
	s_or_b32 exec_lo, exec_lo, s8
.LBB121_510:
	s_or_b32 exec_lo, exec_lo, s6
	v_mov_b32_e32 v124, 0
	ds_read_b128 v[128:131], v124 offset:112
	s_waitcnt lgkmcnt(0)
	v_mul_f64 v[124:125], v[3:4], v[130:131]
	v_mul_f64 v[130:131], v[1:2], v[130:131]
	v_fma_f64 v[1:2], v[1:2], v[128:129], -v[124:125]
	v_fma_f64 v[3:4], v[3:4], v[128:129], v[130:131]
	buffer_store_dword v2, off, s[0:3], 0 offset:116
	buffer_store_dword v1, off, s[0:3], 0 offset:112
	;; [unrolled: 1-line block ×4, first 2 shown]
.LBB121_511:
	s_or_b32 exec_lo, exec_lo, s4
	v_mov_b32_e32 v4, s58
	s_mov_b32 s4, exec_lo
	s_clause 0x3
	buffer_load_dword v1, v4, s[0:3], 0 offen
	buffer_load_dword v2, v4, s[0:3], 0 offen offset:4
	buffer_load_dword v3, v4, s[0:3], 0 offen offset:8
	;; [unrolled: 1-line block ×3, first 2 shown]
	s_waitcnt vmcnt(0)
	ds_write_b128 v122, v[1:4]
	s_waitcnt lgkmcnt(0)
	s_waitcnt_vscnt null, 0x0
	s_barrier
	buffer_gl0_inv
	v_cmpx_gt_u32_e32 8, v0
	s_cbranch_execz .LBB121_519
; %bb.512:
	ds_read_b128 v[1:4], v122
	v_cmp_ne_u32_e32 vcc_lo, 1, v123
	s_cbranch_vccnz .LBB121_514
; %bb.513:
	s_clause 0x3
	buffer_load_dword v124, v121, s[0:3], 0 offen offset:8
	buffer_load_dword v125, v121, s[0:3], 0 offen offset:12
	buffer_load_dword v128, v121, s[0:3], 0 offen
	buffer_load_dword v129, v121, s[0:3], 0 offen offset:4
	s_waitcnt vmcnt(2) lgkmcnt(0)
	v_mul_f64 v[130:131], v[3:4], v[124:125]
	v_mul_f64 v[124:125], v[1:2], v[124:125]
	s_waitcnt vmcnt(0)
	v_fma_f64 v[1:2], v[1:2], v[128:129], -v[130:131]
	v_fma_f64 v[3:4], v[3:4], v[128:129], v[124:125]
.LBB121_514:
	s_mov_b32 s6, exec_lo
	v_cmpx_ne_u32_e32 7, v0
	s_cbranch_execz .LBB121_518
; %bb.515:
	v_add_nc_u32_e32 v124, 0x3b0, v127
	v_add3_u32 v125, 0, v127, 16
	v_mov_b32_e32 v126, v0
	s_mov_b32 s8, 0
	.p2align	6
.LBB121_516:                            ; =>This Inner Loop Header: Depth=1
	s_clause 0x3
	buffer_load_dword v132, v125, s[0:3], 0 offen offset:8
	buffer_load_dword v133, v125, s[0:3], 0 offen offset:12
	buffer_load_dword v134, v125, s[0:3], 0 offen
	buffer_load_dword v135, v125, s[0:3], 0 offen offset:4
	ds_read_b128 v[128:131], v124
	v_add_nc_u32_e32 v126, 1, v126
	v_add_nc_u32_e32 v124, 16, v124
	;; [unrolled: 1-line block ×3, first 2 shown]
	v_cmp_lt_u32_e32 vcc_lo, 6, v126
	s_or_b32 s8, vcc_lo, s8
	s_waitcnt vmcnt(2) lgkmcnt(0)
	v_mul_f64 v[136:137], v[130:131], v[132:133]
	v_mul_f64 v[132:133], v[128:129], v[132:133]
	s_waitcnt vmcnt(0)
	v_fma_f64 v[128:129], v[128:129], v[134:135], -v[136:137]
	v_fma_f64 v[130:131], v[130:131], v[134:135], v[132:133]
	v_add_f64 v[1:2], v[1:2], v[128:129]
	v_add_f64 v[3:4], v[3:4], v[130:131]
	s_andn2_b32 exec_lo, exec_lo, s8
	s_cbranch_execnz .LBB121_516
; %bb.517:
	s_or_b32 exec_lo, exec_lo, s8
.LBB121_518:
	s_or_b32 exec_lo, exec_lo, s6
	v_mov_b32_e32 v124, 0
	ds_read_b128 v[128:131], v124 offset:128
	s_waitcnt lgkmcnt(0)
	v_mul_f64 v[124:125], v[3:4], v[130:131]
	v_mul_f64 v[130:131], v[1:2], v[130:131]
	v_fma_f64 v[1:2], v[1:2], v[128:129], -v[124:125]
	v_fma_f64 v[3:4], v[3:4], v[128:129], v[130:131]
	buffer_store_dword v2, off, s[0:3], 0 offset:132
	buffer_store_dword v1, off, s[0:3], 0 offset:128
	;; [unrolled: 1-line block ×4, first 2 shown]
.LBB121_519:
	s_or_b32 exec_lo, exec_lo, s4
	v_mov_b32_e32 v4, s57
	s_mov_b32 s4, exec_lo
	s_clause 0x3
	buffer_load_dword v1, v4, s[0:3], 0 offen
	buffer_load_dword v2, v4, s[0:3], 0 offen offset:4
	buffer_load_dword v3, v4, s[0:3], 0 offen offset:8
	;; [unrolled: 1-line block ×3, first 2 shown]
	s_waitcnt vmcnt(0)
	ds_write_b128 v122, v[1:4]
	s_waitcnt lgkmcnt(0)
	s_waitcnt_vscnt null, 0x0
	s_barrier
	buffer_gl0_inv
	v_cmpx_gt_u32_e32 9, v0
	s_cbranch_execz .LBB121_527
; %bb.520:
	ds_read_b128 v[1:4], v122
	v_cmp_ne_u32_e32 vcc_lo, 1, v123
	s_cbranch_vccnz .LBB121_522
; %bb.521:
	s_clause 0x3
	buffer_load_dword v124, v121, s[0:3], 0 offen offset:8
	buffer_load_dword v125, v121, s[0:3], 0 offen offset:12
	buffer_load_dword v128, v121, s[0:3], 0 offen
	buffer_load_dword v129, v121, s[0:3], 0 offen offset:4
	s_waitcnt vmcnt(2) lgkmcnt(0)
	v_mul_f64 v[130:131], v[3:4], v[124:125]
	v_mul_f64 v[124:125], v[1:2], v[124:125]
	s_waitcnt vmcnt(0)
	v_fma_f64 v[1:2], v[1:2], v[128:129], -v[130:131]
	v_fma_f64 v[3:4], v[3:4], v[128:129], v[124:125]
.LBB121_522:
	s_mov_b32 s6, exec_lo
	v_cmpx_ne_u32_e32 8, v0
	s_cbranch_execz .LBB121_526
; %bb.523:
	v_add_nc_u32_e32 v124, 0x3b0, v127
	v_add3_u32 v125, 0, v127, 16
	v_mov_b32_e32 v126, v0
	s_mov_b32 s8, 0
	.p2align	6
.LBB121_524:                            ; =>This Inner Loop Header: Depth=1
	s_clause 0x3
	buffer_load_dword v132, v125, s[0:3], 0 offen offset:8
	buffer_load_dword v133, v125, s[0:3], 0 offen offset:12
	buffer_load_dword v134, v125, s[0:3], 0 offen
	buffer_load_dword v135, v125, s[0:3], 0 offen offset:4
	ds_read_b128 v[128:131], v124
	v_add_nc_u32_e32 v126, 1, v126
	v_add_nc_u32_e32 v124, 16, v124
	;; [unrolled: 1-line block ×3, first 2 shown]
	v_cmp_lt_u32_e32 vcc_lo, 7, v126
	s_or_b32 s8, vcc_lo, s8
	s_waitcnt vmcnt(2) lgkmcnt(0)
	v_mul_f64 v[136:137], v[130:131], v[132:133]
	v_mul_f64 v[132:133], v[128:129], v[132:133]
	s_waitcnt vmcnt(0)
	v_fma_f64 v[128:129], v[128:129], v[134:135], -v[136:137]
	v_fma_f64 v[130:131], v[130:131], v[134:135], v[132:133]
	v_add_f64 v[1:2], v[1:2], v[128:129]
	v_add_f64 v[3:4], v[3:4], v[130:131]
	s_andn2_b32 exec_lo, exec_lo, s8
	s_cbranch_execnz .LBB121_524
; %bb.525:
	s_or_b32 exec_lo, exec_lo, s8
.LBB121_526:
	s_or_b32 exec_lo, exec_lo, s6
	v_mov_b32_e32 v124, 0
	ds_read_b128 v[128:131], v124 offset:144
	s_waitcnt lgkmcnt(0)
	v_mul_f64 v[124:125], v[3:4], v[130:131]
	v_mul_f64 v[130:131], v[1:2], v[130:131]
	v_fma_f64 v[1:2], v[1:2], v[128:129], -v[124:125]
	v_fma_f64 v[3:4], v[3:4], v[128:129], v[130:131]
	buffer_store_dword v2, off, s[0:3], 0 offset:148
	buffer_store_dword v1, off, s[0:3], 0 offset:144
	;; [unrolled: 1-line block ×4, first 2 shown]
.LBB121_527:
	s_or_b32 exec_lo, exec_lo, s4
	v_mov_b32_e32 v4, s56
	s_mov_b32 s4, exec_lo
	s_clause 0x3
	buffer_load_dword v1, v4, s[0:3], 0 offen
	buffer_load_dword v2, v4, s[0:3], 0 offen offset:4
	buffer_load_dword v3, v4, s[0:3], 0 offen offset:8
	;; [unrolled: 1-line block ×3, first 2 shown]
	s_waitcnt vmcnt(0)
	ds_write_b128 v122, v[1:4]
	s_waitcnt lgkmcnt(0)
	s_waitcnt_vscnt null, 0x0
	s_barrier
	buffer_gl0_inv
	v_cmpx_gt_u32_e32 10, v0
	s_cbranch_execz .LBB121_535
; %bb.528:
	ds_read_b128 v[1:4], v122
	v_cmp_ne_u32_e32 vcc_lo, 1, v123
	s_cbranch_vccnz .LBB121_530
; %bb.529:
	s_clause 0x3
	buffer_load_dword v124, v121, s[0:3], 0 offen offset:8
	buffer_load_dword v125, v121, s[0:3], 0 offen offset:12
	buffer_load_dword v128, v121, s[0:3], 0 offen
	buffer_load_dword v129, v121, s[0:3], 0 offen offset:4
	s_waitcnt vmcnt(2) lgkmcnt(0)
	v_mul_f64 v[130:131], v[3:4], v[124:125]
	v_mul_f64 v[124:125], v[1:2], v[124:125]
	s_waitcnt vmcnt(0)
	v_fma_f64 v[1:2], v[1:2], v[128:129], -v[130:131]
	v_fma_f64 v[3:4], v[3:4], v[128:129], v[124:125]
.LBB121_530:
	s_mov_b32 s6, exec_lo
	v_cmpx_ne_u32_e32 9, v0
	s_cbranch_execz .LBB121_534
; %bb.531:
	v_add_nc_u32_e32 v124, 0x3b0, v127
	v_add3_u32 v125, 0, v127, 16
	v_mov_b32_e32 v126, v0
	s_mov_b32 s8, 0
	.p2align	6
.LBB121_532:                            ; =>This Inner Loop Header: Depth=1
	s_clause 0x3
	buffer_load_dword v132, v125, s[0:3], 0 offen offset:8
	buffer_load_dword v133, v125, s[0:3], 0 offen offset:12
	buffer_load_dword v134, v125, s[0:3], 0 offen
	buffer_load_dword v135, v125, s[0:3], 0 offen offset:4
	ds_read_b128 v[128:131], v124
	v_add_nc_u32_e32 v126, 1, v126
	v_add_nc_u32_e32 v124, 16, v124
	;; [unrolled: 1-line block ×3, first 2 shown]
	v_cmp_lt_u32_e32 vcc_lo, 8, v126
	s_or_b32 s8, vcc_lo, s8
	s_waitcnt vmcnt(2) lgkmcnt(0)
	v_mul_f64 v[136:137], v[130:131], v[132:133]
	v_mul_f64 v[132:133], v[128:129], v[132:133]
	s_waitcnt vmcnt(0)
	v_fma_f64 v[128:129], v[128:129], v[134:135], -v[136:137]
	v_fma_f64 v[130:131], v[130:131], v[134:135], v[132:133]
	v_add_f64 v[1:2], v[1:2], v[128:129]
	v_add_f64 v[3:4], v[3:4], v[130:131]
	s_andn2_b32 exec_lo, exec_lo, s8
	s_cbranch_execnz .LBB121_532
; %bb.533:
	s_or_b32 exec_lo, exec_lo, s8
.LBB121_534:
	s_or_b32 exec_lo, exec_lo, s6
	v_mov_b32_e32 v124, 0
	ds_read_b128 v[128:131], v124 offset:160
	s_waitcnt lgkmcnt(0)
	v_mul_f64 v[124:125], v[3:4], v[130:131]
	v_mul_f64 v[130:131], v[1:2], v[130:131]
	v_fma_f64 v[1:2], v[1:2], v[128:129], -v[124:125]
	v_fma_f64 v[3:4], v[3:4], v[128:129], v[130:131]
	buffer_store_dword v2, off, s[0:3], 0 offset:164
	buffer_store_dword v1, off, s[0:3], 0 offset:160
	;; [unrolled: 1-line block ×4, first 2 shown]
.LBB121_535:
	s_or_b32 exec_lo, exec_lo, s4
	v_mov_b32_e32 v4, s55
	s_mov_b32 s4, exec_lo
	s_clause 0x3
	buffer_load_dword v1, v4, s[0:3], 0 offen
	buffer_load_dword v2, v4, s[0:3], 0 offen offset:4
	buffer_load_dword v3, v4, s[0:3], 0 offen offset:8
	;; [unrolled: 1-line block ×3, first 2 shown]
	s_waitcnt vmcnt(0)
	ds_write_b128 v122, v[1:4]
	s_waitcnt lgkmcnt(0)
	s_waitcnt_vscnt null, 0x0
	s_barrier
	buffer_gl0_inv
	v_cmpx_gt_u32_e32 11, v0
	s_cbranch_execz .LBB121_543
; %bb.536:
	ds_read_b128 v[1:4], v122
	v_cmp_ne_u32_e32 vcc_lo, 1, v123
	s_cbranch_vccnz .LBB121_538
; %bb.537:
	s_clause 0x3
	buffer_load_dword v124, v121, s[0:3], 0 offen offset:8
	buffer_load_dword v125, v121, s[0:3], 0 offen offset:12
	buffer_load_dword v128, v121, s[0:3], 0 offen
	buffer_load_dword v129, v121, s[0:3], 0 offen offset:4
	s_waitcnt vmcnt(2) lgkmcnt(0)
	v_mul_f64 v[130:131], v[3:4], v[124:125]
	v_mul_f64 v[124:125], v[1:2], v[124:125]
	s_waitcnt vmcnt(0)
	v_fma_f64 v[1:2], v[1:2], v[128:129], -v[130:131]
	v_fma_f64 v[3:4], v[3:4], v[128:129], v[124:125]
.LBB121_538:
	s_mov_b32 s6, exec_lo
	v_cmpx_ne_u32_e32 10, v0
	s_cbranch_execz .LBB121_542
; %bb.539:
	v_add_nc_u32_e32 v124, 0x3b0, v127
	v_add3_u32 v125, 0, v127, 16
	v_mov_b32_e32 v126, v0
	s_mov_b32 s8, 0
	.p2align	6
.LBB121_540:                            ; =>This Inner Loop Header: Depth=1
	s_clause 0x3
	buffer_load_dword v132, v125, s[0:3], 0 offen offset:8
	buffer_load_dword v133, v125, s[0:3], 0 offen offset:12
	buffer_load_dword v134, v125, s[0:3], 0 offen
	buffer_load_dword v135, v125, s[0:3], 0 offen offset:4
	ds_read_b128 v[128:131], v124
	v_add_nc_u32_e32 v126, 1, v126
	v_add_nc_u32_e32 v124, 16, v124
	;; [unrolled: 1-line block ×3, first 2 shown]
	v_cmp_lt_u32_e32 vcc_lo, 9, v126
	s_or_b32 s8, vcc_lo, s8
	s_waitcnt vmcnt(2) lgkmcnt(0)
	v_mul_f64 v[136:137], v[130:131], v[132:133]
	v_mul_f64 v[132:133], v[128:129], v[132:133]
	s_waitcnt vmcnt(0)
	v_fma_f64 v[128:129], v[128:129], v[134:135], -v[136:137]
	v_fma_f64 v[130:131], v[130:131], v[134:135], v[132:133]
	v_add_f64 v[1:2], v[1:2], v[128:129]
	v_add_f64 v[3:4], v[3:4], v[130:131]
	s_andn2_b32 exec_lo, exec_lo, s8
	s_cbranch_execnz .LBB121_540
; %bb.541:
	s_or_b32 exec_lo, exec_lo, s8
.LBB121_542:
	s_or_b32 exec_lo, exec_lo, s6
	v_mov_b32_e32 v124, 0
	ds_read_b128 v[128:131], v124 offset:176
	s_waitcnt lgkmcnt(0)
	v_mul_f64 v[124:125], v[3:4], v[130:131]
	v_mul_f64 v[130:131], v[1:2], v[130:131]
	v_fma_f64 v[1:2], v[1:2], v[128:129], -v[124:125]
	v_fma_f64 v[3:4], v[3:4], v[128:129], v[130:131]
	buffer_store_dword v2, off, s[0:3], 0 offset:180
	buffer_store_dword v1, off, s[0:3], 0 offset:176
	;; [unrolled: 1-line block ×4, first 2 shown]
.LBB121_543:
	s_or_b32 exec_lo, exec_lo, s4
	v_mov_b32_e32 v4, s54
	s_mov_b32 s4, exec_lo
	s_clause 0x3
	buffer_load_dword v1, v4, s[0:3], 0 offen
	buffer_load_dword v2, v4, s[0:3], 0 offen offset:4
	buffer_load_dword v3, v4, s[0:3], 0 offen offset:8
	;; [unrolled: 1-line block ×3, first 2 shown]
	s_waitcnt vmcnt(0)
	ds_write_b128 v122, v[1:4]
	s_waitcnt lgkmcnt(0)
	s_waitcnt_vscnt null, 0x0
	s_barrier
	buffer_gl0_inv
	v_cmpx_gt_u32_e32 12, v0
	s_cbranch_execz .LBB121_551
; %bb.544:
	ds_read_b128 v[1:4], v122
	v_cmp_ne_u32_e32 vcc_lo, 1, v123
	s_cbranch_vccnz .LBB121_546
; %bb.545:
	s_clause 0x3
	buffer_load_dword v124, v121, s[0:3], 0 offen offset:8
	buffer_load_dword v125, v121, s[0:3], 0 offen offset:12
	buffer_load_dword v128, v121, s[0:3], 0 offen
	buffer_load_dword v129, v121, s[0:3], 0 offen offset:4
	s_waitcnt vmcnt(2) lgkmcnt(0)
	v_mul_f64 v[130:131], v[3:4], v[124:125]
	v_mul_f64 v[124:125], v[1:2], v[124:125]
	s_waitcnt vmcnt(0)
	v_fma_f64 v[1:2], v[1:2], v[128:129], -v[130:131]
	v_fma_f64 v[3:4], v[3:4], v[128:129], v[124:125]
.LBB121_546:
	s_mov_b32 s6, exec_lo
	v_cmpx_ne_u32_e32 11, v0
	s_cbranch_execz .LBB121_550
; %bb.547:
	v_add_nc_u32_e32 v124, 0x3b0, v127
	v_add3_u32 v125, 0, v127, 16
	v_mov_b32_e32 v126, v0
	s_mov_b32 s8, 0
	.p2align	6
.LBB121_548:                            ; =>This Inner Loop Header: Depth=1
	s_clause 0x3
	buffer_load_dword v132, v125, s[0:3], 0 offen offset:8
	buffer_load_dword v133, v125, s[0:3], 0 offen offset:12
	buffer_load_dword v134, v125, s[0:3], 0 offen
	buffer_load_dword v135, v125, s[0:3], 0 offen offset:4
	ds_read_b128 v[128:131], v124
	v_add_nc_u32_e32 v126, 1, v126
	v_add_nc_u32_e32 v124, 16, v124
	;; [unrolled: 1-line block ×3, first 2 shown]
	v_cmp_lt_u32_e32 vcc_lo, 10, v126
	s_or_b32 s8, vcc_lo, s8
	s_waitcnt vmcnt(2) lgkmcnt(0)
	v_mul_f64 v[136:137], v[130:131], v[132:133]
	v_mul_f64 v[132:133], v[128:129], v[132:133]
	s_waitcnt vmcnt(0)
	v_fma_f64 v[128:129], v[128:129], v[134:135], -v[136:137]
	v_fma_f64 v[130:131], v[130:131], v[134:135], v[132:133]
	v_add_f64 v[1:2], v[1:2], v[128:129]
	v_add_f64 v[3:4], v[3:4], v[130:131]
	s_andn2_b32 exec_lo, exec_lo, s8
	s_cbranch_execnz .LBB121_548
; %bb.549:
	s_or_b32 exec_lo, exec_lo, s8
.LBB121_550:
	s_or_b32 exec_lo, exec_lo, s6
	v_mov_b32_e32 v124, 0
	ds_read_b128 v[128:131], v124 offset:192
	s_waitcnt lgkmcnt(0)
	v_mul_f64 v[124:125], v[3:4], v[130:131]
	v_mul_f64 v[130:131], v[1:2], v[130:131]
	v_fma_f64 v[1:2], v[1:2], v[128:129], -v[124:125]
	v_fma_f64 v[3:4], v[3:4], v[128:129], v[130:131]
	buffer_store_dword v2, off, s[0:3], 0 offset:196
	buffer_store_dword v1, off, s[0:3], 0 offset:192
	buffer_store_dword v4, off, s[0:3], 0 offset:204
	buffer_store_dword v3, off, s[0:3], 0 offset:200
.LBB121_551:
	s_or_b32 exec_lo, exec_lo, s4
	v_mov_b32_e32 v4, s53
	s_mov_b32 s4, exec_lo
	s_clause 0x3
	buffer_load_dword v1, v4, s[0:3], 0 offen
	buffer_load_dword v2, v4, s[0:3], 0 offen offset:4
	buffer_load_dword v3, v4, s[0:3], 0 offen offset:8
	;; [unrolled: 1-line block ×3, first 2 shown]
	s_waitcnt vmcnt(0)
	ds_write_b128 v122, v[1:4]
	s_waitcnt lgkmcnt(0)
	s_waitcnt_vscnt null, 0x0
	s_barrier
	buffer_gl0_inv
	v_cmpx_gt_u32_e32 13, v0
	s_cbranch_execz .LBB121_559
; %bb.552:
	ds_read_b128 v[1:4], v122
	v_cmp_ne_u32_e32 vcc_lo, 1, v123
	s_cbranch_vccnz .LBB121_554
; %bb.553:
	s_clause 0x3
	buffer_load_dword v124, v121, s[0:3], 0 offen offset:8
	buffer_load_dword v125, v121, s[0:3], 0 offen offset:12
	buffer_load_dword v128, v121, s[0:3], 0 offen
	buffer_load_dword v129, v121, s[0:3], 0 offen offset:4
	s_waitcnt vmcnt(2) lgkmcnt(0)
	v_mul_f64 v[130:131], v[3:4], v[124:125]
	v_mul_f64 v[124:125], v[1:2], v[124:125]
	s_waitcnt vmcnt(0)
	v_fma_f64 v[1:2], v[1:2], v[128:129], -v[130:131]
	v_fma_f64 v[3:4], v[3:4], v[128:129], v[124:125]
.LBB121_554:
	s_mov_b32 s6, exec_lo
	v_cmpx_ne_u32_e32 12, v0
	s_cbranch_execz .LBB121_558
; %bb.555:
	v_add_nc_u32_e32 v124, 0x3b0, v127
	v_add3_u32 v125, 0, v127, 16
	v_mov_b32_e32 v126, v0
	s_mov_b32 s8, 0
	.p2align	6
.LBB121_556:                            ; =>This Inner Loop Header: Depth=1
	s_clause 0x3
	buffer_load_dword v132, v125, s[0:3], 0 offen offset:8
	buffer_load_dword v133, v125, s[0:3], 0 offen offset:12
	buffer_load_dword v134, v125, s[0:3], 0 offen
	buffer_load_dword v135, v125, s[0:3], 0 offen offset:4
	ds_read_b128 v[128:131], v124
	v_add_nc_u32_e32 v126, 1, v126
	v_add_nc_u32_e32 v124, 16, v124
	;; [unrolled: 1-line block ×3, first 2 shown]
	v_cmp_lt_u32_e32 vcc_lo, 11, v126
	s_or_b32 s8, vcc_lo, s8
	s_waitcnt vmcnt(2) lgkmcnt(0)
	v_mul_f64 v[136:137], v[130:131], v[132:133]
	v_mul_f64 v[132:133], v[128:129], v[132:133]
	s_waitcnt vmcnt(0)
	v_fma_f64 v[128:129], v[128:129], v[134:135], -v[136:137]
	v_fma_f64 v[130:131], v[130:131], v[134:135], v[132:133]
	v_add_f64 v[1:2], v[1:2], v[128:129]
	v_add_f64 v[3:4], v[3:4], v[130:131]
	s_andn2_b32 exec_lo, exec_lo, s8
	s_cbranch_execnz .LBB121_556
; %bb.557:
	s_or_b32 exec_lo, exec_lo, s8
.LBB121_558:
	s_or_b32 exec_lo, exec_lo, s6
	v_mov_b32_e32 v124, 0
	ds_read_b128 v[128:131], v124 offset:208
	s_waitcnt lgkmcnt(0)
	v_mul_f64 v[124:125], v[3:4], v[130:131]
	v_mul_f64 v[130:131], v[1:2], v[130:131]
	v_fma_f64 v[1:2], v[1:2], v[128:129], -v[124:125]
	v_fma_f64 v[3:4], v[3:4], v[128:129], v[130:131]
	buffer_store_dword v2, off, s[0:3], 0 offset:212
	buffer_store_dword v1, off, s[0:3], 0 offset:208
	buffer_store_dword v4, off, s[0:3], 0 offset:220
	buffer_store_dword v3, off, s[0:3], 0 offset:216
.LBB121_559:
	s_or_b32 exec_lo, exec_lo, s4
	v_mov_b32_e32 v4, s52
	s_mov_b32 s4, exec_lo
	s_clause 0x3
	buffer_load_dword v1, v4, s[0:3], 0 offen
	buffer_load_dword v2, v4, s[0:3], 0 offen offset:4
	buffer_load_dword v3, v4, s[0:3], 0 offen offset:8
	;; [unrolled: 1-line block ×3, first 2 shown]
	s_waitcnt vmcnt(0)
	ds_write_b128 v122, v[1:4]
	s_waitcnt lgkmcnt(0)
	s_waitcnt_vscnt null, 0x0
	s_barrier
	buffer_gl0_inv
	v_cmpx_gt_u32_e32 14, v0
	s_cbranch_execz .LBB121_567
; %bb.560:
	ds_read_b128 v[1:4], v122
	v_cmp_ne_u32_e32 vcc_lo, 1, v123
	s_cbranch_vccnz .LBB121_562
; %bb.561:
	s_clause 0x3
	buffer_load_dword v124, v121, s[0:3], 0 offen offset:8
	buffer_load_dword v125, v121, s[0:3], 0 offen offset:12
	buffer_load_dword v128, v121, s[0:3], 0 offen
	buffer_load_dword v129, v121, s[0:3], 0 offen offset:4
	s_waitcnt vmcnt(2) lgkmcnt(0)
	v_mul_f64 v[130:131], v[3:4], v[124:125]
	v_mul_f64 v[124:125], v[1:2], v[124:125]
	s_waitcnt vmcnt(0)
	v_fma_f64 v[1:2], v[1:2], v[128:129], -v[130:131]
	v_fma_f64 v[3:4], v[3:4], v[128:129], v[124:125]
.LBB121_562:
	s_mov_b32 s6, exec_lo
	v_cmpx_ne_u32_e32 13, v0
	s_cbranch_execz .LBB121_566
; %bb.563:
	v_add_nc_u32_e32 v124, 0x3b0, v127
	v_add3_u32 v125, 0, v127, 16
	v_mov_b32_e32 v126, v0
	s_mov_b32 s8, 0
	.p2align	6
.LBB121_564:                            ; =>This Inner Loop Header: Depth=1
	s_clause 0x3
	buffer_load_dword v132, v125, s[0:3], 0 offen offset:8
	buffer_load_dword v133, v125, s[0:3], 0 offen offset:12
	buffer_load_dword v134, v125, s[0:3], 0 offen
	buffer_load_dword v135, v125, s[0:3], 0 offen offset:4
	ds_read_b128 v[128:131], v124
	v_add_nc_u32_e32 v126, 1, v126
	v_add_nc_u32_e32 v124, 16, v124
	;; [unrolled: 1-line block ×3, first 2 shown]
	v_cmp_lt_u32_e32 vcc_lo, 12, v126
	s_or_b32 s8, vcc_lo, s8
	s_waitcnt vmcnt(2) lgkmcnt(0)
	v_mul_f64 v[136:137], v[130:131], v[132:133]
	v_mul_f64 v[132:133], v[128:129], v[132:133]
	s_waitcnt vmcnt(0)
	v_fma_f64 v[128:129], v[128:129], v[134:135], -v[136:137]
	v_fma_f64 v[130:131], v[130:131], v[134:135], v[132:133]
	v_add_f64 v[1:2], v[1:2], v[128:129]
	v_add_f64 v[3:4], v[3:4], v[130:131]
	s_andn2_b32 exec_lo, exec_lo, s8
	s_cbranch_execnz .LBB121_564
; %bb.565:
	s_or_b32 exec_lo, exec_lo, s8
.LBB121_566:
	s_or_b32 exec_lo, exec_lo, s6
	v_mov_b32_e32 v124, 0
	ds_read_b128 v[128:131], v124 offset:224
	s_waitcnt lgkmcnt(0)
	v_mul_f64 v[124:125], v[3:4], v[130:131]
	v_mul_f64 v[130:131], v[1:2], v[130:131]
	v_fma_f64 v[1:2], v[1:2], v[128:129], -v[124:125]
	v_fma_f64 v[3:4], v[3:4], v[128:129], v[130:131]
	buffer_store_dword v2, off, s[0:3], 0 offset:228
	buffer_store_dword v1, off, s[0:3], 0 offset:224
	;; [unrolled: 1-line block ×4, first 2 shown]
.LBB121_567:
	s_or_b32 exec_lo, exec_lo, s4
	v_mov_b32_e32 v4, s51
	s_mov_b32 s4, exec_lo
	s_clause 0x3
	buffer_load_dword v1, v4, s[0:3], 0 offen
	buffer_load_dword v2, v4, s[0:3], 0 offen offset:4
	buffer_load_dword v3, v4, s[0:3], 0 offen offset:8
	buffer_load_dword v4, v4, s[0:3], 0 offen offset:12
	s_waitcnt vmcnt(0)
	ds_write_b128 v122, v[1:4]
	s_waitcnt lgkmcnt(0)
	s_waitcnt_vscnt null, 0x0
	s_barrier
	buffer_gl0_inv
	v_cmpx_gt_u32_e32 15, v0
	s_cbranch_execz .LBB121_575
; %bb.568:
	ds_read_b128 v[1:4], v122
	v_cmp_ne_u32_e32 vcc_lo, 1, v123
	s_cbranch_vccnz .LBB121_570
; %bb.569:
	s_clause 0x3
	buffer_load_dword v124, v121, s[0:3], 0 offen offset:8
	buffer_load_dword v125, v121, s[0:3], 0 offen offset:12
	buffer_load_dword v128, v121, s[0:3], 0 offen
	buffer_load_dword v129, v121, s[0:3], 0 offen offset:4
	s_waitcnt vmcnt(2) lgkmcnt(0)
	v_mul_f64 v[130:131], v[3:4], v[124:125]
	v_mul_f64 v[124:125], v[1:2], v[124:125]
	s_waitcnt vmcnt(0)
	v_fma_f64 v[1:2], v[1:2], v[128:129], -v[130:131]
	v_fma_f64 v[3:4], v[3:4], v[128:129], v[124:125]
.LBB121_570:
	s_mov_b32 s6, exec_lo
	v_cmpx_ne_u32_e32 14, v0
	s_cbranch_execz .LBB121_574
; %bb.571:
	v_add_nc_u32_e32 v124, 0x3b0, v127
	v_add3_u32 v125, 0, v127, 16
	v_mov_b32_e32 v126, v0
	s_mov_b32 s8, 0
	.p2align	6
.LBB121_572:                            ; =>This Inner Loop Header: Depth=1
	s_clause 0x3
	buffer_load_dword v132, v125, s[0:3], 0 offen offset:8
	buffer_load_dword v133, v125, s[0:3], 0 offen offset:12
	buffer_load_dword v134, v125, s[0:3], 0 offen
	buffer_load_dword v135, v125, s[0:3], 0 offen offset:4
	ds_read_b128 v[128:131], v124
	v_add_nc_u32_e32 v126, 1, v126
	v_add_nc_u32_e32 v124, 16, v124
	;; [unrolled: 1-line block ×3, first 2 shown]
	v_cmp_lt_u32_e32 vcc_lo, 13, v126
	s_or_b32 s8, vcc_lo, s8
	s_waitcnt vmcnt(2) lgkmcnt(0)
	v_mul_f64 v[136:137], v[130:131], v[132:133]
	v_mul_f64 v[132:133], v[128:129], v[132:133]
	s_waitcnt vmcnt(0)
	v_fma_f64 v[128:129], v[128:129], v[134:135], -v[136:137]
	v_fma_f64 v[130:131], v[130:131], v[134:135], v[132:133]
	v_add_f64 v[1:2], v[1:2], v[128:129]
	v_add_f64 v[3:4], v[3:4], v[130:131]
	s_andn2_b32 exec_lo, exec_lo, s8
	s_cbranch_execnz .LBB121_572
; %bb.573:
	s_or_b32 exec_lo, exec_lo, s8
.LBB121_574:
	s_or_b32 exec_lo, exec_lo, s6
	v_mov_b32_e32 v124, 0
	ds_read_b128 v[128:131], v124 offset:240
	s_waitcnt lgkmcnt(0)
	v_mul_f64 v[124:125], v[3:4], v[130:131]
	v_mul_f64 v[130:131], v[1:2], v[130:131]
	v_fma_f64 v[1:2], v[1:2], v[128:129], -v[124:125]
	v_fma_f64 v[3:4], v[3:4], v[128:129], v[130:131]
	buffer_store_dword v2, off, s[0:3], 0 offset:244
	buffer_store_dword v1, off, s[0:3], 0 offset:240
	buffer_store_dword v4, off, s[0:3], 0 offset:252
	buffer_store_dword v3, off, s[0:3], 0 offset:248
.LBB121_575:
	s_or_b32 exec_lo, exec_lo, s4
	v_mov_b32_e32 v4, s50
	s_mov_b32 s4, exec_lo
	s_clause 0x3
	buffer_load_dword v1, v4, s[0:3], 0 offen
	buffer_load_dword v2, v4, s[0:3], 0 offen offset:4
	buffer_load_dword v3, v4, s[0:3], 0 offen offset:8
	;; [unrolled: 1-line block ×3, first 2 shown]
	s_waitcnt vmcnt(0)
	ds_write_b128 v122, v[1:4]
	s_waitcnt lgkmcnt(0)
	s_waitcnt_vscnt null, 0x0
	s_barrier
	buffer_gl0_inv
	v_cmpx_gt_u32_e32 16, v0
	s_cbranch_execz .LBB121_583
; %bb.576:
	ds_read_b128 v[1:4], v122
	v_cmp_ne_u32_e32 vcc_lo, 1, v123
	s_cbranch_vccnz .LBB121_578
; %bb.577:
	s_clause 0x3
	buffer_load_dword v124, v121, s[0:3], 0 offen offset:8
	buffer_load_dword v125, v121, s[0:3], 0 offen offset:12
	buffer_load_dword v128, v121, s[0:3], 0 offen
	buffer_load_dword v129, v121, s[0:3], 0 offen offset:4
	s_waitcnt vmcnt(2) lgkmcnt(0)
	v_mul_f64 v[130:131], v[3:4], v[124:125]
	v_mul_f64 v[124:125], v[1:2], v[124:125]
	s_waitcnt vmcnt(0)
	v_fma_f64 v[1:2], v[1:2], v[128:129], -v[130:131]
	v_fma_f64 v[3:4], v[3:4], v[128:129], v[124:125]
.LBB121_578:
	s_mov_b32 s6, exec_lo
	v_cmpx_ne_u32_e32 15, v0
	s_cbranch_execz .LBB121_582
; %bb.579:
	v_add_nc_u32_e32 v124, 0x3b0, v127
	v_add3_u32 v125, 0, v127, 16
	v_mov_b32_e32 v126, v0
	s_mov_b32 s8, 0
	.p2align	6
.LBB121_580:                            ; =>This Inner Loop Header: Depth=1
	s_clause 0x3
	buffer_load_dword v132, v125, s[0:3], 0 offen offset:8
	buffer_load_dword v133, v125, s[0:3], 0 offen offset:12
	buffer_load_dword v134, v125, s[0:3], 0 offen
	buffer_load_dword v135, v125, s[0:3], 0 offen offset:4
	ds_read_b128 v[128:131], v124
	v_add_nc_u32_e32 v126, 1, v126
	v_add_nc_u32_e32 v124, 16, v124
	;; [unrolled: 1-line block ×3, first 2 shown]
	v_cmp_lt_u32_e32 vcc_lo, 14, v126
	s_or_b32 s8, vcc_lo, s8
	s_waitcnt vmcnt(2) lgkmcnt(0)
	v_mul_f64 v[136:137], v[130:131], v[132:133]
	v_mul_f64 v[132:133], v[128:129], v[132:133]
	s_waitcnt vmcnt(0)
	v_fma_f64 v[128:129], v[128:129], v[134:135], -v[136:137]
	v_fma_f64 v[130:131], v[130:131], v[134:135], v[132:133]
	v_add_f64 v[1:2], v[1:2], v[128:129]
	v_add_f64 v[3:4], v[3:4], v[130:131]
	s_andn2_b32 exec_lo, exec_lo, s8
	s_cbranch_execnz .LBB121_580
; %bb.581:
	s_or_b32 exec_lo, exec_lo, s8
.LBB121_582:
	s_or_b32 exec_lo, exec_lo, s6
	v_mov_b32_e32 v124, 0
	ds_read_b128 v[128:131], v124 offset:256
	s_waitcnt lgkmcnt(0)
	v_mul_f64 v[124:125], v[3:4], v[130:131]
	v_mul_f64 v[130:131], v[1:2], v[130:131]
	v_fma_f64 v[1:2], v[1:2], v[128:129], -v[124:125]
	v_fma_f64 v[3:4], v[3:4], v[128:129], v[130:131]
	buffer_store_dword v2, off, s[0:3], 0 offset:260
	buffer_store_dword v1, off, s[0:3], 0 offset:256
	;; [unrolled: 1-line block ×4, first 2 shown]
.LBB121_583:
	s_or_b32 exec_lo, exec_lo, s4
	v_mov_b32_e32 v4, s49
	s_mov_b32 s4, exec_lo
	s_clause 0x3
	buffer_load_dword v1, v4, s[0:3], 0 offen
	buffer_load_dword v2, v4, s[0:3], 0 offen offset:4
	buffer_load_dword v3, v4, s[0:3], 0 offen offset:8
	;; [unrolled: 1-line block ×3, first 2 shown]
	s_waitcnt vmcnt(0)
	ds_write_b128 v122, v[1:4]
	s_waitcnt lgkmcnt(0)
	s_waitcnt_vscnt null, 0x0
	s_barrier
	buffer_gl0_inv
	v_cmpx_gt_u32_e32 17, v0
	s_cbranch_execz .LBB121_591
; %bb.584:
	ds_read_b128 v[1:4], v122
	v_cmp_ne_u32_e32 vcc_lo, 1, v123
	s_cbranch_vccnz .LBB121_586
; %bb.585:
	s_clause 0x3
	buffer_load_dword v124, v121, s[0:3], 0 offen offset:8
	buffer_load_dword v125, v121, s[0:3], 0 offen offset:12
	buffer_load_dword v128, v121, s[0:3], 0 offen
	buffer_load_dword v129, v121, s[0:3], 0 offen offset:4
	s_waitcnt vmcnt(2) lgkmcnt(0)
	v_mul_f64 v[130:131], v[3:4], v[124:125]
	v_mul_f64 v[124:125], v[1:2], v[124:125]
	s_waitcnt vmcnt(0)
	v_fma_f64 v[1:2], v[1:2], v[128:129], -v[130:131]
	v_fma_f64 v[3:4], v[3:4], v[128:129], v[124:125]
.LBB121_586:
	s_mov_b32 s6, exec_lo
	v_cmpx_ne_u32_e32 16, v0
	s_cbranch_execz .LBB121_590
; %bb.587:
	v_add_nc_u32_e32 v124, 0x3b0, v127
	v_add3_u32 v125, 0, v127, 16
	v_mov_b32_e32 v126, v0
	s_mov_b32 s8, 0
	.p2align	6
.LBB121_588:                            ; =>This Inner Loop Header: Depth=1
	s_clause 0x3
	buffer_load_dword v132, v125, s[0:3], 0 offen offset:8
	buffer_load_dword v133, v125, s[0:3], 0 offen offset:12
	buffer_load_dword v134, v125, s[0:3], 0 offen
	buffer_load_dword v135, v125, s[0:3], 0 offen offset:4
	ds_read_b128 v[128:131], v124
	v_add_nc_u32_e32 v126, 1, v126
	v_add_nc_u32_e32 v124, 16, v124
	;; [unrolled: 1-line block ×3, first 2 shown]
	v_cmp_lt_u32_e32 vcc_lo, 15, v126
	s_or_b32 s8, vcc_lo, s8
	s_waitcnt vmcnt(2) lgkmcnt(0)
	v_mul_f64 v[136:137], v[130:131], v[132:133]
	v_mul_f64 v[132:133], v[128:129], v[132:133]
	s_waitcnt vmcnt(0)
	v_fma_f64 v[128:129], v[128:129], v[134:135], -v[136:137]
	v_fma_f64 v[130:131], v[130:131], v[134:135], v[132:133]
	v_add_f64 v[1:2], v[1:2], v[128:129]
	v_add_f64 v[3:4], v[3:4], v[130:131]
	s_andn2_b32 exec_lo, exec_lo, s8
	s_cbranch_execnz .LBB121_588
; %bb.589:
	s_or_b32 exec_lo, exec_lo, s8
.LBB121_590:
	s_or_b32 exec_lo, exec_lo, s6
	v_mov_b32_e32 v124, 0
	ds_read_b128 v[128:131], v124 offset:272
	s_waitcnt lgkmcnt(0)
	v_mul_f64 v[124:125], v[3:4], v[130:131]
	v_mul_f64 v[130:131], v[1:2], v[130:131]
	v_fma_f64 v[1:2], v[1:2], v[128:129], -v[124:125]
	v_fma_f64 v[3:4], v[3:4], v[128:129], v[130:131]
	buffer_store_dword v2, off, s[0:3], 0 offset:276
	buffer_store_dword v1, off, s[0:3], 0 offset:272
	buffer_store_dword v4, off, s[0:3], 0 offset:284
	buffer_store_dword v3, off, s[0:3], 0 offset:280
.LBB121_591:
	s_or_b32 exec_lo, exec_lo, s4
	v_mov_b32_e32 v4, s48
	s_mov_b32 s4, exec_lo
	s_clause 0x3
	buffer_load_dword v1, v4, s[0:3], 0 offen
	buffer_load_dword v2, v4, s[0:3], 0 offen offset:4
	buffer_load_dword v3, v4, s[0:3], 0 offen offset:8
	;; [unrolled: 1-line block ×3, first 2 shown]
	s_waitcnt vmcnt(0)
	ds_write_b128 v122, v[1:4]
	s_waitcnt lgkmcnt(0)
	s_waitcnt_vscnt null, 0x0
	s_barrier
	buffer_gl0_inv
	v_cmpx_gt_u32_e32 18, v0
	s_cbranch_execz .LBB121_599
; %bb.592:
	ds_read_b128 v[1:4], v122
	v_cmp_ne_u32_e32 vcc_lo, 1, v123
	s_cbranch_vccnz .LBB121_594
; %bb.593:
	s_clause 0x3
	buffer_load_dword v124, v121, s[0:3], 0 offen offset:8
	buffer_load_dword v125, v121, s[0:3], 0 offen offset:12
	buffer_load_dword v128, v121, s[0:3], 0 offen
	buffer_load_dword v129, v121, s[0:3], 0 offen offset:4
	s_waitcnt vmcnt(2) lgkmcnt(0)
	v_mul_f64 v[130:131], v[3:4], v[124:125]
	v_mul_f64 v[124:125], v[1:2], v[124:125]
	s_waitcnt vmcnt(0)
	v_fma_f64 v[1:2], v[1:2], v[128:129], -v[130:131]
	v_fma_f64 v[3:4], v[3:4], v[128:129], v[124:125]
.LBB121_594:
	s_mov_b32 s6, exec_lo
	v_cmpx_ne_u32_e32 17, v0
	s_cbranch_execz .LBB121_598
; %bb.595:
	v_add_nc_u32_e32 v124, 0x3b0, v127
	v_add3_u32 v125, 0, v127, 16
	v_mov_b32_e32 v126, v0
	s_mov_b32 s8, 0
	.p2align	6
.LBB121_596:                            ; =>This Inner Loop Header: Depth=1
	s_clause 0x3
	buffer_load_dword v132, v125, s[0:3], 0 offen offset:8
	buffer_load_dword v133, v125, s[0:3], 0 offen offset:12
	buffer_load_dword v134, v125, s[0:3], 0 offen
	buffer_load_dword v135, v125, s[0:3], 0 offen offset:4
	ds_read_b128 v[128:131], v124
	v_add_nc_u32_e32 v126, 1, v126
	v_add_nc_u32_e32 v124, 16, v124
	;; [unrolled: 1-line block ×3, first 2 shown]
	v_cmp_lt_u32_e32 vcc_lo, 16, v126
	s_or_b32 s8, vcc_lo, s8
	s_waitcnt vmcnt(2) lgkmcnt(0)
	v_mul_f64 v[136:137], v[130:131], v[132:133]
	v_mul_f64 v[132:133], v[128:129], v[132:133]
	s_waitcnt vmcnt(0)
	v_fma_f64 v[128:129], v[128:129], v[134:135], -v[136:137]
	v_fma_f64 v[130:131], v[130:131], v[134:135], v[132:133]
	v_add_f64 v[1:2], v[1:2], v[128:129]
	v_add_f64 v[3:4], v[3:4], v[130:131]
	s_andn2_b32 exec_lo, exec_lo, s8
	s_cbranch_execnz .LBB121_596
; %bb.597:
	s_or_b32 exec_lo, exec_lo, s8
.LBB121_598:
	s_or_b32 exec_lo, exec_lo, s6
	v_mov_b32_e32 v124, 0
	ds_read_b128 v[128:131], v124 offset:288
	s_waitcnt lgkmcnt(0)
	v_mul_f64 v[124:125], v[3:4], v[130:131]
	v_mul_f64 v[130:131], v[1:2], v[130:131]
	v_fma_f64 v[1:2], v[1:2], v[128:129], -v[124:125]
	v_fma_f64 v[3:4], v[3:4], v[128:129], v[130:131]
	buffer_store_dword v2, off, s[0:3], 0 offset:292
	buffer_store_dword v1, off, s[0:3], 0 offset:288
	;; [unrolled: 1-line block ×4, first 2 shown]
.LBB121_599:
	s_or_b32 exec_lo, exec_lo, s4
	v_mov_b32_e32 v4, s47
	s_mov_b32 s4, exec_lo
	s_clause 0x3
	buffer_load_dword v1, v4, s[0:3], 0 offen
	buffer_load_dword v2, v4, s[0:3], 0 offen offset:4
	buffer_load_dword v3, v4, s[0:3], 0 offen offset:8
	;; [unrolled: 1-line block ×3, first 2 shown]
	s_waitcnt vmcnt(0)
	ds_write_b128 v122, v[1:4]
	s_waitcnt lgkmcnt(0)
	s_waitcnt_vscnt null, 0x0
	s_barrier
	buffer_gl0_inv
	v_cmpx_gt_u32_e32 19, v0
	s_cbranch_execz .LBB121_607
; %bb.600:
	ds_read_b128 v[1:4], v122
	v_cmp_ne_u32_e32 vcc_lo, 1, v123
	s_cbranch_vccnz .LBB121_602
; %bb.601:
	s_clause 0x3
	buffer_load_dword v124, v121, s[0:3], 0 offen offset:8
	buffer_load_dword v125, v121, s[0:3], 0 offen offset:12
	buffer_load_dword v128, v121, s[0:3], 0 offen
	buffer_load_dword v129, v121, s[0:3], 0 offen offset:4
	s_waitcnt vmcnt(2) lgkmcnt(0)
	v_mul_f64 v[130:131], v[3:4], v[124:125]
	v_mul_f64 v[124:125], v[1:2], v[124:125]
	s_waitcnt vmcnt(0)
	v_fma_f64 v[1:2], v[1:2], v[128:129], -v[130:131]
	v_fma_f64 v[3:4], v[3:4], v[128:129], v[124:125]
.LBB121_602:
	s_mov_b32 s6, exec_lo
	v_cmpx_ne_u32_e32 18, v0
	s_cbranch_execz .LBB121_606
; %bb.603:
	v_add_nc_u32_e32 v124, 0x3b0, v127
	v_add3_u32 v125, 0, v127, 16
	v_mov_b32_e32 v126, v0
	s_mov_b32 s8, 0
	.p2align	6
.LBB121_604:                            ; =>This Inner Loop Header: Depth=1
	s_clause 0x3
	buffer_load_dword v132, v125, s[0:3], 0 offen offset:8
	buffer_load_dword v133, v125, s[0:3], 0 offen offset:12
	buffer_load_dword v134, v125, s[0:3], 0 offen
	buffer_load_dword v135, v125, s[0:3], 0 offen offset:4
	ds_read_b128 v[128:131], v124
	v_add_nc_u32_e32 v126, 1, v126
	v_add_nc_u32_e32 v124, 16, v124
	;; [unrolled: 1-line block ×3, first 2 shown]
	v_cmp_lt_u32_e32 vcc_lo, 17, v126
	s_or_b32 s8, vcc_lo, s8
	s_waitcnt vmcnt(2) lgkmcnt(0)
	v_mul_f64 v[136:137], v[130:131], v[132:133]
	v_mul_f64 v[132:133], v[128:129], v[132:133]
	s_waitcnt vmcnt(0)
	v_fma_f64 v[128:129], v[128:129], v[134:135], -v[136:137]
	v_fma_f64 v[130:131], v[130:131], v[134:135], v[132:133]
	v_add_f64 v[1:2], v[1:2], v[128:129]
	v_add_f64 v[3:4], v[3:4], v[130:131]
	s_andn2_b32 exec_lo, exec_lo, s8
	s_cbranch_execnz .LBB121_604
; %bb.605:
	s_or_b32 exec_lo, exec_lo, s8
.LBB121_606:
	s_or_b32 exec_lo, exec_lo, s6
	v_mov_b32_e32 v124, 0
	ds_read_b128 v[128:131], v124 offset:304
	s_waitcnt lgkmcnt(0)
	v_mul_f64 v[124:125], v[3:4], v[130:131]
	v_mul_f64 v[130:131], v[1:2], v[130:131]
	v_fma_f64 v[1:2], v[1:2], v[128:129], -v[124:125]
	v_fma_f64 v[3:4], v[3:4], v[128:129], v[130:131]
	buffer_store_dword v2, off, s[0:3], 0 offset:308
	buffer_store_dword v1, off, s[0:3], 0 offset:304
	;; [unrolled: 1-line block ×4, first 2 shown]
.LBB121_607:
	s_or_b32 exec_lo, exec_lo, s4
	v_mov_b32_e32 v4, s46
	s_mov_b32 s4, exec_lo
	s_clause 0x3
	buffer_load_dword v1, v4, s[0:3], 0 offen
	buffer_load_dword v2, v4, s[0:3], 0 offen offset:4
	buffer_load_dword v3, v4, s[0:3], 0 offen offset:8
	buffer_load_dword v4, v4, s[0:3], 0 offen offset:12
	s_waitcnt vmcnt(0)
	ds_write_b128 v122, v[1:4]
	s_waitcnt lgkmcnt(0)
	s_waitcnt_vscnt null, 0x0
	s_barrier
	buffer_gl0_inv
	v_cmpx_gt_u32_e32 20, v0
	s_cbranch_execz .LBB121_615
; %bb.608:
	ds_read_b128 v[1:4], v122
	v_cmp_ne_u32_e32 vcc_lo, 1, v123
	s_cbranch_vccnz .LBB121_610
; %bb.609:
	s_clause 0x3
	buffer_load_dword v124, v121, s[0:3], 0 offen offset:8
	buffer_load_dword v125, v121, s[0:3], 0 offen offset:12
	buffer_load_dword v128, v121, s[0:3], 0 offen
	buffer_load_dword v129, v121, s[0:3], 0 offen offset:4
	s_waitcnt vmcnt(2) lgkmcnt(0)
	v_mul_f64 v[130:131], v[3:4], v[124:125]
	v_mul_f64 v[124:125], v[1:2], v[124:125]
	s_waitcnt vmcnt(0)
	v_fma_f64 v[1:2], v[1:2], v[128:129], -v[130:131]
	v_fma_f64 v[3:4], v[3:4], v[128:129], v[124:125]
.LBB121_610:
	s_mov_b32 s6, exec_lo
	v_cmpx_ne_u32_e32 19, v0
	s_cbranch_execz .LBB121_614
; %bb.611:
	v_add_nc_u32_e32 v124, 0x3b0, v127
	v_add3_u32 v125, 0, v127, 16
	v_mov_b32_e32 v126, v0
	s_mov_b32 s8, 0
	.p2align	6
.LBB121_612:                            ; =>This Inner Loop Header: Depth=1
	s_clause 0x3
	buffer_load_dword v132, v125, s[0:3], 0 offen offset:8
	buffer_load_dword v133, v125, s[0:3], 0 offen offset:12
	buffer_load_dword v134, v125, s[0:3], 0 offen
	buffer_load_dword v135, v125, s[0:3], 0 offen offset:4
	ds_read_b128 v[128:131], v124
	v_add_nc_u32_e32 v126, 1, v126
	v_add_nc_u32_e32 v124, 16, v124
	;; [unrolled: 1-line block ×3, first 2 shown]
	v_cmp_lt_u32_e32 vcc_lo, 18, v126
	s_or_b32 s8, vcc_lo, s8
	s_waitcnt vmcnt(2) lgkmcnt(0)
	v_mul_f64 v[136:137], v[130:131], v[132:133]
	v_mul_f64 v[132:133], v[128:129], v[132:133]
	s_waitcnt vmcnt(0)
	v_fma_f64 v[128:129], v[128:129], v[134:135], -v[136:137]
	v_fma_f64 v[130:131], v[130:131], v[134:135], v[132:133]
	v_add_f64 v[1:2], v[1:2], v[128:129]
	v_add_f64 v[3:4], v[3:4], v[130:131]
	s_andn2_b32 exec_lo, exec_lo, s8
	s_cbranch_execnz .LBB121_612
; %bb.613:
	s_or_b32 exec_lo, exec_lo, s8
.LBB121_614:
	s_or_b32 exec_lo, exec_lo, s6
	v_mov_b32_e32 v124, 0
	ds_read_b128 v[128:131], v124 offset:320
	s_waitcnt lgkmcnt(0)
	v_mul_f64 v[124:125], v[3:4], v[130:131]
	v_mul_f64 v[130:131], v[1:2], v[130:131]
	v_fma_f64 v[1:2], v[1:2], v[128:129], -v[124:125]
	v_fma_f64 v[3:4], v[3:4], v[128:129], v[130:131]
	buffer_store_dword v2, off, s[0:3], 0 offset:324
	buffer_store_dword v1, off, s[0:3], 0 offset:320
	;; [unrolled: 1-line block ×4, first 2 shown]
.LBB121_615:
	s_or_b32 exec_lo, exec_lo, s4
	v_mov_b32_e32 v4, s45
	s_mov_b32 s4, exec_lo
	s_clause 0x3
	buffer_load_dword v1, v4, s[0:3], 0 offen
	buffer_load_dword v2, v4, s[0:3], 0 offen offset:4
	buffer_load_dword v3, v4, s[0:3], 0 offen offset:8
	;; [unrolled: 1-line block ×3, first 2 shown]
	s_waitcnt vmcnt(0)
	ds_write_b128 v122, v[1:4]
	s_waitcnt lgkmcnt(0)
	s_waitcnt_vscnt null, 0x0
	s_barrier
	buffer_gl0_inv
	v_cmpx_gt_u32_e32 21, v0
	s_cbranch_execz .LBB121_623
; %bb.616:
	ds_read_b128 v[1:4], v122
	v_cmp_ne_u32_e32 vcc_lo, 1, v123
	s_cbranch_vccnz .LBB121_618
; %bb.617:
	s_clause 0x3
	buffer_load_dword v124, v121, s[0:3], 0 offen offset:8
	buffer_load_dword v125, v121, s[0:3], 0 offen offset:12
	buffer_load_dword v128, v121, s[0:3], 0 offen
	buffer_load_dword v129, v121, s[0:3], 0 offen offset:4
	s_waitcnt vmcnt(2) lgkmcnt(0)
	v_mul_f64 v[130:131], v[3:4], v[124:125]
	v_mul_f64 v[124:125], v[1:2], v[124:125]
	s_waitcnt vmcnt(0)
	v_fma_f64 v[1:2], v[1:2], v[128:129], -v[130:131]
	v_fma_f64 v[3:4], v[3:4], v[128:129], v[124:125]
.LBB121_618:
	s_mov_b32 s6, exec_lo
	v_cmpx_ne_u32_e32 20, v0
	s_cbranch_execz .LBB121_622
; %bb.619:
	v_add_nc_u32_e32 v124, 0x3b0, v127
	v_add3_u32 v125, 0, v127, 16
	v_mov_b32_e32 v126, v0
	s_mov_b32 s8, 0
	.p2align	6
.LBB121_620:                            ; =>This Inner Loop Header: Depth=1
	s_clause 0x3
	buffer_load_dword v132, v125, s[0:3], 0 offen offset:8
	buffer_load_dword v133, v125, s[0:3], 0 offen offset:12
	buffer_load_dword v134, v125, s[0:3], 0 offen
	buffer_load_dword v135, v125, s[0:3], 0 offen offset:4
	ds_read_b128 v[128:131], v124
	v_add_nc_u32_e32 v126, 1, v126
	v_add_nc_u32_e32 v124, 16, v124
	v_add_nc_u32_e32 v125, 16, v125
	v_cmp_lt_u32_e32 vcc_lo, 19, v126
	s_or_b32 s8, vcc_lo, s8
	s_waitcnt vmcnt(2) lgkmcnt(0)
	v_mul_f64 v[136:137], v[130:131], v[132:133]
	v_mul_f64 v[132:133], v[128:129], v[132:133]
	s_waitcnt vmcnt(0)
	v_fma_f64 v[128:129], v[128:129], v[134:135], -v[136:137]
	v_fma_f64 v[130:131], v[130:131], v[134:135], v[132:133]
	v_add_f64 v[1:2], v[1:2], v[128:129]
	v_add_f64 v[3:4], v[3:4], v[130:131]
	s_andn2_b32 exec_lo, exec_lo, s8
	s_cbranch_execnz .LBB121_620
; %bb.621:
	s_or_b32 exec_lo, exec_lo, s8
.LBB121_622:
	s_or_b32 exec_lo, exec_lo, s6
	v_mov_b32_e32 v124, 0
	ds_read_b128 v[128:131], v124 offset:336
	s_waitcnt lgkmcnt(0)
	v_mul_f64 v[124:125], v[3:4], v[130:131]
	v_mul_f64 v[130:131], v[1:2], v[130:131]
	v_fma_f64 v[1:2], v[1:2], v[128:129], -v[124:125]
	v_fma_f64 v[3:4], v[3:4], v[128:129], v[130:131]
	buffer_store_dword v2, off, s[0:3], 0 offset:340
	buffer_store_dword v1, off, s[0:3], 0 offset:336
	;; [unrolled: 1-line block ×4, first 2 shown]
.LBB121_623:
	s_or_b32 exec_lo, exec_lo, s4
	v_mov_b32_e32 v4, s44
	s_mov_b32 s4, exec_lo
	s_clause 0x3
	buffer_load_dword v1, v4, s[0:3], 0 offen
	buffer_load_dword v2, v4, s[0:3], 0 offen offset:4
	buffer_load_dword v3, v4, s[0:3], 0 offen offset:8
	;; [unrolled: 1-line block ×3, first 2 shown]
	s_waitcnt vmcnt(0)
	ds_write_b128 v122, v[1:4]
	s_waitcnt lgkmcnt(0)
	s_waitcnt_vscnt null, 0x0
	s_barrier
	buffer_gl0_inv
	v_cmpx_gt_u32_e32 22, v0
	s_cbranch_execz .LBB121_631
; %bb.624:
	ds_read_b128 v[1:4], v122
	v_cmp_ne_u32_e32 vcc_lo, 1, v123
	s_cbranch_vccnz .LBB121_626
; %bb.625:
	s_clause 0x3
	buffer_load_dword v124, v121, s[0:3], 0 offen offset:8
	buffer_load_dword v125, v121, s[0:3], 0 offen offset:12
	buffer_load_dword v128, v121, s[0:3], 0 offen
	buffer_load_dword v129, v121, s[0:3], 0 offen offset:4
	s_waitcnt vmcnt(2) lgkmcnt(0)
	v_mul_f64 v[130:131], v[3:4], v[124:125]
	v_mul_f64 v[124:125], v[1:2], v[124:125]
	s_waitcnt vmcnt(0)
	v_fma_f64 v[1:2], v[1:2], v[128:129], -v[130:131]
	v_fma_f64 v[3:4], v[3:4], v[128:129], v[124:125]
.LBB121_626:
	s_mov_b32 s6, exec_lo
	v_cmpx_ne_u32_e32 21, v0
	s_cbranch_execz .LBB121_630
; %bb.627:
	v_add_nc_u32_e32 v124, 0x3b0, v127
	v_add3_u32 v125, 0, v127, 16
	v_mov_b32_e32 v126, v0
	s_mov_b32 s8, 0
	.p2align	6
.LBB121_628:                            ; =>This Inner Loop Header: Depth=1
	s_clause 0x3
	buffer_load_dword v132, v125, s[0:3], 0 offen offset:8
	buffer_load_dword v133, v125, s[0:3], 0 offen offset:12
	buffer_load_dword v134, v125, s[0:3], 0 offen
	buffer_load_dword v135, v125, s[0:3], 0 offen offset:4
	ds_read_b128 v[128:131], v124
	v_add_nc_u32_e32 v126, 1, v126
	v_add_nc_u32_e32 v124, 16, v124
	;; [unrolled: 1-line block ×3, first 2 shown]
	v_cmp_lt_u32_e32 vcc_lo, 20, v126
	s_or_b32 s8, vcc_lo, s8
	s_waitcnt vmcnt(2) lgkmcnt(0)
	v_mul_f64 v[136:137], v[130:131], v[132:133]
	v_mul_f64 v[132:133], v[128:129], v[132:133]
	s_waitcnt vmcnt(0)
	v_fma_f64 v[128:129], v[128:129], v[134:135], -v[136:137]
	v_fma_f64 v[130:131], v[130:131], v[134:135], v[132:133]
	v_add_f64 v[1:2], v[1:2], v[128:129]
	v_add_f64 v[3:4], v[3:4], v[130:131]
	s_andn2_b32 exec_lo, exec_lo, s8
	s_cbranch_execnz .LBB121_628
; %bb.629:
	s_or_b32 exec_lo, exec_lo, s8
.LBB121_630:
	s_or_b32 exec_lo, exec_lo, s6
	v_mov_b32_e32 v124, 0
	ds_read_b128 v[128:131], v124 offset:352
	s_waitcnt lgkmcnt(0)
	v_mul_f64 v[124:125], v[3:4], v[130:131]
	v_mul_f64 v[130:131], v[1:2], v[130:131]
	v_fma_f64 v[1:2], v[1:2], v[128:129], -v[124:125]
	v_fma_f64 v[3:4], v[3:4], v[128:129], v[130:131]
	buffer_store_dword v2, off, s[0:3], 0 offset:356
	buffer_store_dword v1, off, s[0:3], 0 offset:352
	;; [unrolled: 1-line block ×4, first 2 shown]
.LBB121_631:
	s_or_b32 exec_lo, exec_lo, s4
	v_mov_b32_e32 v4, s43
	s_mov_b32 s4, exec_lo
	s_clause 0x3
	buffer_load_dword v1, v4, s[0:3], 0 offen
	buffer_load_dword v2, v4, s[0:3], 0 offen offset:4
	buffer_load_dword v3, v4, s[0:3], 0 offen offset:8
	;; [unrolled: 1-line block ×3, first 2 shown]
	s_waitcnt vmcnt(0)
	ds_write_b128 v122, v[1:4]
	s_waitcnt lgkmcnt(0)
	s_waitcnt_vscnt null, 0x0
	s_barrier
	buffer_gl0_inv
	v_cmpx_gt_u32_e32 23, v0
	s_cbranch_execz .LBB121_639
; %bb.632:
	ds_read_b128 v[1:4], v122
	v_cmp_ne_u32_e32 vcc_lo, 1, v123
	s_cbranch_vccnz .LBB121_634
; %bb.633:
	s_clause 0x3
	buffer_load_dword v124, v121, s[0:3], 0 offen offset:8
	buffer_load_dword v125, v121, s[0:3], 0 offen offset:12
	buffer_load_dword v128, v121, s[0:3], 0 offen
	buffer_load_dword v129, v121, s[0:3], 0 offen offset:4
	s_waitcnt vmcnt(2) lgkmcnt(0)
	v_mul_f64 v[130:131], v[3:4], v[124:125]
	v_mul_f64 v[124:125], v[1:2], v[124:125]
	s_waitcnt vmcnt(0)
	v_fma_f64 v[1:2], v[1:2], v[128:129], -v[130:131]
	v_fma_f64 v[3:4], v[3:4], v[128:129], v[124:125]
.LBB121_634:
	s_mov_b32 s6, exec_lo
	v_cmpx_ne_u32_e32 22, v0
	s_cbranch_execz .LBB121_638
; %bb.635:
	v_add_nc_u32_e32 v124, 0x3b0, v127
	v_add3_u32 v125, 0, v127, 16
	v_mov_b32_e32 v126, v0
	s_mov_b32 s8, 0
	.p2align	6
.LBB121_636:                            ; =>This Inner Loop Header: Depth=1
	s_clause 0x3
	buffer_load_dword v132, v125, s[0:3], 0 offen offset:8
	buffer_load_dword v133, v125, s[0:3], 0 offen offset:12
	buffer_load_dword v134, v125, s[0:3], 0 offen
	buffer_load_dword v135, v125, s[0:3], 0 offen offset:4
	ds_read_b128 v[128:131], v124
	v_add_nc_u32_e32 v126, 1, v126
	v_add_nc_u32_e32 v124, 16, v124
	;; [unrolled: 1-line block ×3, first 2 shown]
	v_cmp_lt_u32_e32 vcc_lo, 21, v126
	s_or_b32 s8, vcc_lo, s8
	s_waitcnt vmcnt(2) lgkmcnt(0)
	v_mul_f64 v[136:137], v[130:131], v[132:133]
	v_mul_f64 v[132:133], v[128:129], v[132:133]
	s_waitcnt vmcnt(0)
	v_fma_f64 v[128:129], v[128:129], v[134:135], -v[136:137]
	v_fma_f64 v[130:131], v[130:131], v[134:135], v[132:133]
	v_add_f64 v[1:2], v[1:2], v[128:129]
	v_add_f64 v[3:4], v[3:4], v[130:131]
	s_andn2_b32 exec_lo, exec_lo, s8
	s_cbranch_execnz .LBB121_636
; %bb.637:
	s_or_b32 exec_lo, exec_lo, s8
.LBB121_638:
	s_or_b32 exec_lo, exec_lo, s6
	v_mov_b32_e32 v124, 0
	ds_read_b128 v[128:131], v124 offset:368
	s_waitcnt lgkmcnt(0)
	v_mul_f64 v[124:125], v[3:4], v[130:131]
	v_mul_f64 v[130:131], v[1:2], v[130:131]
	v_fma_f64 v[1:2], v[1:2], v[128:129], -v[124:125]
	v_fma_f64 v[3:4], v[3:4], v[128:129], v[130:131]
	buffer_store_dword v2, off, s[0:3], 0 offset:372
	buffer_store_dword v1, off, s[0:3], 0 offset:368
	;; [unrolled: 1-line block ×4, first 2 shown]
.LBB121_639:
	s_or_b32 exec_lo, exec_lo, s4
	v_mov_b32_e32 v4, s42
	s_mov_b32 s4, exec_lo
	s_clause 0x3
	buffer_load_dword v1, v4, s[0:3], 0 offen
	buffer_load_dword v2, v4, s[0:3], 0 offen offset:4
	buffer_load_dword v3, v4, s[0:3], 0 offen offset:8
	;; [unrolled: 1-line block ×3, first 2 shown]
	s_waitcnt vmcnt(0)
	ds_write_b128 v122, v[1:4]
	s_waitcnt lgkmcnt(0)
	s_waitcnt_vscnt null, 0x0
	s_barrier
	buffer_gl0_inv
	v_cmpx_gt_u32_e32 24, v0
	s_cbranch_execz .LBB121_647
; %bb.640:
	ds_read_b128 v[1:4], v122
	v_cmp_ne_u32_e32 vcc_lo, 1, v123
	s_cbranch_vccnz .LBB121_642
; %bb.641:
	s_clause 0x3
	buffer_load_dword v124, v121, s[0:3], 0 offen offset:8
	buffer_load_dword v125, v121, s[0:3], 0 offen offset:12
	buffer_load_dword v128, v121, s[0:3], 0 offen
	buffer_load_dword v129, v121, s[0:3], 0 offen offset:4
	s_waitcnt vmcnt(2) lgkmcnt(0)
	v_mul_f64 v[130:131], v[3:4], v[124:125]
	v_mul_f64 v[124:125], v[1:2], v[124:125]
	s_waitcnt vmcnt(0)
	v_fma_f64 v[1:2], v[1:2], v[128:129], -v[130:131]
	v_fma_f64 v[3:4], v[3:4], v[128:129], v[124:125]
.LBB121_642:
	s_mov_b32 s6, exec_lo
	v_cmpx_ne_u32_e32 23, v0
	s_cbranch_execz .LBB121_646
; %bb.643:
	v_add_nc_u32_e32 v124, 0x3b0, v127
	v_add3_u32 v125, 0, v127, 16
	v_mov_b32_e32 v126, v0
	s_mov_b32 s8, 0
	.p2align	6
.LBB121_644:                            ; =>This Inner Loop Header: Depth=1
	s_clause 0x3
	buffer_load_dword v132, v125, s[0:3], 0 offen offset:8
	buffer_load_dword v133, v125, s[0:3], 0 offen offset:12
	buffer_load_dword v134, v125, s[0:3], 0 offen
	buffer_load_dword v135, v125, s[0:3], 0 offen offset:4
	ds_read_b128 v[128:131], v124
	v_add_nc_u32_e32 v126, 1, v126
	v_add_nc_u32_e32 v124, 16, v124
	;; [unrolled: 1-line block ×3, first 2 shown]
	v_cmp_lt_u32_e32 vcc_lo, 22, v126
	s_or_b32 s8, vcc_lo, s8
	s_waitcnt vmcnt(2) lgkmcnt(0)
	v_mul_f64 v[136:137], v[130:131], v[132:133]
	v_mul_f64 v[132:133], v[128:129], v[132:133]
	s_waitcnt vmcnt(0)
	v_fma_f64 v[128:129], v[128:129], v[134:135], -v[136:137]
	v_fma_f64 v[130:131], v[130:131], v[134:135], v[132:133]
	v_add_f64 v[1:2], v[1:2], v[128:129]
	v_add_f64 v[3:4], v[3:4], v[130:131]
	s_andn2_b32 exec_lo, exec_lo, s8
	s_cbranch_execnz .LBB121_644
; %bb.645:
	s_or_b32 exec_lo, exec_lo, s8
.LBB121_646:
	s_or_b32 exec_lo, exec_lo, s6
	v_mov_b32_e32 v124, 0
	ds_read_b128 v[128:131], v124 offset:384
	s_waitcnt lgkmcnt(0)
	v_mul_f64 v[124:125], v[3:4], v[130:131]
	v_mul_f64 v[130:131], v[1:2], v[130:131]
	v_fma_f64 v[1:2], v[1:2], v[128:129], -v[124:125]
	v_fma_f64 v[3:4], v[3:4], v[128:129], v[130:131]
	buffer_store_dword v2, off, s[0:3], 0 offset:388
	buffer_store_dword v1, off, s[0:3], 0 offset:384
	;; [unrolled: 1-line block ×4, first 2 shown]
.LBB121_647:
	s_or_b32 exec_lo, exec_lo, s4
	v_mov_b32_e32 v4, s41
	s_mov_b32 s4, exec_lo
	s_clause 0x3
	buffer_load_dword v1, v4, s[0:3], 0 offen
	buffer_load_dword v2, v4, s[0:3], 0 offen offset:4
	buffer_load_dword v3, v4, s[0:3], 0 offen offset:8
	buffer_load_dword v4, v4, s[0:3], 0 offen offset:12
	s_waitcnt vmcnt(0)
	ds_write_b128 v122, v[1:4]
	s_waitcnt lgkmcnt(0)
	s_waitcnt_vscnt null, 0x0
	s_barrier
	buffer_gl0_inv
	v_cmpx_gt_u32_e32 25, v0
	s_cbranch_execz .LBB121_655
; %bb.648:
	ds_read_b128 v[1:4], v122
	v_cmp_ne_u32_e32 vcc_lo, 1, v123
	s_cbranch_vccnz .LBB121_650
; %bb.649:
	s_clause 0x3
	buffer_load_dword v124, v121, s[0:3], 0 offen offset:8
	buffer_load_dword v125, v121, s[0:3], 0 offen offset:12
	buffer_load_dword v128, v121, s[0:3], 0 offen
	buffer_load_dword v129, v121, s[0:3], 0 offen offset:4
	s_waitcnt vmcnt(2) lgkmcnt(0)
	v_mul_f64 v[130:131], v[3:4], v[124:125]
	v_mul_f64 v[124:125], v[1:2], v[124:125]
	s_waitcnt vmcnt(0)
	v_fma_f64 v[1:2], v[1:2], v[128:129], -v[130:131]
	v_fma_f64 v[3:4], v[3:4], v[128:129], v[124:125]
.LBB121_650:
	s_mov_b32 s6, exec_lo
	v_cmpx_ne_u32_e32 24, v0
	s_cbranch_execz .LBB121_654
; %bb.651:
	v_add_nc_u32_e32 v124, 0x3b0, v127
	v_add3_u32 v125, 0, v127, 16
	v_mov_b32_e32 v126, v0
	s_mov_b32 s8, 0
	.p2align	6
.LBB121_652:                            ; =>This Inner Loop Header: Depth=1
	s_clause 0x3
	buffer_load_dword v132, v125, s[0:3], 0 offen offset:8
	buffer_load_dword v133, v125, s[0:3], 0 offen offset:12
	buffer_load_dword v134, v125, s[0:3], 0 offen
	buffer_load_dword v135, v125, s[0:3], 0 offen offset:4
	ds_read_b128 v[128:131], v124
	v_add_nc_u32_e32 v126, 1, v126
	v_add_nc_u32_e32 v124, 16, v124
	;; [unrolled: 1-line block ×3, first 2 shown]
	v_cmp_lt_u32_e32 vcc_lo, 23, v126
	s_or_b32 s8, vcc_lo, s8
	s_waitcnt vmcnt(2) lgkmcnt(0)
	v_mul_f64 v[136:137], v[130:131], v[132:133]
	v_mul_f64 v[132:133], v[128:129], v[132:133]
	s_waitcnt vmcnt(0)
	v_fma_f64 v[128:129], v[128:129], v[134:135], -v[136:137]
	v_fma_f64 v[130:131], v[130:131], v[134:135], v[132:133]
	v_add_f64 v[1:2], v[1:2], v[128:129]
	v_add_f64 v[3:4], v[3:4], v[130:131]
	s_andn2_b32 exec_lo, exec_lo, s8
	s_cbranch_execnz .LBB121_652
; %bb.653:
	s_or_b32 exec_lo, exec_lo, s8
.LBB121_654:
	s_or_b32 exec_lo, exec_lo, s6
	v_mov_b32_e32 v124, 0
	ds_read_b128 v[128:131], v124 offset:400
	s_waitcnt lgkmcnt(0)
	v_mul_f64 v[124:125], v[3:4], v[130:131]
	v_mul_f64 v[130:131], v[1:2], v[130:131]
	v_fma_f64 v[1:2], v[1:2], v[128:129], -v[124:125]
	v_fma_f64 v[3:4], v[3:4], v[128:129], v[130:131]
	buffer_store_dword v2, off, s[0:3], 0 offset:404
	buffer_store_dword v1, off, s[0:3], 0 offset:400
	;; [unrolled: 1-line block ×4, first 2 shown]
.LBB121_655:
	s_or_b32 exec_lo, exec_lo, s4
	v_mov_b32_e32 v4, s40
	s_mov_b32 s4, exec_lo
	s_clause 0x3
	buffer_load_dword v1, v4, s[0:3], 0 offen
	buffer_load_dword v2, v4, s[0:3], 0 offen offset:4
	buffer_load_dword v3, v4, s[0:3], 0 offen offset:8
	;; [unrolled: 1-line block ×3, first 2 shown]
	s_waitcnt vmcnt(0)
	ds_write_b128 v122, v[1:4]
	s_waitcnt lgkmcnt(0)
	s_waitcnt_vscnt null, 0x0
	s_barrier
	buffer_gl0_inv
	v_cmpx_gt_u32_e32 26, v0
	s_cbranch_execz .LBB121_663
; %bb.656:
	ds_read_b128 v[1:4], v122
	v_cmp_ne_u32_e32 vcc_lo, 1, v123
	s_cbranch_vccnz .LBB121_658
; %bb.657:
	s_clause 0x3
	buffer_load_dword v124, v121, s[0:3], 0 offen offset:8
	buffer_load_dword v125, v121, s[0:3], 0 offen offset:12
	buffer_load_dword v128, v121, s[0:3], 0 offen
	buffer_load_dword v129, v121, s[0:3], 0 offen offset:4
	s_waitcnt vmcnt(2) lgkmcnt(0)
	v_mul_f64 v[130:131], v[3:4], v[124:125]
	v_mul_f64 v[124:125], v[1:2], v[124:125]
	s_waitcnt vmcnt(0)
	v_fma_f64 v[1:2], v[1:2], v[128:129], -v[130:131]
	v_fma_f64 v[3:4], v[3:4], v[128:129], v[124:125]
.LBB121_658:
	s_mov_b32 s6, exec_lo
	v_cmpx_ne_u32_e32 25, v0
	s_cbranch_execz .LBB121_662
; %bb.659:
	v_add_nc_u32_e32 v124, 0x3b0, v127
	v_add3_u32 v125, 0, v127, 16
	v_mov_b32_e32 v126, v0
	s_mov_b32 s8, 0
	.p2align	6
.LBB121_660:                            ; =>This Inner Loop Header: Depth=1
	s_clause 0x3
	buffer_load_dword v132, v125, s[0:3], 0 offen offset:8
	buffer_load_dword v133, v125, s[0:3], 0 offen offset:12
	buffer_load_dword v134, v125, s[0:3], 0 offen
	buffer_load_dword v135, v125, s[0:3], 0 offen offset:4
	ds_read_b128 v[128:131], v124
	v_add_nc_u32_e32 v126, 1, v126
	v_add_nc_u32_e32 v124, 16, v124
	;; [unrolled: 1-line block ×3, first 2 shown]
	v_cmp_lt_u32_e32 vcc_lo, 24, v126
	s_or_b32 s8, vcc_lo, s8
	s_waitcnt vmcnt(2) lgkmcnt(0)
	v_mul_f64 v[136:137], v[130:131], v[132:133]
	v_mul_f64 v[132:133], v[128:129], v[132:133]
	s_waitcnt vmcnt(0)
	v_fma_f64 v[128:129], v[128:129], v[134:135], -v[136:137]
	v_fma_f64 v[130:131], v[130:131], v[134:135], v[132:133]
	v_add_f64 v[1:2], v[1:2], v[128:129]
	v_add_f64 v[3:4], v[3:4], v[130:131]
	s_andn2_b32 exec_lo, exec_lo, s8
	s_cbranch_execnz .LBB121_660
; %bb.661:
	s_or_b32 exec_lo, exec_lo, s8
.LBB121_662:
	s_or_b32 exec_lo, exec_lo, s6
	v_mov_b32_e32 v124, 0
	ds_read_b128 v[128:131], v124 offset:416
	s_waitcnt lgkmcnt(0)
	v_mul_f64 v[124:125], v[3:4], v[130:131]
	v_mul_f64 v[130:131], v[1:2], v[130:131]
	v_fma_f64 v[1:2], v[1:2], v[128:129], -v[124:125]
	v_fma_f64 v[3:4], v[3:4], v[128:129], v[130:131]
	buffer_store_dword v2, off, s[0:3], 0 offset:420
	buffer_store_dword v1, off, s[0:3], 0 offset:416
	;; [unrolled: 1-line block ×4, first 2 shown]
.LBB121_663:
	s_or_b32 exec_lo, exec_lo, s4
	v_mov_b32_e32 v4, s39
	s_mov_b32 s4, exec_lo
	s_clause 0x3
	buffer_load_dword v1, v4, s[0:3], 0 offen
	buffer_load_dword v2, v4, s[0:3], 0 offen offset:4
	buffer_load_dword v3, v4, s[0:3], 0 offen offset:8
	;; [unrolled: 1-line block ×3, first 2 shown]
	s_waitcnt vmcnt(0)
	ds_write_b128 v122, v[1:4]
	s_waitcnt lgkmcnt(0)
	s_waitcnt_vscnt null, 0x0
	s_barrier
	buffer_gl0_inv
	v_cmpx_gt_u32_e32 27, v0
	s_cbranch_execz .LBB121_671
; %bb.664:
	ds_read_b128 v[1:4], v122
	v_cmp_ne_u32_e32 vcc_lo, 1, v123
	s_cbranch_vccnz .LBB121_666
; %bb.665:
	s_clause 0x3
	buffer_load_dword v124, v121, s[0:3], 0 offen offset:8
	buffer_load_dword v125, v121, s[0:3], 0 offen offset:12
	buffer_load_dword v128, v121, s[0:3], 0 offen
	buffer_load_dword v129, v121, s[0:3], 0 offen offset:4
	s_waitcnt vmcnt(2) lgkmcnt(0)
	v_mul_f64 v[130:131], v[3:4], v[124:125]
	v_mul_f64 v[124:125], v[1:2], v[124:125]
	s_waitcnt vmcnt(0)
	v_fma_f64 v[1:2], v[1:2], v[128:129], -v[130:131]
	v_fma_f64 v[3:4], v[3:4], v[128:129], v[124:125]
.LBB121_666:
	s_mov_b32 s6, exec_lo
	v_cmpx_ne_u32_e32 26, v0
	s_cbranch_execz .LBB121_670
; %bb.667:
	v_add_nc_u32_e32 v124, 0x3b0, v127
	v_add3_u32 v125, 0, v127, 16
	v_mov_b32_e32 v126, v0
	s_mov_b32 s8, 0
	.p2align	6
.LBB121_668:                            ; =>This Inner Loop Header: Depth=1
	s_clause 0x3
	buffer_load_dword v132, v125, s[0:3], 0 offen offset:8
	buffer_load_dword v133, v125, s[0:3], 0 offen offset:12
	buffer_load_dword v134, v125, s[0:3], 0 offen
	buffer_load_dword v135, v125, s[0:3], 0 offen offset:4
	ds_read_b128 v[128:131], v124
	v_add_nc_u32_e32 v126, 1, v126
	v_add_nc_u32_e32 v124, 16, v124
	;; [unrolled: 1-line block ×3, first 2 shown]
	v_cmp_lt_u32_e32 vcc_lo, 25, v126
	s_or_b32 s8, vcc_lo, s8
	s_waitcnt vmcnt(2) lgkmcnt(0)
	v_mul_f64 v[136:137], v[130:131], v[132:133]
	v_mul_f64 v[132:133], v[128:129], v[132:133]
	s_waitcnt vmcnt(0)
	v_fma_f64 v[128:129], v[128:129], v[134:135], -v[136:137]
	v_fma_f64 v[130:131], v[130:131], v[134:135], v[132:133]
	v_add_f64 v[1:2], v[1:2], v[128:129]
	v_add_f64 v[3:4], v[3:4], v[130:131]
	s_andn2_b32 exec_lo, exec_lo, s8
	s_cbranch_execnz .LBB121_668
; %bb.669:
	s_or_b32 exec_lo, exec_lo, s8
.LBB121_670:
	s_or_b32 exec_lo, exec_lo, s6
	v_mov_b32_e32 v124, 0
	ds_read_b128 v[128:131], v124 offset:432
	s_waitcnt lgkmcnt(0)
	v_mul_f64 v[124:125], v[3:4], v[130:131]
	v_mul_f64 v[130:131], v[1:2], v[130:131]
	v_fma_f64 v[1:2], v[1:2], v[128:129], -v[124:125]
	v_fma_f64 v[3:4], v[3:4], v[128:129], v[130:131]
	buffer_store_dword v2, off, s[0:3], 0 offset:436
	buffer_store_dword v1, off, s[0:3], 0 offset:432
	;; [unrolled: 1-line block ×4, first 2 shown]
.LBB121_671:
	s_or_b32 exec_lo, exec_lo, s4
	v_mov_b32_e32 v4, s38
	s_mov_b32 s4, exec_lo
	s_clause 0x3
	buffer_load_dword v1, v4, s[0:3], 0 offen
	buffer_load_dword v2, v4, s[0:3], 0 offen offset:4
	buffer_load_dword v3, v4, s[0:3], 0 offen offset:8
	;; [unrolled: 1-line block ×3, first 2 shown]
	s_waitcnt vmcnt(0)
	ds_write_b128 v122, v[1:4]
	s_waitcnt lgkmcnt(0)
	s_waitcnt_vscnt null, 0x0
	s_barrier
	buffer_gl0_inv
	v_cmpx_gt_u32_e32 28, v0
	s_cbranch_execz .LBB121_679
; %bb.672:
	ds_read_b128 v[1:4], v122
	v_cmp_ne_u32_e32 vcc_lo, 1, v123
	s_cbranch_vccnz .LBB121_674
; %bb.673:
	s_clause 0x3
	buffer_load_dword v124, v121, s[0:3], 0 offen offset:8
	buffer_load_dword v125, v121, s[0:3], 0 offen offset:12
	buffer_load_dword v128, v121, s[0:3], 0 offen
	buffer_load_dword v129, v121, s[0:3], 0 offen offset:4
	s_waitcnt vmcnt(2) lgkmcnt(0)
	v_mul_f64 v[130:131], v[3:4], v[124:125]
	v_mul_f64 v[124:125], v[1:2], v[124:125]
	s_waitcnt vmcnt(0)
	v_fma_f64 v[1:2], v[1:2], v[128:129], -v[130:131]
	v_fma_f64 v[3:4], v[3:4], v[128:129], v[124:125]
.LBB121_674:
	s_mov_b32 s6, exec_lo
	v_cmpx_ne_u32_e32 27, v0
	s_cbranch_execz .LBB121_678
; %bb.675:
	v_add_nc_u32_e32 v124, 0x3b0, v127
	v_add3_u32 v125, 0, v127, 16
	v_mov_b32_e32 v126, v0
	s_mov_b32 s8, 0
	.p2align	6
.LBB121_676:                            ; =>This Inner Loop Header: Depth=1
	s_clause 0x3
	buffer_load_dword v132, v125, s[0:3], 0 offen offset:8
	buffer_load_dword v133, v125, s[0:3], 0 offen offset:12
	buffer_load_dword v134, v125, s[0:3], 0 offen
	buffer_load_dword v135, v125, s[0:3], 0 offen offset:4
	ds_read_b128 v[128:131], v124
	v_add_nc_u32_e32 v126, 1, v126
	v_add_nc_u32_e32 v124, 16, v124
	;; [unrolled: 1-line block ×3, first 2 shown]
	v_cmp_lt_u32_e32 vcc_lo, 26, v126
	s_or_b32 s8, vcc_lo, s8
	s_waitcnt vmcnt(2) lgkmcnt(0)
	v_mul_f64 v[136:137], v[130:131], v[132:133]
	v_mul_f64 v[132:133], v[128:129], v[132:133]
	s_waitcnt vmcnt(0)
	v_fma_f64 v[128:129], v[128:129], v[134:135], -v[136:137]
	v_fma_f64 v[130:131], v[130:131], v[134:135], v[132:133]
	v_add_f64 v[1:2], v[1:2], v[128:129]
	v_add_f64 v[3:4], v[3:4], v[130:131]
	s_andn2_b32 exec_lo, exec_lo, s8
	s_cbranch_execnz .LBB121_676
; %bb.677:
	s_or_b32 exec_lo, exec_lo, s8
.LBB121_678:
	s_or_b32 exec_lo, exec_lo, s6
	v_mov_b32_e32 v124, 0
	ds_read_b128 v[128:131], v124 offset:448
	s_waitcnt lgkmcnt(0)
	v_mul_f64 v[124:125], v[3:4], v[130:131]
	v_mul_f64 v[130:131], v[1:2], v[130:131]
	v_fma_f64 v[1:2], v[1:2], v[128:129], -v[124:125]
	v_fma_f64 v[3:4], v[3:4], v[128:129], v[130:131]
	buffer_store_dword v2, off, s[0:3], 0 offset:452
	buffer_store_dword v1, off, s[0:3], 0 offset:448
	;; [unrolled: 1-line block ×4, first 2 shown]
.LBB121_679:
	s_or_b32 exec_lo, exec_lo, s4
	v_mov_b32_e32 v4, s37
	s_mov_b32 s4, exec_lo
	s_clause 0x3
	buffer_load_dword v1, v4, s[0:3], 0 offen
	buffer_load_dword v2, v4, s[0:3], 0 offen offset:4
	buffer_load_dword v3, v4, s[0:3], 0 offen offset:8
	;; [unrolled: 1-line block ×3, first 2 shown]
	s_waitcnt vmcnt(0)
	ds_write_b128 v122, v[1:4]
	s_waitcnt lgkmcnt(0)
	s_waitcnt_vscnt null, 0x0
	s_barrier
	buffer_gl0_inv
	v_cmpx_gt_u32_e32 29, v0
	s_cbranch_execz .LBB121_687
; %bb.680:
	ds_read_b128 v[1:4], v122
	v_cmp_ne_u32_e32 vcc_lo, 1, v123
	s_cbranch_vccnz .LBB121_682
; %bb.681:
	s_clause 0x3
	buffer_load_dword v124, v121, s[0:3], 0 offen offset:8
	buffer_load_dword v125, v121, s[0:3], 0 offen offset:12
	buffer_load_dword v128, v121, s[0:3], 0 offen
	buffer_load_dword v129, v121, s[0:3], 0 offen offset:4
	s_waitcnt vmcnt(2) lgkmcnt(0)
	v_mul_f64 v[130:131], v[3:4], v[124:125]
	v_mul_f64 v[124:125], v[1:2], v[124:125]
	s_waitcnt vmcnt(0)
	v_fma_f64 v[1:2], v[1:2], v[128:129], -v[130:131]
	v_fma_f64 v[3:4], v[3:4], v[128:129], v[124:125]
.LBB121_682:
	s_mov_b32 s6, exec_lo
	v_cmpx_ne_u32_e32 28, v0
	s_cbranch_execz .LBB121_686
; %bb.683:
	v_add_nc_u32_e32 v124, 0x3b0, v127
	v_add3_u32 v125, 0, v127, 16
	v_mov_b32_e32 v126, v0
	s_mov_b32 s8, 0
	.p2align	6
.LBB121_684:                            ; =>This Inner Loop Header: Depth=1
	s_clause 0x3
	buffer_load_dword v132, v125, s[0:3], 0 offen offset:8
	buffer_load_dword v133, v125, s[0:3], 0 offen offset:12
	buffer_load_dword v134, v125, s[0:3], 0 offen
	buffer_load_dword v135, v125, s[0:3], 0 offen offset:4
	ds_read_b128 v[128:131], v124
	v_add_nc_u32_e32 v126, 1, v126
	v_add_nc_u32_e32 v124, 16, v124
	;; [unrolled: 1-line block ×3, first 2 shown]
	v_cmp_lt_u32_e32 vcc_lo, 27, v126
	s_or_b32 s8, vcc_lo, s8
	s_waitcnt vmcnt(2) lgkmcnt(0)
	v_mul_f64 v[136:137], v[130:131], v[132:133]
	v_mul_f64 v[132:133], v[128:129], v[132:133]
	s_waitcnt vmcnt(0)
	v_fma_f64 v[128:129], v[128:129], v[134:135], -v[136:137]
	v_fma_f64 v[130:131], v[130:131], v[134:135], v[132:133]
	v_add_f64 v[1:2], v[1:2], v[128:129]
	v_add_f64 v[3:4], v[3:4], v[130:131]
	s_andn2_b32 exec_lo, exec_lo, s8
	s_cbranch_execnz .LBB121_684
; %bb.685:
	s_or_b32 exec_lo, exec_lo, s8
.LBB121_686:
	s_or_b32 exec_lo, exec_lo, s6
	v_mov_b32_e32 v124, 0
	ds_read_b128 v[128:131], v124 offset:464
	s_waitcnt lgkmcnt(0)
	v_mul_f64 v[124:125], v[3:4], v[130:131]
	v_mul_f64 v[130:131], v[1:2], v[130:131]
	v_fma_f64 v[1:2], v[1:2], v[128:129], -v[124:125]
	v_fma_f64 v[3:4], v[3:4], v[128:129], v[130:131]
	buffer_store_dword v2, off, s[0:3], 0 offset:468
	buffer_store_dword v1, off, s[0:3], 0 offset:464
	;; [unrolled: 1-line block ×4, first 2 shown]
.LBB121_687:
	s_or_b32 exec_lo, exec_lo, s4
	v_mov_b32_e32 v4, s36
	s_mov_b32 s4, exec_lo
	s_clause 0x3
	buffer_load_dword v1, v4, s[0:3], 0 offen
	buffer_load_dword v2, v4, s[0:3], 0 offen offset:4
	buffer_load_dword v3, v4, s[0:3], 0 offen offset:8
	;; [unrolled: 1-line block ×3, first 2 shown]
	s_waitcnt vmcnt(0)
	ds_write_b128 v122, v[1:4]
	s_waitcnt lgkmcnt(0)
	s_waitcnt_vscnt null, 0x0
	s_barrier
	buffer_gl0_inv
	v_cmpx_gt_u32_e32 30, v0
	s_cbranch_execz .LBB121_695
; %bb.688:
	ds_read_b128 v[1:4], v122
	v_cmp_ne_u32_e32 vcc_lo, 1, v123
	s_cbranch_vccnz .LBB121_690
; %bb.689:
	s_clause 0x3
	buffer_load_dword v124, v121, s[0:3], 0 offen offset:8
	buffer_load_dword v125, v121, s[0:3], 0 offen offset:12
	buffer_load_dword v128, v121, s[0:3], 0 offen
	buffer_load_dword v129, v121, s[0:3], 0 offen offset:4
	s_waitcnt vmcnt(2) lgkmcnt(0)
	v_mul_f64 v[130:131], v[3:4], v[124:125]
	v_mul_f64 v[124:125], v[1:2], v[124:125]
	s_waitcnt vmcnt(0)
	v_fma_f64 v[1:2], v[1:2], v[128:129], -v[130:131]
	v_fma_f64 v[3:4], v[3:4], v[128:129], v[124:125]
.LBB121_690:
	s_mov_b32 s6, exec_lo
	v_cmpx_ne_u32_e32 29, v0
	s_cbranch_execz .LBB121_694
; %bb.691:
	v_add_nc_u32_e32 v124, 0x3b0, v127
	v_add3_u32 v125, 0, v127, 16
	v_mov_b32_e32 v126, v0
	s_mov_b32 s8, 0
	.p2align	6
.LBB121_692:                            ; =>This Inner Loop Header: Depth=1
	s_clause 0x3
	buffer_load_dword v132, v125, s[0:3], 0 offen offset:8
	buffer_load_dword v133, v125, s[0:3], 0 offen offset:12
	buffer_load_dword v134, v125, s[0:3], 0 offen
	buffer_load_dword v135, v125, s[0:3], 0 offen offset:4
	ds_read_b128 v[128:131], v124
	v_add_nc_u32_e32 v126, 1, v126
	v_add_nc_u32_e32 v124, 16, v124
	;; [unrolled: 1-line block ×3, first 2 shown]
	v_cmp_lt_u32_e32 vcc_lo, 28, v126
	s_or_b32 s8, vcc_lo, s8
	s_waitcnt vmcnt(2) lgkmcnt(0)
	v_mul_f64 v[136:137], v[130:131], v[132:133]
	v_mul_f64 v[132:133], v[128:129], v[132:133]
	s_waitcnt vmcnt(0)
	v_fma_f64 v[128:129], v[128:129], v[134:135], -v[136:137]
	v_fma_f64 v[130:131], v[130:131], v[134:135], v[132:133]
	v_add_f64 v[1:2], v[1:2], v[128:129]
	v_add_f64 v[3:4], v[3:4], v[130:131]
	s_andn2_b32 exec_lo, exec_lo, s8
	s_cbranch_execnz .LBB121_692
; %bb.693:
	s_or_b32 exec_lo, exec_lo, s8
.LBB121_694:
	s_or_b32 exec_lo, exec_lo, s6
	v_mov_b32_e32 v124, 0
	ds_read_b128 v[128:131], v124 offset:480
	s_waitcnt lgkmcnt(0)
	v_mul_f64 v[124:125], v[3:4], v[130:131]
	v_mul_f64 v[130:131], v[1:2], v[130:131]
	v_fma_f64 v[1:2], v[1:2], v[128:129], -v[124:125]
	v_fma_f64 v[3:4], v[3:4], v[128:129], v[130:131]
	buffer_store_dword v2, off, s[0:3], 0 offset:484
	buffer_store_dword v1, off, s[0:3], 0 offset:480
	;; [unrolled: 1-line block ×4, first 2 shown]
.LBB121_695:
	s_or_b32 exec_lo, exec_lo, s4
	v_mov_b32_e32 v4, s35
	s_mov_b32 s4, exec_lo
	s_clause 0x3
	buffer_load_dword v1, v4, s[0:3], 0 offen
	buffer_load_dword v2, v4, s[0:3], 0 offen offset:4
	buffer_load_dword v3, v4, s[0:3], 0 offen offset:8
	;; [unrolled: 1-line block ×3, first 2 shown]
	s_waitcnt vmcnt(0)
	ds_write_b128 v122, v[1:4]
	s_waitcnt lgkmcnt(0)
	s_waitcnt_vscnt null, 0x0
	s_barrier
	buffer_gl0_inv
	v_cmpx_gt_u32_e32 31, v0
	s_cbranch_execz .LBB121_703
; %bb.696:
	ds_read_b128 v[1:4], v122
	v_cmp_ne_u32_e32 vcc_lo, 1, v123
	s_cbranch_vccnz .LBB121_698
; %bb.697:
	s_clause 0x3
	buffer_load_dword v124, v121, s[0:3], 0 offen offset:8
	buffer_load_dword v125, v121, s[0:3], 0 offen offset:12
	buffer_load_dword v128, v121, s[0:3], 0 offen
	buffer_load_dword v129, v121, s[0:3], 0 offen offset:4
	s_waitcnt vmcnt(2) lgkmcnt(0)
	v_mul_f64 v[130:131], v[3:4], v[124:125]
	v_mul_f64 v[124:125], v[1:2], v[124:125]
	s_waitcnt vmcnt(0)
	v_fma_f64 v[1:2], v[1:2], v[128:129], -v[130:131]
	v_fma_f64 v[3:4], v[3:4], v[128:129], v[124:125]
.LBB121_698:
	s_mov_b32 s6, exec_lo
	v_cmpx_ne_u32_e32 30, v0
	s_cbranch_execz .LBB121_702
; %bb.699:
	v_add_nc_u32_e32 v124, 0x3b0, v127
	v_add3_u32 v125, 0, v127, 16
	v_mov_b32_e32 v126, v0
	s_mov_b32 s8, 0
	.p2align	6
.LBB121_700:                            ; =>This Inner Loop Header: Depth=1
	s_clause 0x3
	buffer_load_dword v132, v125, s[0:3], 0 offen offset:8
	buffer_load_dword v133, v125, s[0:3], 0 offen offset:12
	buffer_load_dword v134, v125, s[0:3], 0 offen
	buffer_load_dword v135, v125, s[0:3], 0 offen offset:4
	ds_read_b128 v[128:131], v124
	v_add_nc_u32_e32 v126, 1, v126
	v_add_nc_u32_e32 v124, 16, v124
	;; [unrolled: 1-line block ×3, first 2 shown]
	v_cmp_lt_u32_e32 vcc_lo, 29, v126
	s_or_b32 s8, vcc_lo, s8
	s_waitcnt vmcnt(2) lgkmcnt(0)
	v_mul_f64 v[136:137], v[130:131], v[132:133]
	v_mul_f64 v[132:133], v[128:129], v[132:133]
	s_waitcnt vmcnt(0)
	v_fma_f64 v[128:129], v[128:129], v[134:135], -v[136:137]
	v_fma_f64 v[130:131], v[130:131], v[134:135], v[132:133]
	v_add_f64 v[1:2], v[1:2], v[128:129]
	v_add_f64 v[3:4], v[3:4], v[130:131]
	s_andn2_b32 exec_lo, exec_lo, s8
	s_cbranch_execnz .LBB121_700
; %bb.701:
	s_or_b32 exec_lo, exec_lo, s8
.LBB121_702:
	s_or_b32 exec_lo, exec_lo, s6
	v_mov_b32_e32 v124, 0
	ds_read_b128 v[128:131], v124 offset:496
	s_waitcnt lgkmcnt(0)
	v_mul_f64 v[124:125], v[3:4], v[130:131]
	v_mul_f64 v[130:131], v[1:2], v[130:131]
	v_fma_f64 v[1:2], v[1:2], v[128:129], -v[124:125]
	v_fma_f64 v[3:4], v[3:4], v[128:129], v[130:131]
	buffer_store_dword v2, off, s[0:3], 0 offset:500
	buffer_store_dword v1, off, s[0:3], 0 offset:496
	;; [unrolled: 1-line block ×4, first 2 shown]
.LBB121_703:
	s_or_b32 exec_lo, exec_lo, s4
	v_mov_b32_e32 v4, s34
	s_mov_b32 s4, exec_lo
	s_clause 0x3
	buffer_load_dword v1, v4, s[0:3], 0 offen
	buffer_load_dword v2, v4, s[0:3], 0 offen offset:4
	buffer_load_dword v3, v4, s[0:3], 0 offen offset:8
	;; [unrolled: 1-line block ×3, first 2 shown]
	s_waitcnt vmcnt(0)
	ds_write_b128 v122, v[1:4]
	s_waitcnt lgkmcnt(0)
	s_waitcnt_vscnt null, 0x0
	s_barrier
	buffer_gl0_inv
	v_cmpx_gt_u32_e32 32, v0
	s_cbranch_execz .LBB121_711
; %bb.704:
	ds_read_b128 v[1:4], v122
	v_cmp_ne_u32_e32 vcc_lo, 1, v123
	s_cbranch_vccnz .LBB121_706
; %bb.705:
	s_clause 0x3
	buffer_load_dword v124, v121, s[0:3], 0 offen offset:8
	buffer_load_dword v125, v121, s[0:3], 0 offen offset:12
	buffer_load_dword v128, v121, s[0:3], 0 offen
	buffer_load_dword v129, v121, s[0:3], 0 offen offset:4
	s_waitcnt vmcnt(2) lgkmcnt(0)
	v_mul_f64 v[130:131], v[3:4], v[124:125]
	v_mul_f64 v[124:125], v[1:2], v[124:125]
	s_waitcnt vmcnt(0)
	v_fma_f64 v[1:2], v[1:2], v[128:129], -v[130:131]
	v_fma_f64 v[3:4], v[3:4], v[128:129], v[124:125]
.LBB121_706:
	s_mov_b32 s6, exec_lo
	v_cmpx_ne_u32_e32 31, v0
	s_cbranch_execz .LBB121_710
; %bb.707:
	v_add_nc_u32_e32 v124, 0x3b0, v127
	v_add3_u32 v125, 0, v127, 16
	v_mov_b32_e32 v126, v0
	s_mov_b32 s8, 0
	.p2align	6
.LBB121_708:                            ; =>This Inner Loop Header: Depth=1
	s_clause 0x3
	buffer_load_dword v132, v125, s[0:3], 0 offen offset:8
	buffer_load_dword v133, v125, s[0:3], 0 offen offset:12
	buffer_load_dword v134, v125, s[0:3], 0 offen
	buffer_load_dword v135, v125, s[0:3], 0 offen offset:4
	ds_read_b128 v[128:131], v124
	v_add_nc_u32_e32 v126, 1, v126
	v_add_nc_u32_e32 v124, 16, v124
	;; [unrolled: 1-line block ×3, first 2 shown]
	v_cmp_lt_u32_e32 vcc_lo, 30, v126
	s_or_b32 s8, vcc_lo, s8
	s_waitcnt vmcnt(2) lgkmcnt(0)
	v_mul_f64 v[136:137], v[130:131], v[132:133]
	v_mul_f64 v[132:133], v[128:129], v[132:133]
	s_waitcnt vmcnt(0)
	v_fma_f64 v[128:129], v[128:129], v[134:135], -v[136:137]
	v_fma_f64 v[130:131], v[130:131], v[134:135], v[132:133]
	v_add_f64 v[1:2], v[1:2], v[128:129]
	v_add_f64 v[3:4], v[3:4], v[130:131]
	s_andn2_b32 exec_lo, exec_lo, s8
	s_cbranch_execnz .LBB121_708
; %bb.709:
	s_or_b32 exec_lo, exec_lo, s8
.LBB121_710:
	s_or_b32 exec_lo, exec_lo, s6
	v_mov_b32_e32 v124, 0
	ds_read_b128 v[128:131], v124 offset:512
	s_waitcnt lgkmcnt(0)
	v_mul_f64 v[124:125], v[3:4], v[130:131]
	v_mul_f64 v[130:131], v[1:2], v[130:131]
	v_fma_f64 v[1:2], v[1:2], v[128:129], -v[124:125]
	v_fma_f64 v[3:4], v[3:4], v[128:129], v[130:131]
	buffer_store_dword v2, off, s[0:3], 0 offset:516
	buffer_store_dword v1, off, s[0:3], 0 offset:512
	;; [unrolled: 1-line block ×4, first 2 shown]
.LBB121_711:
	s_or_b32 exec_lo, exec_lo, s4
	v_mov_b32_e32 v4, s33
	s_mov_b32 s4, exec_lo
	s_clause 0x3
	buffer_load_dword v1, v4, s[0:3], 0 offen
	buffer_load_dword v2, v4, s[0:3], 0 offen offset:4
	buffer_load_dword v3, v4, s[0:3], 0 offen offset:8
	;; [unrolled: 1-line block ×3, first 2 shown]
	s_waitcnt vmcnt(0)
	ds_write_b128 v122, v[1:4]
	s_waitcnt lgkmcnt(0)
	s_waitcnt_vscnt null, 0x0
	s_barrier
	buffer_gl0_inv
	v_cmpx_gt_u32_e32 33, v0
	s_cbranch_execz .LBB121_719
; %bb.712:
	ds_read_b128 v[1:4], v122
	v_cmp_ne_u32_e32 vcc_lo, 1, v123
	s_cbranch_vccnz .LBB121_714
; %bb.713:
	s_clause 0x3
	buffer_load_dword v124, v121, s[0:3], 0 offen offset:8
	buffer_load_dword v125, v121, s[0:3], 0 offen offset:12
	buffer_load_dword v128, v121, s[0:3], 0 offen
	buffer_load_dword v129, v121, s[0:3], 0 offen offset:4
	s_waitcnt vmcnt(2) lgkmcnt(0)
	v_mul_f64 v[130:131], v[3:4], v[124:125]
	v_mul_f64 v[124:125], v[1:2], v[124:125]
	s_waitcnt vmcnt(0)
	v_fma_f64 v[1:2], v[1:2], v[128:129], -v[130:131]
	v_fma_f64 v[3:4], v[3:4], v[128:129], v[124:125]
.LBB121_714:
	s_mov_b32 s6, exec_lo
	v_cmpx_ne_u32_e32 32, v0
	s_cbranch_execz .LBB121_718
; %bb.715:
	v_add_nc_u32_e32 v124, 0x3b0, v127
	v_add3_u32 v125, 0, v127, 16
	v_mov_b32_e32 v126, v0
	s_mov_b32 s8, 0
	.p2align	6
.LBB121_716:                            ; =>This Inner Loop Header: Depth=1
	s_clause 0x3
	buffer_load_dword v132, v125, s[0:3], 0 offen offset:8
	buffer_load_dword v133, v125, s[0:3], 0 offen offset:12
	buffer_load_dword v134, v125, s[0:3], 0 offen
	buffer_load_dword v135, v125, s[0:3], 0 offen offset:4
	ds_read_b128 v[128:131], v124
	v_add_nc_u32_e32 v126, 1, v126
	v_add_nc_u32_e32 v124, 16, v124
	;; [unrolled: 1-line block ×3, first 2 shown]
	v_cmp_lt_u32_e32 vcc_lo, 31, v126
	s_or_b32 s8, vcc_lo, s8
	s_waitcnt vmcnt(2) lgkmcnt(0)
	v_mul_f64 v[136:137], v[130:131], v[132:133]
	v_mul_f64 v[132:133], v[128:129], v[132:133]
	s_waitcnt vmcnt(0)
	v_fma_f64 v[128:129], v[128:129], v[134:135], -v[136:137]
	v_fma_f64 v[130:131], v[130:131], v[134:135], v[132:133]
	v_add_f64 v[1:2], v[1:2], v[128:129]
	v_add_f64 v[3:4], v[3:4], v[130:131]
	s_andn2_b32 exec_lo, exec_lo, s8
	s_cbranch_execnz .LBB121_716
; %bb.717:
	s_or_b32 exec_lo, exec_lo, s8
.LBB121_718:
	s_or_b32 exec_lo, exec_lo, s6
	v_mov_b32_e32 v124, 0
	ds_read_b128 v[128:131], v124 offset:528
	s_waitcnt lgkmcnt(0)
	v_mul_f64 v[124:125], v[3:4], v[130:131]
	v_mul_f64 v[130:131], v[1:2], v[130:131]
	v_fma_f64 v[1:2], v[1:2], v[128:129], -v[124:125]
	v_fma_f64 v[3:4], v[3:4], v[128:129], v[130:131]
	buffer_store_dword v2, off, s[0:3], 0 offset:532
	buffer_store_dword v1, off, s[0:3], 0 offset:528
	;; [unrolled: 1-line block ×4, first 2 shown]
.LBB121_719:
	s_or_b32 exec_lo, exec_lo, s4
	v_mov_b32_e32 v4, s31
	s_mov_b32 s4, exec_lo
	s_clause 0x3
	buffer_load_dword v1, v4, s[0:3], 0 offen
	buffer_load_dword v2, v4, s[0:3], 0 offen offset:4
	buffer_load_dword v3, v4, s[0:3], 0 offen offset:8
	;; [unrolled: 1-line block ×3, first 2 shown]
	s_waitcnt vmcnt(0)
	ds_write_b128 v122, v[1:4]
	s_waitcnt lgkmcnt(0)
	s_waitcnt_vscnt null, 0x0
	s_barrier
	buffer_gl0_inv
	v_cmpx_gt_u32_e32 34, v0
	s_cbranch_execz .LBB121_727
; %bb.720:
	ds_read_b128 v[1:4], v122
	v_cmp_ne_u32_e32 vcc_lo, 1, v123
	s_cbranch_vccnz .LBB121_722
; %bb.721:
	s_clause 0x3
	buffer_load_dword v124, v121, s[0:3], 0 offen offset:8
	buffer_load_dword v125, v121, s[0:3], 0 offen offset:12
	buffer_load_dword v128, v121, s[0:3], 0 offen
	buffer_load_dword v129, v121, s[0:3], 0 offen offset:4
	s_waitcnt vmcnt(2) lgkmcnt(0)
	v_mul_f64 v[130:131], v[3:4], v[124:125]
	v_mul_f64 v[124:125], v[1:2], v[124:125]
	s_waitcnt vmcnt(0)
	v_fma_f64 v[1:2], v[1:2], v[128:129], -v[130:131]
	v_fma_f64 v[3:4], v[3:4], v[128:129], v[124:125]
.LBB121_722:
	s_mov_b32 s6, exec_lo
	v_cmpx_ne_u32_e32 33, v0
	s_cbranch_execz .LBB121_726
; %bb.723:
	v_add_nc_u32_e32 v124, 0x3b0, v127
	v_add3_u32 v125, 0, v127, 16
	v_mov_b32_e32 v126, v0
	s_mov_b32 s8, 0
	.p2align	6
.LBB121_724:                            ; =>This Inner Loop Header: Depth=1
	s_clause 0x3
	buffer_load_dword v132, v125, s[0:3], 0 offen offset:8
	buffer_load_dword v133, v125, s[0:3], 0 offen offset:12
	buffer_load_dword v134, v125, s[0:3], 0 offen
	buffer_load_dword v135, v125, s[0:3], 0 offen offset:4
	ds_read_b128 v[128:131], v124
	v_add_nc_u32_e32 v126, 1, v126
	v_add_nc_u32_e32 v124, 16, v124
	;; [unrolled: 1-line block ×3, first 2 shown]
	v_cmp_lt_u32_e32 vcc_lo, 32, v126
	s_or_b32 s8, vcc_lo, s8
	s_waitcnt vmcnt(2) lgkmcnt(0)
	v_mul_f64 v[136:137], v[130:131], v[132:133]
	v_mul_f64 v[132:133], v[128:129], v[132:133]
	s_waitcnt vmcnt(0)
	v_fma_f64 v[128:129], v[128:129], v[134:135], -v[136:137]
	v_fma_f64 v[130:131], v[130:131], v[134:135], v[132:133]
	v_add_f64 v[1:2], v[1:2], v[128:129]
	v_add_f64 v[3:4], v[3:4], v[130:131]
	s_andn2_b32 exec_lo, exec_lo, s8
	s_cbranch_execnz .LBB121_724
; %bb.725:
	s_or_b32 exec_lo, exec_lo, s8
.LBB121_726:
	s_or_b32 exec_lo, exec_lo, s6
	v_mov_b32_e32 v124, 0
	ds_read_b128 v[128:131], v124 offset:544
	s_waitcnt lgkmcnt(0)
	v_mul_f64 v[124:125], v[3:4], v[130:131]
	v_mul_f64 v[130:131], v[1:2], v[130:131]
	v_fma_f64 v[1:2], v[1:2], v[128:129], -v[124:125]
	v_fma_f64 v[3:4], v[3:4], v[128:129], v[130:131]
	buffer_store_dword v2, off, s[0:3], 0 offset:548
	buffer_store_dword v1, off, s[0:3], 0 offset:544
	;; [unrolled: 1-line block ×4, first 2 shown]
.LBB121_727:
	s_or_b32 exec_lo, exec_lo, s4
	v_mov_b32_e32 v4, s30
	s_mov_b32 s4, exec_lo
	s_clause 0x3
	buffer_load_dword v1, v4, s[0:3], 0 offen
	buffer_load_dword v2, v4, s[0:3], 0 offen offset:4
	buffer_load_dword v3, v4, s[0:3], 0 offen offset:8
	;; [unrolled: 1-line block ×3, first 2 shown]
	s_waitcnt vmcnt(0)
	ds_write_b128 v122, v[1:4]
	s_waitcnt lgkmcnt(0)
	s_waitcnt_vscnt null, 0x0
	s_barrier
	buffer_gl0_inv
	v_cmpx_gt_u32_e32 35, v0
	s_cbranch_execz .LBB121_735
; %bb.728:
	ds_read_b128 v[1:4], v122
	v_cmp_ne_u32_e32 vcc_lo, 1, v123
	s_cbranch_vccnz .LBB121_730
; %bb.729:
	s_clause 0x3
	buffer_load_dword v124, v121, s[0:3], 0 offen offset:8
	buffer_load_dword v125, v121, s[0:3], 0 offen offset:12
	buffer_load_dword v128, v121, s[0:3], 0 offen
	buffer_load_dword v129, v121, s[0:3], 0 offen offset:4
	s_waitcnt vmcnt(2) lgkmcnt(0)
	v_mul_f64 v[130:131], v[3:4], v[124:125]
	v_mul_f64 v[124:125], v[1:2], v[124:125]
	s_waitcnt vmcnt(0)
	v_fma_f64 v[1:2], v[1:2], v[128:129], -v[130:131]
	v_fma_f64 v[3:4], v[3:4], v[128:129], v[124:125]
.LBB121_730:
	s_mov_b32 s6, exec_lo
	v_cmpx_ne_u32_e32 34, v0
	s_cbranch_execz .LBB121_734
; %bb.731:
	v_add_nc_u32_e32 v124, 0x3b0, v127
	v_add3_u32 v125, 0, v127, 16
	v_mov_b32_e32 v126, v0
	s_mov_b32 s8, 0
	.p2align	6
.LBB121_732:                            ; =>This Inner Loop Header: Depth=1
	s_clause 0x3
	buffer_load_dword v132, v125, s[0:3], 0 offen offset:8
	buffer_load_dword v133, v125, s[0:3], 0 offen offset:12
	buffer_load_dword v134, v125, s[0:3], 0 offen
	buffer_load_dword v135, v125, s[0:3], 0 offen offset:4
	ds_read_b128 v[128:131], v124
	v_add_nc_u32_e32 v126, 1, v126
	v_add_nc_u32_e32 v124, 16, v124
	;; [unrolled: 1-line block ×3, first 2 shown]
	v_cmp_lt_u32_e32 vcc_lo, 33, v126
	s_or_b32 s8, vcc_lo, s8
	s_waitcnt vmcnt(2) lgkmcnt(0)
	v_mul_f64 v[136:137], v[130:131], v[132:133]
	v_mul_f64 v[132:133], v[128:129], v[132:133]
	s_waitcnt vmcnt(0)
	v_fma_f64 v[128:129], v[128:129], v[134:135], -v[136:137]
	v_fma_f64 v[130:131], v[130:131], v[134:135], v[132:133]
	v_add_f64 v[1:2], v[1:2], v[128:129]
	v_add_f64 v[3:4], v[3:4], v[130:131]
	s_andn2_b32 exec_lo, exec_lo, s8
	s_cbranch_execnz .LBB121_732
; %bb.733:
	s_or_b32 exec_lo, exec_lo, s8
.LBB121_734:
	s_or_b32 exec_lo, exec_lo, s6
	v_mov_b32_e32 v124, 0
	ds_read_b128 v[128:131], v124 offset:560
	s_waitcnt lgkmcnt(0)
	v_mul_f64 v[124:125], v[3:4], v[130:131]
	v_mul_f64 v[130:131], v[1:2], v[130:131]
	v_fma_f64 v[1:2], v[1:2], v[128:129], -v[124:125]
	v_fma_f64 v[3:4], v[3:4], v[128:129], v[130:131]
	buffer_store_dword v2, off, s[0:3], 0 offset:564
	buffer_store_dword v1, off, s[0:3], 0 offset:560
	;; [unrolled: 1-line block ×4, first 2 shown]
.LBB121_735:
	s_or_b32 exec_lo, exec_lo, s4
	v_mov_b32_e32 v4, s29
	s_mov_b32 s4, exec_lo
	s_clause 0x3
	buffer_load_dword v1, v4, s[0:3], 0 offen
	buffer_load_dword v2, v4, s[0:3], 0 offen offset:4
	buffer_load_dword v3, v4, s[0:3], 0 offen offset:8
	;; [unrolled: 1-line block ×3, first 2 shown]
	s_waitcnt vmcnt(0)
	ds_write_b128 v122, v[1:4]
	s_waitcnt lgkmcnt(0)
	s_waitcnt_vscnt null, 0x0
	s_barrier
	buffer_gl0_inv
	v_cmpx_gt_u32_e32 36, v0
	s_cbranch_execz .LBB121_743
; %bb.736:
	ds_read_b128 v[1:4], v122
	v_cmp_ne_u32_e32 vcc_lo, 1, v123
	s_cbranch_vccnz .LBB121_738
; %bb.737:
	s_clause 0x3
	buffer_load_dword v124, v121, s[0:3], 0 offen offset:8
	buffer_load_dword v125, v121, s[0:3], 0 offen offset:12
	buffer_load_dword v128, v121, s[0:3], 0 offen
	buffer_load_dword v129, v121, s[0:3], 0 offen offset:4
	s_waitcnt vmcnt(2) lgkmcnt(0)
	v_mul_f64 v[130:131], v[3:4], v[124:125]
	v_mul_f64 v[124:125], v[1:2], v[124:125]
	s_waitcnt vmcnt(0)
	v_fma_f64 v[1:2], v[1:2], v[128:129], -v[130:131]
	v_fma_f64 v[3:4], v[3:4], v[128:129], v[124:125]
.LBB121_738:
	s_mov_b32 s6, exec_lo
	v_cmpx_ne_u32_e32 35, v0
	s_cbranch_execz .LBB121_742
; %bb.739:
	v_add_nc_u32_e32 v124, 0x3b0, v127
	v_add3_u32 v125, 0, v127, 16
	v_mov_b32_e32 v126, v0
	s_mov_b32 s8, 0
	.p2align	6
.LBB121_740:                            ; =>This Inner Loop Header: Depth=1
	s_clause 0x3
	buffer_load_dword v132, v125, s[0:3], 0 offen offset:8
	buffer_load_dword v133, v125, s[0:3], 0 offen offset:12
	buffer_load_dword v134, v125, s[0:3], 0 offen
	buffer_load_dword v135, v125, s[0:3], 0 offen offset:4
	ds_read_b128 v[128:131], v124
	v_add_nc_u32_e32 v126, 1, v126
	v_add_nc_u32_e32 v124, 16, v124
	;; [unrolled: 1-line block ×3, first 2 shown]
	v_cmp_lt_u32_e32 vcc_lo, 34, v126
	s_or_b32 s8, vcc_lo, s8
	s_waitcnt vmcnt(2) lgkmcnt(0)
	v_mul_f64 v[136:137], v[130:131], v[132:133]
	v_mul_f64 v[132:133], v[128:129], v[132:133]
	s_waitcnt vmcnt(0)
	v_fma_f64 v[128:129], v[128:129], v[134:135], -v[136:137]
	v_fma_f64 v[130:131], v[130:131], v[134:135], v[132:133]
	v_add_f64 v[1:2], v[1:2], v[128:129]
	v_add_f64 v[3:4], v[3:4], v[130:131]
	s_andn2_b32 exec_lo, exec_lo, s8
	s_cbranch_execnz .LBB121_740
; %bb.741:
	s_or_b32 exec_lo, exec_lo, s8
.LBB121_742:
	s_or_b32 exec_lo, exec_lo, s6
	v_mov_b32_e32 v124, 0
	ds_read_b128 v[128:131], v124 offset:576
	s_waitcnt lgkmcnt(0)
	v_mul_f64 v[124:125], v[3:4], v[130:131]
	v_mul_f64 v[130:131], v[1:2], v[130:131]
	v_fma_f64 v[1:2], v[1:2], v[128:129], -v[124:125]
	v_fma_f64 v[3:4], v[3:4], v[128:129], v[130:131]
	buffer_store_dword v2, off, s[0:3], 0 offset:580
	buffer_store_dword v1, off, s[0:3], 0 offset:576
	;; [unrolled: 1-line block ×4, first 2 shown]
.LBB121_743:
	s_or_b32 exec_lo, exec_lo, s4
	v_mov_b32_e32 v4, s28
	s_mov_b32 s4, exec_lo
	s_clause 0x3
	buffer_load_dword v1, v4, s[0:3], 0 offen
	buffer_load_dword v2, v4, s[0:3], 0 offen offset:4
	buffer_load_dword v3, v4, s[0:3], 0 offen offset:8
	;; [unrolled: 1-line block ×3, first 2 shown]
	s_waitcnt vmcnt(0)
	ds_write_b128 v122, v[1:4]
	s_waitcnt lgkmcnt(0)
	s_waitcnt_vscnt null, 0x0
	s_barrier
	buffer_gl0_inv
	v_cmpx_gt_u32_e32 37, v0
	s_cbranch_execz .LBB121_751
; %bb.744:
	ds_read_b128 v[1:4], v122
	v_cmp_ne_u32_e32 vcc_lo, 1, v123
	s_cbranch_vccnz .LBB121_746
; %bb.745:
	s_clause 0x3
	buffer_load_dword v124, v121, s[0:3], 0 offen offset:8
	buffer_load_dword v125, v121, s[0:3], 0 offen offset:12
	buffer_load_dword v128, v121, s[0:3], 0 offen
	buffer_load_dword v129, v121, s[0:3], 0 offen offset:4
	s_waitcnt vmcnt(2) lgkmcnt(0)
	v_mul_f64 v[130:131], v[3:4], v[124:125]
	v_mul_f64 v[124:125], v[1:2], v[124:125]
	s_waitcnt vmcnt(0)
	v_fma_f64 v[1:2], v[1:2], v[128:129], -v[130:131]
	v_fma_f64 v[3:4], v[3:4], v[128:129], v[124:125]
.LBB121_746:
	s_mov_b32 s6, exec_lo
	v_cmpx_ne_u32_e32 36, v0
	s_cbranch_execz .LBB121_750
; %bb.747:
	v_add_nc_u32_e32 v124, 0x3b0, v127
	v_add3_u32 v125, 0, v127, 16
	v_mov_b32_e32 v126, v0
	s_mov_b32 s8, 0
	.p2align	6
.LBB121_748:                            ; =>This Inner Loop Header: Depth=1
	s_clause 0x3
	buffer_load_dword v132, v125, s[0:3], 0 offen offset:8
	buffer_load_dword v133, v125, s[0:3], 0 offen offset:12
	buffer_load_dword v134, v125, s[0:3], 0 offen
	buffer_load_dword v135, v125, s[0:3], 0 offen offset:4
	ds_read_b128 v[128:131], v124
	v_add_nc_u32_e32 v126, 1, v126
	v_add_nc_u32_e32 v124, 16, v124
	;; [unrolled: 1-line block ×3, first 2 shown]
	v_cmp_lt_u32_e32 vcc_lo, 35, v126
	s_or_b32 s8, vcc_lo, s8
	s_waitcnt vmcnt(2) lgkmcnt(0)
	v_mul_f64 v[136:137], v[130:131], v[132:133]
	v_mul_f64 v[132:133], v[128:129], v[132:133]
	s_waitcnt vmcnt(0)
	v_fma_f64 v[128:129], v[128:129], v[134:135], -v[136:137]
	v_fma_f64 v[130:131], v[130:131], v[134:135], v[132:133]
	v_add_f64 v[1:2], v[1:2], v[128:129]
	v_add_f64 v[3:4], v[3:4], v[130:131]
	s_andn2_b32 exec_lo, exec_lo, s8
	s_cbranch_execnz .LBB121_748
; %bb.749:
	s_or_b32 exec_lo, exec_lo, s8
.LBB121_750:
	s_or_b32 exec_lo, exec_lo, s6
	v_mov_b32_e32 v124, 0
	ds_read_b128 v[128:131], v124 offset:592
	s_waitcnt lgkmcnt(0)
	v_mul_f64 v[124:125], v[3:4], v[130:131]
	v_mul_f64 v[130:131], v[1:2], v[130:131]
	v_fma_f64 v[1:2], v[1:2], v[128:129], -v[124:125]
	v_fma_f64 v[3:4], v[3:4], v[128:129], v[130:131]
	buffer_store_dword v2, off, s[0:3], 0 offset:596
	buffer_store_dword v1, off, s[0:3], 0 offset:592
	;; [unrolled: 1-line block ×4, first 2 shown]
.LBB121_751:
	s_or_b32 exec_lo, exec_lo, s4
	v_mov_b32_e32 v4, s27
	s_mov_b32 s4, exec_lo
	s_clause 0x3
	buffer_load_dword v1, v4, s[0:3], 0 offen
	buffer_load_dword v2, v4, s[0:3], 0 offen offset:4
	buffer_load_dword v3, v4, s[0:3], 0 offen offset:8
	;; [unrolled: 1-line block ×3, first 2 shown]
	s_waitcnt vmcnt(0)
	ds_write_b128 v122, v[1:4]
	s_waitcnt lgkmcnt(0)
	s_waitcnt_vscnt null, 0x0
	s_barrier
	buffer_gl0_inv
	v_cmpx_gt_u32_e32 38, v0
	s_cbranch_execz .LBB121_759
; %bb.752:
	ds_read_b128 v[1:4], v122
	v_cmp_ne_u32_e32 vcc_lo, 1, v123
	s_cbranch_vccnz .LBB121_754
; %bb.753:
	s_clause 0x3
	buffer_load_dword v124, v121, s[0:3], 0 offen offset:8
	buffer_load_dword v125, v121, s[0:3], 0 offen offset:12
	buffer_load_dword v128, v121, s[0:3], 0 offen
	buffer_load_dword v129, v121, s[0:3], 0 offen offset:4
	s_waitcnt vmcnt(2) lgkmcnt(0)
	v_mul_f64 v[130:131], v[3:4], v[124:125]
	v_mul_f64 v[124:125], v[1:2], v[124:125]
	s_waitcnt vmcnt(0)
	v_fma_f64 v[1:2], v[1:2], v[128:129], -v[130:131]
	v_fma_f64 v[3:4], v[3:4], v[128:129], v[124:125]
.LBB121_754:
	s_mov_b32 s6, exec_lo
	v_cmpx_ne_u32_e32 37, v0
	s_cbranch_execz .LBB121_758
; %bb.755:
	v_add_nc_u32_e32 v124, 0x3b0, v127
	v_add3_u32 v125, 0, v127, 16
	v_mov_b32_e32 v126, v0
	s_mov_b32 s8, 0
	.p2align	6
.LBB121_756:                            ; =>This Inner Loop Header: Depth=1
	s_clause 0x3
	buffer_load_dword v132, v125, s[0:3], 0 offen offset:8
	buffer_load_dword v133, v125, s[0:3], 0 offen offset:12
	buffer_load_dword v134, v125, s[0:3], 0 offen
	buffer_load_dword v135, v125, s[0:3], 0 offen offset:4
	ds_read_b128 v[128:131], v124
	v_add_nc_u32_e32 v126, 1, v126
	v_add_nc_u32_e32 v124, 16, v124
	;; [unrolled: 1-line block ×3, first 2 shown]
	v_cmp_lt_u32_e32 vcc_lo, 36, v126
	s_or_b32 s8, vcc_lo, s8
	s_waitcnt vmcnt(2) lgkmcnt(0)
	v_mul_f64 v[136:137], v[130:131], v[132:133]
	v_mul_f64 v[132:133], v[128:129], v[132:133]
	s_waitcnt vmcnt(0)
	v_fma_f64 v[128:129], v[128:129], v[134:135], -v[136:137]
	v_fma_f64 v[130:131], v[130:131], v[134:135], v[132:133]
	v_add_f64 v[1:2], v[1:2], v[128:129]
	v_add_f64 v[3:4], v[3:4], v[130:131]
	s_andn2_b32 exec_lo, exec_lo, s8
	s_cbranch_execnz .LBB121_756
; %bb.757:
	s_or_b32 exec_lo, exec_lo, s8
.LBB121_758:
	s_or_b32 exec_lo, exec_lo, s6
	v_mov_b32_e32 v124, 0
	ds_read_b128 v[128:131], v124 offset:608
	s_waitcnt lgkmcnt(0)
	v_mul_f64 v[124:125], v[3:4], v[130:131]
	v_mul_f64 v[130:131], v[1:2], v[130:131]
	v_fma_f64 v[1:2], v[1:2], v[128:129], -v[124:125]
	v_fma_f64 v[3:4], v[3:4], v[128:129], v[130:131]
	buffer_store_dword v2, off, s[0:3], 0 offset:612
	buffer_store_dword v1, off, s[0:3], 0 offset:608
	;; [unrolled: 1-line block ×4, first 2 shown]
.LBB121_759:
	s_or_b32 exec_lo, exec_lo, s4
	v_mov_b32_e32 v4, s26
	s_mov_b32 s4, exec_lo
	s_clause 0x3
	buffer_load_dword v1, v4, s[0:3], 0 offen
	buffer_load_dword v2, v4, s[0:3], 0 offen offset:4
	buffer_load_dword v3, v4, s[0:3], 0 offen offset:8
	;; [unrolled: 1-line block ×3, first 2 shown]
	s_waitcnt vmcnt(0)
	ds_write_b128 v122, v[1:4]
	s_waitcnt lgkmcnt(0)
	s_waitcnt_vscnt null, 0x0
	s_barrier
	buffer_gl0_inv
	v_cmpx_gt_u32_e32 39, v0
	s_cbranch_execz .LBB121_767
; %bb.760:
	ds_read_b128 v[1:4], v122
	v_cmp_ne_u32_e32 vcc_lo, 1, v123
	s_cbranch_vccnz .LBB121_762
; %bb.761:
	s_clause 0x3
	buffer_load_dword v124, v121, s[0:3], 0 offen offset:8
	buffer_load_dword v125, v121, s[0:3], 0 offen offset:12
	buffer_load_dword v128, v121, s[0:3], 0 offen
	buffer_load_dword v129, v121, s[0:3], 0 offen offset:4
	s_waitcnt vmcnt(2) lgkmcnt(0)
	v_mul_f64 v[130:131], v[3:4], v[124:125]
	v_mul_f64 v[124:125], v[1:2], v[124:125]
	s_waitcnt vmcnt(0)
	v_fma_f64 v[1:2], v[1:2], v[128:129], -v[130:131]
	v_fma_f64 v[3:4], v[3:4], v[128:129], v[124:125]
.LBB121_762:
	s_mov_b32 s6, exec_lo
	v_cmpx_ne_u32_e32 38, v0
	s_cbranch_execz .LBB121_766
; %bb.763:
	v_add_nc_u32_e32 v124, 0x3b0, v127
	v_add3_u32 v125, 0, v127, 16
	v_mov_b32_e32 v126, v0
	s_mov_b32 s8, 0
	.p2align	6
.LBB121_764:                            ; =>This Inner Loop Header: Depth=1
	s_clause 0x3
	buffer_load_dword v132, v125, s[0:3], 0 offen offset:8
	buffer_load_dword v133, v125, s[0:3], 0 offen offset:12
	buffer_load_dword v134, v125, s[0:3], 0 offen
	buffer_load_dword v135, v125, s[0:3], 0 offen offset:4
	ds_read_b128 v[128:131], v124
	v_add_nc_u32_e32 v126, 1, v126
	v_add_nc_u32_e32 v124, 16, v124
	v_add_nc_u32_e32 v125, 16, v125
	v_cmp_lt_u32_e32 vcc_lo, 37, v126
	s_or_b32 s8, vcc_lo, s8
	s_waitcnt vmcnt(2) lgkmcnt(0)
	v_mul_f64 v[136:137], v[130:131], v[132:133]
	v_mul_f64 v[132:133], v[128:129], v[132:133]
	s_waitcnt vmcnt(0)
	v_fma_f64 v[128:129], v[128:129], v[134:135], -v[136:137]
	v_fma_f64 v[130:131], v[130:131], v[134:135], v[132:133]
	v_add_f64 v[1:2], v[1:2], v[128:129]
	v_add_f64 v[3:4], v[3:4], v[130:131]
	s_andn2_b32 exec_lo, exec_lo, s8
	s_cbranch_execnz .LBB121_764
; %bb.765:
	s_or_b32 exec_lo, exec_lo, s8
.LBB121_766:
	s_or_b32 exec_lo, exec_lo, s6
	v_mov_b32_e32 v124, 0
	ds_read_b128 v[128:131], v124 offset:624
	s_waitcnt lgkmcnt(0)
	v_mul_f64 v[124:125], v[3:4], v[130:131]
	v_mul_f64 v[130:131], v[1:2], v[130:131]
	v_fma_f64 v[1:2], v[1:2], v[128:129], -v[124:125]
	v_fma_f64 v[3:4], v[3:4], v[128:129], v[130:131]
	buffer_store_dword v2, off, s[0:3], 0 offset:628
	buffer_store_dword v1, off, s[0:3], 0 offset:624
	;; [unrolled: 1-line block ×4, first 2 shown]
.LBB121_767:
	s_or_b32 exec_lo, exec_lo, s4
	v_mov_b32_e32 v4, s25
	s_mov_b32 s4, exec_lo
	s_clause 0x3
	buffer_load_dword v1, v4, s[0:3], 0 offen
	buffer_load_dword v2, v4, s[0:3], 0 offen offset:4
	buffer_load_dword v3, v4, s[0:3], 0 offen offset:8
	;; [unrolled: 1-line block ×3, first 2 shown]
	s_waitcnt vmcnt(0)
	ds_write_b128 v122, v[1:4]
	s_waitcnt lgkmcnt(0)
	s_waitcnt_vscnt null, 0x0
	s_barrier
	buffer_gl0_inv
	v_cmpx_gt_u32_e32 40, v0
	s_cbranch_execz .LBB121_775
; %bb.768:
	ds_read_b128 v[1:4], v122
	v_cmp_ne_u32_e32 vcc_lo, 1, v123
	s_cbranch_vccnz .LBB121_770
; %bb.769:
	s_clause 0x3
	buffer_load_dword v124, v121, s[0:3], 0 offen offset:8
	buffer_load_dword v125, v121, s[0:3], 0 offen offset:12
	buffer_load_dword v128, v121, s[0:3], 0 offen
	buffer_load_dword v129, v121, s[0:3], 0 offen offset:4
	s_waitcnt vmcnt(2) lgkmcnt(0)
	v_mul_f64 v[130:131], v[3:4], v[124:125]
	v_mul_f64 v[124:125], v[1:2], v[124:125]
	s_waitcnt vmcnt(0)
	v_fma_f64 v[1:2], v[1:2], v[128:129], -v[130:131]
	v_fma_f64 v[3:4], v[3:4], v[128:129], v[124:125]
.LBB121_770:
	s_mov_b32 s6, exec_lo
	v_cmpx_ne_u32_e32 39, v0
	s_cbranch_execz .LBB121_774
; %bb.771:
	v_add_nc_u32_e32 v124, 0x3b0, v127
	v_add3_u32 v125, 0, v127, 16
	v_mov_b32_e32 v126, v0
	s_mov_b32 s8, 0
	.p2align	6
.LBB121_772:                            ; =>This Inner Loop Header: Depth=1
	s_clause 0x3
	buffer_load_dword v132, v125, s[0:3], 0 offen offset:8
	buffer_load_dword v133, v125, s[0:3], 0 offen offset:12
	buffer_load_dword v134, v125, s[0:3], 0 offen
	buffer_load_dword v135, v125, s[0:3], 0 offen offset:4
	ds_read_b128 v[128:131], v124
	v_add_nc_u32_e32 v126, 1, v126
	v_add_nc_u32_e32 v124, 16, v124
	;; [unrolled: 1-line block ×3, first 2 shown]
	v_cmp_lt_u32_e32 vcc_lo, 38, v126
	s_or_b32 s8, vcc_lo, s8
	s_waitcnt vmcnt(2) lgkmcnt(0)
	v_mul_f64 v[136:137], v[130:131], v[132:133]
	v_mul_f64 v[132:133], v[128:129], v[132:133]
	s_waitcnt vmcnt(0)
	v_fma_f64 v[128:129], v[128:129], v[134:135], -v[136:137]
	v_fma_f64 v[130:131], v[130:131], v[134:135], v[132:133]
	v_add_f64 v[1:2], v[1:2], v[128:129]
	v_add_f64 v[3:4], v[3:4], v[130:131]
	s_andn2_b32 exec_lo, exec_lo, s8
	s_cbranch_execnz .LBB121_772
; %bb.773:
	s_or_b32 exec_lo, exec_lo, s8
.LBB121_774:
	s_or_b32 exec_lo, exec_lo, s6
	v_mov_b32_e32 v124, 0
	ds_read_b128 v[128:131], v124 offset:640
	s_waitcnt lgkmcnt(0)
	v_mul_f64 v[124:125], v[3:4], v[130:131]
	v_mul_f64 v[130:131], v[1:2], v[130:131]
	v_fma_f64 v[1:2], v[1:2], v[128:129], -v[124:125]
	v_fma_f64 v[3:4], v[3:4], v[128:129], v[130:131]
	buffer_store_dword v2, off, s[0:3], 0 offset:644
	buffer_store_dword v1, off, s[0:3], 0 offset:640
	;; [unrolled: 1-line block ×4, first 2 shown]
.LBB121_775:
	s_or_b32 exec_lo, exec_lo, s4
	v_mov_b32_e32 v4, s24
	s_mov_b32 s4, exec_lo
	s_clause 0x3
	buffer_load_dword v1, v4, s[0:3], 0 offen
	buffer_load_dword v2, v4, s[0:3], 0 offen offset:4
	buffer_load_dword v3, v4, s[0:3], 0 offen offset:8
	;; [unrolled: 1-line block ×3, first 2 shown]
	s_waitcnt vmcnt(0)
	ds_write_b128 v122, v[1:4]
	s_waitcnt lgkmcnt(0)
	s_waitcnt_vscnt null, 0x0
	s_barrier
	buffer_gl0_inv
	v_cmpx_gt_u32_e32 41, v0
	s_cbranch_execz .LBB121_783
; %bb.776:
	ds_read_b128 v[1:4], v122
	v_cmp_ne_u32_e32 vcc_lo, 1, v123
	s_cbranch_vccnz .LBB121_778
; %bb.777:
	s_clause 0x3
	buffer_load_dword v124, v121, s[0:3], 0 offen offset:8
	buffer_load_dword v125, v121, s[0:3], 0 offen offset:12
	buffer_load_dword v128, v121, s[0:3], 0 offen
	buffer_load_dword v129, v121, s[0:3], 0 offen offset:4
	s_waitcnt vmcnt(2) lgkmcnt(0)
	v_mul_f64 v[130:131], v[3:4], v[124:125]
	v_mul_f64 v[124:125], v[1:2], v[124:125]
	s_waitcnt vmcnt(0)
	v_fma_f64 v[1:2], v[1:2], v[128:129], -v[130:131]
	v_fma_f64 v[3:4], v[3:4], v[128:129], v[124:125]
.LBB121_778:
	s_mov_b32 s6, exec_lo
	v_cmpx_ne_u32_e32 40, v0
	s_cbranch_execz .LBB121_782
; %bb.779:
	v_add_nc_u32_e32 v124, 0x3b0, v127
	v_add3_u32 v125, 0, v127, 16
	v_mov_b32_e32 v126, v0
	s_mov_b32 s8, 0
	.p2align	6
.LBB121_780:                            ; =>This Inner Loop Header: Depth=1
	s_clause 0x3
	buffer_load_dword v132, v125, s[0:3], 0 offen offset:8
	buffer_load_dword v133, v125, s[0:3], 0 offen offset:12
	buffer_load_dword v134, v125, s[0:3], 0 offen
	buffer_load_dword v135, v125, s[0:3], 0 offen offset:4
	ds_read_b128 v[128:131], v124
	v_add_nc_u32_e32 v126, 1, v126
	v_add_nc_u32_e32 v124, 16, v124
	;; [unrolled: 1-line block ×3, first 2 shown]
	v_cmp_lt_u32_e32 vcc_lo, 39, v126
	s_or_b32 s8, vcc_lo, s8
	s_waitcnt vmcnt(2) lgkmcnt(0)
	v_mul_f64 v[136:137], v[130:131], v[132:133]
	v_mul_f64 v[132:133], v[128:129], v[132:133]
	s_waitcnt vmcnt(0)
	v_fma_f64 v[128:129], v[128:129], v[134:135], -v[136:137]
	v_fma_f64 v[130:131], v[130:131], v[134:135], v[132:133]
	v_add_f64 v[1:2], v[1:2], v[128:129]
	v_add_f64 v[3:4], v[3:4], v[130:131]
	s_andn2_b32 exec_lo, exec_lo, s8
	s_cbranch_execnz .LBB121_780
; %bb.781:
	s_or_b32 exec_lo, exec_lo, s8
.LBB121_782:
	s_or_b32 exec_lo, exec_lo, s6
	v_mov_b32_e32 v124, 0
	ds_read_b128 v[128:131], v124 offset:656
	s_waitcnt lgkmcnt(0)
	v_mul_f64 v[124:125], v[3:4], v[130:131]
	v_mul_f64 v[130:131], v[1:2], v[130:131]
	v_fma_f64 v[1:2], v[1:2], v[128:129], -v[124:125]
	v_fma_f64 v[3:4], v[3:4], v[128:129], v[130:131]
	buffer_store_dword v2, off, s[0:3], 0 offset:660
	buffer_store_dword v1, off, s[0:3], 0 offset:656
	;; [unrolled: 1-line block ×4, first 2 shown]
.LBB121_783:
	s_or_b32 exec_lo, exec_lo, s4
	v_mov_b32_e32 v4, s23
	s_mov_b32 s4, exec_lo
	s_clause 0x3
	buffer_load_dword v1, v4, s[0:3], 0 offen
	buffer_load_dword v2, v4, s[0:3], 0 offen offset:4
	buffer_load_dword v3, v4, s[0:3], 0 offen offset:8
	;; [unrolled: 1-line block ×3, first 2 shown]
	s_waitcnt vmcnt(0)
	ds_write_b128 v122, v[1:4]
	s_waitcnt lgkmcnt(0)
	s_waitcnt_vscnt null, 0x0
	s_barrier
	buffer_gl0_inv
	v_cmpx_gt_u32_e32 42, v0
	s_cbranch_execz .LBB121_791
; %bb.784:
	ds_read_b128 v[1:4], v122
	v_cmp_ne_u32_e32 vcc_lo, 1, v123
	s_cbranch_vccnz .LBB121_786
; %bb.785:
	s_clause 0x3
	buffer_load_dword v124, v121, s[0:3], 0 offen offset:8
	buffer_load_dword v125, v121, s[0:3], 0 offen offset:12
	buffer_load_dword v128, v121, s[0:3], 0 offen
	buffer_load_dword v129, v121, s[0:3], 0 offen offset:4
	s_waitcnt vmcnt(2) lgkmcnt(0)
	v_mul_f64 v[130:131], v[3:4], v[124:125]
	v_mul_f64 v[124:125], v[1:2], v[124:125]
	s_waitcnt vmcnt(0)
	v_fma_f64 v[1:2], v[1:2], v[128:129], -v[130:131]
	v_fma_f64 v[3:4], v[3:4], v[128:129], v[124:125]
.LBB121_786:
	s_mov_b32 s6, exec_lo
	v_cmpx_ne_u32_e32 41, v0
	s_cbranch_execz .LBB121_790
; %bb.787:
	v_add_nc_u32_e32 v124, 0x3b0, v127
	v_add3_u32 v125, 0, v127, 16
	v_mov_b32_e32 v126, v0
	s_mov_b32 s8, 0
	.p2align	6
.LBB121_788:                            ; =>This Inner Loop Header: Depth=1
	s_clause 0x3
	buffer_load_dword v132, v125, s[0:3], 0 offen offset:8
	buffer_load_dword v133, v125, s[0:3], 0 offen offset:12
	buffer_load_dword v134, v125, s[0:3], 0 offen
	buffer_load_dword v135, v125, s[0:3], 0 offen offset:4
	ds_read_b128 v[128:131], v124
	v_add_nc_u32_e32 v126, 1, v126
	v_add_nc_u32_e32 v124, 16, v124
	v_add_nc_u32_e32 v125, 16, v125
	v_cmp_lt_u32_e32 vcc_lo, 40, v126
	s_or_b32 s8, vcc_lo, s8
	s_waitcnt vmcnt(2) lgkmcnt(0)
	v_mul_f64 v[136:137], v[130:131], v[132:133]
	v_mul_f64 v[132:133], v[128:129], v[132:133]
	s_waitcnt vmcnt(0)
	v_fma_f64 v[128:129], v[128:129], v[134:135], -v[136:137]
	v_fma_f64 v[130:131], v[130:131], v[134:135], v[132:133]
	v_add_f64 v[1:2], v[1:2], v[128:129]
	v_add_f64 v[3:4], v[3:4], v[130:131]
	s_andn2_b32 exec_lo, exec_lo, s8
	s_cbranch_execnz .LBB121_788
; %bb.789:
	s_or_b32 exec_lo, exec_lo, s8
.LBB121_790:
	s_or_b32 exec_lo, exec_lo, s6
	v_mov_b32_e32 v124, 0
	ds_read_b128 v[128:131], v124 offset:672
	s_waitcnt lgkmcnt(0)
	v_mul_f64 v[124:125], v[3:4], v[130:131]
	v_mul_f64 v[130:131], v[1:2], v[130:131]
	v_fma_f64 v[1:2], v[1:2], v[128:129], -v[124:125]
	v_fma_f64 v[3:4], v[3:4], v[128:129], v[130:131]
	buffer_store_dword v2, off, s[0:3], 0 offset:676
	buffer_store_dword v1, off, s[0:3], 0 offset:672
	;; [unrolled: 1-line block ×4, first 2 shown]
.LBB121_791:
	s_or_b32 exec_lo, exec_lo, s4
	v_mov_b32_e32 v4, s22
	s_mov_b32 s4, exec_lo
	s_clause 0x3
	buffer_load_dword v1, v4, s[0:3], 0 offen
	buffer_load_dword v2, v4, s[0:3], 0 offen offset:4
	buffer_load_dword v3, v4, s[0:3], 0 offen offset:8
	;; [unrolled: 1-line block ×3, first 2 shown]
	s_waitcnt vmcnt(0)
	ds_write_b128 v122, v[1:4]
	s_waitcnt lgkmcnt(0)
	s_waitcnt_vscnt null, 0x0
	s_barrier
	buffer_gl0_inv
	v_cmpx_gt_u32_e32 43, v0
	s_cbranch_execz .LBB121_799
; %bb.792:
	ds_read_b128 v[1:4], v122
	v_cmp_ne_u32_e32 vcc_lo, 1, v123
	s_cbranch_vccnz .LBB121_794
; %bb.793:
	s_clause 0x3
	buffer_load_dword v124, v121, s[0:3], 0 offen offset:8
	buffer_load_dword v125, v121, s[0:3], 0 offen offset:12
	buffer_load_dword v128, v121, s[0:3], 0 offen
	buffer_load_dword v129, v121, s[0:3], 0 offen offset:4
	s_waitcnt vmcnt(2) lgkmcnt(0)
	v_mul_f64 v[130:131], v[3:4], v[124:125]
	v_mul_f64 v[124:125], v[1:2], v[124:125]
	s_waitcnt vmcnt(0)
	v_fma_f64 v[1:2], v[1:2], v[128:129], -v[130:131]
	v_fma_f64 v[3:4], v[3:4], v[128:129], v[124:125]
.LBB121_794:
	s_mov_b32 s6, exec_lo
	v_cmpx_ne_u32_e32 42, v0
	s_cbranch_execz .LBB121_798
; %bb.795:
	v_add_nc_u32_e32 v124, 0x3b0, v127
	v_add3_u32 v125, 0, v127, 16
	v_mov_b32_e32 v126, v0
	s_mov_b32 s8, 0
	.p2align	6
.LBB121_796:                            ; =>This Inner Loop Header: Depth=1
	s_clause 0x3
	buffer_load_dword v132, v125, s[0:3], 0 offen offset:8
	buffer_load_dword v133, v125, s[0:3], 0 offen offset:12
	buffer_load_dword v134, v125, s[0:3], 0 offen
	buffer_load_dword v135, v125, s[0:3], 0 offen offset:4
	ds_read_b128 v[128:131], v124
	v_add_nc_u32_e32 v126, 1, v126
	v_add_nc_u32_e32 v124, 16, v124
	v_add_nc_u32_e32 v125, 16, v125
	v_cmp_lt_u32_e32 vcc_lo, 41, v126
	s_or_b32 s8, vcc_lo, s8
	s_waitcnt vmcnt(2) lgkmcnt(0)
	v_mul_f64 v[136:137], v[130:131], v[132:133]
	v_mul_f64 v[132:133], v[128:129], v[132:133]
	s_waitcnt vmcnt(0)
	v_fma_f64 v[128:129], v[128:129], v[134:135], -v[136:137]
	v_fma_f64 v[130:131], v[130:131], v[134:135], v[132:133]
	v_add_f64 v[1:2], v[1:2], v[128:129]
	v_add_f64 v[3:4], v[3:4], v[130:131]
	s_andn2_b32 exec_lo, exec_lo, s8
	s_cbranch_execnz .LBB121_796
; %bb.797:
	s_or_b32 exec_lo, exec_lo, s8
.LBB121_798:
	s_or_b32 exec_lo, exec_lo, s6
	v_mov_b32_e32 v124, 0
	ds_read_b128 v[128:131], v124 offset:688
	s_waitcnt lgkmcnt(0)
	v_mul_f64 v[124:125], v[3:4], v[130:131]
	v_mul_f64 v[130:131], v[1:2], v[130:131]
	v_fma_f64 v[1:2], v[1:2], v[128:129], -v[124:125]
	v_fma_f64 v[3:4], v[3:4], v[128:129], v[130:131]
	buffer_store_dword v2, off, s[0:3], 0 offset:692
	buffer_store_dword v1, off, s[0:3], 0 offset:688
	;; [unrolled: 1-line block ×4, first 2 shown]
.LBB121_799:
	s_or_b32 exec_lo, exec_lo, s4
	v_mov_b32_e32 v4, s21
	s_mov_b32 s4, exec_lo
	s_clause 0x3
	buffer_load_dword v1, v4, s[0:3], 0 offen
	buffer_load_dword v2, v4, s[0:3], 0 offen offset:4
	buffer_load_dword v3, v4, s[0:3], 0 offen offset:8
	;; [unrolled: 1-line block ×3, first 2 shown]
	s_waitcnt vmcnt(0)
	ds_write_b128 v122, v[1:4]
	s_waitcnt lgkmcnt(0)
	s_waitcnt_vscnt null, 0x0
	s_barrier
	buffer_gl0_inv
	v_cmpx_gt_u32_e32 44, v0
	s_cbranch_execz .LBB121_807
; %bb.800:
	ds_read_b128 v[1:4], v122
	v_cmp_ne_u32_e32 vcc_lo, 1, v123
	s_cbranch_vccnz .LBB121_802
; %bb.801:
	s_clause 0x3
	buffer_load_dword v124, v121, s[0:3], 0 offen offset:8
	buffer_load_dword v125, v121, s[0:3], 0 offen offset:12
	buffer_load_dword v128, v121, s[0:3], 0 offen
	buffer_load_dword v129, v121, s[0:3], 0 offen offset:4
	s_waitcnt vmcnt(2) lgkmcnt(0)
	v_mul_f64 v[130:131], v[3:4], v[124:125]
	v_mul_f64 v[124:125], v[1:2], v[124:125]
	s_waitcnt vmcnt(0)
	v_fma_f64 v[1:2], v[1:2], v[128:129], -v[130:131]
	v_fma_f64 v[3:4], v[3:4], v[128:129], v[124:125]
.LBB121_802:
	s_mov_b32 s6, exec_lo
	v_cmpx_ne_u32_e32 43, v0
	s_cbranch_execz .LBB121_806
; %bb.803:
	v_add_nc_u32_e32 v124, 0x3b0, v127
	v_add3_u32 v125, 0, v127, 16
	v_mov_b32_e32 v126, v0
	s_mov_b32 s8, 0
	.p2align	6
.LBB121_804:                            ; =>This Inner Loop Header: Depth=1
	s_clause 0x3
	buffer_load_dword v132, v125, s[0:3], 0 offen offset:8
	buffer_load_dword v133, v125, s[0:3], 0 offen offset:12
	buffer_load_dword v134, v125, s[0:3], 0 offen
	buffer_load_dword v135, v125, s[0:3], 0 offen offset:4
	ds_read_b128 v[128:131], v124
	v_add_nc_u32_e32 v126, 1, v126
	v_add_nc_u32_e32 v124, 16, v124
	;; [unrolled: 1-line block ×3, first 2 shown]
	v_cmp_lt_u32_e32 vcc_lo, 42, v126
	s_or_b32 s8, vcc_lo, s8
	s_waitcnt vmcnt(2) lgkmcnt(0)
	v_mul_f64 v[136:137], v[130:131], v[132:133]
	v_mul_f64 v[132:133], v[128:129], v[132:133]
	s_waitcnt vmcnt(0)
	v_fma_f64 v[128:129], v[128:129], v[134:135], -v[136:137]
	v_fma_f64 v[130:131], v[130:131], v[134:135], v[132:133]
	v_add_f64 v[1:2], v[1:2], v[128:129]
	v_add_f64 v[3:4], v[3:4], v[130:131]
	s_andn2_b32 exec_lo, exec_lo, s8
	s_cbranch_execnz .LBB121_804
; %bb.805:
	s_or_b32 exec_lo, exec_lo, s8
.LBB121_806:
	s_or_b32 exec_lo, exec_lo, s6
	v_mov_b32_e32 v124, 0
	ds_read_b128 v[128:131], v124 offset:704
	s_waitcnt lgkmcnt(0)
	v_mul_f64 v[124:125], v[3:4], v[130:131]
	v_mul_f64 v[130:131], v[1:2], v[130:131]
	v_fma_f64 v[1:2], v[1:2], v[128:129], -v[124:125]
	v_fma_f64 v[3:4], v[3:4], v[128:129], v[130:131]
	buffer_store_dword v2, off, s[0:3], 0 offset:708
	buffer_store_dword v1, off, s[0:3], 0 offset:704
	;; [unrolled: 1-line block ×4, first 2 shown]
.LBB121_807:
	s_or_b32 exec_lo, exec_lo, s4
	v_mov_b32_e32 v4, s20
	s_mov_b32 s4, exec_lo
	s_clause 0x3
	buffer_load_dword v1, v4, s[0:3], 0 offen
	buffer_load_dword v2, v4, s[0:3], 0 offen offset:4
	buffer_load_dword v3, v4, s[0:3], 0 offen offset:8
	;; [unrolled: 1-line block ×3, first 2 shown]
	s_waitcnt vmcnt(0)
	ds_write_b128 v122, v[1:4]
	s_waitcnt lgkmcnt(0)
	s_waitcnt_vscnt null, 0x0
	s_barrier
	buffer_gl0_inv
	v_cmpx_gt_u32_e32 45, v0
	s_cbranch_execz .LBB121_815
; %bb.808:
	ds_read_b128 v[1:4], v122
	v_cmp_ne_u32_e32 vcc_lo, 1, v123
	s_cbranch_vccnz .LBB121_810
; %bb.809:
	s_clause 0x3
	buffer_load_dword v124, v121, s[0:3], 0 offen offset:8
	buffer_load_dword v125, v121, s[0:3], 0 offen offset:12
	buffer_load_dword v128, v121, s[0:3], 0 offen
	buffer_load_dword v129, v121, s[0:3], 0 offen offset:4
	s_waitcnt vmcnt(2) lgkmcnt(0)
	v_mul_f64 v[130:131], v[3:4], v[124:125]
	v_mul_f64 v[124:125], v[1:2], v[124:125]
	s_waitcnt vmcnt(0)
	v_fma_f64 v[1:2], v[1:2], v[128:129], -v[130:131]
	v_fma_f64 v[3:4], v[3:4], v[128:129], v[124:125]
.LBB121_810:
	s_mov_b32 s6, exec_lo
	v_cmpx_ne_u32_e32 44, v0
	s_cbranch_execz .LBB121_814
; %bb.811:
	v_add_nc_u32_e32 v124, 0x3b0, v127
	v_add3_u32 v125, 0, v127, 16
	v_mov_b32_e32 v126, v0
	s_mov_b32 s8, 0
	.p2align	6
.LBB121_812:                            ; =>This Inner Loop Header: Depth=1
	s_clause 0x3
	buffer_load_dword v132, v125, s[0:3], 0 offen offset:8
	buffer_load_dword v133, v125, s[0:3], 0 offen offset:12
	buffer_load_dword v134, v125, s[0:3], 0 offen
	buffer_load_dword v135, v125, s[0:3], 0 offen offset:4
	ds_read_b128 v[128:131], v124
	v_add_nc_u32_e32 v126, 1, v126
	v_add_nc_u32_e32 v124, 16, v124
	;; [unrolled: 1-line block ×3, first 2 shown]
	v_cmp_lt_u32_e32 vcc_lo, 43, v126
	s_or_b32 s8, vcc_lo, s8
	s_waitcnt vmcnt(2) lgkmcnt(0)
	v_mul_f64 v[136:137], v[130:131], v[132:133]
	v_mul_f64 v[132:133], v[128:129], v[132:133]
	s_waitcnt vmcnt(0)
	v_fma_f64 v[128:129], v[128:129], v[134:135], -v[136:137]
	v_fma_f64 v[130:131], v[130:131], v[134:135], v[132:133]
	v_add_f64 v[1:2], v[1:2], v[128:129]
	v_add_f64 v[3:4], v[3:4], v[130:131]
	s_andn2_b32 exec_lo, exec_lo, s8
	s_cbranch_execnz .LBB121_812
; %bb.813:
	s_or_b32 exec_lo, exec_lo, s8
.LBB121_814:
	s_or_b32 exec_lo, exec_lo, s6
	v_mov_b32_e32 v124, 0
	ds_read_b128 v[128:131], v124 offset:720
	s_waitcnt lgkmcnt(0)
	v_mul_f64 v[124:125], v[3:4], v[130:131]
	v_mul_f64 v[130:131], v[1:2], v[130:131]
	v_fma_f64 v[1:2], v[1:2], v[128:129], -v[124:125]
	v_fma_f64 v[3:4], v[3:4], v[128:129], v[130:131]
	buffer_store_dword v2, off, s[0:3], 0 offset:724
	buffer_store_dword v1, off, s[0:3], 0 offset:720
	;; [unrolled: 1-line block ×4, first 2 shown]
.LBB121_815:
	s_or_b32 exec_lo, exec_lo, s4
	v_mov_b32_e32 v4, s19
	s_mov_b32 s4, exec_lo
	s_clause 0x3
	buffer_load_dword v1, v4, s[0:3], 0 offen
	buffer_load_dword v2, v4, s[0:3], 0 offen offset:4
	buffer_load_dword v3, v4, s[0:3], 0 offen offset:8
	;; [unrolled: 1-line block ×3, first 2 shown]
	s_waitcnt vmcnt(0)
	ds_write_b128 v122, v[1:4]
	s_waitcnt lgkmcnt(0)
	s_waitcnt_vscnt null, 0x0
	s_barrier
	buffer_gl0_inv
	v_cmpx_gt_u32_e32 46, v0
	s_cbranch_execz .LBB121_823
; %bb.816:
	ds_read_b128 v[1:4], v122
	v_cmp_ne_u32_e32 vcc_lo, 1, v123
	s_cbranch_vccnz .LBB121_818
; %bb.817:
	s_clause 0x3
	buffer_load_dword v124, v121, s[0:3], 0 offen offset:8
	buffer_load_dword v125, v121, s[0:3], 0 offen offset:12
	buffer_load_dword v128, v121, s[0:3], 0 offen
	buffer_load_dword v129, v121, s[0:3], 0 offen offset:4
	s_waitcnt vmcnt(2) lgkmcnt(0)
	v_mul_f64 v[130:131], v[3:4], v[124:125]
	v_mul_f64 v[124:125], v[1:2], v[124:125]
	s_waitcnt vmcnt(0)
	v_fma_f64 v[1:2], v[1:2], v[128:129], -v[130:131]
	v_fma_f64 v[3:4], v[3:4], v[128:129], v[124:125]
.LBB121_818:
	s_mov_b32 s6, exec_lo
	v_cmpx_ne_u32_e32 45, v0
	s_cbranch_execz .LBB121_822
; %bb.819:
	v_add_nc_u32_e32 v124, 0x3b0, v127
	v_add3_u32 v125, 0, v127, 16
	v_mov_b32_e32 v126, v0
	s_mov_b32 s8, 0
	.p2align	6
.LBB121_820:                            ; =>This Inner Loop Header: Depth=1
	s_clause 0x3
	buffer_load_dword v132, v125, s[0:3], 0 offen offset:8
	buffer_load_dword v133, v125, s[0:3], 0 offen offset:12
	buffer_load_dword v134, v125, s[0:3], 0 offen
	buffer_load_dword v135, v125, s[0:3], 0 offen offset:4
	ds_read_b128 v[128:131], v124
	v_add_nc_u32_e32 v126, 1, v126
	v_add_nc_u32_e32 v124, 16, v124
	;; [unrolled: 1-line block ×3, first 2 shown]
	v_cmp_lt_u32_e32 vcc_lo, 44, v126
	s_or_b32 s8, vcc_lo, s8
	s_waitcnt vmcnt(2) lgkmcnt(0)
	v_mul_f64 v[136:137], v[130:131], v[132:133]
	v_mul_f64 v[132:133], v[128:129], v[132:133]
	s_waitcnt vmcnt(0)
	v_fma_f64 v[128:129], v[128:129], v[134:135], -v[136:137]
	v_fma_f64 v[130:131], v[130:131], v[134:135], v[132:133]
	v_add_f64 v[1:2], v[1:2], v[128:129]
	v_add_f64 v[3:4], v[3:4], v[130:131]
	s_andn2_b32 exec_lo, exec_lo, s8
	s_cbranch_execnz .LBB121_820
; %bb.821:
	s_or_b32 exec_lo, exec_lo, s8
.LBB121_822:
	s_or_b32 exec_lo, exec_lo, s6
	v_mov_b32_e32 v124, 0
	ds_read_b128 v[128:131], v124 offset:736
	s_waitcnt lgkmcnt(0)
	v_mul_f64 v[124:125], v[3:4], v[130:131]
	v_mul_f64 v[130:131], v[1:2], v[130:131]
	v_fma_f64 v[1:2], v[1:2], v[128:129], -v[124:125]
	v_fma_f64 v[3:4], v[3:4], v[128:129], v[130:131]
	buffer_store_dword v2, off, s[0:3], 0 offset:740
	buffer_store_dword v1, off, s[0:3], 0 offset:736
	;; [unrolled: 1-line block ×4, first 2 shown]
.LBB121_823:
	s_or_b32 exec_lo, exec_lo, s4
	v_mov_b32_e32 v4, s18
	s_mov_b32 s4, exec_lo
	s_clause 0x3
	buffer_load_dword v1, v4, s[0:3], 0 offen
	buffer_load_dword v2, v4, s[0:3], 0 offen offset:4
	buffer_load_dword v3, v4, s[0:3], 0 offen offset:8
	;; [unrolled: 1-line block ×3, first 2 shown]
	s_waitcnt vmcnt(0)
	ds_write_b128 v122, v[1:4]
	s_waitcnt lgkmcnt(0)
	s_waitcnt_vscnt null, 0x0
	s_barrier
	buffer_gl0_inv
	v_cmpx_gt_u32_e32 47, v0
	s_cbranch_execz .LBB121_831
; %bb.824:
	ds_read_b128 v[1:4], v122
	v_cmp_ne_u32_e32 vcc_lo, 1, v123
	s_cbranch_vccnz .LBB121_826
; %bb.825:
	s_clause 0x3
	buffer_load_dword v124, v121, s[0:3], 0 offen offset:8
	buffer_load_dword v125, v121, s[0:3], 0 offen offset:12
	buffer_load_dword v128, v121, s[0:3], 0 offen
	buffer_load_dword v129, v121, s[0:3], 0 offen offset:4
	s_waitcnt vmcnt(2) lgkmcnt(0)
	v_mul_f64 v[130:131], v[3:4], v[124:125]
	v_mul_f64 v[124:125], v[1:2], v[124:125]
	s_waitcnt vmcnt(0)
	v_fma_f64 v[1:2], v[1:2], v[128:129], -v[130:131]
	v_fma_f64 v[3:4], v[3:4], v[128:129], v[124:125]
.LBB121_826:
	s_mov_b32 s6, exec_lo
	v_cmpx_ne_u32_e32 46, v0
	s_cbranch_execz .LBB121_830
; %bb.827:
	v_add_nc_u32_e32 v124, 0x3b0, v127
	v_add3_u32 v125, 0, v127, 16
	v_mov_b32_e32 v126, v0
	s_mov_b32 s8, 0
	.p2align	6
.LBB121_828:                            ; =>This Inner Loop Header: Depth=1
	s_clause 0x3
	buffer_load_dword v132, v125, s[0:3], 0 offen offset:8
	buffer_load_dword v133, v125, s[0:3], 0 offen offset:12
	buffer_load_dword v134, v125, s[0:3], 0 offen
	buffer_load_dword v135, v125, s[0:3], 0 offen offset:4
	ds_read_b128 v[128:131], v124
	v_add_nc_u32_e32 v126, 1, v126
	v_add_nc_u32_e32 v124, 16, v124
	v_add_nc_u32_e32 v125, 16, v125
	v_cmp_lt_u32_e32 vcc_lo, 45, v126
	s_or_b32 s8, vcc_lo, s8
	s_waitcnt vmcnt(2) lgkmcnt(0)
	v_mul_f64 v[136:137], v[130:131], v[132:133]
	v_mul_f64 v[132:133], v[128:129], v[132:133]
	s_waitcnt vmcnt(0)
	v_fma_f64 v[128:129], v[128:129], v[134:135], -v[136:137]
	v_fma_f64 v[130:131], v[130:131], v[134:135], v[132:133]
	v_add_f64 v[1:2], v[1:2], v[128:129]
	v_add_f64 v[3:4], v[3:4], v[130:131]
	s_andn2_b32 exec_lo, exec_lo, s8
	s_cbranch_execnz .LBB121_828
; %bb.829:
	s_or_b32 exec_lo, exec_lo, s8
.LBB121_830:
	s_or_b32 exec_lo, exec_lo, s6
	v_mov_b32_e32 v124, 0
	ds_read_b128 v[128:131], v124 offset:752
	s_waitcnt lgkmcnt(0)
	v_mul_f64 v[124:125], v[3:4], v[130:131]
	v_mul_f64 v[130:131], v[1:2], v[130:131]
	v_fma_f64 v[1:2], v[1:2], v[128:129], -v[124:125]
	v_fma_f64 v[3:4], v[3:4], v[128:129], v[130:131]
	buffer_store_dword v2, off, s[0:3], 0 offset:756
	buffer_store_dword v1, off, s[0:3], 0 offset:752
	;; [unrolled: 1-line block ×4, first 2 shown]
.LBB121_831:
	s_or_b32 exec_lo, exec_lo, s4
	v_mov_b32_e32 v4, s17
	s_mov_b32 s4, exec_lo
	s_clause 0x3
	buffer_load_dword v1, v4, s[0:3], 0 offen
	buffer_load_dword v2, v4, s[0:3], 0 offen offset:4
	buffer_load_dword v3, v4, s[0:3], 0 offen offset:8
	;; [unrolled: 1-line block ×3, first 2 shown]
	s_waitcnt vmcnt(0)
	ds_write_b128 v122, v[1:4]
	s_waitcnt lgkmcnt(0)
	s_waitcnt_vscnt null, 0x0
	s_barrier
	buffer_gl0_inv
	v_cmpx_gt_u32_e32 48, v0
	s_cbranch_execz .LBB121_839
; %bb.832:
	ds_read_b128 v[1:4], v122
	v_cmp_ne_u32_e32 vcc_lo, 1, v123
	s_cbranch_vccnz .LBB121_834
; %bb.833:
	s_clause 0x3
	buffer_load_dword v124, v121, s[0:3], 0 offen offset:8
	buffer_load_dword v125, v121, s[0:3], 0 offen offset:12
	buffer_load_dword v128, v121, s[0:3], 0 offen
	buffer_load_dword v129, v121, s[0:3], 0 offen offset:4
	s_waitcnt vmcnt(2) lgkmcnt(0)
	v_mul_f64 v[130:131], v[3:4], v[124:125]
	v_mul_f64 v[124:125], v[1:2], v[124:125]
	s_waitcnt vmcnt(0)
	v_fma_f64 v[1:2], v[1:2], v[128:129], -v[130:131]
	v_fma_f64 v[3:4], v[3:4], v[128:129], v[124:125]
.LBB121_834:
	s_mov_b32 s6, exec_lo
	v_cmpx_ne_u32_e32 47, v0
	s_cbranch_execz .LBB121_838
; %bb.835:
	v_add_nc_u32_e32 v124, 0x3b0, v127
	v_add3_u32 v125, 0, v127, 16
	v_mov_b32_e32 v126, v0
	s_mov_b32 s8, 0
	.p2align	6
.LBB121_836:                            ; =>This Inner Loop Header: Depth=1
	s_clause 0x3
	buffer_load_dword v132, v125, s[0:3], 0 offen offset:8
	buffer_load_dword v133, v125, s[0:3], 0 offen offset:12
	buffer_load_dword v134, v125, s[0:3], 0 offen
	buffer_load_dword v135, v125, s[0:3], 0 offen offset:4
	ds_read_b128 v[128:131], v124
	v_add_nc_u32_e32 v126, 1, v126
	v_add_nc_u32_e32 v124, 16, v124
	;; [unrolled: 1-line block ×3, first 2 shown]
	v_cmp_lt_u32_e32 vcc_lo, 46, v126
	s_or_b32 s8, vcc_lo, s8
	s_waitcnt vmcnt(2) lgkmcnt(0)
	v_mul_f64 v[136:137], v[130:131], v[132:133]
	v_mul_f64 v[132:133], v[128:129], v[132:133]
	s_waitcnt vmcnt(0)
	v_fma_f64 v[128:129], v[128:129], v[134:135], -v[136:137]
	v_fma_f64 v[130:131], v[130:131], v[134:135], v[132:133]
	v_add_f64 v[1:2], v[1:2], v[128:129]
	v_add_f64 v[3:4], v[3:4], v[130:131]
	s_andn2_b32 exec_lo, exec_lo, s8
	s_cbranch_execnz .LBB121_836
; %bb.837:
	s_or_b32 exec_lo, exec_lo, s8
.LBB121_838:
	s_or_b32 exec_lo, exec_lo, s6
	v_mov_b32_e32 v124, 0
	ds_read_b128 v[128:131], v124 offset:768
	s_waitcnt lgkmcnt(0)
	v_mul_f64 v[124:125], v[3:4], v[130:131]
	v_mul_f64 v[130:131], v[1:2], v[130:131]
	v_fma_f64 v[1:2], v[1:2], v[128:129], -v[124:125]
	v_fma_f64 v[3:4], v[3:4], v[128:129], v[130:131]
	buffer_store_dword v2, off, s[0:3], 0 offset:772
	buffer_store_dword v1, off, s[0:3], 0 offset:768
	;; [unrolled: 1-line block ×4, first 2 shown]
.LBB121_839:
	s_or_b32 exec_lo, exec_lo, s4
	v_mov_b32_e32 v4, s16
	s_mov_b32 s4, exec_lo
	s_clause 0x3
	buffer_load_dword v1, v4, s[0:3], 0 offen
	buffer_load_dword v2, v4, s[0:3], 0 offen offset:4
	buffer_load_dword v3, v4, s[0:3], 0 offen offset:8
	;; [unrolled: 1-line block ×3, first 2 shown]
	s_waitcnt vmcnt(0)
	ds_write_b128 v122, v[1:4]
	s_waitcnt lgkmcnt(0)
	s_waitcnt_vscnt null, 0x0
	s_barrier
	buffer_gl0_inv
	v_cmpx_gt_u32_e32 49, v0
	s_cbranch_execz .LBB121_847
; %bb.840:
	ds_read_b128 v[1:4], v122
	v_cmp_ne_u32_e32 vcc_lo, 1, v123
	s_cbranch_vccnz .LBB121_842
; %bb.841:
	s_clause 0x3
	buffer_load_dword v124, v121, s[0:3], 0 offen offset:8
	buffer_load_dword v125, v121, s[0:3], 0 offen offset:12
	buffer_load_dword v128, v121, s[0:3], 0 offen
	buffer_load_dword v129, v121, s[0:3], 0 offen offset:4
	s_waitcnt vmcnt(2) lgkmcnt(0)
	v_mul_f64 v[130:131], v[3:4], v[124:125]
	v_mul_f64 v[124:125], v[1:2], v[124:125]
	s_waitcnt vmcnt(0)
	v_fma_f64 v[1:2], v[1:2], v[128:129], -v[130:131]
	v_fma_f64 v[3:4], v[3:4], v[128:129], v[124:125]
.LBB121_842:
	s_mov_b32 s6, exec_lo
	v_cmpx_ne_u32_e32 48, v0
	s_cbranch_execz .LBB121_846
; %bb.843:
	v_add_nc_u32_e32 v124, 0x3b0, v127
	v_add3_u32 v125, 0, v127, 16
	v_mov_b32_e32 v126, v0
	s_mov_b32 s8, 0
	.p2align	6
.LBB121_844:                            ; =>This Inner Loop Header: Depth=1
	s_clause 0x3
	buffer_load_dword v132, v125, s[0:3], 0 offen offset:8
	buffer_load_dword v133, v125, s[0:3], 0 offen offset:12
	buffer_load_dword v134, v125, s[0:3], 0 offen
	buffer_load_dword v135, v125, s[0:3], 0 offen offset:4
	ds_read_b128 v[128:131], v124
	v_add_nc_u32_e32 v126, 1, v126
	v_add_nc_u32_e32 v124, 16, v124
	v_add_nc_u32_e32 v125, 16, v125
	v_cmp_lt_u32_e32 vcc_lo, 47, v126
	s_or_b32 s8, vcc_lo, s8
	s_waitcnt vmcnt(2) lgkmcnt(0)
	v_mul_f64 v[136:137], v[130:131], v[132:133]
	v_mul_f64 v[132:133], v[128:129], v[132:133]
	s_waitcnt vmcnt(0)
	v_fma_f64 v[128:129], v[128:129], v[134:135], -v[136:137]
	v_fma_f64 v[130:131], v[130:131], v[134:135], v[132:133]
	v_add_f64 v[1:2], v[1:2], v[128:129]
	v_add_f64 v[3:4], v[3:4], v[130:131]
	s_andn2_b32 exec_lo, exec_lo, s8
	s_cbranch_execnz .LBB121_844
; %bb.845:
	s_or_b32 exec_lo, exec_lo, s8
.LBB121_846:
	s_or_b32 exec_lo, exec_lo, s6
	v_mov_b32_e32 v124, 0
	ds_read_b128 v[128:131], v124 offset:784
	s_waitcnt lgkmcnt(0)
	v_mul_f64 v[124:125], v[3:4], v[130:131]
	v_mul_f64 v[130:131], v[1:2], v[130:131]
	v_fma_f64 v[1:2], v[1:2], v[128:129], -v[124:125]
	v_fma_f64 v[3:4], v[3:4], v[128:129], v[130:131]
	buffer_store_dword v2, off, s[0:3], 0 offset:788
	buffer_store_dword v1, off, s[0:3], 0 offset:784
	;; [unrolled: 1-line block ×4, first 2 shown]
.LBB121_847:
	s_or_b32 exec_lo, exec_lo, s4
	v_mov_b32_e32 v4, s15
	s_mov_b32 s4, exec_lo
	s_clause 0x3
	buffer_load_dword v1, v4, s[0:3], 0 offen
	buffer_load_dword v2, v4, s[0:3], 0 offen offset:4
	buffer_load_dword v3, v4, s[0:3], 0 offen offset:8
	;; [unrolled: 1-line block ×3, first 2 shown]
	s_waitcnt vmcnt(0)
	ds_write_b128 v122, v[1:4]
	s_waitcnt lgkmcnt(0)
	s_waitcnt_vscnt null, 0x0
	s_barrier
	buffer_gl0_inv
	v_cmpx_gt_u32_e32 50, v0
	s_cbranch_execz .LBB121_855
; %bb.848:
	ds_read_b128 v[1:4], v122
	v_cmp_ne_u32_e32 vcc_lo, 1, v123
	s_cbranch_vccnz .LBB121_850
; %bb.849:
	s_clause 0x3
	buffer_load_dword v124, v121, s[0:3], 0 offen offset:8
	buffer_load_dword v125, v121, s[0:3], 0 offen offset:12
	buffer_load_dword v128, v121, s[0:3], 0 offen
	buffer_load_dword v129, v121, s[0:3], 0 offen offset:4
	s_waitcnt vmcnt(2) lgkmcnt(0)
	v_mul_f64 v[130:131], v[3:4], v[124:125]
	v_mul_f64 v[124:125], v[1:2], v[124:125]
	s_waitcnt vmcnt(0)
	v_fma_f64 v[1:2], v[1:2], v[128:129], -v[130:131]
	v_fma_f64 v[3:4], v[3:4], v[128:129], v[124:125]
.LBB121_850:
	s_mov_b32 s6, exec_lo
	v_cmpx_ne_u32_e32 49, v0
	s_cbranch_execz .LBB121_854
; %bb.851:
	v_add_nc_u32_e32 v124, 0x3b0, v127
	v_add3_u32 v125, 0, v127, 16
	v_mov_b32_e32 v126, v0
	s_mov_b32 s8, 0
	.p2align	6
.LBB121_852:                            ; =>This Inner Loop Header: Depth=1
	s_clause 0x3
	buffer_load_dword v132, v125, s[0:3], 0 offen offset:8
	buffer_load_dword v133, v125, s[0:3], 0 offen offset:12
	buffer_load_dword v134, v125, s[0:3], 0 offen
	buffer_load_dword v135, v125, s[0:3], 0 offen offset:4
	ds_read_b128 v[128:131], v124
	v_add_nc_u32_e32 v126, 1, v126
	v_add_nc_u32_e32 v124, 16, v124
	;; [unrolled: 1-line block ×3, first 2 shown]
	v_cmp_lt_u32_e32 vcc_lo, 48, v126
	s_or_b32 s8, vcc_lo, s8
	s_waitcnt vmcnt(2) lgkmcnt(0)
	v_mul_f64 v[136:137], v[130:131], v[132:133]
	v_mul_f64 v[132:133], v[128:129], v[132:133]
	s_waitcnt vmcnt(0)
	v_fma_f64 v[128:129], v[128:129], v[134:135], -v[136:137]
	v_fma_f64 v[130:131], v[130:131], v[134:135], v[132:133]
	v_add_f64 v[1:2], v[1:2], v[128:129]
	v_add_f64 v[3:4], v[3:4], v[130:131]
	s_andn2_b32 exec_lo, exec_lo, s8
	s_cbranch_execnz .LBB121_852
; %bb.853:
	s_or_b32 exec_lo, exec_lo, s8
.LBB121_854:
	s_or_b32 exec_lo, exec_lo, s6
	v_mov_b32_e32 v124, 0
	ds_read_b128 v[128:131], v124 offset:800
	s_waitcnt lgkmcnt(0)
	v_mul_f64 v[124:125], v[3:4], v[130:131]
	v_mul_f64 v[130:131], v[1:2], v[130:131]
	v_fma_f64 v[1:2], v[1:2], v[128:129], -v[124:125]
	v_fma_f64 v[3:4], v[3:4], v[128:129], v[130:131]
	buffer_store_dword v2, off, s[0:3], 0 offset:804
	buffer_store_dword v1, off, s[0:3], 0 offset:800
	;; [unrolled: 1-line block ×4, first 2 shown]
.LBB121_855:
	s_or_b32 exec_lo, exec_lo, s4
	v_mov_b32_e32 v4, s14
	s_mov_b32 s4, exec_lo
	s_clause 0x3
	buffer_load_dword v1, v4, s[0:3], 0 offen
	buffer_load_dword v2, v4, s[0:3], 0 offen offset:4
	buffer_load_dword v3, v4, s[0:3], 0 offen offset:8
	;; [unrolled: 1-line block ×3, first 2 shown]
	s_waitcnt vmcnt(0)
	ds_write_b128 v122, v[1:4]
	s_waitcnt lgkmcnt(0)
	s_waitcnt_vscnt null, 0x0
	s_barrier
	buffer_gl0_inv
	v_cmpx_gt_u32_e32 51, v0
	s_cbranch_execz .LBB121_863
; %bb.856:
	ds_read_b128 v[1:4], v122
	v_cmp_ne_u32_e32 vcc_lo, 1, v123
	s_cbranch_vccnz .LBB121_858
; %bb.857:
	s_clause 0x3
	buffer_load_dword v124, v121, s[0:3], 0 offen offset:8
	buffer_load_dword v125, v121, s[0:3], 0 offen offset:12
	buffer_load_dword v128, v121, s[0:3], 0 offen
	buffer_load_dword v129, v121, s[0:3], 0 offen offset:4
	s_waitcnt vmcnt(2) lgkmcnt(0)
	v_mul_f64 v[130:131], v[3:4], v[124:125]
	v_mul_f64 v[124:125], v[1:2], v[124:125]
	s_waitcnt vmcnt(0)
	v_fma_f64 v[1:2], v[1:2], v[128:129], -v[130:131]
	v_fma_f64 v[3:4], v[3:4], v[128:129], v[124:125]
.LBB121_858:
	s_mov_b32 s6, exec_lo
	v_cmpx_ne_u32_e32 50, v0
	s_cbranch_execz .LBB121_862
; %bb.859:
	v_add_nc_u32_e32 v124, 0x3b0, v127
	v_add3_u32 v125, 0, v127, 16
	v_mov_b32_e32 v126, v0
	s_mov_b32 s8, 0
	.p2align	6
.LBB121_860:                            ; =>This Inner Loop Header: Depth=1
	s_clause 0x3
	buffer_load_dword v132, v125, s[0:3], 0 offen offset:8
	buffer_load_dword v133, v125, s[0:3], 0 offen offset:12
	buffer_load_dword v134, v125, s[0:3], 0 offen
	buffer_load_dword v135, v125, s[0:3], 0 offen offset:4
	ds_read_b128 v[128:131], v124
	v_add_nc_u32_e32 v126, 1, v126
	v_add_nc_u32_e32 v124, 16, v124
	;; [unrolled: 1-line block ×3, first 2 shown]
	v_cmp_lt_u32_e32 vcc_lo, 49, v126
	s_or_b32 s8, vcc_lo, s8
	s_waitcnt vmcnt(2) lgkmcnt(0)
	v_mul_f64 v[136:137], v[130:131], v[132:133]
	v_mul_f64 v[132:133], v[128:129], v[132:133]
	s_waitcnt vmcnt(0)
	v_fma_f64 v[128:129], v[128:129], v[134:135], -v[136:137]
	v_fma_f64 v[130:131], v[130:131], v[134:135], v[132:133]
	v_add_f64 v[1:2], v[1:2], v[128:129]
	v_add_f64 v[3:4], v[3:4], v[130:131]
	s_andn2_b32 exec_lo, exec_lo, s8
	s_cbranch_execnz .LBB121_860
; %bb.861:
	s_or_b32 exec_lo, exec_lo, s8
.LBB121_862:
	s_or_b32 exec_lo, exec_lo, s6
	v_mov_b32_e32 v124, 0
	ds_read_b128 v[128:131], v124 offset:816
	s_waitcnt lgkmcnt(0)
	v_mul_f64 v[124:125], v[3:4], v[130:131]
	v_mul_f64 v[130:131], v[1:2], v[130:131]
	v_fma_f64 v[1:2], v[1:2], v[128:129], -v[124:125]
	v_fma_f64 v[3:4], v[3:4], v[128:129], v[130:131]
	buffer_store_dword v2, off, s[0:3], 0 offset:820
	buffer_store_dword v1, off, s[0:3], 0 offset:816
	;; [unrolled: 1-line block ×4, first 2 shown]
.LBB121_863:
	s_or_b32 exec_lo, exec_lo, s4
	v_mov_b32_e32 v4, s13
	s_mov_b32 s4, exec_lo
	s_clause 0x3
	buffer_load_dword v1, v4, s[0:3], 0 offen
	buffer_load_dword v2, v4, s[0:3], 0 offen offset:4
	buffer_load_dword v3, v4, s[0:3], 0 offen offset:8
	;; [unrolled: 1-line block ×3, first 2 shown]
	s_waitcnt vmcnt(0)
	ds_write_b128 v122, v[1:4]
	s_waitcnt lgkmcnt(0)
	s_waitcnt_vscnt null, 0x0
	s_barrier
	buffer_gl0_inv
	v_cmpx_gt_u32_e32 52, v0
	s_cbranch_execz .LBB121_871
; %bb.864:
	ds_read_b128 v[1:4], v122
	v_cmp_ne_u32_e32 vcc_lo, 1, v123
	s_cbranch_vccnz .LBB121_866
; %bb.865:
	s_clause 0x3
	buffer_load_dword v124, v121, s[0:3], 0 offen offset:8
	buffer_load_dword v125, v121, s[0:3], 0 offen offset:12
	buffer_load_dword v128, v121, s[0:3], 0 offen
	buffer_load_dword v129, v121, s[0:3], 0 offen offset:4
	s_waitcnt vmcnt(2) lgkmcnt(0)
	v_mul_f64 v[130:131], v[3:4], v[124:125]
	v_mul_f64 v[124:125], v[1:2], v[124:125]
	s_waitcnt vmcnt(0)
	v_fma_f64 v[1:2], v[1:2], v[128:129], -v[130:131]
	v_fma_f64 v[3:4], v[3:4], v[128:129], v[124:125]
.LBB121_866:
	s_mov_b32 s6, exec_lo
	v_cmpx_ne_u32_e32 51, v0
	s_cbranch_execz .LBB121_870
; %bb.867:
	v_add_nc_u32_e32 v124, 0x3b0, v127
	v_add3_u32 v125, 0, v127, 16
	v_mov_b32_e32 v126, v0
	s_mov_b32 s8, 0
	.p2align	6
.LBB121_868:                            ; =>This Inner Loop Header: Depth=1
	s_clause 0x3
	buffer_load_dword v132, v125, s[0:3], 0 offen offset:8
	buffer_load_dword v133, v125, s[0:3], 0 offen offset:12
	buffer_load_dword v134, v125, s[0:3], 0 offen
	buffer_load_dword v135, v125, s[0:3], 0 offen offset:4
	ds_read_b128 v[128:131], v124
	v_add_nc_u32_e32 v126, 1, v126
	v_add_nc_u32_e32 v124, 16, v124
	;; [unrolled: 1-line block ×3, first 2 shown]
	v_cmp_lt_u32_e32 vcc_lo, 50, v126
	s_or_b32 s8, vcc_lo, s8
	s_waitcnt vmcnt(2) lgkmcnt(0)
	v_mul_f64 v[136:137], v[130:131], v[132:133]
	v_mul_f64 v[132:133], v[128:129], v[132:133]
	s_waitcnt vmcnt(0)
	v_fma_f64 v[128:129], v[128:129], v[134:135], -v[136:137]
	v_fma_f64 v[130:131], v[130:131], v[134:135], v[132:133]
	v_add_f64 v[1:2], v[1:2], v[128:129]
	v_add_f64 v[3:4], v[3:4], v[130:131]
	s_andn2_b32 exec_lo, exec_lo, s8
	s_cbranch_execnz .LBB121_868
; %bb.869:
	s_or_b32 exec_lo, exec_lo, s8
.LBB121_870:
	s_or_b32 exec_lo, exec_lo, s6
	v_mov_b32_e32 v124, 0
	ds_read_b128 v[128:131], v124 offset:832
	s_waitcnt lgkmcnt(0)
	v_mul_f64 v[124:125], v[3:4], v[130:131]
	v_mul_f64 v[130:131], v[1:2], v[130:131]
	v_fma_f64 v[1:2], v[1:2], v[128:129], -v[124:125]
	v_fma_f64 v[3:4], v[3:4], v[128:129], v[130:131]
	buffer_store_dword v2, off, s[0:3], 0 offset:836
	buffer_store_dword v1, off, s[0:3], 0 offset:832
	buffer_store_dword v4, off, s[0:3], 0 offset:844
	buffer_store_dword v3, off, s[0:3], 0 offset:840
.LBB121_871:
	s_or_b32 exec_lo, exec_lo, s4
	v_mov_b32_e32 v4, s12
	s_mov_b32 s4, exec_lo
	s_clause 0x3
	buffer_load_dword v1, v4, s[0:3], 0 offen
	buffer_load_dword v2, v4, s[0:3], 0 offen offset:4
	buffer_load_dword v3, v4, s[0:3], 0 offen offset:8
	;; [unrolled: 1-line block ×3, first 2 shown]
	s_waitcnt vmcnt(0)
	ds_write_b128 v122, v[1:4]
	s_waitcnt lgkmcnt(0)
	s_waitcnt_vscnt null, 0x0
	s_barrier
	buffer_gl0_inv
	v_cmpx_gt_u32_e32 53, v0
	s_cbranch_execz .LBB121_879
; %bb.872:
	ds_read_b128 v[1:4], v122
	v_cmp_ne_u32_e32 vcc_lo, 1, v123
	s_cbranch_vccnz .LBB121_874
; %bb.873:
	s_clause 0x3
	buffer_load_dword v124, v121, s[0:3], 0 offen offset:8
	buffer_load_dword v125, v121, s[0:3], 0 offen offset:12
	buffer_load_dword v128, v121, s[0:3], 0 offen
	buffer_load_dword v129, v121, s[0:3], 0 offen offset:4
	s_waitcnt vmcnt(2) lgkmcnt(0)
	v_mul_f64 v[130:131], v[3:4], v[124:125]
	v_mul_f64 v[124:125], v[1:2], v[124:125]
	s_waitcnt vmcnt(0)
	v_fma_f64 v[1:2], v[1:2], v[128:129], -v[130:131]
	v_fma_f64 v[3:4], v[3:4], v[128:129], v[124:125]
.LBB121_874:
	s_mov_b32 s6, exec_lo
	v_cmpx_ne_u32_e32 52, v0
	s_cbranch_execz .LBB121_878
; %bb.875:
	v_add_nc_u32_e32 v124, 0x3b0, v127
	v_add3_u32 v125, 0, v127, 16
	v_mov_b32_e32 v126, v0
	s_mov_b32 s8, 0
	.p2align	6
.LBB121_876:                            ; =>This Inner Loop Header: Depth=1
	s_clause 0x3
	buffer_load_dword v132, v125, s[0:3], 0 offen offset:8
	buffer_load_dword v133, v125, s[0:3], 0 offen offset:12
	buffer_load_dword v134, v125, s[0:3], 0 offen
	buffer_load_dword v135, v125, s[0:3], 0 offen offset:4
	ds_read_b128 v[128:131], v124
	v_add_nc_u32_e32 v126, 1, v126
	v_add_nc_u32_e32 v124, 16, v124
	;; [unrolled: 1-line block ×3, first 2 shown]
	v_cmp_lt_u32_e32 vcc_lo, 51, v126
	s_or_b32 s8, vcc_lo, s8
	s_waitcnt vmcnt(2) lgkmcnt(0)
	v_mul_f64 v[136:137], v[130:131], v[132:133]
	v_mul_f64 v[132:133], v[128:129], v[132:133]
	s_waitcnt vmcnt(0)
	v_fma_f64 v[128:129], v[128:129], v[134:135], -v[136:137]
	v_fma_f64 v[130:131], v[130:131], v[134:135], v[132:133]
	v_add_f64 v[1:2], v[1:2], v[128:129]
	v_add_f64 v[3:4], v[3:4], v[130:131]
	s_andn2_b32 exec_lo, exec_lo, s8
	s_cbranch_execnz .LBB121_876
; %bb.877:
	s_or_b32 exec_lo, exec_lo, s8
.LBB121_878:
	s_or_b32 exec_lo, exec_lo, s6
	v_mov_b32_e32 v124, 0
	ds_read_b128 v[128:131], v124 offset:848
	s_waitcnt lgkmcnt(0)
	v_mul_f64 v[124:125], v[3:4], v[130:131]
	v_mul_f64 v[130:131], v[1:2], v[130:131]
	v_fma_f64 v[1:2], v[1:2], v[128:129], -v[124:125]
	v_fma_f64 v[3:4], v[3:4], v[128:129], v[130:131]
	buffer_store_dword v2, off, s[0:3], 0 offset:852
	buffer_store_dword v1, off, s[0:3], 0 offset:848
	;; [unrolled: 1-line block ×4, first 2 shown]
.LBB121_879:
	s_or_b32 exec_lo, exec_lo, s4
	v_mov_b32_e32 v4, s11
	s_mov_b32 s4, exec_lo
	s_clause 0x3
	buffer_load_dword v1, v4, s[0:3], 0 offen
	buffer_load_dword v2, v4, s[0:3], 0 offen offset:4
	buffer_load_dword v3, v4, s[0:3], 0 offen offset:8
	;; [unrolled: 1-line block ×3, first 2 shown]
	s_waitcnt vmcnt(0)
	ds_write_b128 v122, v[1:4]
	s_waitcnt lgkmcnt(0)
	s_waitcnt_vscnt null, 0x0
	s_barrier
	buffer_gl0_inv
	v_cmpx_gt_u32_e32 54, v0
	s_cbranch_execz .LBB121_887
; %bb.880:
	ds_read_b128 v[1:4], v122
	v_cmp_ne_u32_e32 vcc_lo, 1, v123
	s_cbranch_vccnz .LBB121_882
; %bb.881:
	s_clause 0x3
	buffer_load_dword v124, v121, s[0:3], 0 offen offset:8
	buffer_load_dword v125, v121, s[0:3], 0 offen offset:12
	buffer_load_dword v128, v121, s[0:3], 0 offen
	buffer_load_dword v129, v121, s[0:3], 0 offen offset:4
	s_waitcnt vmcnt(2) lgkmcnt(0)
	v_mul_f64 v[130:131], v[3:4], v[124:125]
	v_mul_f64 v[124:125], v[1:2], v[124:125]
	s_waitcnt vmcnt(0)
	v_fma_f64 v[1:2], v[1:2], v[128:129], -v[130:131]
	v_fma_f64 v[3:4], v[3:4], v[128:129], v[124:125]
.LBB121_882:
	s_mov_b32 s6, exec_lo
	v_cmpx_ne_u32_e32 53, v0
	s_cbranch_execz .LBB121_886
; %bb.883:
	v_add_nc_u32_e32 v124, 0x3b0, v127
	v_add3_u32 v125, 0, v127, 16
	v_mov_b32_e32 v126, v0
	s_mov_b32 s8, 0
	.p2align	6
.LBB121_884:                            ; =>This Inner Loop Header: Depth=1
	s_clause 0x3
	buffer_load_dword v132, v125, s[0:3], 0 offen offset:8
	buffer_load_dword v133, v125, s[0:3], 0 offen offset:12
	buffer_load_dword v134, v125, s[0:3], 0 offen
	buffer_load_dword v135, v125, s[0:3], 0 offen offset:4
	ds_read_b128 v[128:131], v124
	v_add_nc_u32_e32 v126, 1, v126
	v_add_nc_u32_e32 v124, 16, v124
	;; [unrolled: 1-line block ×3, first 2 shown]
	v_cmp_lt_u32_e32 vcc_lo, 52, v126
	s_or_b32 s8, vcc_lo, s8
	s_waitcnt vmcnt(2) lgkmcnt(0)
	v_mul_f64 v[136:137], v[130:131], v[132:133]
	v_mul_f64 v[132:133], v[128:129], v[132:133]
	s_waitcnt vmcnt(0)
	v_fma_f64 v[128:129], v[128:129], v[134:135], -v[136:137]
	v_fma_f64 v[130:131], v[130:131], v[134:135], v[132:133]
	v_add_f64 v[1:2], v[1:2], v[128:129]
	v_add_f64 v[3:4], v[3:4], v[130:131]
	s_andn2_b32 exec_lo, exec_lo, s8
	s_cbranch_execnz .LBB121_884
; %bb.885:
	s_or_b32 exec_lo, exec_lo, s8
.LBB121_886:
	s_or_b32 exec_lo, exec_lo, s6
	v_mov_b32_e32 v124, 0
	ds_read_b128 v[128:131], v124 offset:864
	s_waitcnt lgkmcnt(0)
	v_mul_f64 v[124:125], v[3:4], v[130:131]
	v_mul_f64 v[130:131], v[1:2], v[130:131]
	v_fma_f64 v[1:2], v[1:2], v[128:129], -v[124:125]
	v_fma_f64 v[3:4], v[3:4], v[128:129], v[130:131]
	buffer_store_dword v2, off, s[0:3], 0 offset:868
	buffer_store_dword v1, off, s[0:3], 0 offset:864
	;; [unrolled: 1-line block ×4, first 2 shown]
.LBB121_887:
	s_or_b32 exec_lo, exec_lo, s4
	v_mov_b32_e32 v4, s10
	s_mov_b32 s4, exec_lo
	s_clause 0x3
	buffer_load_dword v1, v4, s[0:3], 0 offen
	buffer_load_dword v2, v4, s[0:3], 0 offen offset:4
	buffer_load_dword v3, v4, s[0:3], 0 offen offset:8
	;; [unrolled: 1-line block ×3, first 2 shown]
	s_waitcnt vmcnt(0)
	ds_write_b128 v122, v[1:4]
	s_waitcnt lgkmcnt(0)
	s_waitcnt_vscnt null, 0x0
	s_barrier
	buffer_gl0_inv
	v_cmpx_gt_u32_e32 55, v0
	s_cbranch_execz .LBB121_895
; %bb.888:
	ds_read_b128 v[1:4], v122
	v_cmp_ne_u32_e32 vcc_lo, 1, v123
	s_cbranch_vccnz .LBB121_890
; %bb.889:
	s_clause 0x3
	buffer_load_dword v124, v121, s[0:3], 0 offen offset:8
	buffer_load_dword v125, v121, s[0:3], 0 offen offset:12
	buffer_load_dword v128, v121, s[0:3], 0 offen
	buffer_load_dword v129, v121, s[0:3], 0 offen offset:4
	s_waitcnt vmcnt(2) lgkmcnt(0)
	v_mul_f64 v[130:131], v[3:4], v[124:125]
	v_mul_f64 v[124:125], v[1:2], v[124:125]
	s_waitcnt vmcnt(0)
	v_fma_f64 v[1:2], v[1:2], v[128:129], -v[130:131]
	v_fma_f64 v[3:4], v[3:4], v[128:129], v[124:125]
.LBB121_890:
	s_mov_b32 s6, exec_lo
	v_cmpx_ne_u32_e32 54, v0
	s_cbranch_execz .LBB121_894
; %bb.891:
	v_add_nc_u32_e32 v124, 0x3b0, v127
	v_add3_u32 v125, 0, v127, 16
	v_mov_b32_e32 v126, v0
	s_mov_b32 s8, 0
	.p2align	6
.LBB121_892:                            ; =>This Inner Loop Header: Depth=1
	s_clause 0x3
	buffer_load_dword v132, v125, s[0:3], 0 offen offset:8
	buffer_load_dword v133, v125, s[0:3], 0 offen offset:12
	buffer_load_dword v134, v125, s[0:3], 0 offen
	buffer_load_dword v135, v125, s[0:3], 0 offen offset:4
	ds_read_b128 v[128:131], v124
	v_add_nc_u32_e32 v126, 1, v126
	v_add_nc_u32_e32 v124, 16, v124
	;; [unrolled: 1-line block ×3, first 2 shown]
	v_cmp_lt_u32_e32 vcc_lo, 53, v126
	s_or_b32 s8, vcc_lo, s8
	s_waitcnt vmcnt(2) lgkmcnt(0)
	v_mul_f64 v[136:137], v[130:131], v[132:133]
	v_mul_f64 v[132:133], v[128:129], v[132:133]
	s_waitcnt vmcnt(0)
	v_fma_f64 v[128:129], v[128:129], v[134:135], -v[136:137]
	v_fma_f64 v[130:131], v[130:131], v[134:135], v[132:133]
	v_add_f64 v[1:2], v[1:2], v[128:129]
	v_add_f64 v[3:4], v[3:4], v[130:131]
	s_andn2_b32 exec_lo, exec_lo, s8
	s_cbranch_execnz .LBB121_892
; %bb.893:
	s_or_b32 exec_lo, exec_lo, s8
.LBB121_894:
	s_or_b32 exec_lo, exec_lo, s6
	v_mov_b32_e32 v124, 0
	ds_read_b128 v[128:131], v124 offset:880
	s_waitcnt lgkmcnt(0)
	v_mul_f64 v[124:125], v[3:4], v[130:131]
	v_mul_f64 v[130:131], v[1:2], v[130:131]
	v_fma_f64 v[1:2], v[1:2], v[128:129], -v[124:125]
	v_fma_f64 v[3:4], v[3:4], v[128:129], v[130:131]
	buffer_store_dword v2, off, s[0:3], 0 offset:884
	buffer_store_dword v1, off, s[0:3], 0 offset:880
	;; [unrolled: 1-line block ×4, first 2 shown]
.LBB121_895:
	s_or_b32 exec_lo, exec_lo, s4
	v_mov_b32_e32 v4, s9
	v_cmp_gt_u32_e64 s4, 56, v0
	s_clause 0x3
	buffer_load_dword v1, v4, s[0:3], 0 offen
	buffer_load_dword v2, v4, s[0:3], 0 offen offset:4
	buffer_load_dword v3, v4, s[0:3], 0 offen offset:8
	;; [unrolled: 1-line block ×3, first 2 shown]
	s_waitcnt vmcnt(0)
	ds_write_b128 v122, v[1:4]
	s_waitcnt lgkmcnt(0)
	s_waitcnt_vscnt null, 0x0
	s_barrier
	buffer_gl0_inv
	s_and_saveexec_b32 s6, s4
	s_cbranch_execz .LBB121_903
; %bb.896:
	ds_read_b128 v[1:4], v122
	v_cmp_ne_u32_e32 vcc_lo, 1, v123
	s_cbranch_vccnz .LBB121_898
; %bb.897:
	s_clause 0x3
	buffer_load_dword v124, v121, s[0:3], 0 offen offset:8
	buffer_load_dword v125, v121, s[0:3], 0 offen offset:12
	buffer_load_dword v128, v121, s[0:3], 0 offen
	buffer_load_dword v129, v121, s[0:3], 0 offen offset:4
	s_waitcnt vmcnt(2) lgkmcnt(0)
	v_mul_f64 v[130:131], v[3:4], v[124:125]
	v_mul_f64 v[124:125], v[1:2], v[124:125]
	s_waitcnt vmcnt(0)
	v_fma_f64 v[1:2], v[1:2], v[128:129], -v[130:131]
	v_fma_f64 v[3:4], v[3:4], v[128:129], v[124:125]
.LBB121_898:
	s_mov_b32 s8, exec_lo
	v_cmpx_ne_u32_e32 55, v0
	s_cbranch_execz .LBB121_902
; %bb.899:
	v_add_nc_u32_e32 v124, 0x3b0, v127
	v_add3_u32 v125, 0, v127, 16
	v_mov_b32_e32 v126, v0
	s_mov_b32 s66, 0
	.p2align	6
.LBB121_900:                            ; =>This Inner Loop Header: Depth=1
	s_clause 0x3
	buffer_load_dword v132, v125, s[0:3], 0 offen offset:8
	buffer_load_dword v133, v125, s[0:3], 0 offen offset:12
	buffer_load_dword v134, v125, s[0:3], 0 offen
	buffer_load_dword v135, v125, s[0:3], 0 offen offset:4
	ds_read_b128 v[128:131], v124
	v_add_nc_u32_e32 v126, 1, v126
	v_add_nc_u32_e32 v124, 16, v124
	;; [unrolled: 1-line block ×3, first 2 shown]
	v_cmp_lt_u32_e32 vcc_lo, 54, v126
	s_or_b32 s66, vcc_lo, s66
	s_waitcnt vmcnt(2) lgkmcnt(0)
	v_mul_f64 v[136:137], v[130:131], v[132:133]
	v_mul_f64 v[132:133], v[128:129], v[132:133]
	s_waitcnt vmcnt(0)
	v_fma_f64 v[128:129], v[128:129], v[134:135], -v[136:137]
	v_fma_f64 v[130:131], v[130:131], v[134:135], v[132:133]
	v_add_f64 v[1:2], v[1:2], v[128:129]
	v_add_f64 v[3:4], v[3:4], v[130:131]
	s_andn2_b32 exec_lo, exec_lo, s66
	s_cbranch_execnz .LBB121_900
; %bb.901:
	s_or_b32 exec_lo, exec_lo, s66
.LBB121_902:
	s_or_b32 exec_lo, exec_lo, s8
	v_mov_b32_e32 v124, 0
	ds_read_b128 v[128:131], v124 offset:896
	s_waitcnt lgkmcnt(0)
	v_mul_f64 v[124:125], v[3:4], v[130:131]
	v_mul_f64 v[130:131], v[1:2], v[130:131]
	v_fma_f64 v[1:2], v[1:2], v[128:129], -v[124:125]
	v_fma_f64 v[3:4], v[3:4], v[128:129], v[130:131]
	buffer_store_dword v2, off, s[0:3], 0 offset:900
	buffer_store_dword v1, off, s[0:3], 0 offset:896
	;; [unrolled: 1-line block ×4, first 2 shown]
.LBB121_903:
	s_or_b32 exec_lo, exec_lo, s6
	v_mov_b32_e32 v4, s7
	s_mov_b32 s6, exec_lo
                                        ; implicit-def: $sgpr67
	s_clause 0x3
	buffer_load_dword v1, v4, s[0:3], 0 offen
	buffer_load_dword v2, v4, s[0:3], 0 offen offset:4
	buffer_load_dword v3, v4, s[0:3], 0 offen offset:8
	;; [unrolled: 1-line block ×3, first 2 shown]
	s_waitcnt vmcnt(0)
	ds_write_b128 v122, v[1:4]
	s_waitcnt lgkmcnt(0)
	s_waitcnt_vscnt null, 0x0
	s_barrier
	buffer_gl0_inv
                                        ; implicit-def: $vgpr1_vgpr2
	v_cmpx_ne_u32_e32 57, v0
	s_cbranch_execz .LBB121_911
; %bb.904:
	ds_read_b128 v[1:4], v122
	v_cmp_ne_u32_e32 vcc_lo, 1, v123
	s_cbranch_vccnz .LBB121_906
; %bb.905:
	s_clause 0x3
	buffer_load_dword v122, v121, s[0:3], 0 offen offset:8
	buffer_load_dword v123, v121, s[0:3], 0 offen offset:12
	buffer_load_dword v124, v121, s[0:3], 0 offen
	buffer_load_dword v125, v121, s[0:3], 0 offen offset:4
	s_waitcnt vmcnt(2) lgkmcnt(0)
	v_mul_f64 v[128:129], v[3:4], v[122:123]
	v_mul_f64 v[121:122], v[1:2], v[122:123]
	s_waitcnt vmcnt(0)
	v_fma_f64 v[1:2], v[1:2], v[124:125], -v[128:129]
	v_fma_f64 v[3:4], v[3:4], v[124:125], v[121:122]
.LBB121_906:
	s_and_saveexec_b32 s8, s4
	s_cbranch_execz .LBB121_910
; %bb.907:
	v_add_nc_u32_e32 v121, 0x3b0, v127
	v_add3_u32 v122, 0, v127, 16
	s_mov_b32 s4, 0
	.p2align	6
.LBB121_908:                            ; =>This Inner Loop Header: Depth=1
	s_clause 0x3
	buffer_load_dword v127, v122, s[0:3], 0 offen offset:8
	buffer_load_dword v128, v122, s[0:3], 0 offen offset:12
	buffer_load_dword v129, v122, s[0:3], 0 offen
	buffer_load_dword v130, v122, s[0:3], 0 offen offset:4
	ds_read_b128 v[123:126], v121
	v_add_nc_u32_e32 v0, 1, v0
	v_add_nc_u32_e32 v121, 16, v121
	;; [unrolled: 1-line block ×3, first 2 shown]
	v_cmp_lt_u32_e32 vcc_lo, 55, v0
	s_or_b32 s4, vcc_lo, s4
	s_waitcnt vmcnt(2) lgkmcnt(0)
	v_mul_f64 v[131:132], v[125:126], v[127:128]
	v_mul_f64 v[127:128], v[123:124], v[127:128]
	s_waitcnt vmcnt(0)
	v_fma_f64 v[123:124], v[123:124], v[129:130], -v[131:132]
	v_fma_f64 v[125:126], v[125:126], v[129:130], v[127:128]
	v_add_f64 v[1:2], v[1:2], v[123:124]
	v_add_f64 v[3:4], v[3:4], v[125:126]
	s_andn2_b32 exec_lo, exec_lo, s4
	s_cbranch_execnz .LBB121_908
; %bb.909:
	s_or_b32 exec_lo, exec_lo, s4
.LBB121_910:
	s_or_b32 exec_lo, exec_lo, s8
	v_mov_b32_e32 v0, 0
	s_movk_i32 s67, 0x398
	s_or_b32 s5, s5, exec_lo
	ds_read_b128 v[121:124], v0 offset:912
	s_waitcnt lgkmcnt(0)
	v_mul_f64 v[125:126], v[3:4], v[123:124]
	v_mul_f64 v[123:124], v[1:2], v[123:124]
	v_fma_f64 v[125:126], v[1:2], v[121:122], -v[125:126]
	v_fma_f64 v[1:2], v[3:4], v[121:122], v[123:124]
	buffer_store_dword v126, off, s[0:3], 0 offset:916
	buffer_store_dword v125, off, s[0:3], 0 offset:912
.LBB121_911:
	s_or_b32 exec_lo, exec_lo, s6
.LBB121_912:
	s_and_saveexec_b32 s4, s5
	s_cbranch_execz .LBB121_914
; %bb.913:
	v_mov_b32_e32 v0, s67
	buffer_store_dword v2, v0, s[0:3], 0 offen offset:4
	buffer_store_dword v1, v0, s[0:3], 0 offen
.LBB121_914:
	s_or_b32 exec_lo, exec_lo, s4
	s_clause 0x3
	buffer_load_dword v0, off, s[0:3], 0
	buffer_load_dword v1, off, s[0:3], 0 offset:4
	buffer_load_dword v2, off, s[0:3], 0 offset:8
	;; [unrolled: 1-line block ×3, first 2 shown]
	v_mov_b32_e32 v4, s65
	s_waitcnt vmcnt(0)
	flat_store_dwordx4 v[5:6], v[0:3]
	s_clause 0x3
	buffer_load_dword v0, v4, s[0:3], 0 offen
	buffer_load_dword v1, v4, s[0:3], 0 offen offset:4
	buffer_load_dword v2, v4, s[0:3], 0 offen offset:8
	buffer_load_dword v3, v4, s[0:3], 0 offen offset:12
	v_mov_b32_e32 v4, s64
	s_waitcnt vmcnt(0)
	flat_store_dwordx4 v[59:60], v[0:3]
	s_clause 0x3
	buffer_load_dword v0, v4, s[0:3], 0 offen
	buffer_load_dword v1, v4, s[0:3], 0 offen offset:4
	buffer_load_dword v2, v4, s[0:3], 0 offen offset:8
	buffer_load_dword v3, v4, s[0:3], 0 offen offset:12
	;; [unrolled: 8-line block ×57, first 2 shown]
	s_waitcnt vmcnt(0)
	flat_store_dwordx4 v[119:120], v[0:3]
.LBB121_915:
	s_endpgm
	.section	.rodata,"a",@progbits
	.p2align	6, 0x0
	.amdhsa_kernel _ZN9rocsolver6v33100L18trti2_kernel_smallILi58E19rocblas_complex_numIdEPKPS3_EEv13rocblas_fill_17rocblas_diagonal_T1_iil
		.amdhsa_group_segment_fixed_size 1856
		.amdhsa_private_segment_fixed_size 944
		.amdhsa_kernarg_size 32
		.amdhsa_user_sgpr_count 6
		.amdhsa_user_sgpr_private_segment_buffer 1
		.amdhsa_user_sgpr_dispatch_ptr 0
		.amdhsa_user_sgpr_queue_ptr 0
		.amdhsa_user_sgpr_kernarg_segment_ptr 1
		.amdhsa_user_sgpr_dispatch_id 0
		.amdhsa_user_sgpr_flat_scratch_init 0
		.amdhsa_user_sgpr_private_segment_size 0
		.amdhsa_wavefront_size32 1
		.amdhsa_uses_dynamic_stack 0
		.amdhsa_system_sgpr_private_segment_wavefront_offset 1
		.amdhsa_system_sgpr_workgroup_id_x 1
		.amdhsa_system_sgpr_workgroup_id_y 0
		.amdhsa_system_sgpr_workgroup_id_z 0
		.amdhsa_system_sgpr_workgroup_info 0
		.amdhsa_system_vgpr_workitem_id 0
		.amdhsa_next_free_vgpr 138
		.amdhsa_next_free_sgpr 92
		.amdhsa_reserve_vcc 1
		.amdhsa_reserve_flat_scratch 0
		.amdhsa_float_round_mode_32 0
		.amdhsa_float_round_mode_16_64 0
		.amdhsa_float_denorm_mode_32 3
		.amdhsa_float_denorm_mode_16_64 3
		.amdhsa_dx10_clamp 1
		.amdhsa_ieee_mode 1
		.amdhsa_fp16_overflow 0
		.amdhsa_workgroup_processor_mode 1
		.amdhsa_memory_ordered 1
		.amdhsa_forward_progress 1
		.amdhsa_shared_vgpr_count 0
		.amdhsa_exception_fp_ieee_invalid_op 0
		.amdhsa_exception_fp_denorm_src 0
		.amdhsa_exception_fp_ieee_div_zero 0
		.amdhsa_exception_fp_ieee_overflow 0
		.amdhsa_exception_fp_ieee_underflow 0
		.amdhsa_exception_fp_ieee_inexact 0
		.amdhsa_exception_int_div_zero 0
	.end_amdhsa_kernel
	.section	.text._ZN9rocsolver6v33100L18trti2_kernel_smallILi58E19rocblas_complex_numIdEPKPS3_EEv13rocblas_fill_17rocblas_diagonal_T1_iil,"axG",@progbits,_ZN9rocsolver6v33100L18trti2_kernel_smallILi58E19rocblas_complex_numIdEPKPS3_EEv13rocblas_fill_17rocblas_diagonal_T1_iil,comdat
.Lfunc_end121:
	.size	_ZN9rocsolver6v33100L18trti2_kernel_smallILi58E19rocblas_complex_numIdEPKPS3_EEv13rocblas_fill_17rocblas_diagonal_T1_iil, .Lfunc_end121-_ZN9rocsolver6v33100L18trti2_kernel_smallILi58E19rocblas_complex_numIdEPKPS3_EEv13rocblas_fill_17rocblas_diagonal_T1_iil
                                        ; -- End function
	.set _ZN9rocsolver6v33100L18trti2_kernel_smallILi58E19rocblas_complex_numIdEPKPS3_EEv13rocblas_fill_17rocblas_diagonal_T1_iil.num_vgpr, 138
	.set _ZN9rocsolver6v33100L18trti2_kernel_smallILi58E19rocblas_complex_numIdEPKPS3_EEv13rocblas_fill_17rocblas_diagonal_T1_iil.num_agpr, 0
	.set _ZN9rocsolver6v33100L18trti2_kernel_smallILi58E19rocblas_complex_numIdEPKPS3_EEv13rocblas_fill_17rocblas_diagonal_T1_iil.numbered_sgpr, 92
	.set _ZN9rocsolver6v33100L18trti2_kernel_smallILi58E19rocblas_complex_numIdEPKPS3_EEv13rocblas_fill_17rocblas_diagonal_T1_iil.num_named_barrier, 0
	.set _ZN9rocsolver6v33100L18trti2_kernel_smallILi58E19rocblas_complex_numIdEPKPS3_EEv13rocblas_fill_17rocblas_diagonal_T1_iil.private_seg_size, 944
	.set _ZN9rocsolver6v33100L18trti2_kernel_smallILi58E19rocblas_complex_numIdEPKPS3_EEv13rocblas_fill_17rocblas_diagonal_T1_iil.uses_vcc, 1
	.set _ZN9rocsolver6v33100L18trti2_kernel_smallILi58E19rocblas_complex_numIdEPKPS3_EEv13rocblas_fill_17rocblas_diagonal_T1_iil.uses_flat_scratch, 0
	.set _ZN9rocsolver6v33100L18trti2_kernel_smallILi58E19rocblas_complex_numIdEPKPS3_EEv13rocblas_fill_17rocblas_diagonal_T1_iil.has_dyn_sized_stack, 0
	.set _ZN9rocsolver6v33100L18trti2_kernel_smallILi58E19rocblas_complex_numIdEPKPS3_EEv13rocblas_fill_17rocblas_diagonal_T1_iil.has_recursion, 0
	.set _ZN9rocsolver6v33100L18trti2_kernel_smallILi58E19rocblas_complex_numIdEPKPS3_EEv13rocblas_fill_17rocblas_diagonal_T1_iil.has_indirect_call, 0
	.section	.AMDGPU.csdata,"",@progbits
; Kernel info:
; codeLenInByte = 59196
; TotalNumSgprs: 94
; NumVgprs: 138
; ScratchSize: 944
; MemoryBound: 0
; FloatMode: 240
; IeeeMode: 1
; LDSByteSize: 1856 bytes/workgroup (compile time only)
; SGPRBlocks: 0
; VGPRBlocks: 17
; NumSGPRsForWavesPerEU: 94
; NumVGPRsForWavesPerEU: 138
; Occupancy: 7
; WaveLimiterHint : 1
; COMPUTE_PGM_RSRC2:SCRATCH_EN: 1
; COMPUTE_PGM_RSRC2:USER_SGPR: 6
; COMPUTE_PGM_RSRC2:TRAP_HANDLER: 0
; COMPUTE_PGM_RSRC2:TGID_X_EN: 1
; COMPUTE_PGM_RSRC2:TGID_Y_EN: 0
; COMPUTE_PGM_RSRC2:TGID_Z_EN: 0
; COMPUTE_PGM_RSRC2:TIDIG_COMP_CNT: 0
	.section	.text._ZN9rocsolver6v33100L18trti2_kernel_smallILi59E19rocblas_complex_numIdEPKPS3_EEv13rocblas_fill_17rocblas_diagonal_T1_iil,"axG",@progbits,_ZN9rocsolver6v33100L18trti2_kernel_smallILi59E19rocblas_complex_numIdEPKPS3_EEv13rocblas_fill_17rocblas_diagonal_T1_iil,comdat
	.globl	_ZN9rocsolver6v33100L18trti2_kernel_smallILi59E19rocblas_complex_numIdEPKPS3_EEv13rocblas_fill_17rocblas_diagonal_T1_iil ; -- Begin function _ZN9rocsolver6v33100L18trti2_kernel_smallILi59E19rocblas_complex_numIdEPKPS3_EEv13rocblas_fill_17rocblas_diagonal_T1_iil
	.p2align	8
	.type	_ZN9rocsolver6v33100L18trti2_kernel_smallILi59E19rocblas_complex_numIdEPKPS3_EEv13rocblas_fill_17rocblas_diagonal_T1_iil,@function
_ZN9rocsolver6v33100L18trti2_kernel_smallILi59E19rocblas_complex_numIdEPKPS3_EEv13rocblas_fill_17rocblas_diagonal_T1_iil: ; @_ZN9rocsolver6v33100L18trti2_kernel_smallILi59E19rocblas_complex_numIdEPKPS3_EEv13rocblas_fill_17rocblas_diagonal_T1_iil
; %bb.0:
	s_add_u32 s0, s0, s7
	s_addc_u32 s1, s1, 0
	s_mov_b32 s7, exec_lo
	v_cmpx_gt_u32_e32 59, v0
	s_cbranch_execz .LBB122_931
; %bb.1:
	s_clause 0x1
	s_load_dwordx2 s[12:13], s[4:5], 0x10
	s_load_dwordx4 s[8:11], s[4:5], 0x0
	s_ashr_i32 s7, s6, 31
	v_lshlrev_b32_e32 v129, 4, v0
	s_lshl_b64 s[4:5], s[6:7], 3
	s_movk_i32 s14, 0xd0
	s_movk_i32 s15, 0xe0
	;; [unrolled: 1-line block ×15, first 2 shown]
	s_waitcnt lgkmcnt(0)
	s_ashr_i32 s7, s12, 31
	s_add_u32 s4, s10, s4
	s_addc_u32 s5, s11, s5
	s_mov_b32 s6, s12
	s_load_dwordx2 s[4:5], s[4:5], 0x0
	s_lshl_b64 s[6:7], s[6:7], 4
	v_add3_u32 v7, s13, s13, v0
	s_movk_i32 s10, 0x90
	s_movk_i32 s11, 0xa0
	;; [unrolled: 1-line block ×4, first 2 shown]
	v_ashrrev_i32_e32 v8, 31, v7
	s_movk_i32 s30, 0x1d0
	s_movk_i32 s31, 0x1e0
	;; [unrolled: 1-line block ×4, first 2 shown]
	v_lshlrev_b64 v[8:9], 4, v[7:8]
	v_add_nc_u32_e32 v7, s13, v7
	s_movk_i32 s67, 0x210
	s_movk_i32 s68, 0x220
	;; [unrolled: 1-line block ×6, first 2 shown]
	s_waitcnt lgkmcnt(0)
	s_add_u32 s6, s4, s6
	s_addc_u32 s7, s5, s7
	v_add_co_u32 v5, s4, s6, v129
	v_add_co_ci_u32_e64 v6, null, s7, 0, s4
	s_mov_b32 s4, s13
	s_ashr_i32 s5, s13, 31
	s_movk_i32 s73, 0x270
	flat_load_dwordx4 v[1:4], v[5:6]
	s_lshl_b64 s[4:5], s[4:5], 4
	s_cmpk_lg_i32 s9, 0x84
	v_add_co_u32 v59, vcc_lo, v5, s4
	v_add_co_ci_u32_e64 v60, null, s5, v6, vcc_lo
	v_add_co_u32 v57, vcc_lo, s6, v8
	v_add_co_ci_u32_e64 v58, null, s7, v9, vcc_lo
	v_ashrrev_i32_e32 v8, 31, v7
	s_movk_i32 s4, 0x50
	s_movk_i32 s5, 0x60
	s_movk_i32 s74, 0x280
	s_movk_i32 s75, 0x290
	v_lshlrev_b64 v[8:9], 4, v[7:8]
	v_add_nc_u32_e32 v7, s13, v7
	s_movk_i32 s76, 0x2a0
	s_movk_i32 s77, 0x2b0
	;; [unrolled: 1-line block ×4, first 2 shown]
	v_add_co_u32 v55, vcc_lo, s6, v8
	v_add_co_ci_u32_e64 v56, null, s7, v9, vcc_lo
	v_ashrrev_i32_e32 v8, 31, v7
	s_movk_i32 s80, 0x2e0
	s_movk_i32 s81, 0x2f0
	;; [unrolled: 1-line block ×4, first 2 shown]
	v_lshlrev_b64 v[8:9], 4, v[7:8]
	v_add_nc_u32_e32 v7, s13, v7
	s_movk_i32 s84, 0x320
	s_movk_i32 s85, 0x330
	;; [unrolled: 1-line block ×4, first 2 shown]
	v_add_co_u32 v53, vcc_lo, s6, v8
	v_add_co_ci_u32_e64 v54, null, s7, v9, vcc_lo
	v_ashrrev_i32_e32 v8, 31, v7
	s_movk_i32 s88, 0x360
	s_movk_i32 s89, 0x370
	;; [unrolled: 1-line block ×4, first 2 shown]
	v_lshlrev_b64 v[8:9], 4, v[7:8]
	v_add_nc_u32_e32 v7, s13, v7
	s_movk_i32 s92, 0x3a0
	s_cselect_b32 s66, -1, 0
	s_cmpk_eq_i32 s9, 0x84
	s_waitcnt vmcnt(0) lgkmcnt(0)
	buffer_store_dword v4, off, s[0:3], 0 offset:12
	buffer_store_dword v3, off, s[0:3], 0 offset:8
	;; [unrolled: 1-line block ×3, first 2 shown]
	buffer_store_dword v1, off, s[0:3], 0
	flat_load_dwordx4 v[1:4], v[59:60]
	v_add_co_u32 v49, vcc_lo, s6, v8
	v_add_co_ci_u32_e64 v50, null, s7, v9, vcc_lo
	v_ashrrev_i32_e32 v8, 31, v7
	s_waitcnt vmcnt(0) lgkmcnt(0)
	buffer_store_dword v4, off, s[0:3], 0 offset:28
	buffer_store_dword v3, off, s[0:3], 0 offset:24
	buffer_store_dword v2, off, s[0:3], 0 offset:20
	buffer_store_dword v1, off, s[0:3], 0 offset:16
	flat_load_dwordx4 v[1:4], v[57:58]
	v_lshlrev_b64 v[8:9], 4, v[7:8]
	v_add_nc_u32_e32 v7, s13, v7
	s_waitcnt vmcnt(0) lgkmcnt(0)
	buffer_store_dword v4, off, s[0:3], 0 offset:44
	buffer_store_dword v3, off, s[0:3], 0 offset:40
	buffer_store_dword v2, off, s[0:3], 0 offset:36
	buffer_store_dword v1, off, s[0:3], 0 offset:32
	flat_load_dwordx4 v[1:4], v[55:56]
	v_add_co_u32 v47, vcc_lo, s6, v8
	v_add_co_ci_u32_e64 v48, null, s7, v9, vcc_lo
	v_ashrrev_i32_e32 v8, 31, v7
	s_waitcnt vmcnt(0) lgkmcnt(0)
	buffer_store_dword v4, off, s[0:3], 0 offset:60
	buffer_store_dword v3, off, s[0:3], 0 offset:56
	buffer_store_dword v2, off, s[0:3], 0 offset:52
	buffer_store_dword v1, off, s[0:3], 0 offset:48
	flat_load_dwordx4 v[1:4], v[53:54]
	v_lshlrev_b64 v[8:9], 4, v[7:8]
	v_add_nc_u32_e32 v7, s13, v7
	s_waitcnt vmcnt(0) lgkmcnt(0)
	buffer_store_dword v4, off, s[0:3], 0 offset:76
	buffer_store_dword v3, off, s[0:3], 0 offset:72
	buffer_store_dword v2, off, s[0:3], 0 offset:68
	buffer_store_dword v1, off, s[0:3], 0 offset:64
	;; [unrolled: 17-line block ×4, first 2 shown]
	v_add_co_u32 v41, vcc_lo, s6, v8
	v_add_co_ci_u32_e64 v42, null, s7, v9, vcc_lo
	v_ashrrev_i32_e32 v8, 31, v7
	flat_load_dwordx4 v[1:4], v[41:42]
	s_waitcnt vmcnt(0) lgkmcnt(0)
	buffer_store_dword v4, off, s[0:3], 0 offset:156
	buffer_store_dword v3, off, s[0:3], 0 offset:152
	buffer_store_dword v2, off, s[0:3], 0 offset:148
	buffer_store_dword v1, off, s[0:3], 0 offset:144
	v_lshlrev_b64 v[8:9], 4, v[7:8]
	v_add_nc_u32_e32 v7, s13, v7
	v_add_co_u32 v39, vcc_lo, s6, v8
	v_add_co_ci_u32_e64 v40, null, s7, v9, vcc_lo
	v_ashrrev_i32_e32 v8, 31, v7
	flat_load_dwordx4 v[1:4], v[39:40]
	s_waitcnt vmcnt(0) lgkmcnt(0)
	buffer_store_dword v4, off, s[0:3], 0 offset:172
	buffer_store_dword v3, off, s[0:3], 0 offset:168
	buffer_store_dword v2, off, s[0:3], 0 offset:164
	buffer_store_dword v1, off, s[0:3], 0 offset:160
	v_lshlrev_b64 v[8:9], 4, v[7:8]
	v_add_nc_u32_e32 v7, s13, v7
	;; [unrolled: 11-line block ×14, first 2 shown]
	v_add_co_u32 v11, vcc_lo, s6, v8
	v_add_co_ci_u32_e64 v12, null, s7, v9, vcc_lo
	v_ashrrev_i32_e32 v8, 31, v7
	v_add_nc_u32_e32 v33, s13, v7
	flat_load_dwordx4 v[1:4], v[11:12]
	s_waitcnt vmcnt(0) lgkmcnt(0)
	buffer_store_dword v4, off, s[0:3], 0 offset:380
	buffer_store_dword v3, off, s[0:3], 0 offset:376
	;; [unrolled: 1-line block ×4, first 2 shown]
	v_lshlrev_b64 v[9:10], 4, v[7:8]
	v_ashrrev_i32_e32 v34, 31, v33
	v_add_nc_u32_e32 v51, s13, v33
	v_add_co_u32 v9, vcc_lo, s6, v9
	v_add_co_ci_u32_e64 v10, null, s7, v10, vcc_lo
	v_lshlrev_b64 v[7:8], 4, v[33:34]
	v_ashrrev_i32_e32 v52, 31, v51
	v_add_nc_u32_e32 v61, s13, v51
	flat_load_dwordx4 v[1:4], v[9:10]
	s_waitcnt vmcnt(0) lgkmcnt(0)
	buffer_store_dword v4, off, s[0:3], 0 offset:396
	buffer_store_dword v3, off, s[0:3], 0 offset:392
	buffer_store_dword v2, off, s[0:3], 0 offset:388
	buffer_store_dword v1, off, s[0:3], 0 offset:384
	v_add_co_u32 v7, vcc_lo, s6, v7
	v_add_co_ci_u32_e64 v8, null, s7, v8, vcc_lo
	v_lshlrev_b64 v[33:34], 4, v[51:52]
	v_ashrrev_i32_e32 v62, 31, v61
	v_add_nc_u32_e32 v63, s13, v61
	flat_load_dwordx4 v[1:4], v[7:8]
	s_waitcnt vmcnt(0) lgkmcnt(0)
	buffer_store_dword v4, off, s[0:3], 0 offset:412
	buffer_store_dword v3, off, s[0:3], 0 offset:408
	buffer_store_dword v2, off, s[0:3], 0 offset:404
	buffer_store_dword v1, off, s[0:3], 0 offset:400
	;; [unrolled: 11-line block ×31, first 2 shown]
	v_add_co_u32 v115, vcc_lo, s6, v115
	v_add_co_ci_u32_e64 v116, null, s7, v116, vcc_lo
	v_lshlrev_b64 v[117:118], 4, v[119:120]
	v_ashrrev_i32_e32 v122, 31, v121
	flat_load_dwordx4 v[1:4], v[115:116]
	s_waitcnt vmcnt(0) lgkmcnt(0)
	buffer_store_dword v4, off, s[0:3], 0 offset:892
	buffer_store_dword v3, off, s[0:3], 0 offset:888
	;; [unrolled: 1-line block ×4, first 2 shown]
	v_add_co_u32 v117, vcc_lo, s6, v117
	v_add_co_ci_u32_e64 v118, null, s7, v118, vcc_lo
	v_lshlrev_b64 v[119:120], 4, v[121:122]
	v_add_nc_u32_e32 v121, s13, v121
	s_movk_i32 s13, 0xc0
	flat_load_dwordx4 v[1:4], v[117:118]
	s_waitcnt vmcnt(0) lgkmcnt(0)
	buffer_store_dword v4, off, s[0:3], 0 offset:908
	buffer_store_dword v3, off, s[0:3], 0 offset:904
	;; [unrolled: 1-line block ×4, first 2 shown]
	v_add_co_u32 v119, vcc_lo, s6, v119
	v_add_co_ci_u32_e64 v120, null, s7, v120, vcc_lo
	v_ashrrev_i32_e32 v122, 31, v121
	flat_load_dwordx4 v[1:4], v[119:120]
	s_waitcnt vmcnt(0) lgkmcnt(0)
	buffer_store_dword v4, off, s[0:3], 0 offset:924
	buffer_store_dword v3, off, s[0:3], 0 offset:920
	;; [unrolled: 1-line block ×4, first 2 shown]
	v_lshlrev_b64 v[121:122], 4, v[121:122]
	v_add_co_u32 v121, vcc_lo, s6, v121
	v_add_co_ci_u32_e64 v122, null, s7, v122, vcc_lo
	s_movk_i32 s6, 0x70
	s_movk_i32 s7, 0x80
	flat_load_dwordx4 v[1:4], v[121:122]
	s_waitcnt vmcnt(0) lgkmcnt(0)
	buffer_store_dword v4, off, s[0:3], 0 offset:940
	buffer_store_dword v3, off, s[0:3], 0 offset:936
	buffer_store_dword v2, off, s[0:3], 0 offset:932
	buffer_store_dword v1, off, s[0:3], 0 offset:928
	s_cbranch_scc1 .LBB122_7
; %bb.2:
	v_lshl_add_u32 v130, v0, 4, 0
                                        ; implicit-def: $vgpr125_vgpr126
                                        ; implicit-def: $vgpr3_vgpr4
	s_clause 0x3
	buffer_load_dword v123, v130, s[0:3], 0 offen
	buffer_load_dword v124, v130, s[0:3], 0 offen offset:4
	buffer_load_dword v127, v130, s[0:3], 0 offen offset:8
	;; [unrolled: 1-line block ×3, first 2 shown]
	s_waitcnt vmcnt(0)
	v_cmp_ngt_f64_e64 s9, |v[123:124]|, |v[127:128]|
	s_and_saveexec_b32 s35, s9
	s_xor_b32 s9, exec_lo, s35
	s_cbranch_execz .LBB122_4
; %bb.3:
	v_div_scale_f64 v[1:2], null, v[127:128], v[127:128], v[123:124]
	v_div_scale_f64 v[131:132], vcc_lo, v[123:124], v[127:128], v[123:124]
	v_rcp_f64_e32 v[3:4], v[1:2]
	v_fma_f64 v[125:126], -v[1:2], v[3:4], 1.0
	v_fma_f64 v[3:4], v[3:4], v[125:126], v[3:4]
	v_fma_f64 v[125:126], -v[1:2], v[3:4], 1.0
	v_fma_f64 v[3:4], v[3:4], v[125:126], v[3:4]
	v_mul_f64 v[125:126], v[131:132], v[3:4]
	v_fma_f64 v[1:2], -v[1:2], v[125:126], v[131:132]
	v_div_fmas_f64 v[1:2], v[1:2], v[3:4], v[125:126]
	v_div_fixup_f64 v[1:2], v[1:2], v[127:128], v[123:124]
	v_fma_f64 v[3:4], v[123:124], v[1:2], v[127:128]
	v_div_scale_f64 v[123:124], null, v[3:4], v[3:4], 1.0
	v_div_scale_f64 v[131:132], vcc_lo, 1.0, v[3:4], 1.0
	v_rcp_f64_e32 v[125:126], v[123:124]
	v_fma_f64 v[127:128], -v[123:124], v[125:126], 1.0
	v_fma_f64 v[125:126], v[125:126], v[127:128], v[125:126]
	v_fma_f64 v[127:128], -v[123:124], v[125:126], 1.0
	v_fma_f64 v[125:126], v[125:126], v[127:128], v[125:126]
	v_mul_f64 v[127:128], v[131:132], v[125:126]
	v_fma_f64 v[123:124], -v[123:124], v[127:128], v[131:132]
	v_div_fmas_f64 v[123:124], v[123:124], v[125:126], v[127:128]
                                        ; implicit-def: $vgpr127_vgpr128
	v_div_fixup_f64 v[3:4], v[123:124], v[3:4], 1.0
                                        ; implicit-def: $vgpr123_vgpr124
	v_mul_f64 v[125:126], v[1:2], v[3:4]
	v_xor_b32_e32 v4, 0x80000000, v4
	v_xor_b32_e32 v2, 0x80000000, v126
	v_mov_b32_e32 v1, v125
.LBB122_4:
	s_andn2_saveexec_b32 s9, s9
	s_cbranch_execz .LBB122_6
; %bb.5:
	v_div_scale_f64 v[1:2], null, v[123:124], v[123:124], v[127:128]
	v_div_scale_f64 v[131:132], vcc_lo, v[127:128], v[123:124], v[127:128]
	v_rcp_f64_e32 v[3:4], v[1:2]
	v_fma_f64 v[125:126], -v[1:2], v[3:4], 1.0
	v_fma_f64 v[3:4], v[3:4], v[125:126], v[3:4]
	v_fma_f64 v[125:126], -v[1:2], v[3:4], 1.0
	v_fma_f64 v[3:4], v[3:4], v[125:126], v[3:4]
	v_mul_f64 v[125:126], v[131:132], v[3:4]
	v_fma_f64 v[1:2], -v[1:2], v[125:126], v[131:132]
	v_div_fmas_f64 v[1:2], v[1:2], v[3:4], v[125:126]
	v_div_fixup_f64 v[1:2], v[1:2], v[123:124], v[127:128]
	v_fma_f64 v[3:4], v[127:128], v[1:2], v[123:124]
	v_div_scale_f64 v[123:124], null, v[3:4], v[3:4], 1.0
	v_rcp_f64_e32 v[125:126], v[123:124]
	v_fma_f64 v[127:128], -v[123:124], v[125:126], 1.0
	v_fma_f64 v[125:126], v[125:126], v[127:128], v[125:126]
	v_fma_f64 v[127:128], -v[123:124], v[125:126], 1.0
	v_fma_f64 v[125:126], v[125:126], v[127:128], v[125:126]
	v_div_scale_f64 v[127:128], vcc_lo, 1.0, v[3:4], 1.0
	v_mul_f64 v[131:132], v[127:128], v[125:126]
	v_fma_f64 v[123:124], -v[123:124], v[131:132], v[127:128]
	v_div_fmas_f64 v[123:124], v[123:124], v[125:126], v[131:132]
	v_div_fixup_f64 v[125:126], v[123:124], v[3:4], 1.0
	v_mul_f64 v[3:4], v[1:2], -v[125:126]
	v_xor_b32_e32 v2, 0x80000000, v126
	v_mov_b32_e32 v1, v125
.LBB122_6:
	s_or_b32 exec_lo, exec_lo, s9
	buffer_store_dword v4, v130, s[0:3], 0 offen offset:12
	v_xor_b32_e32 v4, 0x80000000, v4
	buffer_store_dword v126, v130, s[0:3], 0 offen offset:4
	buffer_store_dword v125, v130, s[0:3], 0 offen
	buffer_store_dword v3, v130, s[0:3], 0 offen offset:8
	s_branch .LBB122_8
.LBB122_7:
	v_mov_b32_e32 v1, 0
	v_mov_b32_e32 v3, 0
	v_mov_b32_e32 v2, 0xbff00000
	v_mov_b32_e32 v4, 0
.LBB122_8:
	v_add_nc_u32_e32 v124, 0x3b0, v129
	v_mov_b32_e32 v123, v129
	s_mov_b32 s65, 16
	s_mov_b32 s64, 32
	;; [unrolled: 1-line block ×57, first 2 shown]
	s_cmpk_eq_i32 s8, 0x79
	ds_write_b128 v129, v[1:4]
	s_cbranch_scc1 .LBB122_468
; %bb.9:
	v_mov_b32_e32 v4, s7
	v_cmp_eq_u32_e64 s4, 58, v0
	s_clause 0x3
	buffer_load_dword v1, v4, s[0:3], 0 offen
	buffer_load_dword v2, v4, s[0:3], 0 offen offset:4
	buffer_load_dword v3, v4, s[0:3], 0 offen offset:8
	;; [unrolled: 1-line block ×3, first 2 shown]
	s_waitcnt vmcnt(0)
	ds_write_b128 v124, v[1:4]
	s_waitcnt lgkmcnt(0)
	s_waitcnt_vscnt null, 0x0
	s_barrier
	buffer_gl0_inv
	s_and_saveexec_b32 s5, s4
	s_cbranch_execz .LBB122_13
; %bb.10:
	ds_read_b128 v[1:4], v124
	s_andn2_b32 vcc_lo, exec_lo, s66
	s_cbranch_vccnz .LBB122_12
; %bb.11:
	s_clause 0x3
	buffer_load_dword v125, v123, s[0:3], 0 offen offset:8
	buffer_load_dword v126, v123, s[0:3], 0 offen offset:12
	buffer_load_dword v127, v123, s[0:3], 0 offen
	buffer_load_dword v128, v123, s[0:3], 0 offen offset:4
	s_waitcnt vmcnt(2) lgkmcnt(0)
	v_mul_f64 v[130:131], v[3:4], v[125:126]
	v_mul_f64 v[125:126], v[1:2], v[125:126]
	s_waitcnt vmcnt(0)
	v_fma_f64 v[1:2], v[1:2], v[127:128], -v[130:131]
	v_fma_f64 v[3:4], v[3:4], v[127:128], v[125:126]
.LBB122_12:
	v_mov_b32_e32 v125, 0
	ds_read_b128 v[125:128], v125 offset:912
	s_waitcnt lgkmcnt(0)
	v_mul_f64 v[130:131], v[3:4], v[127:128]
	v_mul_f64 v[127:128], v[1:2], v[127:128]
	v_fma_f64 v[1:2], v[1:2], v[125:126], -v[130:131]
	v_fma_f64 v[3:4], v[3:4], v[125:126], v[127:128]
	buffer_store_dword v2, off, s[0:3], 0 offset:916
	buffer_store_dword v1, off, s[0:3], 0 offset:912
	buffer_store_dword v4, off, s[0:3], 0 offset:924
	buffer_store_dword v3, off, s[0:3], 0 offset:920
.LBB122_13:
	s_or_b32 exec_lo, exec_lo, s5
	v_mov_b32_e32 v4, s9
	v_cmp_lt_u32_e64 s5, 56, v0
	s_clause 0x3
	buffer_load_dword v1, v4, s[0:3], 0 offen
	buffer_load_dword v2, v4, s[0:3], 0 offen offset:4
	buffer_load_dword v3, v4, s[0:3], 0 offen offset:8
	;; [unrolled: 1-line block ×3, first 2 shown]
	s_waitcnt vmcnt(0)
	ds_write_b128 v124, v[1:4]
	s_waitcnt lgkmcnt(0)
	s_waitcnt_vscnt null, 0x0
	s_barrier
	buffer_gl0_inv
	s_and_saveexec_b32 s8, s5
	s_cbranch_execz .LBB122_19
; %bb.14:
	ds_read_b128 v[1:4], v124
	s_andn2_b32 vcc_lo, exec_lo, s66
	s_cbranch_vccnz .LBB122_16
; %bb.15:
	s_clause 0x3
	buffer_load_dword v125, v123, s[0:3], 0 offen offset:8
	buffer_load_dword v126, v123, s[0:3], 0 offen offset:12
	buffer_load_dword v127, v123, s[0:3], 0 offen
	buffer_load_dword v128, v123, s[0:3], 0 offen offset:4
	s_waitcnt vmcnt(2) lgkmcnt(0)
	v_mul_f64 v[130:131], v[3:4], v[125:126]
	v_mul_f64 v[125:126], v[1:2], v[125:126]
	s_waitcnt vmcnt(0)
	v_fma_f64 v[1:2], v[1:2], v[127:128], -v[130:131]
	v_fma_f64 v[3:4], v[3:4], v[127:128], v[125:126]
.LBB122_16:
	s_and_saveexec_b32 s67, s4
	s_cbranch_execz .LBB122_18
; %bb.17:
	s_clause 0x3
	buffer_load_dword v130, off, s[0:3], 0 offset:920
	buffer_load_dword v131, off, s[0:3], 0 offset:924
	;; [unrolled: 1-line block ×4, first 2 shown]
	v_mov_b32_e32 v125, 0
	ds_read_b128 v[125:128], v125 offset:1856
	s_waitcnt vmcnt(2) lgkmcnt(0)
	v_mul_f64 v[134:135], v[125:126], v[130:131]
	v_mul_f64 v[130:131], v[127:128], v[130:131]
	s_waitcnt vmcnt(0)
	v_fma_f64 v[127:128], v[127:128], v[132:133], v[134:135]
	v_fma_f64 v[125:126], v[125:126], v[132:133], -v[130:131]
	v_add_f64 v[3:4], v[3:4], v[127:128]
	v_add_f64 v[1:2], v[1:2], v[125:126]
.LBB122_18:
	s_or_b32 exec_lo, exec_lo, s67
	v_mov_b32_e32 v125, 0
	ds_read_b128 v[125:128], v125 offset:896
	s_waitcnt lgkmcnt(0)
	v_mul_f64 v[130:131], v[3:4], v[127:128]
	v_mul_f64 v[127:128], v[1:2], v[127:128]
	v_fma_f64 v[1:2], v[1:2], v[125:126], -v[130:131]
	v_fma_f64 v[3:4], v[3:4], v[125:126], v[127:128]
	buffer_store_dword v2, off, s[0:3], 0 offset:900
	buffer_store_dword v1, off, s[0:3], 0 offset:896
	;; [unrolled: 1-line block ×4, first 2 shown]
.LBB122_19:
	s_or_b32 exec_lo, exec_lo, s8
	v_mov_b32_e32 v4, s10
	v_cmp_lt_u32_e64 s4, 55, v0
	s_clause 0x3
	buffer_load_dword v1, v4, s[0:3], 0 offen
	buffer_load_dword v2, v4, s[0:3], 0 offen offset:4
	buffer_load_dword v3, v4, s[0:3], 0 offen offset:8
	buffer_load_dword v4, v4, s[0:3], 0 offen offset:12
	s_waitcnt vmcnt(0)
	ds_write_b128 v124, v[1:4]
	s_waitcnt lgkmcnt(0)
	s_waitcnt_vscnt null, 0x0
	s_barrier
	buffer_gl0_inv
	s_and_saveexec_b32 s8, s4
	s_cbranch_execz .LBB122_27
; %bb.20:
	ds_read_b128 v[1:4], v124
	s_andn2_b32 vcc_lo, exec_lo, s66
	s_cbranch_vccnz .LBB122_22
; %bb.21:
	s_clause 0x3
	buffer_load_dword v125, v123, s[0:3], 0 offen offset:8
	buffer_load_dword v126, v123, s[0:3], 0 offen offset:12
	buffer_load_dword v127, v123, s[0:3], 0 offen
	buffer_load_dword v128, v123, s[0:3], 0 offen offset:4
	s_waitcnt vmcnt(2) lgkmcnt(0)
	v_mul_f64 v[130:131], v[3:4], v[125:126]
	v_mul_f64 v[125:126], v[1:2], v[125:126]
	s_waitcnt vmcnt(0)
	v_fma_f64 v[1:2], v[1:2], v[127:128], -v[130:131]
	v_fma_f64 v[3:4], v[3:4], v[127:128], v[125:126]
.LBB122_22:
	s_and_saveexec_b32 s67, s5
	s_cbranch_execz .LBB122_26
; %bb.23:
	v_subrev_nc_u32_e32 v125, 56, v0
	s_movk_i32 s68, 0x730
	s_mov_b32 s5, 0
	s_mov_b32 s69, s9
	.p2align	6
.LBB122_24:                             ; =>This Inner Loop Header: Depth=1
	v_mov_b32_e32 v128, s69
	v_add_nc_u32_e32 v125, -1, v125
	s_add_i32 s69, s69, 16
	s_clause 0x3
	buffer_load_dword v126, v128, s[0:3], 0 offen offset:8
	buffer_load_dword v127, v128, s[0:3], 0 offen offset:12
	buffer_load_dword v134, v128, s[0:3], 0 offen
	buffer_load_dword v135, v128, s[0:3], 0 offen offset:4
	v_mov_b32_e32 v128, s68
	v_cmp_eq_u32_e32 vcc_lo, 0, v125
	s_add_i32 s68, s68, 16
	ds_read_b128 v[130:133], v128
	s_or_b32 s5, vcc_lo, s5
	s_waitcnt vmcnt(2) lgkmcnt(0)
	v_mul_f64 v[136:137], v[132:133], v[126:127]
	v_mul_f64 v[126:127], v[130:131], v[126:127]
	s_waitcnt vmcnt(0)
	v_fma_f64 v[130:131], v[130:131], v[134:135], -v[136:137]
	v_fma_f64 v[126:127], v[132:133], v[134:135], v[126:127]
	v_add_f64 v[1:2], v[1:2], v[130:131]
	v_add_f64 v[3:4], v[3:4], v[126:127]
	s_andn2_b32 exec_lo, exec_lo, s5
	s_cbranch_execnz .LBB122_24
; %bb.25:
	s_or_b32 exec_lo, exec_lo, s5
.LBB122_26:
	s_or_b32 exec_lo, exec_lo, s67
	v_mov_b32_e32 v125, 0
	ds_read_b128 v[125:128], v125 offset:880
	s_waitcnt lgkmcnt(0)
	v_mul_f64 v[130:131], v[3:4], v[127:128]
	v_mul_f64 v[127:128], v[1:2], v[127:128]
	v_fma_f64 v[1:2], v[1:2], v[125:126], -v[130:131]
	v_fma_f64 v[3:4], v[3:4], v[125:126], v[127:128]
	buffer_store_dword v2, off, s[0:3], 0 offset:884
	buffer_store_dword v1, off, s[0:3], 0 offset:880
	;; [unrolled: 1-line block ×4, first 2 shown]
.LBB122_27:
	s_or_b32 exec_lo, exec_lo, s8
	v_mov_b32_e32 v4, s11
	v_cmp_lt_u32_e64 s5, 54, v0
	s_clause 0x3
	buffer_load_dword v1, v4, s[0:3], 0 offen
	buffer_load_dword v2, v4, s[0:3], 0 offen offset:4
	buffer_load_dword v3, v4, s[0:3], 0 offen offset:8
	buffer_load_dword v4, v4, s[0:3], 0 offen offset:12
	s_waitcnt vmcnt(0)
	ds_write_b128 v124, v[1:4]
	s_waitcnt lgkmcnt(0)
	s_waitcnt_vscnt null, 0x0
	s_barrier
	buffer_gl0_inv
	s_and_saveexec_b32 s8, s5
	s_cbranch_execz .LBB122_35
; %bb.28:
	ds_read_b128 v[1:4], v124
	s_andn2_b32 vcc_lo, exec_lo, s66
	s_cbranch_vccnz .LBB122_30
; %bb.29:
	s_clause 0x3
	buffer_load_dword v125, v123, s[0:3], 0 offen offset:8
	buffer_load_dword v126, v123, s[0:3], 0 offen offset:12
	buffer_load_dword v127, v123, s[0:3], 0 offen
	buffer_load_dword v128, v123, s[0:3], 0 offen offset:4
	s_waitcnt vmcnt(2) lgkmcnt(0)
	v_mul_f64 v[130:131], v[3:4], v[125:126]
	v_mul_f64 v[125:126], v[1:2], v[125:126]
	s_waitcnt vmcnt(0)
	v_fma_f64 v[1:2], v[1:2], v[127:128], -v[130:131]
	v_fma_f64 v[3:4], v[3:4], v[127:128], v[125:126]
.LBB122_30:
	s_and_saveexec_b32 s67, s4
	s_cbranch_execz .LBB122_34
; %bb.31:
	v_subrev_nc_u32_e32 v125, 55, v0
	s_movk_i32 s68, 0x720
	s_mov_b32 s4, 0
	s_mov_b32 s69, s10
	.p2align	6
.LBB122_32:                             ; =>This Inner Loop Header: Depth=1
	v_mov_b32_e32 v128, s69
	v_add_nc_u32_e32 v125, -1, v125
	s_add_i32 s69, s69, 16
	s_clause 0x3
	buffer_load_dword v126, v128, s[0:3], 0 offen offset:8
	buffer_load_dword v127, v128, s[0:3], 0 offen offset:12
	buffer_load_dword v134, v128, s[0:3], 0 offen
	buffer_load_dword v135, v128, s[0:3], 0 offen offset:4
	v_mov_b32_e32 v128, s68
	v_cmp_eq_u32_e32 vcc_lo, 0, v125
	s_add_i32 s68, s68, 16
	ds_read_b128 v[130:133], v128
	s_or_b32 s4, vcc_lo, s4
	s_waitcnt vmcnt(2) lgkmcnt(0)
	v_mul_f64 v[136:137], v[132:133], v[126:127]
	v_mul_f64 v[126:127], v[130:131], v[126:127]
	s_waitcnt vmcnt(0)
	v_fma_f64 v[130:131], v[130:131], v[134:135], -v[136:137]
	v_fma_f64 v[126:127], v[132:133], v[134:135], v[126:127]
	v_add_f64 v[1:2], v[1:2], v[130:131]
	v_add_f64 v[3:4], v[3:4], v[126:127]
	s_andn2_b32 exec_lo, exec_lo, s4
	s_cbranch_execnz .LBB122_32
; %bb.33:
	s_or_b32 exec_lo, exec_lo, s4
.LBB122_34:
	s_or_b32 exec_lo, exec_lo, s67
	v_mov_b32_e32 v125, 0
	ds_read_b128 v[125:128], v125 offset:864
	s_waitcnt lgkmcnt(0)
	v_mul_f64 v[130:131], v[3:4], v[127:128]
	v_mul_f64 v[127:128], v[1:2], v[127:128]
	v_fma_f64 v[1:2], v[1:2], v[125:126], -v[130:131]
	v_fma_f64 v[3:4], v[3:4], v[125:126], v[127:128]
	buffer_store_dword v2, off, s[0:3], 0 offset:868
	buffer_store_dword v1, off, s[0:3], 0 offset:864
	;; [unrolled: 1-line block ×4, first 2 shown]
.LBB122_35:
	s_or_b32 exec_lo, exec_lo, s8
	v_mov_b32_e32 v4, s12
	v_cmp_lt_u32_e64 s4, 53, v0
	s_clause 0x3
	buffer_load_dword v1, v4, s[0:3], 0 offen
	buffer_load_dword v2, v4, s[0:3], 0 offen offset:4
	buffer_load_dword v3, v4, s[0:3], 0 offen offset:8
	;; [unrolled: 1-line block ×3, first 2 shown]
	s_waitcnt vmcnt(0)
	ds_write_b128 v124, v[1:4]
	s_waitcnt lgkmcnt(0)
	s_waitcnt_vscnt null, 0x0
	s_barrier
	buffer_gl0_inv
	s_and_saveexec_b32 s8, s4
	s_cbranch_execz .LBB122_43
; %bb.36:
	ds_read_b128 v[1:4], v124
	s_andn2_b32 vcc_lo, exec_lo, s66
	s_cbranch_vccnz .LBB122_38
; %bb.37:
	s_clause 0x3
	buffer_load_dword v125, v123, s[0:3], 0 offen offset:8
	buffer_load_dword v126, v123, s[0:3], 0 offen offset:12
	buffer_load_dword v127, v123, s[0:3], 0 offen
	buffer_load_dword v128, v123, s[0:3], 0 offen offset:4
	s_waitcnt vmcnt(2) lgkmcnt(0)
	v_mul_f64 v[130:131], v[3:4], v[125:126]
	v_mul_f64 v[125:126], v[1:2], v[125:126]
	s_waitcnt vmcnt(0)
	v_fma_f64 v[1:2], v[1:2], v[127:128], -v[130:131]
	v_fma_f64 v[3:4], v[3:4], v[127:128], v[125:126]
.LBB122_38:
	s_and_saveexec_b32 s67, s5
	s_cbranch_execz .LBB122_42
; %bb.39:
	v_subrev_nc_u32_e32 v125, 54, v0
	s_movk_i32 s68, 0x710
	s_mov_b32 s5, 0
	s_mov_b32 s69, s11
	.p2align	6
.LBB122_40:                             ; =>This Inner Loop Header: Depth=1
	v_mov_b32_e32 v128, s69
	v_add_nc_u32_e32 v125, -1, v125
	s_add_i32 s69, s69, 16
	s_clause 0x3
	buffer_load_dword v126, v128, s[0:3], 0 offen offset:8
	buffer_load_dword v127, v128, s[0:3], 0 offen offset:12
	buffer_load_dword v134, v128, s[0:3], 0 offen
	buffer_load_dword v135, v128, s[0:3], 0 offen offset:4
	v_mov_b32_e32 v128, s68
	v_cmp_eq_u32_e32 vcc_lo, 0, v125
	s_add_i32 s68, s68, 16
	ds_read_b128 v[130:133], v128
	s_or_b32 s5, vcc_lo, s5
	s_waitcnt vmcnt(2) lgkmcnt(0)
	v_mul_f64 v[136:137], v[132:133], v[126:127]
	v_mul_f64 v[126:127], v[130:131], v[126:127]
	s_waitcnt vmcnt(0)
	v_fma_f64 v[130:131], v[130:131], v[134:135], -v[136:137]
	v_fma_f64 v[126:127], v[132:133], v[134:135], v[126:127]
	v_add_f64 v[1:2], v[1:2], v[130:131]
	v_add_f64 v[3:4], v[3:4], v[126:127]
	s_andn2_b32 exec_lo, exec_lo, s5
	s_cbranch_execnz .LBB122_40
; %bb.41:
	s_or_b32 exec_lo, exec_lo, s5
.LBB122_42:
	s_or_b32 exec_lo, exec_lo, s67
	v_mov_b32_e32 v125, 0
	ds_read_b128 v[125:128], v125 offset:848
	s_waitcnt lgkmcnt(0)
	v_mul_f64 v[130:131], v[3:4], v[127:128]
	v_mul_f64 v[127:128], v[1:2], v[127:128]
	v_fma_f64 v[1:2], v[1:2], v[125:126], -v[130:131]
	v_fma_f64 v[3:4], v[3:4], v[125:126], v[127:128]
	buffer_store_dword v2, off, s[0:3], 0 offset:852
	buffer_store_dword v1, off, s[0:3], 0 offset:848
	;; [unrolled: 1-line block ×4, first 2 shown]
.LBB122_43:
	s_or_b32 exec_lo, exec_lo, s8
	v_mov_b32_e32 v4, s13
	v_cmp_lt_u32_e64 s5, 52, v0
	s_clause 0x3
	buffer_load_dword v1, v4, s[0:3], 0 offen
	buffer_load_dword v2, v4, s[0:3], 0 offen offset:4
	buffer_load_dword v3, v4, s[0:3], 0 offen offset:8
	;; [unrolled: 1-line block ×3, first 2 shown]
	s_waitcnt vmcnt(0)
	ds_write_b128 v124, v[1:4]
	s_waitcnt lgkmcnt(0)
	s_waitcnt_vscnt null, 0x0
	s_barrier
	buffer_gl0_inv
	s_and_saveexec_b32 s8, s5
	s_cbranch_execz .LBB122_51
; %bb.44:
	ds_read_b128 v[1:4], v124
	s_andn2_b32 vcc_lo, exec_lo, s66
	s_cbranch_vccnz .LBB122_46
; %bb.45:
	s_clause 0x3
	buffer_load_dword v125, v123, s[0:3], 0 offen offset:8
	buffer_load_dword v126, v123, s[0:3], 0 offen offset:12
	buffer_load_dword v127, v123, s[0:3], 0 offen
	buffer_load_dword v128, v123, s[0:3], 0 offen offset:4
	s_waitcnt vmcnt(2) lgkmcnt(0)
	v_mul_f64 v[130:131], v[3:4], v[125:126]
	v_mul_f64 v[125:126], v[1:2], v[125:126]
	s_waitcnt vmcnt(0)
	v_fma_f64 v[1:2], v[1:2], v[127:128], -v[130:131]
	v_fma_f64 v[3:4], v[3:4], v[127:128], v[125:126]
.LBB122_46:
	s_and_saveexec_b32 s67, s4
	s_cbranch_execz .LBB122_50
; %bb.47:
	v_subrev_nc_u32_e32 v125, 53, v0
	s_movk_i32 s68, 0x700
	s_mov_b32 s4, 0
	s_mov_b32 s69, s12
	.p2align	6
.LBB122_48:                             ; =>This Inner Loop Header: Depth=1
	v_mov_b32_e32 v128, s69
	v_add_nc_u32_e32 v125, -1, v125
	s_add_i32 s69, s69, 16
	s_clause 0x3
	buffer_load_dword v126, v128, s[0:3], 0 offen offset:8
	buffer_load_dword v127, v128, s[0:3], 0 offen offset:12
	buffer_load_dword v134, v128, s[0:3], 0 offen
	buffer_load_dword v135, v128, s[0:3], 0 offen offset:4
	v_mov_b32_e32 v128, s68
	v_cmp_eq_u32_e32 vcc_lo, 0, v125
	s_add_i32 s68, s68, 16
	ds_read_b128 v[130:133], v128
	s_or_b32 s4, vcc_lo, s4
	s_waitcnt vmcnt(2) lgkmcnt(0)
	v_mul_f64 v[136:137], v[132:133], v[126:127]
	v_mul_f64 v[126:127], v[130:131], v[126:127]
	s_waitcnt vmcnt(0)
	v_fma_f64 v[130:131], v[130:131], v[134:135], -v[136:137]
	v_fma_f64 v[126:127], v[132:133], v[134:135], v[126:127]
	v_add_f64 v[1:2], v[1:2], v[130:131]
	v_add_f64 v[3:4], v[3:4], v[126:127]
	s_andn2_b32 exec_lo, exec_lo, s4
	s_cbranch_execnz .LBB122_48
; %bb.49:
	s_or_b32 exec_lo, exec_lo, s4
.LBB122_50:
	s_or_b32 exec_lo, exec_lo, s67
	v_mov_b32_e32 v125, 0
	ds_read_b128 v[125:128], v125 offset:832
	s_waitcnt lgkmcnt(0)
	v_mul_f64 v[130:131], v[3:4], v[127:128]
	v_mul_f64 v[127:128], v[1:2], v[127:128]
	v_fma_f64 v[1:2], v[1:2], v[125:126], -v[130:131]
	v_fma_f64 v[3:4], v[3:4], v[125:126], v[127:128]
	buffer_store_dword v2, off, s[0:3], 0 offset:836
	buffer_store_dword v1, off, s[0:3], 0 offset:832
	;; [unrolled: 1-line block ×4, first 2 shown]
.LBB122_51:
	s_or_b32 exec_lo, exec_lo, s8
	v_mov_b32_e32 v4, s14
	v_cmp_lt_u32_e64 s4, 51, v0
	s_clause 0x3
	buffer_load_dword v1, v4, s[0:3], 0 offen
	buffer_load_dword v2, v4, s[0:3], 0 offen offset:4
	buffer_load_dword v3, v4, s[0:3], 0 offen offset:8
	;; [unrolled: 1-line block ×3, first 2 shown]
	s_waitcnt vmcnt(0)
	ds_write_b128 v124, v[1:4]
	s_waitcnt lgkmcnt(0)
	s_waitcnt_vscnt null, 0x0
	s_barrier
	buffer_gl0_inv
	s_and_saveexec_b32 s8, s4
	s_cbranch_execz .LBB122_59
; %bb.52:
	ds_read_b128 v[1:4], v124
	s_andn2_b32 vcc_lo, exec_lo, s66
	s_cbranch_vccnz .LBB122_54
; %bb.53:
	s_clause 0x3
	buffer_load_dword v125, v123, s[0:3], 0 offen offset:8
	buffer_load_dword v126, v123, s[0:3], 0 offen offset:12
	buffer_load_dword v127, v123, s[0:3], 0 offen
	buffer_load_dword v128, v123, s[0:3], 0 offen offset:4
	s_waitcnt vmcnt(2) lgkmcnt(0)
	v_mul_f64 v[130:131], v[3:4], v[125:126]
	v_mul_f64 v[125:126], v[1:2], v[125:126]
	s_waitcnt vmcnt(0)
	v_fma_f64 v[1:2], v[1:2], v[127:128], -v[130:131]
	v_fma_f64 v[3:4], v[3:4], v[127:128], v[125:126]
.LBB122_54:
	s_and_saveexec_b32 s67, s5
	s_cbranch_execz .LBB122_58
; %bb.55:
	v_subrev_nc_u32_e32 v125, 52, v0
	s_movk_i32 s68, 0x6f0
	s_mov_b32 s5, 0
	s_mov_b32 s69, s13
	.p2align	6
.LBB122_56:                             ; =>This Inner Loop Header: Depth=1
	v_mov_b32_e32 v128, s69
	v_add_nc_u32_e32 v125, -1, v125
	s_add_i32 s69, s69, 16
	s_clause 0x3
	buffer_load_dword v126, v128, s[0:3], 0 offen offset:8
	buffer_load_dword v127, v128, s[0:3], 0 offen offset:12
	buffer_load_dword v134, v128, s[0:3], 0 offen
	buffer_load_dword v135, v128, s[0:3], 0 offen offset:4
	v_mov_b32_e32 v128, s68
	v_cmp_eq_u32_e32 vcc_lo, 0, v125
	s_add_i32 s68, s68, 16
	ds_read_b128 v[130:133], v128
	s_or_b32 s5, vcc_lo, s5
	s_waitcnt vmcnt(2) lgkmcnt(0)
	v_mul_f64 v[136:137], v[132:133], v[126:127]
	v_mul_f64 v[126:127], v[130:131], v[126:127]
	s_waitcnt vmcnt(0)
	v_fma_f64 v[130:131], v[130:131], v[134:135], -v[136:137]
	v_fma_f64 v[126:127], v[132:133], v[134:135], v[126:127]
	v_add_f64 v[1:2], v[1:2], v[130:131]
	v_add_f64 v[3:4], v[3:4], v[126:127]
	s_andn2_b32 exec_lo, exec_lo, s5
	s_cbranch_execnz .LBB122_56
; %bb.57:
	s_or_b32 exec_lo, exec_lo, s5
.LBB122_58:
	s_or_b32 exec_lo, exec_lo, s67
	v_mov_b32_e32 v125, 0
	ds_read_b128 v[125:128], v125 offset:816
	s_waitcnt lgkmcnt(0)
	v_mul_f64 v[130:131], v[3:4], v[127:128]
	v_mul_f64 v[127:128], v[1:2], v[127:128]
	v_fma_f64 v[1:2], v[1:2], v[125:126], -v[130:131]
	v_fma_f64 v[3:4], v[3:4], v[125:126], v[127:128]
	buffer_store_dword v2, off, s[0:3], 0 offset:820
	buffer_store_dword v1, off, s[0:3], 0 offset:816
	buffer_store_dword v4, off, s[0:3], 0 offset:828
	buffer_store_dword v3, off, s[0:3], 0 offset:824
.LBB122_59:
	s_or_b32 exec_lo, exec_lo, s8
	v_mov_b32_e32 v4, s15
	v_cmp_lt_u32_e64 s5, 50, v0
	s_clause 0x3
	buffer_load_dword v1, v4, s[0:3], 0 offen
	buffer_load_dword v2, v4, s[0:3], 0 offen offset:4
	buffer_load_dword v3, v4, s[0:3], 0 offen offset:8
	;; [unrolled: 1-line block ×3, first 2 shown]
	s_waitcnt vmcnt(0)
	ds_write_b128 v124, v[1:4]
	s_waitcnt lgkmcnt(0)
	s_waitcnt_vscnt null, 0x0
	s_barrier
	buffer_gl0_inv
	s_and_saveexec_b32 s8, s5
	s_cbranch_execz .LBB122_67
; %bb.60:
	ds_read_b128 v[1:4], v124
	s_andn2_b32 vcc_lo, exec_lo, s66
	s_cbranch_vccnz .LBB122_62
; %bb.61:
	s_clause 0x3
	buffer_load_dword v125, v123, s[0:3], 0 offen offset:8
	buffer_load_dword v126, v123, s[0:3], 0 offen offset:12
	buffer_load_dword v127, v123, s[0:3], 0 offen
	buffer_load_dword v128, v123, s[0:3], 0 offen offset:4
	s_waitcnt vmcnt(2) lgkmcnt(0)
	v_mul_f64 v[130:131], v[3:4], v[125:126]
	v_mul_f64 v[125:126], v[1:2], v[125:126]
	s_waitcnt vmcnt(0)
	v_fma_f64 v[1:2], v[1:2], v[127:128], -v[130:131]
	v_fma_f64 v[3:4], v[3:4], v[127:128], v[125:126]
.LBB122_62:
	s_and_saveexec_b32 s67, s4
	s_cbranch_execz .LBB122_66
; %bb.63:
	v_subrev_nc_u32_e32 v125, 51, v0
	s_movk_i32 s68, 0x6e0
	s_mov_b32 s4, 0
	s_mov_b32 s69, s14
	.p2align	6
.LBB122_64:                             ; =>This Inner Loop Header: Depth=1
	v_mov_b32_e32 v128, s69
	v_add_nc_u32_e32 v125, -1, v125
	s_add_i32 s69, s69, 16
	s_clause 0x3
	buffer_load_dword v126, v128, s[0:3], 0 offen offset:8
	buffer_load_dword v127, v128, s[0:3], 0 offen offset:12
	buffer_load_dword v134, v128, s[0:3], 0 offen
	buffer_load_dword v135, v128, s[0:3], 0 offen offset:4
	v_mov_b32_e32 v128, s68
	v_cmp_eq_u32_e32 vcc_lo, 0, v125
	s_add_i32 s68, s68, 16
	ds_read_b128 v[130:133], v128
	s_or_b32 s4, vcc_lo, s4
	s_waitcnt vmcnt(2) lgkmcnt(0)
	v_mul_f64 v[136:137], v[132:133], v[126:127]
	v_mul_f64 v[126:127], v[130:131], v[126:127]
	s_waitcnt vmcnt(0)
	v_fma_f64 v[130:131], v[130:131], v[134:135], -v[136:137]
	v_fma_f64 v[126:127], v[132:133], v[134:135], v[126:127]
	v_add_f64 v[1:2], v[1:2], v[130:131]
	v_add_f64 v[3:4], v[3:4], v[126:127]
	s_andn2_b32 exec_lo, exec_lo, s4
	s_cbranch_execnz .LBB122_64
; %bb.65:
	s_or_b32 exec_lo, exec_lo, s4
.LBB122_66:
	s_or_b32 exec_lo, exec_lo, s67
	v_mov_b32_e32 v125, 0
	ds_read_b128 v[125:128], v125 offset:800
	s_waitcnt lgkmcnt(0)
	v_mul_f64 v[130:131], v[3:4], v[127:128]
	v_mul_f64 v[127:128], v[1:2], v[127:128]
	v_fma_f64 v[1:2], v[1:2], v[125:126], -v[130:131]
	v_fma_f64 v[3:4], v[3:4], v[125:126], v[127:128]
	buffer_store_dword v2, off, s[0:3], 0 offset:804
	buffer_store_dword v1, off, s[0:3], 0 offset:800
	;; [unrolled: 1-line block ×4, first 2 shown]
.LBB122_67:
	s_or_b32 exec_lo, exec_lo, s8
	v_mov_b32_e32 v4, s16
	v_cmp_lt_u32_e64 s4, 49, v0
	s_clause 0x3
	buffer_load_dword v1, v4, s[0:3], 0 offen
	buffer_load_dword v2, v4, s[0:3], 0 offen offset:4
	buffer_load_dword v3, v4, s[0:3], 0 offen offset:8
	buffer_load_dword v4, v4, s[0:3], 0 offen offset:12
	s_waitcnt vmcnt(0)
	ds_write_b128 v124, v[1:4]
	s_waitcnt lgkmcnt(0)
	s_waitcnt_vscnt null, 0x0
	s_barrier
	buffer_gl0_inv
	s_and_saveexec_b32 s8, s4
	s_cbranch_execz .LBB122_75
; %bb.68:
	ds_read_b128 v[1:4], v124
	s_andn2_b32 vcc_lo, exec_lo, s66
	s_cbranch_vccnz .LBB122_70
; %bb.69:
	s_clause 0x3
	buffer_load_dword v125, v123, s[0:3], 0 offen offset:8
	buffer_load_dword v126, v123, s[0:3], 0 offen offset:12
	buffer_load_dword v127, v123, s[0:3], 0 offen
	buffer_load_dword v128, v123, s[0:3], 0 offen offset:4
	s_waitcnt vmcnt(2) lgkmcnt(0)
	v_mul_f64 v[130:131], v[3:4], v[125:126]
	v_mul_f64 v[125:126], v[1:2], v[125:126]
	s_waitcnt vmcnt(0)
	v_fma_f64 v[1:2], v[1:2], v[127:128], -v[130:131]
	v_fma_f64 v[3:4], v[3:4], v[127:128], v[125:126]
.LBB122_70:
	s_and_saveexec_b32 s67, s5
	s_cbranch_execz .LBB122_74
; %bb.71:
	v_subrev_nc_u32_e32 v125, 50, v0
	s_movk_i32 s68, 0x6d0
	s_mov_b32 s5, 0
	s_mov_b32 s69, s15
	.p2align	6
.LBB122_72:                             ; =>This Inner Loop Header: Depth=1
	v_mov_b32_e32 v128, s69
	v_add_nc_u32_e32 v125, -1, v125
	s_add_i32 s69, s69, 16
	s_clause 0x3
	buffer_load_dword v126, v128, s[0:3], 0 offen offset:8
	buffer_load_dword v127, v128, s[0:3], 0 offen offset:12
	buffer_load_dword v134, v128, s[0:3], 0 offen
	buffer_load_dword v135, v128, s[0:3], 0 offen offset:4
	v_mov_b32_e32 v128, s68
	v_cmp_eq_u32_e32 vcc_lo, 0, v125
	s_add_i32 s68, s68, 16
	ds_read_b128 v[130:133], v128
	s_or_b32 s5, vcc_lo, s5
	s_waitcnt vmcnt(2) lgkmcnt(0)
	v_mul_f64 v[136:137], v[132:133], v[126:127]
	v_mul_f64 v[126:127], v[130:131], v[126:127]
	s_waitcnt vmcnt(0)
	v_fma_f64 v[130:131], v[130:131], v[134:135], -v[136:137]
	v_fma_f64 v[126:127], v[132:133], v[134:135], v[126:127]
	v_add_f64 v[1:2], v[1:2], v[130:131]
	v_add_f64 v[3:4], v[3:4], v[126:127]
	s_andn2_b32 exec_lo, exec_lo, s5
	s_cbranch_execnz .LBB122_72
; %bb.73:
	s_or_b32 exec_lo, exec_lo, s5
.LBB122_74:
	s_or_b32 exec_lo, exec_lo, s67
	v_mov_b32_e32 v125, 0
	ds_read_b128 v[125:128], v125 offset:784
	s_waitcnt lgkmcnt(0)
	v_mul_f64 v[130:131], v[3:4], v[127:128]
	v_mul_f64 v[127:128], v[1:2], v[127:128]
	v_fma_f64 v[1:2], v[1:2], v[125:126], -v[130:131]
	v_fma_f64 v[3:4], v[3:4], v[125:126], v[127:128]
	buffer_store_dword v2, off, s[0:3], 0 offset:788
	buffer_store_dword v1, off, s[0:3], 0 offset:784
	;; [unrolled: 1-line block ×4, first 2 shown]
.LBB122_75:
	s_or_b32 exec_lo, exec_lo, s8
	v_mov_b32_e32 v4, s17
	v_cmp_lt_u32_e64 s5, 48, v0
	s_clause 0x3
	buffer_load_dword v1, v4, s[0:3], 0 offen
	buffer_load_dword v2, v4, s[0:3], 0 offen offset:4
	buffer_load_dword v3, v4, s[0:3], 0 offen offset:8
	;; [unrolled: 1-line block ×3, first 2 shown]
	s_waitcnt vmcnt(0)
	ds_write_b128 v124, v[1:4]
	s_waitcnt lgkmcnt(0)
	s_waitcnt_vscnt null, 0x0
	s_barrier
	buffer_gl0_inv
	s_and_saveexec_b32 s8, s5
	s_cbranch_execz .LBB122_83
; %bb.76:
	ds_read_b128 v[1:4], v124
	s_andn2_b32 vcc_lo, exec_lo, s66
	s_cbranch_vccnz .LBB122_78
; %bb.77:
	s_clause 0x3
	buffer_load_dword v125, v123, s[0:3], 0 offen offset:8
	buffer_load_dword v126, v123, s[0:3], 0 offen offset:12
	buffer_load_dword v127, v123, s[0:3], 0 offen
	buffer_load_dword v128, v123, s[0:3], 0 offen offset:4
	s_waitcnt vmcnt(2) lgkmcnt(0)
	v_mul_f64 v[130:131], v[3:4], v[125:126]
	v_mul_f64 v[125:126], v[1:2], v[125:126]
	s_waitcnt vmcnt(0)
	v_fma_f64 v[1:2], v[1:2], v[127:128], -v[130:131]
	v_fma_f64 v[3:4], v[3:4], v[127:128], v[125:126]
.LBB122_78:
	s_and_saveexec_b32 s67, s4
	s_cbranch_execz .LBB122_82
; %bb.79:
	v_subrev_nc_u32_e32 v125, 49, v0
	s_movk_i32 s68, 0x6c0
	s_mov_b32 s4, 0
	s_mov_b32 s69, s16
	.p2align	6
.LBB122_80:                             ; =>This Inner Loop Header: Depth=1
	v_mov_b32_e32 v128, s69
	v_add_nc_u32_e32 v125, -1, v125
	s_add_i32 s69, s69, 16
	s_clause 0x3
	buffer_load_dword v126, v128, s[0:3], 0 offen offset:8
	buffer_load_dword v127, v128, s[0:3], 0 offen offset:12
	buffer_load_dword v134, v128, s[0:3], 0 offen
	buffer_load_dword v135, v128, s[0:3], 0 offen offset:4
	v_mov_b32_e32 v128, s68
	v_cmp_eq_u32_e32 vcc_lo, 0, v125
	s_add_i32 s68, s68, 16
	ds_read_b128 v[130:133], v128
	s_or_b32 s4, vcc_lo, s4
	s_waitcnt vmcnt(2) lgkmcnt(0)
	v_mul_f64 v[136:137], v[132:133], v[126:127]
	v_mul_f64 v[126:127], v[130:131], v[126:127]
	s_waitcnt vmcnt(0)
	v_fma_f64 v[130:131], v[130:131], v[134:135], -v[136:137]
	v_fma_f64 v[126:127], v[132:133], v[134:135], v[126:127]
	v_add_f64 v[1:2], v[1:2], v[130:131]
	v_add_f64 v[3:4], v[3:4], v[126:127]
	s_andn2_b32 exec_lo, exec_lo, s4
	s_cbranch_execnz .LBB122_80
; %bb.81:
	s_or_b32 exec_lo, exec_lo, s4
.LBB122_82:
	s_or_b32 exec_lo, exec_lo, s67
	v_mov_b32_e32 v125, 0
	ds_read_b128 v[125:128], v125 offset:768
	s_waitcnt lgkmcnt(0)
	v_mul_f64 v[130:131], v[3:4], v[127:128]
	v_mul_f64 v[127:128], v[1:2], v[127:128]
	v_fma_f64 v[1:2], v[1:2], v[125:126], -v[130:131]
	v_fma_f64 v[3:4], v[3:4], v[125:126], v[127:128]
	buffer_store_dword v2, off, s[0:3], 0 offset:772
	buffer_store_dword v1, off, s[0:3], 0 offset:768
	;; [unrolled: 1-line block ×4, first 2 shown]
.LBB122_83:
	s_or_b32 exec_lo, exec_lo, s8
	v_mov_b32_e32 v4, s18
	v_cmp_lt_u32_e64 s4, 47, v0
	s_clause 0x3
	buffer_load_dword v1, v4, s[0:3], 0 offen
	buffer_load_dword v2, v4, s[0:3], 0 offen offset:4
	buffer_load_dword v3, v4, s[0:3], 0 offen offset:8
	;; [unrolled: 1-line block ×3, first 2 shown]
	s_waitcnt vmcnt(0)
	ds_write_b128 v124, v[1:4]
	s_waitcnt lgkmcnt(0)
	s_waitcnt_vscnt null, 0x0
	s_barrier
	buffer_gl0_inv
	s_and_saveexec_b32 s8, s4
	s_cbranch_execz .LBB122_91
; %bb.84:
	ds_read_b128 v[1:4], v124
	s_andn2_b32 vcc_lo, exec_lo, s66
	s_cbranch_vccnz .LBB122_86
; %bb.85:
	s_clause 0x3
	buffer_load_dword v125, v123, s[0:3], 0 offen offset:8
	buffer_load_dword v126, v123, s[0:3], 0 offen offset:12
	buffer_load_dword v127, v123, s[0:3], 0 offen
	buffer_load_dword v128, v123, s[0:3], 0 offen offset:4
	s_waitcnt vmcnt(2) lgkmcnt(0)
	v_mul_f64 v[130:131], v[3:4], v[125:126]
	v_mul_f64 v[125:126], v[1:2], v[125:126]
	s_waitcnt vmcnt(0)
	v_fma_f64 v[1:2], v[1:2], v[127:128], -v[130:131]
	v_fma_f64 v[3:4], v[3:4], v[127:128], v[125:126]
.LBB122_86:
	s_and_saveexec_b32 s67, s5
	s_cbranch_execz .LBB122_90
; %bb.87:
	v_subrev_nc_u32_e32 v125, 48, v0
	s_movk_i32 s68, 0x6b0
	s_mov_b32 s5, 0
	s_mov_b32 s69, s17
	.p2align	6
.LBB122_88:                             ; =>This Inner Loop Header: Depth=1
	v_mov_b32_e32 v128, s69
	v_add_nc_u32_e32 v125, -1, v125
	s_add_i32 s69, s69, 16
	s_clause 0x3
	buffer_load_dword v126, v128, s[0:3], 0 offen offset:8
	buffer_load_dword v127, v128, s[0:3], 0 offen offset:12
	buffer_load_dword v134, v128, s[0:3], 0 offen
	buffer_load_dword v135, v128, s[0:3], 0 offen offset:4
	v_mov_b32_e32 v128, s68
	v_cmp_eq_u32_e32 vcc_lo, 0, v125
	s_add_i32 s68, s68, 16
	ds_read_b128 v[130:133], v128
	s_or_b32 s5, vcc_lo, s5
	s_waitcnt vmcnt(2) lgkmcnt(0)
	v_mul_f64 v[136:137], v[132:133], v[126:127]
	v_mul_f64 v[126:127], v[130:131], v[126:127]
	s_waitcnt vmcnt(0)
	v_fma_f64 v[130:131], v[130:131], v[134:135], -v[136:137]
	v_fma_f64 v[126:127], v[132:133], v[134:135], v[126:127]
	v_add_f64 v[1:2], v[1:2], v[130:131]
	v_add_f64 v[3:4], v[3:4], v[126:127]
	s_andn2_b32 exec_lo, exec_lo, s5
	s_cbranch_execnz .LBB122_88
; %bb.89:
	s_or_b32 exec_lo, exec_lo, s5
.LBB122_90:
	s_or_b32 exec_lo, exec_lo, s67
	v_mov_b32_e32 v125, 0
	ds_read_b128 v[125:128], v125 offset:752
	s_waitcnt lgkmcnt(0)
	v_mul_f64 v[130:131], v[3:4], v[127:128]
	v_mul_f64 v[127:128], v[1:2], v[127:128]
	v_fma_f64 v[1:2], v[1:2], v[125:126], -v[130:131]
	v_fma_f64 v[3:4], v[3:4], v[125:126], v[127:128]
	buffer_store_dword v2, off, s[0:3], 0 offset:756
	buffer_store_dword v1, off, s[0:3], 0 offset:752
	;; [unrolled: 1-line block ×4, first 2 shown]
.LBB122_91:
	s_or_b32 exec_lo, exec_lo, s8
	v_mov_b32_e32 v4, s19
	v_cmp_lt_u32_e64 s5, 46, v0
	s_clause 0x3
	buffer_load_dword v1, v4, s[0:3], 0 offen
	buffer_load_dword v2, v4, s[0:3], 0 offen offset:4
	buffer_load_dword v3, v4, s[0:3], 0 offen offset:8
	;; [unrolled: 1-line block ×3, first 2 shown]
	s_waitcnt vmcnt(0)
	ds_write_b128 v124, v[1:4]
	s_waitcnt lgkmcnt(0)
	s_waitcnt_vscnt null, 0x0
	s_barrier
	buffer_gl0_inv
	s_and_saveexec_b32 s8, s5
	s_cbranch_execz .LBB122_99
; %bb.92:
	ds_read_b128 v[1:4], v124
	s_andn2_b32 vcc_lo, exec_lo, s66
	s_cbranch_vccnz .LBB122_94
; %bb.93:
	s_clause 0x3
	buffer_load_dword v125, v123, s[0:3], 0 offen offset:8
	buffer_load_dword v126, v123, s[0:3], 0 offen offset:12
	buffer_load_dword v127, v123, s[0:3], 0 offen
	buffer_load_dword v128, v123, s[0:3], 0 offen offset:4
	s_waitcnt vmcnt(2) lgkmcnt(0)
	v_mul_f64 v[130:131], v[3:4], v[125:126]
	v_mul_f64 v[125:126], v[1:2], v[125:126]
	s_waitcnt vmcnt(0)
	v_fma_f64 v[1:2], v[1:2], v[127:128], -v[130:131]
	v_fma_f64 v[3:4], v[3:4], v[127:128], v[125:126]
.LBB122_94:
	s_and_saveexec_b32 s67, s4
	s_cbranch_execz .LBB122_98
; %bb.95:
	v_subrev_nc_u32_e32 v125, 47, v0
	s_movk_i32 s68, 0x6a0
	s_mov_b32 s4, 0
	s_mov_b32 s69, s18
	.p2align	6
.LBB122_96:                             ; =>This Inner Loop Header: Depth=1
	v_mov_b32_e32 v128, s69
	v_add_nc_u32_e32 v125, -1, v125
	s_add_i32 s69, s69, 16
	s_clause 0x3
	buffer_load_dword v126, v128, s[0:3], 0 offen offset:8
	buffer_load_dword v127, v128, s[0:3], 0 offen offset:12
	buffer_load_dword v134, v128, s[0:3], 0 offen
	buffer_load_dword v135, v128, s[0:3], 0 offen offset:4
	v_mov_b32_e32 v128, s68
	v_cmp_eq_u32_e32 vcc_lo, 0, v125
	s_add_i32 s68, s68, 16
	ds_read_b128 v[130:133], v128
	s_or_b32 s4, vcc_lo, s4
	s_waitcnt vmcnt(2) lgkmcnt(0)
	v_mul_f64 v[136:137], v[132:133], v[126:127]
	v_mul_f64 v[126:127], v[130:131], v[126:127]
	s_waitcnt vmcnt(0)
	v_fma_f64 v[130:131], v[130:131], v[134:135], -v[136:137]
	v_fma_f64 v[126:127], v[132:133], v[134:135], v[126:127]
	v_add_f64 v[1:2], v[1:2], v[130:131]
	v_add_f64 v[3:4], v[3:4], v[126:127]
	s_andn2_b32 exec_lo, exec_lo, s4
	s_cbranch_execnz .LBB122_96
; %bb.97:
	s_or_b32 exec_lo, exec_lo, s4
.LBB122_98:
	s_or_b32 exec_lo, exec_lo, s67
	v_mov_b32_e32 v125, 0
	ds_read_b128 v[125:128], v125 offset:736
	s_waitcnt lgkmcnt(0)
	v_mul_f64 v[130:131], v[3:4], v[127:128]
	v_mul_f64 v[127:128], v[1:2], v[127:128]
	v_fma_f64 v[1:2], v[1:2], v[125:126], -v[130:131]
	v_fma_f64 v[3:4], v[3:4], v[125:126], v[127:128]
	buffer_store_dword v2, off, s[0:3], 0 offset:740
	buffer_store_dword v1, off, s[0:3], 0 offset:736
	;; [unrolled: 1-line block ×4, first 2 shown]
.LBB122_99:
	s_or_b32 exec_lo, exec_lo, s8
	v_mov_b32_e32 v4, s20
	v_cmp_lt_u32_e64 s4, 45, v0
	s_clause 0x3
	buffer_load_dword v1, v4, s[0:3], 0 offen
	buffer_load_dword v2, v4, s[0:3], 0 offen offset:4
	buffer_load_dword v3, v4, s[0:3], 0 offen offset:8
	buffer_load_dword v4, v4, s[0:3], 0 offen offset:12
	s_waitcnt vmcnt(0)
	ds_write_b128 v124, v[1:4]
	s_waitcnt lgkmcnt(0)
	s_waitcnt_vscnt null, 0x0
	s_barrier
	buffer_gl0_inv
	s_and_saveexec_b32 s8, s4
	s_cbranch_execz .LBB122_107
; %bb.100:
	ds_read_b128 v[1:4], v124
	s_andn2_b32 vcc_lo, exec_lo, s66
	s_cbranch_vccnz .LBB122_102
; %bb.101:
	s_clause 0x3
	buffer_load_dword v125, v123, s[0:3], 0 offen offset:8
	buffer_load_dword v126, v123, s[0:3], 0 offen offset:12
	buffer_load_dword v127, v123, s[0:3], 0 offen
	buffer_load_dword v128, v123, s[0:3], 0 offen offset:4
	s_waitcnt vmcnt(2) lgkmcnt(0)
	v_mul_f64 v[130:131], v[3:4], v[125:126]
	v_mul_f64 v[125:126], v[1:2], v[125:126]
	s_waitcnt vmcnt(0)
	v_fma_f64 v[1:2], v[1:2], v[127:128], -v[130:131]
	v_fma_f64 v[3:4], v[3:4], v[127:128], v[125:126]
.LBB122_102:
	s_and_saveexec_b32 s67, s5
	s_cbranch_execz .LBB122_106
; %bb.103:
	v_subrev_nc_u32_e32 v125, 46, v0
	s_movk_i32 s68, 0x690
	s_mov_b32 s5, 0
	s_mov_b32 s69, s19
	.p2align	6
.LBB122_104:                            ; =>This Inner Loop Header: Depth=1
	v_mov_b32_e32 v128, s69
	v_add_nc_u32_e32 v125, -1, v125
	s_add_i32 s69, s69, 16
	s_clause 0x3
	buffer_load_dword v126, v128, s[0:3], 0 offen offset:8
	buffer_load_dword v127, v128, s[0:3], 0 offen offset:12
	buffer_load_dword v134, v128, s[0:3], 0 offen
	buffer_load_dword v135, v128, s[0:3], 0 offen offset:4
	v_mov_b32_e32 v128, s68
	v_cmp_eq_u32_e32 vcc_lo, 0, v125
	s_add_i32 s68, s68, 16
	ds_read_b128 v[130:133], v128
	s_or_b32 s5, vcc_lo, s5
	s_waitcnt vmcnt(2) lgkmcnt(0)
	v_mul_f64 v[136:137], v[132:133], v[126:127]
	v_mul_f64 v[126:127], v[130:131], v[126:127]
	s_waitcnt vmcnt(0)
	v_fma_f64 v[130:131], v[130:131], v[134:135], -v[136:137]
	v_fma_f64 v[126:127], v[132:133], v[134:135], v[126:127]
	v_add_f64 v[1:2], v[1:2], v[130:131]
	v_add_f64 v[3:4], v[3:4], v[126:127]
	s_andn2_b32 exec_lo, exec_lo, s5
	s_cbranch_execnz .LBB122_104
; %bb.105:
	s_or_b32 exec_lo, exec_lo, s5
.LBB122_106:
	s_or_b32 exec_lo, exec_lo, s67
	v_mov_b32_e32 v125, 0
	ds_read_b128 v[125:128], v125 offset:720
	s_waitcnt lgkmcnt(0)
	v_mul_f64 v[130:131], v[3:4], v[127:128]
	v_mul_f64 v[127:128], v[1:2], v[127:128]
	v_fma_f64 v[1:2], v[1:2], v[125:126], -v[130:131]
	v_fma_f64 v[3:4], v[3:4], v[125:126], v[127:128]
	buffer_store_dword v2, off, s[0:3], 0 offset:724
	buffer_store_dword v1, off, s[0:3], 0 offset:720
	buffer_store_dword v4, off, s[0:3], 0 offset:732
	buffer_store_dword v3, off, s[0:3], 0 offset:728
.LBB122_107:
	s_or_b32 exec_lo, exec_lo, s8
	v_mov_b32_e32 v4, s21
	v_cmp_lt_u32_e64 s5, 44, v0
	s_clause 0x3
	buffer_load_dword v1, v4, s[0:3], 0 offen
	buffer_load_dword v2, v4, s[0:3], 0 offen offset:4
	buffer_load_dword v3, v4, s[0:3], 0 offen offset:8
	;; [unrolled: 1-line block ×3, first 2 shown]
	s_waitcnt vmcnt(0)
	ds_write_b128 v124, v[1:4]
	s_waitcnt lgkmcnt(0)
	s_waitcnt_vscnt null, 0x0
	s_barrier
	buffer_gl0_inv
	s_and_saveexec_b32 s8, s5
	s_cbranch_execz .LBB122_115
; %bb.108:
	ds_read_b128 v[1:4], v124
	s_andn2_b32 vcc_lo, exec_lo, s66
	s_cbranch_vccnz .LBB122_110
; %bb.109:
	s_clause 0x3
	buffer_load_dword v125, v123, s[0:3], 0 offen offset:8
	buffer_load_dword v126, v123, s[0:3], 0 offen offset:12
	buffer_load_dword v127, v123, s[0:3], 0 offen
	buffer_load_dword v128, v123, s[0:3], 0 offen offset:4
	s_waitcnt vmcnt(2) lgkmcnt(0)
	v_mul_f64 v[130:131], v[3:4], v[125:126]
	v_mul_f64 v[125:126], v[1:2], v[125:126]
	s_waitcnt vmcnt(0)
	v_fma_f64 v[1:2], v[1:2], v[127:128], -v[130:131]
	v_fma_f64 v[3:4], v[3:4], v[127:128], v[125:126]
.LBB122_110:
	s_and_saveexec_b32 s67, s4
	s_cbranch_execz .LBB122_114
; %bb.111:
	v_subrev_nc_u32_e32 v125, 45, v0
	s_movk_i32 s68, 0x680
	s_mov_b32 s4, 0
	s_mov_b32 s69, s20
	.p2align	6
.LBB122_112:                            ; =>This Inner Loop Header: Depth=1
	v_mov_b32_e32 v128, s69
	v_add_nc_u32_e32 v125, -1, v125
	s_add_i32 s69, s69, 16
	s_clause 0x3
	buffer_load_dword v126, v128, s[0:3], 0 offen offset:8
	buffer_load_dword v127, v128, s[0:3], 0 offen offset:12
	buffer_load_dword v134, v128, s[0:3], 0 offen
	buffer_load_dword v135, v128, s[0:3], 0 offen offset:4
	v_mov_b32_e32 v128, s68
	v_cmp_eq_u32_e32 vcc_lo, 0, v125
	s_add_i32 s68, s68, 16
	ds_read_b128 v[130:133], v128
	s_or_b32 s4, vcc_lo, s4
	s_waitcnt vmcnt(2) lgkmcnt(0)
	v_mul_f64 v[136:137], v[132:133], v[126:127]
	v_mul_f64 v[126:127], v[130:131], v[126:127]
	s_waitcnt vmcnt(0)
	v_fma_f64 v[130:131], v[130:131], v[134:135], -v[136:137]
	v_fma_f64 v[126:127], v[132:133], v[134:135], v[126:127]
	v_add_f64 v[1:2], v[1:2], v[130:131]
	v_add_f64 v[3:4], v[3:4], v[126:127]
	s_andn2_b32 exec_lo, exec_lo, s4
	s_cbranch_execnz .LBB122_112
; %bb.113:
	s_or_b32 exec_lo, exec_lo, s4
.LBB122_114:
	s_or_b32 exec_lo, exec_lo, s67
	v_mov_b32_e32 v125, 0
	ds_read_b128 v[125:128], v125 offset:704
	s_waitcnt lgkmcnt(0)
	v_mul_f64 v[130:131], v[3:4], v[127:128]
	v_mul_f64 v[127:128], v[1:2], v[127:128]
	v_fma_f64 v[1:2], v[1:2], v[125:126], -v[130:131]
	v_fma_f64 v[3:4], v[3:4], v[125:126], v[127:128]
	buffer_store_dword v2, off, s[0:3], 0 offset:708
	buffer_store_dword v1, off, s[0:3], 0 offset:704
	;; [unrolled: 1-line block ×4, first 2 shown]
.LBB122_115:
	s_or_b32 exec_lo, exec_lo, s8
	v_mov_b32_e32 v4, s22
	v_cmp_lt_u32_e64 s4, 43, v0
	s_clause 0x3
	buffer_load_dword v1, v4, s[0:3], 0 offen
	buffer_load_dword v2, v4, s[0:3], 0 offen offset:4
	buffer_load_dword v3, v4, s[0:3], 0 offen offset:8
	;; [unrolled: 1-line block ×3, first 2 shown]
	s_waitcnt vmcnt(0)
	ds_write_b128 v124, v[1:4]
	s_waitcnt lgkmcnt(0)
	s_waitcnt_vscnt null, 0x0
	s_barrier
	buffer_gl0_inv
	s_and_saveexec_b32 s8, s4
	s_cbranch_execz .LBB122_123
; %bb.116:
	ds_read_b128 v[1:4], v124
	s_andn2_b32 vcc_lo, exec_lo, s66
	s_cbranch_vccnz .LBB122_118
; %bb.117:
	s_clause 0x3
	buffer_load_dword v125, v123, s[0:3], 0 offen offset:8
	buffer_load_dword v126, v123, s[0:3], 0 offen offset:12
	buffer_load_dword v127, v123, s[0:3], 0 offen
	buffer_load_dword v128, v123, s[0:3], 0 offen offset:4
	s_waitcnt vmcnt(2) lgkmcnt(0)
	v_mul_f64 v[130:131], v[3:4], v[125:126]
	v_mul_f64 v[125:126], v[1:2], v[125:126]
	s_waitcnt vmcnt(0)
	v_fma_f64 v[1:2], v[1:2], v[127:128], -v[130:131]
	v_fma_f64 v[3:4], v[3:4], v[127:128], v[125:126]
.LBB122_118:
	s_and_saveexec_b32 s67, s5
	s_cbranch_execz .LBB122_122
; %bb.119:
	v_subrev_nc_u32_e32 v125, 44, v0
	s_movk_i32 s68, 0x670
	s_mov_b32 s5, 0
	s_mov_b32 s69, s21
	.p2align	6
.LBB122_120:                            ; =>This Inner Loop Header: Depth=1
	v_mov_b32_e32 v128, s69
	v_add_nc_u32_e32 v125, -1, v125
	s_add_i32 s69, s69, 16
	s_clause 0x3
	buffer_load_dword v126, v128, s[0:3], 0 offen offset:8
	buffer_load_dword v127, v128, s[0:3], 0 offen offset:12
	buffer_load_dword v134, v128, s[0:3], 0 offen
	buffer_load_dword v135, v128, s[0:3], 0 offen offset:4
	v_mov_b32_e32 v128, s68
	v_cmp_eq_u32_e32 vcc_lo, 0, v125
	s_add_i32 s68, s68, 16
	ds_read_b128 v[130:133], v128
	s_or_b32 s5, vcc_lo, s5
	s_waitcnt vmcnt(2) lgkmcnt(0)
	v_mul_f64 v[136:137], v[132:133], v[126:127]
	v_mul_f64 v[126:127], v[130:131], v[126:127]
	s_waitcnt vmcnt(0)
	v_fma_f64 v[130:131], v[130:131], v[134:135], -v[136:137]
	v_fma_f64 v[126:127], v[132:133], v[134:135], v[126:127]
	v_add_f64 v[1:2], v[1:2], v[130:131]
	v_add_f64 v[3:4], v[3:4], v[126:127]
	s_andn2_b32 exec_lo, exec_lo, s5
	s_cbranch_execnz .LBB122_120
; %bb.121:
	s_or_b32 exec_lo, exec_lo, s5
.LBB122_122:
	s_or_b32 exec_lo, exec_lo, s67
	v_mov_b32_e32 v125, 0
	ds_read_b128 v[125:128], v125 offset:688
	s_waitcnt lgkmcnt(0)
	v_mul_f64 v[130:131], v[3:4], v[127:128]
	v_mul_f64 v[127:128], v[1:2], v[127:128]
	v_fma_f64 v[1:2], v[1:2], v[125:126], -v[130:131]
	v_fma_f64 v[3:4], v[3:4], v[125:126], v[127:128]
	buffer_store_dword v2, off, s[0:3], 0 offset:692
	buffer_store_dword v1, off, s[0:3], 0 offset:688
	;; [unrolled: 1-line block ×4, first 2 shown]
.LBB122_123:
	s_or_b32 exec_lo, exec_lo, s8
	v_mov_b32_e32 v4, s23
	v_cmp_lt_u32_e64 s5, 42, v0
	s_clause 0x3
	buffer_load_dword v1, v4, s[0:3], 0 offen
	buffer_load_dword v2, v4, s[0:3], 0 offen offset:4
	buffer_load_dword v3, v4, s[0:3], 0 offen offset:8
	;; [unrolled: 1-line block ×3, first 2 shown]
	s_waitcnt vmcnt(0)
	ds_write_b128 v124, v[1:4]
	s_waitcnt lgkmcnt(0)
	s_waitcnt_vscnt null, 0x0
	s_barrier
	buffer_gl0_inv
	s_and_saveexec_b32 s8, s5
	s_cbranch_execz .LBB122_131
; %bb.124:
	ds_read_b128 v[1:4], v124
	s_andn2_b32 vcc_lo, exec_lo, s66
	s_cbranch_vccnz .LBB122_126
; %bb.125:
	s_clause 0x3
	buffer_load_dword v125, v123, s[0:3], 0 offen offset:8
	buffer_load_dword v126, v123, s[0:3], 0 offen offset:12
	buffer_load_dword v127, v123, s[0:3], 0 offen
	buffer_load_dword v128, v123, s[0:3], 0 offen offset:4
	s_waitcnt vmcnt(2) lgkmcnt(0)
	v_mul_f64 v[130:131], v[3:4], v[125:126]
	v_mul_f64 v[125:126], v[1:2], v[125:126]
	s_waitcnt vmcnt(0)
	v_fma_f64 v[1:2], v[1:2], v[127:128], -v[130:131]
	v_fma_f64 v[3:4], v[3:4], v[127:128], v[125:126]
.LBB122_126:
	s_and_saveexec_b32 s67, s4
	s_cbranch_execz .LBB122_130
; %bb.127:
	v_subrev_nc_u32_e32 v125, 43, v0
	s_movk_i32 s68, 0x660
	s_mov_b32 s4, 0
	s_mov_b32 s69, s22
	.p2align	6
.LBB122_128:                            ; =>This Inner Loop Header: Depth=1
	v_mov_b32_e32 v128, s69
	v_add_nc_u32_e32 v125, -1, v125
	s_add_i32 s69, s69, 16
	s_clause 0x3
	buffer_load_dword v126, v128, s[0:3], 0 offen offset:8
	buffer_load_dword v127, v128, s[0:3], 0 offen offset:12
	buffer_load_dword v134, v128, s[0:3], 0 offen
	buffer_load_dword v135, v128, s[0:3], 0 offen offset:4
	v_mov_b32_e32 v128, s68
	v_cmp_eq_u32_e32 vcc_lo, 0, v125
	s_add_i32 s68, s68, 16
	ds_read_b128 v[130:133], v128
	s_or_b32 s4, vcc_lo, s4
	s_waitcnt vmcnt(2) lgkmcnt(0)
	v_mul_f64 v[136:137], v[132:133], v[126:127]
	v_mul_f64 v[126:127], v[130:131], v[126:127]
	s_waitcnt vmcnt(0)
	v_fma_f64 v[130:131], v[130:131], v[134:135], -v[136:137]
	v_fma_f64 v[126:127], v[132:133], v[134:135], v[126:127]
	v_add_f64 v[1:2], v[1:2], v[130:131]
	v_add_f64 v[3:4], v[3:4], v[126:127]
	s_andn2_b32 exec_lo, exec_lo, s4
	s_cbranch_execnz .LBB122_128
; %bb.129:
	s_or_b32 exec_lo, exec_lo, s4
.LBB122_130:
	s_or_b32 exec_lo, exec_lo, s67
	v_mov_b32_e32 v125, 0
	ds_read_b128 v[125:128], v125 offset:672
	s_waitcnt lgkmcnt(0)
	v_mul_f64 v[130:131], v[3:4], v[127:128]
	v_mul_f64 v[127:128], v[1:2], v[127:128]
	v_fma_f64 v[1:2], v[1:2], v[125:126], -v[130:131]
	v_fma_f64 v[3:4], v[3:4], v[125:126], v[127:128]
	buffer_store_dword v2, off, s[0:3], 0 offset:676
	buffer_store_dword v1, off, s[0:3], 0 offset:672
	;; [unrolled: 1-line block ×4, first 2 shown]
.LBB122_131:
	s_or_b32 exec_lo, exec_lo, s8
	v_mov_b32_e32 v4, s24
	v_cmp_lt_u32_e64 s4, 41, v0
	s_clause 0x3
	buffer_load_dword v1, v4, s[0:3], 0 offen
	buffer_load_dword v2, v4, s[0:3], 0 offen offset:4
	buffer_load_dword v3, v4, s[0:3], 0 offen offset:8
	;; [unrolled: 1-line block ×3, first 2 shown]
	s_waitcnt vmcnt(0)
	ds_write_b128 v124, v[1:4]
	s_waitcnt lgkmcnt(0)
	s_waitcnt_vscnt null, 0x0
	s_barrier
	buffer_gl0_inv
	s_and_saveexec_b32 s8, s4
	s_cbranch_execz .LBB122_139
; %bb.132:
	ds_read_b128 v[1:4], v124
	s_andn2_b32 vcc_lo, exec_lo, s66
	s_cbranch_vccnz .LBB122_134
; %bb.133:
	s_clause 0x3
	buffer_load_dword v125, v123, s[0:3], 0 offen offset:8
	buffer_load_dword v126, v123, s[0:3], 0 offen offset:12
	buffer_load_dword v127, v123, s[0:3], 0 offen
	buffer_load_dword v128, v123, s[0:3], 0 offen offset:4
	s_waitcnt vmcnt(2) lgkmcnt(0)
	v_mul_f64 v[130:131], v[3:4], v[125:126]
	v_mul_f64 v[125:126], v[1:2], v[125:126]
	s_waitcnt vmcnt(0)
	v_fma_f64 v[1:2], v[1:2], v[127:128], -v[130:131]
	v_fma_f64 v[3:4], v[3:4], v[127:128], v[125:126]
.LBB122_134:
	s_and_saveexec_b32 s67, s5
	s_cbranch_execz .LBB122_138
; %bb.135:
	v_subrev_nc_u32_e32 v125, 42, v0
	s_movk_i32 s68, 0x650
	s_mov_b32 s5, 0
	s_mov_b32 s69, s23
	.p2align	6
.LBB122_136:                            ; =>This Inner Loop Header: Depth=1
	v_mov_b32_e32 v128, s69
	v_add_nc_u32_e32 v125, -1, v125
	s_add_i32 s69, s69, 16
	s_clause 0x3
	buffer_load_dword v126, v128, s[0:3], 0 offen offset:8
	buffer_load_dword v127, v128, s[0:3], 0 offen offset:12
	buffer_load_dword v134, v128, s[0:3], 0 offen
	buffer_load_dword v135, v128, s[0:3], 0 offen offset:4
	v_mov_b32_e32 v128, s68
	v_cmp_eq_u32_e32 vcc_lo, 0, v125
	s_add_i32 s68, s68, 16
	ds_read_b128 v[130:133], v128
	s_or_b32 s5, vcc_lo, s5
	s_waitcnt vmcnt(2) lgkmcnt(0)
	v_mul_f64 v[136:137], v[132:133], v[126:127]
	v_mul_f64 v[126:127], v[130:131], v[126:127]
	s_waitcnt vmcnt(0)
	v_fma_f64 v[130:131], v[130:131], v[134:135], -v[136:137]
	v_fma_f64 v[126:127], v[132:133], v[134:135], v[126:127]
	v_add_f64 v[1:2], v[1:2], v[130:131]
	v_add_f64 v[3:4], v[3:4], v[126:127]
	s_andn2_b32 exec_lo, exec_lo, s5
	s_cbranch_execnz .LBB122_136
; %bb.137:
	s_or_b32 exec_lo, exec_lo, s5
.LBB122_138:
	s_or_b32 exec_lo, exec_lo, s67
	v_mov_b32_e32 v125, 0
	ds_read_b128 v[125:128], v125 offset:656
	s_waitcnt lgkmcnt(0)
	v_mul_f64 v[130:131], v[3:4], v[127:128]
	v_mul_f64 v[127:128], v[1:2], v[127:128]
	v_fma_f64 v[1:2], v[1:2], v[125:126], -v[130:131]
	v_fma_f64 v[3:4], v[3:4], v[125:126], v[127:128]
	buffer_store_dword v2, off, s[0:3], 0 offset:660
	buffer_store_dword v1, off, s[0:3], 0 offset:656
	;; [unrolled: 1-line block ×4, first 2 shown]
.LBB122_139:
	s_or_b32 exec_lo, exec_lo, s8
	v_mov_b32_e32 v4, s25
	v_cmp_lt_u32_e64 s5, 40, v0
	s_clause 0x3
	buffer_load_dword v1, v4, s[0:3], 0 offen
	buffer_load_dword v2, v4, s[0:3], 0 offen offset:4
	buffer_load_dword v3, v4, s[0:3], 0 offen offset:8
	;; [unrolled: 1-line block ×3, first 2 shown]
	s_waitcnt vmcnt(0)
	ds_write_b128 v124, v[1:4]
	s_waitcnt lgkmcnt(0)
	s_waitcnt_vscnt null, 0x0
	s_barrier
	buffer_gl0_inv
	s_and_saveexec_b32 s8, s5
	s_cbranch_execz .LBB122_147
; %bb.140:
	ds_read_b128 v[1:4], v124
	s_andn2_b32 vcc_lo, exec_lo, s66
	s_cbranch_vccnz .LBB122_142
; %bb.141:
	s_clause 0x3
	buffer_load_dword v125, v123, s[0:3], 0 offen offset:8
	buffer_load_dword v126, v123, s[0:3], 0 offen offset:12
	buffer_load_dword v127, v123, s[0:3], 0 offen
	buffer_load_dword v128, v123, s[0:3], 0 offen offset:4
	s_waitcnt vmcnt(2) lgkmcnt(0)
	v_mul_f64 v[130:131], v[3:4], v[125:126]
	v_mul_f64 v[125:126], v[1:2], v[125:126]
	s_waitcnt vmcnt(0)
	v_fma_f64 v[1:2], v[1:2], v[127:128], -v[130:131]
	v_fma_f64 v[3:4], v[3:4], v[127:128], v[125:126]
.LBB122_142:
	s_and_saveexec_b32 s67, s4
	s_cbranch_execz .LBB122_146
; %bb.143:
	v_subrev_nc_u32_e32 v125, 41, v0
	s_movk_i32 s68, 0x640
	s_mov_b32 s4, 0
	s_mov_b32 s69, s24
	.p2align	6
.LBB122_144:                            ; =>This Inner Loop Header: Depth=1
	v_mov_b32_e32 v128, s69
	v_add_nc_u32_e32 v125, -1, v125
	s_add_i32 s69, s69, 16
	s_clause 0x3
	buffer_load_dword v126, v128, s[0:3], 0 offen offset:8
	buffer_load_dword v127, v128, s[0:3], 0 offen offset:12
	buffer_load_dword v134, v128, s[0:3], 0 offen
	buffer_load_dword v135, v128, s[0:3], 0 offen offset:4
	v_mov_b32_e32 v128, s68
	v_cmp_eq_u32_e32 vcc_lo, 0, v125
	s_add_i32 s68, s68, 16
	ds_read_b128 v[130:133], v128
	s_or_b32 s4, vcc_lo, s4
	s_waitcnt vmcnt(2) lgkmcnt(0)
	v_mul_f64 v[136:137], v[132:133], v[126:127]
	v_mul_f64 v[126:127], v[130:131], v[126:127]
	s_waitcnt vmcnt(0)
	v_fma_f64 v[130:131], v[130:131], v[134:135], -v[136:137]
	v_fma_f64 v[126:127], v[132:133], v[134:135], v[126:127]
	v_add_f64 v[1:2], v[1:2], v[130:131]
	v_add_f64 v[3:4], v[3:4], v[126:127]
	s_andn2_b32 exec_lo, exec_lo, s4
	s_cbranch_execnz .LBB122_144
; %bb.145:
	s_or_b32 exec_lo, exec_lo, s4
.LBB122_146:
	s_or_b32 exec_lo, exec_lo, s67
	v_mov_b32_e32 v125, 0
	ds_read_b128 v[125:128], v125 offset:640
	s_waitcnt lgkmcnt(0)
	v_mul_f64 v[130:131], v[3:4], v[127:128]
	v_mul_f64 v[127:128], v[1:2], v[127:128]
	v_fma_f64 v[1:2], v[1:2], v[125:126], -v[130:131]
	v_fma_f64 v[3:4], v[3:4], v[125:126], v[127:128]
	buffer_store_dword v2, off, s[0:3], 0 offset:644
	buffer_store_dword v1, off, s[0:3], 0 offset:640
	;; [unrolled: 1-line block ×4, first 2 shown]
.LBB122_147:
	s_or_b32 exec_lo, exec_lo, s8
	v_mov_b32_e32 v4, s26
	v_cmp_lt_u32_e64 s4, 39, v0
	s_clause 0x3
	buffer_load_dword v1, v4, s[0:3], 0 offen
	buffer_load_dword v2, v4, s[0:3], 0 offen offset:4
	buffer_load_dword v3, v4, s[0:3], 0 offen offset:8
	buffer_load_dword v4, v4, s[0:3], 0 offen offset:12
	s_waitcnt vmcnt(0)
	ds_write_b128 v124, v[1:4]
	s_waitcnt lgkmcnt(0)
	s_waitcnt_vscnt null, 0x0
	s_barrier
	buffer_gl0_inv
	s_and_saveexec_b32 s8, s4
	s_cbranch_execz .LBB122_155
; %bb.148:
	ds_read_b128 v[1:4], v124
	s_andn2_b32 vcc_lo, exec_lo, s66
	s_cbranch_vccnz .LBB122_150
; %bb.149:
	s_clause 0x3
	buffer_load_dword v125, v123, s[0:3], 0 offen offset:8
	buffer_load_dword v126, v123, s[0:3], 0 offen offset:12
	buffer_load_dword v127, v123, s[0:3], 0 offen
	buffer_load_dword v128, v123, s[0:3], 0 offen offset:4
	s_waitcnt vmcnt(2) lgkmcnt(0)
	v_mul_f64 v[130:131], v[3:4], v[125:126]
	v_mul_f64 v[125:126], v[1:2], v[125:126]
	s_waitcnt vmcnt(0)
	v_fma_f64 v[1:2], v[1:2], v[127:128], -v[130:131]
	v_fma_f64 v[3:4], v[3:4], v[127:128], v[125:126]
.LBB122_150:
	s_and_saveexec_b32 s67, s5
	s_cbranch_execz .LBB122_154
; %bb.151:
	v_subrev_nc_u32_e32 v125, 40, v0
	s_movk_i32 s68, 0x630
	s_mov_b32 s5, 0
	s_mov_b32 s69, s25
	.p2align	6
.LBB122_152:                            ; =>This Inner Loop Header: Depth=1
	v_mov_b32_e32 v128, s69
	v_add_nc_u32_e32 v125, -1, v125
	s_add_i32 s69, s69, 16
	s_clause 0x3
	buffer_load_dword v126, v128, s[0:3], 0 offen offset:8
	buffer_load_dword v127, v128, s[0:3], 0 offen offset:12
	buffer_load_dword v134, v128, s[0:3], 0 offen
	buffer_load_dword v135, v128, s[0:3], 0 offen offset:4
	v_mov_b32_e32 v128, s68
	v_cmp_eq_u32_e32 vcc_lo, 0, v125
	s_add_i32 s68, s68, 16
	ds_read_b128 v[130:133], v128
	s_or_b32 s5, vcc_lo, s5
	s_waitcnt vmcnt(2) lgkmcnt(0)
	v_mul_f64 v[136:137], v[132:133], v[126:127]
	v_mul_f64 v[126:127], v[130:131], v[126:127]
	s_waitcnt vmcnt(0)
	v_fma_f64 v[130:131], v[130:131], v[134:135], -v[136:137]
	v_fma_f64 v[126:127], v[132:133], v[134:135], v[126:127]
	v_add_f64 v[1:2], v[1:2], v[130:131]
	v_add_f64 v[3:4], v[3:4], v[126:127]
	s_andn2_b32 exec_lo, exec_lo, s5
	s_cbranch_execnz .LBB122_152
; %bb.153:
	s_or_b32 exec_lo, exec_lo, s5
.LBB122_154:
	s_or_b32 exec_lo, exec_lo, s67
	v_mov_b32_e32 v125, 0
	ds_read_b128 v[125:128], v125 offset:624
	s_waitcnt lgkmcnt(0)
	v_mul_f64 v[130:131], v[3:4], v[127:128]
	v_mul_f64 v[127:128], v[1:2], v[127:128]
	v_fma_f64 v[1:2], v[1:2], v[125:126], -v[130:131]
	v_fma_f64 v[3:4], v[3:4], v[125:126], v[127:128]
	buffer_store_dword v2, off, s[0:3], 0 offset:628
	buffer_store_dword v1, off, s[0:3], 0 offset:624
	;; [unrolled: 1-line block ×4, first 2 shown]
.LBB122_155:
	s_or_b32 exec_lo, exec_lo, s8
	v_mov_b32_e32 v4, s27
	v_cmp_lt_u32_e64 s5, 38, v0
	s_clause 0x3
	buffer_load_dword v1, v4, s[0:3], 0 offen
	buffer_load_dword v2, v4, s[0:3], 0 offen offset:4
	buffer_load_dword v3, v4, s[0:3], 0 offen offset:8
	;; [unrolled: 1-line block ×3, first 2 shown]
	s_waitcnt vmcnt(0)
	ds_write_b128 v124, v[1:4]
	s_waitcnt lgkmcnt(0)
	s_waitcnt_vscnt null, 0x0
	s_barrier
	buffer_gl0_inv
	s_and_saveexec_b32 s8, s5
	s_cbranch_execz .LBB122_163
; %bb.156:
	ds_read_b128 v[1:4], v124
	s_andn2_b32 vcc_lo, exec_lo, s66
	s_cbranch_vccnz .LBB122_158
; %bb.157:
	s_clause 0x3
	buffer_load_dword v125, v123, s[0:3], 0 offen offset:8
	buffer_load_dword v126, v123, s[0:3], 0 offen offset:12
	buffer_load_dword v127, v123, s[0:3], 0 offen
	buffer_load_dword v128, v123, s[0:3], 0 offen offset:4
	s_waitcnt vmcnt(2) lgkmcnt(0)
	v_mul_f64 v[130:131], v[3:4], v[125:126]
	v_mul_f64 v[125:126], v[1:2], v[125:126]
	s_waitcnt vmcnt(0)
	v_fma_f64 v[1:2], v[1:2], v[127:128], -v[130:131]
	v_fma_f64 v[3:4], v[3:4], v[127:128], v[125:126]
.LBB122_158:
	s_and_saveexec_b32 s67, s4
	s_cbranch_execz .LBB122_162
; %bb.159:
	v_subrev_nc_u32_e32 v125, 39, v0
	s_movk_i32 s68, 0x620
	s_mov_b32 s4, 0
	s_mov_b32 s69, s26
	.p2align	6
.LBB122_160:                            ; =>This Inner Loop Header: Depth=1
	v_mov_b32_e32 v128, s69
	v_add_nc_u32_e32 v125, -1, v125
	s_add_i32 s69, s69, 16
	s_clause 0x3
	buffer_load_dword v126, v128, s[0:3], 0 offen offset:8
	buffer_load_dword v127, v128, s[0:3], 0 offen offset:12
	buffer_load_dword v134, v128, s[0:3], 0 offen
	buffer_load_dword v135, v128, s[0:3], 0 offen offset:4
	v_mov_b32_e32 v128, s68
	v_cmp_eq_u32_e32 vcc_lo, 0, v125
	s_add_i32 s68, s68, 16
	ds_read_b128 v[130:133], v128
	s_or_b32 s4, vcc_lo, s4
	s_waitcnt vmcnt(2) lgkmcnt(0)
	v_mul_f64 v[136:137], v[132:133], v[126:127]
	v_mul_f64 v[126:127], v[130:131], v[126:127]
	s_waitcnt vmcnt(0)
	v_fma_f64 v[130:131], v[130:131], v[134:135], -v[136:137]
	v_fma_f64 v[126:127], v[132:133], v[134:135], v[126:127]
	v_add_f64 v[1:2], v[1:2], v[130:131]
	v_add_f64 v[3:4], v[3:4], v[126:127]
	s_andn2_b32 exec_lo, exec_lo, s4
	s_cbranch_execnz .LBB122_160
; %bb.161:
	s_or_b32 exec_lo, exec_lo, s4
.LBB122_162:
	s_or_b32 exec_lo, exec_lo, s67
	v_mov_b32_e32 v125, 0
	ds_read_b128 v[125:128], v125 offset:608
	s_waitcnt lgkmcnt(0)
	v_mul_f64 v[130:131], v[3:4], v[127:128]
	v_mul_f64 v[127:128], v[1:2], v[127:128]
	v_fma_f64 v[1:2], v[1:2], v[125:126], -v[130:131]
	v_fma_f64 v[3:4], v[3:4], v[125:126], v[127:128]
	buffer_store_dword v2, off, s[0:3], 0 offset:612
	buffer_store_dword v1, off, s[0:3], 0 offset:608
	;; [unrolled: 1-line block ×4, first 2 shown]
.LBB122_163:
	s_or_b32 exec_lo, exec_lo, s8
	v_mov_b32_e32 v4, s28
	v_cmp_lt_u32_e64 s4, 37, v0
	s_clause 0x3
	buffer_load_dword v1, v4, s[0:3], 0 offen
	buffer_load_dword v2, v4, s[0:3], 0 offen offset:4
	buffer_load_dword v3, v4, s[0:3], 0 offen offset:8
	;; [unrolled: 1-line block ×3, first 2 shown]
	s_waitcnt vmcnt(0)
	ds_write_b128 v124, v[1:4]
	s_waitcnt lgkmcnt(0)
	s_waitcnt_vscnt null, 0x0
	s_barrier
	buffer_gl0_inv
	s_and_saveexec_b32 s8, s4
	s_cbranch_execz .LBB122_171
; %bb.164:
	ds_read_b128 v[1:4], v124
	s_andn2_b32 vcc_lo, exec_lo, s66
	s_cbranch_vccnz .LBB122_166
; %bb.165:
	s_clause 0x3
	buffer_load_dword v125, v123, s[0:3], 0 offen offset:8
	buffer_load_dword v126, v123, s[0:3], 0 offen offset:12
	buffer_load_dword v127, v123, s[0:3], 0 offen
	buffer_load_dword v128, v123, s[0:3], 0 offen offset:4
	s_waitcnt vmcnt(2) lgkmcnt(0)
	v_mul_f64 v[130:131], v[3:4], v[125:126]
	v_mul_f64 v[125:126], v[1:2], v[125:126]
	s_waitcnt vmcnt(0)
	v_fma_f64 v[1:2], v[1:2], v[127:128], -v[130:131]
	v_fma_f64 v[3:4], v[3:4], v[127:128], v[125:126]
.LBB122_166:
	s_and_saveexec_b32 s67, s5
	s_cbranch_execz .LBB122_170
; %bb.167:
	v_subrev_nc_u32_e32 v125, 38, v0
	s_movk_i32 s68, 0x610
	s_mov_b32 s5, 0
	s_mov_b32 s69, s27
	.p2align	6
.LBB122_168:                            ; =>This Inner Loop Header: Depth=1
	v_mov_b32_e32 v128, s69
	v_add_nc_u32_e32 v125, -1, v125
	s_add_i32 s69, s69, 16
	s_clause 0x3
	buffer_load_dword v126, v128, s[0:3], 0 offen offset:8
	buffer_load_dword v127, v128, s[0:3], 0 offen offset:12
	buffer_load_dword v134, v128, s[0:3], 0 offen
	buffer_load_dword v135, v128, s[0:3], 0 offen offset:4
	v_mov_b32_e32 v128, s68
	v_cmp_eq_u32_e32 vcc_lo, 0, v125
	s_add_i32 s68, s68, 16
	ds_read_b128 v[130:133], v128
	s_or_b32 s5, vcc_lo, s5
	s_waitcnt vmcnt(2) lgkmcnt(0)
	v_mul_f64 v[136:137], v[132:133], v[126:127]
	v_mul_f64 v[126:127], v[130:131], v[126:127]
	s_waitcnt vmcnt(0)
	v_fma_f64 v[130:131], v[130:131], v[134:135], -v[136:137]
	v_fma_f64 v[126:127], v[132:133], v[134:135], v[126:127]
	v_add_f64 v[1:2], v[1:2], v[130:131]
	v_add_f64 v[3:4], v[3:4], v[126:127]
	s_andn2_b32 exec_lo, exec_lo, s5
	s_cbranch_execnz .LBB122_168
; %bb.169:
	s_or_b32 exec_lo, exec_lo, s5
.LBB122_170:
	s_or_b32 exec_lo, exec_lo, s67
	v_mov_b32_e32 v125, 0
	ds_read_b128 v[125:128], v125 offset:592
	s_waitcnt lgkmcnt(0)
	v_mul_f64 v[130:131], v[3:4], v[127:128]
	v_mul_f64 v[127:128], v[1:2], v[127:128]
	v_fma_f64 v[1:2], v[1:2], v[125:126], -v[130:131]
	v_fma_f64 v[3:4], v[3:4], v[125:126], v[127:128]
	buffer_store_dword v2, off, s[0:3], 0 offset:596
	buffer_store_dword v1, off, s[0:3], 0 offset:592
	;; [unrolled: 1-line block ×4, first 2 shown]
.LBB122_171:
	s_or_b32 exec_lo, exec_lo, s8
	v_mov_b32_e32 v4, s29
	v_cmp_lt_u32_e64 s5, 36, v0
	s_clause 0x3
	buffer_load_dword v1, v4, s[0:3], 0 offen
	buffer_load_dword v2, v4, s[0:3], 0 offen offset:4
	buffer_load_dword v3, v4, s[0:3], 0 offen offset:8
	;; [unrolled: 1-line block ×3, first 2 shown]
	s_waitcnt vmcnt(0)
	ds_write_b128 v124, v[1:4]
	s_waitcnt lgkmcnt(0)
	s_waitcnt_vscnt null, 0x0
	s_barrier
	buffer_gl0_inv
	s_and_saveexec_b32 s8, s5
	s_cbranch_execz .LBB122_179
; %bb.172:
	ds_read_b128 v[1:4], v124
	s_andn2_b32 vcc_lo, exec_lo, s66
	s_cbranch_vccnz .LBB122_174
; %bb.173:
	s_clause 0x3
	buffer_load_dword v125, v123, s[0:3], 0 offen offset:8
	buffer_load_dword v126, v123, s[0:3], 0 offen offset:12
	buffer_load_dword v127, v123, s[0:3], 0 offen
	buffer_load_dword v128, v123, s[0:3], 0 offen offset:4
	s_waitcnt vmcnt(2) lgkmcnt(0)
	v_mul_f64 v[130:131], v[3:4], v[125:126]
	v_mul_f64 v[125:126], v[1:2], v[125:126]
	s_waitcnt vmcnt(0)
	v_fma_f64 v[1:2], v[1:2], v[127:128], -v[130:131]
	v_fma_f64 v[3:4], v[3:4], v[127:128], v[125:126]
.LBB122_174:
	s_and_saveexec_b32 s67, s4
	s_cbranch_execz .LBB122_178
; %bb.175:
	v_subrev_nc_u32_e32 v125, 37, v0
	s_movk_i32 s68, 0x600
	s_mov_b32 s4, 0
	s_mov_b32 s69, s28
	.p2align	6
.LBB122_176:                            ; =>This Inner Loop Header: Depth=1
	v_mov_b32_e32 v128, s69
	v_add_nc_u32_e32 v125, -1, v125
	s_add_i32 s69, s69, 16
	s_clause 0x3
	buffer_load_dword v126, v128, s[0:3], 0 offen offset:8
	buffer_load_dword v127, v128, s[0:3], 0 offen offset:12
	buffer_load_dword v134, v128, s[0:3], 0 offen
	buffer_load_dword v135, v128, s[0:3], 0 offen offset:4
	v_mov_b32_e32 v128, s68
	v_cmp_eq_u32_e32 vcc_lo, 0, v125
	s_add_i32 s68, s68, 16
	ds_read_b128 v[130:133], v128
	s_or_b32 s4, vcc_lo, s4
	s_waitcnt vmcnt(2) lgkmcnt(0)
	v_mul_f64 v[136:137], v[132:133], v[126:127]
	v_mul_f64 v[126:127], v[130:131], v[126:127]
	s_waitcnt vmcnt(0)
	v_fma_f64 v[130:131], v[130:131], v[134:135], -v[136:137]
	v_fma_f64 v[126:127], v[132:133], v[134:135], v[126:127]
	v_add_f64 v[1:2], v[1:2], v[130:131]
	v_add_f64 v[3:4], v[3:4], v[126:127]
	s_andn2_b32 exec_lo, exec_lo, s4
	s_cbranch_execnz .LBB122_176
; %bb.177:
	s_or_b32 exec_lo, exec_lo, s4
.LBB122_178:
	s_or_b32 exec_lo, exec_lo, s67
	v_mov_b32_e32 v125, 0
	ds_read_b128 v[125:128], v125 offset:576
	s_waitcnt lgkmcnt(0)
	v_mul_f64 v[130:131], v[3:4], v[127:128]
	v_mul_f64 v[127:128], v[1:2], v[127:128]
	v_fma_f64 v[1:2], v[1:2], v[125:126], -v[130:131]
	v_fma_f64 v[3:4], v[3:4], v[125:126], v[127:128]
	buffer_store_dword v2, off, s[0:3], 0 offset:580
	buffer_store_dword v1, off, s[0:3], 0 offset:576
	;; [unrolled: 1-line block ×4, first 2 shown]
.LBB122_179:
	s_or_b32 exec_lo, exec_lo, s8
	v_mov_b32_e32 v4, s30
	v_cmp_lt_u32_e64 s4, 35, v0
	s_clause 0x3
	buffer_load_dword v1, v4, s[0:3], 0 offen
	buffer_load_dword v2, v4, s[0:3], 0 offen offset:4
	buffer_load_dword v3, v4, s[0:3], 0 offen offset:8
	;; [unrolled: 1-line block ×3, first 2 shown]
	s_waitcnt vmcnt(0)
	ds_write_b128 v124, v[1:4]
	s_waitcnt lgkmcnt(0)
	s_waitcnt_vscnt null, 0x0
	s_barrier
	buffer_gl0_inv
	s_and_saveexec_b32 s8, s4
	s_cbranch_execz .LBB122_187
; %bb.180:
	ds_read_b128 v[1:4], v124
	s_andn2_b32 vcc_lo, exec_lo, s66
	s_cbranch_vccnz .LBB122_182
; %bb.181:
	s_clause 0x3
	buffer_load_dword v125, v123, s[0:3], 0 offen offset:8
	buffer_load_dword v126, v123, s[0:3], 0 offen offset:12
	buffer_load_dword v127, v123, s[0:3], 0 offen
	buffer_load_dword v128, v123, s[0:3], 0 offen offset:4
	s_waitcnt vmcnt(2) lgkmcnt(0)
	v_mul_f64 v[130:131], v[3:4], v[125:126]
	v_mul_f64 v[125:126], v[1:2], v[125:126]
	s_waitcnt vmcnt(0)
	v_fma_f64 v[1:2], v[1:2], v[127:128], -v[130:131]
	v_fma_f64 v[3:4], v[3:4], v[127:128], v[125:126]
.LBB122_182:
	s_and_saveexec_b32 s67, s5
	s_cbranch_execz .LBB122_186
; %bb.183:
	v_subrev_nc_u32_e32 v125, 36, v0
	s_movk_i32 s68, 0x5f0
	s_mov_b32 s5, 0
	s_mov_b32 s69, s29
	.p2align	6
.LBB122_184:                            ; =>This Inner Loop Header: Depth=1
	v_mov_b32_e32 v128, s69
	v_add_nc_u32_e32 v125, -1, v125
	s_add_i32 s69, s69, 16
	s_clause 0x3
	buffer_load_dword v126, v128, s[0:3], 0 offen offset:8
	buffer_load_dword v127, v128, s[0:3], 0 offen offset:12
	buffer_load_dword v134, v128, s[0:3], 0 offen
	buffer_load_dword v135, v128, s[0:3], 0 offen offset:4
	v_mov_b32_e32 v128, s68
	v_cmp_eq_u32_e32 vcc_lo, 0, v125
	s_add_i32 s68, s68, 16
	ds_read_b128 v[130:133], v128
	s_or_b32 s5, vcc_lo, s5
	s_waitcnt vmcnt(2) lgkmcnt(0)
	v_mul_f64 v[136:137], v[132:133], v[126:127]
	v_mul_f64 v[126:127], v[130:131], v[126:127]
	s_waitcnt vmcnt(0)
	v_fma_f64 v[130:131], v[130:131], v[134:135], -v[136:137]
	v_fma_f64 v[126:127], v[132:133], v[134:135], v[126:127]
	v_add_f64 v[1:2], v[1:2], v[130:131]
	v_add_f64 v[3:4], v[3:4], v[126:127]
	s_andn2_b32 exec_lo, exec_lo, s5
	s_cbranch_execnz .LBB122_184
; %bb.185:
	s_or_b32 exec_lo, exec_lo, s5
.LBB122_186:
	s_or_b32 exec_lo, exec_lo, s67
	v_mov_b32_e32 v125, 0
	ds_read_b128 v[125:128], v125 offset:560
	s_waitcnt lgkmcnt(0)
	v_mul_f64 v[130:131], v[3:4], v[127:128]
	v_mul_f64 v[127:128], v[1:2], v[127:128]
	v_fma_f64 v[1:2], v[1:2], v[125:126], -v[130:131]
	v_fma_f64 v[3:4], v[3:4], v[125:126], v[127:128]
	buffer_store_dword v2, off, s[0:3], 0 offset:564
	buffer_store_dword v1, off, s[0:3], 0 offset:560
	;; [unrolled: 1-line block ×4, first 2 shown]
.LBB122_187:
	s_or_b32 exec_lo, exec_lo, s8
	v_mov_b32_e32 v4, s31
	v_cmp_lt_u32_e64 s5, 34, v0
	s_clause 0x3
	buffer_load_dword v1, v4, s[0:3], 0 offen
	buffer_load_dword v2, v4, s[0:3], 0 offen offset:4
	buffer_load_dword v3, v4, s[0:3], 0 offen offset:8
	;; [unrolled: 1-line block ×3, first 2 shown]
	s_waitcnt vmcnt(0)
	ds_write_b128 v124, v[1:4]
	s_waitcnt lgkmcnt(0)
	s_waitcnt_vscnt null, 0x0
	s_barrier
	buffer_gl0_inv
	s_and_saveexec_b32 s8, s5
	s_cbranch_execz .LBB122_195
; %bb.188:
	ds_read_b128 v[1:4], v124
	s_andn2_b32 vcc_lo, exec_lo, s66
	s_cbranch_vccnz .LBB122_190
; %bb.189:
	s_clause 0x3
	buffer_load_dword v125, v123, s[0:3], 0 offen offset:8
	buffer_load_dword v126, v123, s[0:3], 0 offen offset:12
	buffer_load_dword v127, v123, s[0:3], 0 offen
	buffer_load_dword v128, v123, s[0:3], 0 offen offset:4
	s_waitcnt vmcnt(2) lgkmcnt(0)
	v_mul_f64 v[130:131], v[3:4], v[125:126]
	v_mul_f64 v[125:126], v[1:2], v[125:126]
	s_waitcnt vmcnt(0)
	v_fma_f64 v[1:2], v[1:2], v[127:128], -v[130:131]
	v_fma_f64 v[3:4], v[3:4], v[127:128], v[125:126]
.LBB122_190:
	s_and_saveexec_b32 s67, s4
	s_cbranch_execz .LBB122_194
; %bb.191:
	v_subrev_nc_u32_e32 v125, 35, v0
	s_movk_i32 s68, 0x5e0
	s_mov_b32 s4, 0
	s_mov_b32 s69, s30
	.p2align	6
.LBB122_192:                            ; =>This Inner Loop Header: Depth=1
	v_mov_b32_e32 v128, s69
	v_add_nc_u32_e32 v125, -1, v125
	s_add_i32 s69, s69, 16
	s_clause 0x3
	buffer_load_dword v126, v128, s[0:3], 0 offen offset:8
	buffer_load_dword v127, v128, s[0:3], 0 offen offset:12
	buffer_load_dword v134, v128, s[0:3], 0 offen
	buffer_load_dword v135, v128, s[0:3], 0 offen offset:4
	v_mov_b32_e32 v128, s68
	v_cmp_eq_u32_e32 vcc_lo, 0, v125
	s_add_i32 s68, s68, 16
	ds_read_b128 v[130:133], v128
	s_or_b32 s4, vcc_lo, s4
	s_waitcnt vmcnt(2) lgkmcnt(0)
	v_mul_f64 v[136:137], v[132:133], v[126:127]
	v_mul_f64 v[126:127], v[130:131], v[126:127]
	s_waitcnt vmcnt(0)
	v_fma_f64 v[130:131], v[130:131], v[134:135], -v[136:137]
	v_fma_f64 v[126:127], v[132:133], v[134:135], v[126:127]
	v_add_f64 v[1:2], v[1:2], v[130:131]
	v_add_f64 v[3:4], v[3:4], v[126:127]
	s_andn2_b32 exec_lo, exec_lo, s4
	s_cbranch_execnz .LBB122_192
; %bb.193:
	s_or_b32 exec_lo, exec_lo, s4
.LBB122_194:
	s_or_b32 exec_lo, exec_lo, s67
	v_mov_b32_e32 v125, 0
	ds_read_b128 v[125:128], v125 offset:544
	s_waitcnt lgkmcnt(0)
	v_mul_f64 v[130:131], v[3:4], v[127:128]
	v_mul_f64 v[127:128], v[1:2], v[127:128]
	v_fma_f64 v[1:2], v[1:2], v[125:126], -v[130:131]
	v_fma_f64 v[3:4], v[3:4], v[125:126], v[127:128]
	buffer_store_dword v2, off, s[0:3], 0 offset:548
	buffer_store_dword v1, off, s[0:3], 0 offset:544
	;; [unrolled: 1-line block ×4, first 2 shown]
.LBB122_195:
	s_or_b32 exec_lo, exec_lo, s8
	v_mov_b32_e32 v4, s33
	v_cmp_lt_u32_e64 s4, 33, v0
	s_clause 0x3
	buffer_load_dword v1, v4, s[0:3], 0 offen
	buffer_load_dword v2, v4, s[0:3], 0 offen offset:4
	buffer_load_dword v3, v4, s[0:3], 0 offen offset:8
	buffer_load_dword v4, v4, s[0:3], 0 offen offset:12
	s_waitcnt vmcnt(0)
	ds_write_b128 v124, v[1:4]
	s_waitcnt lgkmcnt(0)
	s_waitcnt_vscnt null, 0x0
	s_barrier
	buffer_gl0_inv
	s_and_saveexec_b32 s8, s4
	s_cbranch_execz .LBB122_203
; %bb.196:
	ds_read_b128 v[1:4], v124
	s_andn2_b32 vcc_lo, exec_lo, s66
	s_cbranch_vccnz .LBB122_198
; %bb.197:
	s_clause 0x3
	buffer_load_dword v125, v123, s[0:3], 0 offen offset:8
	buffer_load_dword v126, v123, s[0:3], 0 offen offset:12
	buffer_load_dword v127, v123, s[0:3], 0 offen
	buffer_load_dword v128, v123, s[0:3], 0 offen offset:4
	s_waitcnt vmcnt(2) lgkmcnt(0)
	v_mul_f64 v[130:131], v[3:4], v[125:126]
	v_mul_f64 v[125:126], v[1:2], v[125:126]
	s_waitcnt vmcnt(0)
	v_fma_f64 v[1:2], v[1:2], v[127:128], -v[130:131]
	v_fma_f64 v[3:4], v[3:4], v[127:128], v[125:126]
.LBB122_198:
	s_and_saveexec_b32 s67, s5
	s_cbranch_execz .LBB122_202
; %bb.199:
	v_subrev_nc_u32_e32 v125, 34, v0
	s_movk_i32 s68, 0x5d0
	s_mov_b32 s5, 0
	s_mov_b32 s69, s31
	.p2align	6
.LBB122_200:                            ; =>This Inner Loop Header: Depth=1
	v_mov_b32_e32 v128, s69
	v_add_nc_u32_e32 v125, -1, v125
	s_add_i32 s69, s69, 16
	s_clause 0x3
	buffer_load_dword v126, v128, s[0:3], 0 offen offset:8
	buffer_load_dword v127, v128, s[0:3], 0 offen offset:12
	buffer_load_dword v134, v128, s[0:3], 0 offen
	buffer_load_dword v135, v128, s[0:3], 0 offen offset:4
	v_mov_b32_e32 v128, s68
	v_cmp_eq_u32_e32 vcc_lo, 0, v125
	s_add_i32 s68, s68, 16
	ds_read_b128 v[130:133], v128
	s_or_b32 s5, vcc_lo, s5
	s_waitcnt vmcnt(2) lgkmcnt(0)
	v_mul_f64 v[136:137], v[132:133], v[126:127]
	v_mul_f64 v[126:127], v[130:131], v[126:127]
	s_waitcnt vmcnt(0)
	v_fma_f64 v[130:131], v[130:131], v[134:135], -v[136:137]
	v_fma_f64 v[126:127], v[132:133], v[134:135], v[126:127]
	v_add_f64 v[1:2], v[1:2], v[130:131]
	v_add_f64 v[3:4], v[3:4], v[126:127]
	s_andn2_b32 exec_lo, exec_lo, s5
	s_cbranch_execnz .LBB122_200
; %bb.201:
	s_or_b32 exec_lo, exec_lo, s5
.LBB122_202:
	s_or_b32 exec_lo, exec_lo, s67
	v_mov_b32_e32 v125, 0
	ds_read_b128 v[125:128], v125 offset:528
	s_waitcnt lgkmcnt(0)
	v_mul_f64 v[130:131], v[3:4], v[127:128]
	v_mul_f64 v[127:128], v[1:2], v[127:128]
	v_fma_f64 v[1:2], v[1:2], v[125:126], -v[130:131]
	v_fma_f64 v[3:4], v[3:4], v[125:126], v[127:128]
	buffer_store_dword v2, off, s[0:3], 0 offset:532
	buffer_store_dword v1, off, s[0:3], 0 offset:528
	;; [unrolled: 1-line block ×4, first 2 shown]
.LBB122_203:
	s_or_b32 exec_lo, exec_lo, s8
	v_mov_b32_e32 v4, s34
	v_cmp_lt_u32_e64 s5, 32, v0
	s_clause 0x3
	buffer_load_dword v1, v4, s[0:3], 0 offen
	buffer_load_dword v2, v4, s[0:3], 0 offen offset:4
	buffer_load_dword v3, v4, s[0:3], 0 offen offset:8
	;; [unrolled: 1-line block ×3, first 2 shown]
	s_waitcnt vmcnt(0)
	ds_write_b128 v124, v[1:4]
	s_waitcnt lgkmcnt(0)
	s_waitcnt_vscnt null, 0x0
	s_barrier
	buffer_gl0_inv
	s_and_saveexec_b32 s8, s5
	s_cbranch_execz .LBB122_211
; %bb.204:
	ds_read_b128 v[1:4], v124
	s_andn2_b32 vcc_lo, exec_lo, s66
	s_cbranch_vccnz .LBB122_206
; %bb.205:
	s_clause 0x3
	buffer_load_dword v125, v123, s[0:3], 0 offen offset:8
	buffer_load_dword v126, v123, s[0:3], 0 offen offset:12
	buffer_load_dword v127, v123, s[0:3], 0 offen
	buffer_load_dword v128, v123, s[0:3], 0 offen offset:4
	s_waitcnt vmcnt(2) lgkmcnt(0)
	v_mul_f64 v[130:131], v[3:4], v[125:126]
	v_mul_f64 v[125:126], v[1:2], v[125:126]
	s_waitcnt vmcnt(0)
	v_fma_f64 v[1:2], v[1:2], v[127:128], -v[130:131]
	v_fma_f64 v[3:4], v[3:4], v[127:128], v[125:126]
.LBB122_206:
	s_and_saveexec_b32 s67, s4
	s_cbranch_execz .LBB122_210
; %bb.207:
	v_subrev_nc_u32_e32 v125, 33, v0
	s_movk_i32 s68, 0x5c0
	s_mov_b32 s4, 0
	s_mov_b32 s69, s33
	.p2align	6
.LBB122_208:                            ; =>This Inner Loop Header: Depth=1
	v_mov_b32_e32 v128, s69
	v_add_nc_u32_e32 v125, -1, v125
	s_add_i32 s69, s69, 16
	s_clause 0x3
	buffer_load_dword v126, v128, s[0:3], 0 offen offset:8
	buffer_load_dword v127, v128, s[0:3], 0 offen offset:12
	buffer_load_dword v134, v128, s[0:3], 0 offen
	buffer_load_dword v135, v128, s[0:3], 0 offen offset:4
	v_mov_b32_e32 v128, s68
	v_cmp_eq_u32_e32 vcc_lo, 0, v125
	s_add_i32 s68, s68, 16
	ds_read_b128 v[130:133], v128
	s_or_b32 s4, vcc_lo, s4
	s_waitcnt vmcnt(2) lgkmcnt(0)
	v_mul_f64 v[136:137], v[132:133], v[126:127]
	v_mul_f64 v[126:127], v[130:131], v[126:127]
	s_waitcnt vmcnt(0)
	v_fma_f64 v[130:131], v[130:131], v[134:135], -v[136:137]
	v_fma_f64 v[126:127], v[132:133], v[134:135], v[126:127]
	v_add_f64 v[1:2], v[1:2], v[130:131]
	v_add_f64 v[3:4], v[3:4], v[126:127]
	s_andn2_b32 exec_lo, exec_lo, s4
	s_cbranch_execnz .LBB122_208
; %bb.209:
	s_or_b32 exec_lo, exec_lo, s4
.LBB122_210:
	s_or_b32 exec_lo, exec_lo, s67
	v_mov_b32_e32 v125, 0
	ds_read_b128 v[125:128], v125 offset:512
	s_waitcnt lgkmcnt(0)
	v_mul_f64 v[130:131], v[3:4], v[127:128]
	v_mul_f64 v[127:128], v[1:2], v[127:128]
	v_fma_f64 v[1:2], v[1:2], v[125:126], -v[130:131]
	v_fma_f64 v[3:4], v[3:4], v[125:126], v[127:128]
	buffer_store_dword v2, off, s[0:3], 0 offset:516
	buffer_store_dword v1, off, s[0:3], 0 offset:512
	buffer_store_dword v4, off, s[0:3], 0 offset:524
	buffer_store_dword v3, off, s[0:3], 0 offset:520
.LBB122_211:
	s_or_b32 exec_lo, exec_lo, s8
	v_mov_b32_e32 v4, s35
	v_cmp_lt_u32_e64 s4, 31, v0
	s_clause 0x3
	buffer_load_dword v1, v4, s[0:3], 0 offen
	buffer_load_dword v2, v4, s[0:3], 0 offen offset:4
	buffer_load_dword v3, v4, s[0:3], 0 offen offset:8
	;; [unrolled: 1-line block ×3, first 2 shown]
	s_waitcnt vmcnt(0)
	ds_write_b128 v124, v[1:4]
	s_waitcnt lgkmcnt(0)
	s_waitcnt_vscnt null, 0x0
	s_barrier
	buffer_gl0_inv
	s_and_saveexec_b32 s8, s4
	s_cbranch_execz .LBB122_219
; %bb.212:
	ds_read_b128 v[1:4], v124
	s_andn2_b32 vcc_lo, exec_lo, s66
	s_cbranch_vccnz .LBB122_214
; %bb.213:
	s_clause 0x3
	buffer_load_dword v125, v123, s[0:3], 0 offen offset:8
	buffer_load_dword v126, v123, s[0:3], 0 offen offset:12
	buffer_load_dword v127, v123, s[0:3], 0 offen
	buffer_load_dword v128, v123, s[0:3], 0 offen offset:4
	s_waitcnt vmcnt(2) lgkmcnt(0)
	v_mul_f64 v[130:131], v[3:4], v[125:126]
	v_mul_f64 v[125:126], v[1:2], v[125:126]
	s_waitcnt vmcnt(0)
	v_fma_f64 v[1:2], v[1:2], v[127:128], -v[130:131]
	v_fma_f64 v[3:4], v[3:4], v[127:128], v[125:126]
.LBB122_214:
	s_and_saveexec_b32 s67, s5
	s_cbranch_execz .LBB122_218
; %bb.215:
	v_subrev_nc_u32_e32 v125, 32, v0
	s_movk_i32 s68, 0x5b0
	s_mov_b32 s5, 0
	s_mov_b32 s69, s34
	.p2align	6
.LBB122_216:                            ; =>This Inner Loop Header: Depth=1
	v_mov_b32_e32 v128, s69
	v_add_nc_u32_e32 v125, -1, v125
	s_add_i32 s69, s69, 16
	s_clause 0x3
	buffer_load_dword v126, v128, s[0:3], 0 offen offset:8
	buffer_load_dword v127, v128, s[0:3], 0 offen offset:12
	buffer_load_dword v134, v128, s[0:3], 0 offen
	buffer_load_dword v135, v128, s[0:3], 0 offen offset:4
	v_mov_b32_e32 v128, s68
	v_cmp_eq_u32_e32 vcc_lo, 0, v125
	s_add_i32 s68, s68, 16
	ds_read_b128 v[130:133], v128
	s_or_b32 s5, vcc_lo, s5
	s_waitcnt vmcnt(2) lgkmcnt(0)
	v_mul_f64 v[136:137], v[132:133], v[126:127]
	v_mul_f64 v[126:127], v[130:131], v[126:127]
	s_waitcnt vmcnt(0)
	v_fma_f64 v[130:131], v[130:131], v[134:135], -v[136:137]
	v_fma_f64 v[126:127], v[132:133], v[134:135], v[126:127]
	v_add_f64 v[1:2], v[1:2], v[130:131]
	v_add_f64 v[3:4], v[3:4], v[126:127]
	s_andn2_b32 exec_lo, exec_lo, s5
	s_cbranch_execnz .LBB122_216
; %bb.217:
	s_or_b32 exec_lo, exec_lo, s5
.LBB122_218:
	s_or_b32 exec_lo, exec_lo, s67
	v_mov_b32_e32 v125, 0
	ds_read_b128 v[125:128], v125 offset:496
	s_waitcnt lgkmcnt(0)
	v_mul_f64 v[130:131], v[3:4], v[127:128]
	v_mul_f64 v[127:128], v[1:2], v[127:128]
	v_fma_f64 v[1:2], v[1:2], v[125:126], -v[130:131]
	v_fma_f64 v[3:4], v[3:4], v[125:126], v[127:128]
	buffer_store_dword v2, off, s[0:3], 0 offset:500
	buffer_store_dword v1, off, s[0:3], 0 offset:496
	;; [unrolled: 1-line block ×4, first 2 shown]
.LBB122_219:
	s_or_b32 exec_lo, exec_lo, s8
	v_mov_b32_e32 v4, s36
	v_cmp_lt_u32_e64 s5, 30, v0
	s_clause 0x3
	buffer_load_dword v1, v4, s[0:3], 0 offen
	buffer_load_dword v2, v4, s[0:3], 0 offen offset:4
	buffer_load_dword v3, v4, s[0:3], 0 offen offset:8
	;; [unrolled: 1-line block ×3, first 2 shown]
	s_waitcnt vmcnt(0)
	ds_write_b128 v124, v[1:4]
	s_waitcnt lgkmcnt(0)
	s_waitcnt_vscnt null, 0x0
	s_barrier
	buffer_gl0_inv
	s_and_saveexec_b32 s8, s5
	s_cbranch_execz .LBB122_227
; %bb.220:
	ds_read_b128 v[1:4], v124
	s_andn2_b32 vcc_lo, exec_lo, s66
	s_cbranch_vccnz .LBB122_222
; %bb.221:
	s_clause 0x3
	buffer_load_dword v125, v123, s[0:3], 0 offen offset:8
	buffer_load_dword v126, v123, s[0:3], 0 offen offset:12
	buffer_load_dword v127, v123, s[0:3], 0 offen
	buffer_load_dword v128, v123, s[0:3], 0 offen offset:4
	s_waitcnt vmcnt(2) lgkmcnt(0)
	v_mul_f64 v[130:131], v[3:4], v[125:126]
	v_mul_f64 v[125:126], v[1:2], v[125:126]
	s_waitcnt vmcnt(0)
	v_fma_f64 v[1:2], v[1:2], v[127:128], -v[130:131]
	v_fma_f64 v[3:4], v[3:4], v[127:128], v[125:126]
.LBB122_222:
	s_and_saveexec_b32 s67, s4
	s_cbranch_execz .LBB122_226
; %bb.223:
	v_subrev_nc_u32_e32 v125, 31, v0
	s_movk_i32 s68, 0x5a0
	s_mov_b32 s4, 0
	s_mov_b32 s69, s35
	.p2align	6
.LBB122_224:                            ; =>This Inner Loop Header: Depth=1
	v_mov_b32_e32 v128, s69
	v_add_nc_u32_e32 v125, -1, v125
	s_add_i32 s69, s69, 16
	s_clause 0x3
	buffer_load_dword v126, v128, s[0:3], 0 offen offset:8
	buffer_load_dword v127, v128, s[0:3], 0 offen offset:12
	buffer_load_dword v134, v128, s[0:3], 0 offen
	buffer_load_dword v135, v128, s[0:3], 0 offen offset:4
	v_mov_b32_e32 v128, s68
	v_cmp_eq_u32_e32 vcc_lo, 0, v125
	s_add_i32 s68, s68, 16
	ds_read_b128 v[130:133], v128
	s_or_b32 s4, vcc_lo, s4
	s_waitcnt vmcnt(2) lgkmcnt(0)
	v_mul_f64 v[136:137], v[132:133], v[126:127]
	v_mul_f64 v[126:127], v[130:131], v[126:127]
	s_waitcnt vmcnt(0)
	v_fma_f64 v[130:131], v[130:131], v[134:135], -v[136:137]
	v_fma_f64 v[126:127], v[132:133], v[134:135], v[126:127]
	v_add_f64 v[1:2], v[1:2], v[130:131]
	v_add_f64 v[3:4], v[3:4], v[126:127]
	s_andn2_b32 exec_lo, exec_lo, s4
	s_cbranch_execnz .LBB122_224
; %bb.225:
	s_or_b32 exec_lo, exec_lo, s4
.LBB122_226:
	s_or_b32 exec_lo, exec_lo, s67
	v_mov_b32_e32 v125, 0
	ds_read_b128 v[125:128], v125 offset:480
	s_waitcnt lgkmcnt(0)
	v_mul_f64 v[130:131], v[3:4], v[127:128]
	v_mul_f64 v[127:128], v[1:2], v[127:128]
	v_fma_f64 v[1:2], v[1:2], v[125:126], -v[130:131]
	v_fma_f64 v[3:4], v[3:4], v[125:126], v[127:128]
	buffer_store_dword v2, off, s[0:3], 0 offset:484
	buffer_store_dword v1, off, s[0:3], 0 offset:480
	;; [unrolled: 1-line block ×4, first 2 shown]
.LBB122_227:
	s_or_b32 exec_lo, exec_lo, s8
	v_mov_b32_e32 v4, s37
	v_cmp_lt_u32_e64 s4, 29, v0
	s_clause 0x3
	buffer_load_dword v1, v4, s[0:3], 0 offen
	buffer_load_dword v2, v4, s[0:3], 0 offen offset:4
	buffer_load_dword v3, v4, s[0:3], 0 offen offset:8
	;; [unrolled: 1-line block ×3, first 2 shown]
	s_waitcnt vmcnt(0)
	ds_write_b128 v124, v[1:4]
	s_waitcnt lgkmcnt(0)
	s_waitcnt_vscnt null, 0x0
	s_barrier
	buffer_gl0_inv
	s_and_saveexec_b32 s8, s4
	s_cbranch_execz .LBB122_235
; %bb.228:
	ds_read_b128 v[1:4], v124
	s_andn2_b32 vcc_lo, exec_lo, s66
	s_cbranch_vccnz .LBB122_230
; %bb.229:
	s_clause 0x3
	buffer_load_dword v125, v123, s[0:3], 0 offen offset:8
	buffer_load_dword v126, v123, s[0:3], 0 offen offset:12
	buffer_load_dword v127, v123, s[0:3], 0 offen
	buffer_load_dword v128, v123, s[0:3], 0 offen offset:4
	s_waitcnt vmcnt(2) lgkmcnt(0)
	v_mul_f64 v[130:131], v[3:4], v[125:126]
	v_mul_f64 v[125:126], v[1:2], v[125:126]
	s_waitcnt vmcnt(0)
	v_fma_f64 v[1:2], v[1:2], v[127:128], -v[130:131]
	v_fma_f64 v[3:4], v[3:4], v[127:128], v[125:126]
.LBB122_230:
	s_and_saveexec_b32 s67, s5
	s_cbranch_execz .LBB122_234
; %bb.231:
	v_subrev_nc_u32_e32 v125, 30, v0
	s_movk_i32 s68, 0x590
	s_mov_b32 s5, 0
	s_mov_b32 s69, s36
	.p2align	6
.LBB122_232:                            ; =>This Inner Loop Header: Depth=1
	v_mov_b32_e32 v128, s69
	v_add_nc_u32_e32 v125, -1, v125
	s_add_i32 s69, s69, 16
	s_clause 0x3
	buffer_load_dword v126, v128, s[0:3], 0 offen offset:8
	buffer_load_dword v127, v128, s[0:3], 0 offen offset:12
	buffer_load_dword v134, v128, s[0:3], 0 offen
	buffer_load_dword v135, v128, s[0:3], 0 offen offset:4
	v_mov_b32_e32 v128, s68
	v_cmp_eq_u32_e32 vcc_lo, 0, v125
	s_add_i32 s68, s68, 16
	ds_read_b128 v[130:133], v128
	s_or_b32 s5, vcc_lo, s5
	s_waitcnt vmcnt(2) lgkmcnt(0)
	v_mul_f64 v[136:137], v[132:133], v[126:127]
	v_mul_f64 v[126:127], v[130:131], v[126:127]
	s_waitcnt vmcnt(0)
	v_fma_f64 v[130:131], v[130:131], v[134:135], -v[136:137]
	v_fma_f64 v[126:127], v[132:133], v[134:135], v[126:127]
	v_add_f64 v[1:2], v[1:2], v[130:131]
	v_add_f64 v[3:4], v[3:4], v[126:127]
	s_andn2_b32 exec_lo, exec_lo, s5
	s_cbranch_execnz .LBB122_232
; %bb.233:
	s_or_b32 exec_lo, exec_lo, s5
.LBB122_234:
	s_or_b32 exec_lo, exec_lo, s67
	v_mov_b32_e32 v125, 0
	ds_read_b128 v[125:128], v125 offset:464
	s_waitcnt lgkmcnt(0)
	v_mul_f64 v[130:131], v[3:4], v[127:128]
	v_mul_f64 v[127:128], v[1:2], v[127:128]
	v_fma_f64 v[1:2], v[1:2], v[125:126], -v[130:131]
	v_fma_f64 v[3:4], v[3:4], v[125:126], v[127:128]
	buffer_store_dword v2, off, s[0:3], 0 offset:468
	buffer_store_dword v1, off, s[0:3], 0 offset:464
	;; [unrolled: 1-line block ×4, first 2 shown]
.LBB122_235:
	s_or_b32 exec_lo, exec_lo, s8
	v_mov_b32_e32 v4, s38
	v_cmp_lt_u32_e64 s5, 28, v0
	s_clause 0x3
	buffer_load_dword v1, v4, s[0:3], 0 offen
	buffer_load_dword v2, v4, s[0:3], 0 offen offset:4
	buffer_load_dword v3, v4, s[0:3], 0 offen offset:8
	;; [unrolled: 1-line block ×3, first 2 shown]
	s_waitcnt vmcnt(0)
	ds_write_b128 v124, v[1:4]
	s_waitcnt lgkmcnt(0)
	s_waitcnt_vscnt null, 0x0
	s_barrier
	buffer_gl0_inv
	s_and_saveexec_b32 s8, s5
	s_cbranch_execz .LBB122_243
; %bb.236:
	ds_read_b128 v[1:4], v124
	s_andn2_b32 vcc_lo, exec_lo, s66
	s_cbranch_vccnz .LBB122_238
; %bb.237:
	s_clause 0x3
	buffer_load_dword v125, v123, s[0:3], 0 offen offset:8
	buffer_load_dword v126, v123, s[0:3], 0 offen offset:12
	buffer_load_dword v127, v123, s[0:3], 0 offen
	buffer_load_dword v128, v123, s[0:3], 0 offen offset:4
	s_waitcnt vmcnt(2) lgkmcnt(0)
	v_mul_f64 v[130:131], v[3:4], v[125:126]
	v_mul_f64 v[125:126], v[1:2], v[125:126]
	s_waitcnt vmcnt(0)
	v_fma_f64 v[1:2], v[1:2], v[127:128], -v[130:131]
	v_fma_f64 v[3:4], v[3:4], v[127:128], v[125:126]
.LBB122_238:
	s_and_saveexec_b32 s67, s4
	s_cbranch_execz .LBB122_242
; %bb.239:
	v_subrev_nc_u32_e32 v125, 29, v0
	s_movk_i32 s68, 0x580
	s_mov_b32 s4, 0
	s_mov_b32 s69, s37
	.p2align	6
.LBB122_240:                            ; =>This Inner Loop Header: Depth=1
	v_mov_b32_e32 v128, s69
	v_add_nc_u32_e32 v125, -1, v125
	s_add_i32 s69, s69, 16
	s_clause 0x3
	buffer_load_dword v126, v128, s[0:3], 0 offen offset:8
	buffer_load_dword v127, v128, s[0:3], 0 offen offset:12
	buffer_load_dword v134, v128, s[0:3], 0 offen
	buffer_load_dword v135, v128, s[0:3], 0 offen offset:4
	v_mov_b32_e32 v128, s68
	v_cmp_eq_u32_e32 vcc_lo, 0, v125
	s_add_i32 s68, s68, 16
	ds_read_b128 v[130:133], v128
	s_or_b32 s4, vcc_lo, s4
	s_waitcnt vmcnt(2) lgkmcnt(0)
	v_mul_f64 v[136:137], v[132:133], v[126:127]
	v_mul_f64 v[126:127], v[130:131], v[126:127]
	s_waitcnt vmcnt(0)
	v_fma_f64 v[130:131], v[130:131], v[134:135], -v[136:137]
	v_fma_f64 v[126:127], v[132:133], v[134:135], v[126:127]
	v_add_f64 v[1:2], v[1:2], v[130:131]
	v_add_f64 v[3:4], v[3:4], v[126:127]
	s_andn2_b32 exec_lo, exec_lo, s4
	s_cbranch_execnz .LBB122_240
; %bb.241:
	s_or_b32 exec_lo, exec_lo, s4
.LBB122_242:
	s_or_b32 exec_lo, exec_lo, s67
	v_mov_b32_e32 v125, 0
	ds_read_b128 v[125:128], v125 offset:448
	s_waitcnt lgkmcnt(0)
	v_mul_f64 v[130:131], v[3:4], v[127:128]
	v_mul_f64 v[127:128], v[1:2], v[127:128]
	v_fma_f64 v[1:2], v[1:2], v[125:126], -v[130:131]
	v_fma_f64 v[3:4], v[3:4], v[125:126], v[127:128]
	buffer_store_dword v2, off, s[0:3], 0 offset:452
	buffer_store_dword v1, off, s[0:3], 0 offset:448
	;; [unrolled: 1-line block ×4, first 2 shown]
.LBB122_243:
	s_or_b32 exec_lo, exec_lo, s8
	v_mov_b32_e32 v4, s39
	v_cmp_lt_u32_e64 s4, 27, v0
	s_clause 0x3
	buffer_load_dword v1, v4, s[0:3], 0 offen
	buffer_load_dword v2, v4, s[0:3], 0 offen offset:4
	buffer_load_dword v3, v4, s[0:3], 0 offen offset:8
	buffer_load_dword v4, v4, s[0:3], 0 offen offset:12
	s_waitcnt vmcnt(0)
	ds_write_b128 v124, v[1:4]
	s_waitcnt lgkmcnt(0)
	s_waitcnt_vscnt null, 0x0
	s_barrier
	buffer_gl0_inv
	s_and_saveexec_b32 s8, s4
	s_cbranch_execz .LBB122_251
; %bb.244:
	ds_read_b128 v[1:4], v124
	s_andn2_b32 vcc_lo, exec_lo, s66
	s_cbranch_vccnz .LBB122_246
; %bb.245:
	s_clause 0x3
	buffer_load_dword v125, v123, s[0:3], 0 offen offset:8
	buffer_load_dword v126, v123, s[0:3], 0 offen offset:12
	buffer_load_dword v127, v123, s[0:3], 0 offen
	buffer_load_dword v128, v123, s[0:3], 0 offen offset:4
	s_waitcnt vmcnt(2) lgkmcnt(0)
	v_mul_f64 v[130:131], v[3:4], v[125:126]
	v_mul_f64 v[125:126], v[1:2], v[125:126]
	s_waitcnt vmcnt(0)
	v_fma_f64 v[1:2], v[1:2], v[127:128], -v[130:131]
	v_fma_f64 v[3:4], v[3:4], v[127:128], v[125:126]
.LBB122_246:
	s_and_saveexec_b32 s67, s5
	s_cbranch_execz .LBB122_250
; %bb.247:
	v_subrev_nc_u32_e32 v125, 28, v0
	s_movk_i32 s68, 0x570
	s_mov_b32 s5, 0
	s_mov_b32 s69, s38
	.p2align	6
.LBB122_248:                            ; =>This Inner Loop Header: Depth=1
	v_mov_b32_e32 v128, s69
	v_add_nc_u32_e32 v125, -1, v125
	s_add_i32 s69, s69, 16
	s_clause 0x3
	buffer_load_dword v126, v128, s[0:3], 0 offen offset:8
	buffer_load_dword v127, v128, s[0:3], 0 offen offset:12
	buffer_load_dword v134, v128, s[0:3], 0 offen
	buffer_load_dword v135, v128, s[0:3], 0 offen offset:4
	v_mov_b32_e32 v128, s68
	v_cmp_eq_u32_e32 vcc_lo, 0, v125
	s_add_i32 s68, s68, 16
	ds_read_b128 v[130:133], v128
	s_or_b32 s5, vcc_lo, s5
	s_waitcnt vmcnt(2) lgkmcnt(0)
	v_mul_f64 v[136:137], v[132:133], v[126:127]
	v_mul_f64 v[126:127], v[130:131], v[126:127]
	s_waitcnt vmcnt(0)
	v_fma_f64 v[130:131], v[130:131], v[134:135], -v[136:137]
	v_fma_f64 v[126:127], v[132:133], v[134:135], v[126:127]
	v_add_f64 v[1:2], v[1:2], v[130:131]
	v_add_f64 v[3:4], v[3:4], v[126:127]
	s_andn2_b32 exec_lo, exec_lo, s5
	s_cbranch_execnz .LBB122_248
; %bb.249:
	s_or_b32 exec_lo, exec_lo, s5
.LBB122_250:
	s_or_b32 exec_lo, exec_lo, s67
	v_mov_b32_e32 v125, 0
	ds_read_b128 v[125:128], v125 offset:432
	s_waitcnt lgkmcnt(0)
	v_mul_f64 v[130:131], v[3:4], v[127:128]
	v_mul_f64 v[127:128], v[1:2], v[127:128]
	v_fma_f64 v[1:2], v[1:2], v[125:126], -v[130:131]
	v_fma_f64 v[3:4], v[3:4], v[125:126], v[127:128]
	buffer_store_dword v2, off, s[0:3], 0 offset:436
	buffer_store_dword v1, off, s[0:3], 0 offset:432
	;; [unrolled: 1-line block ×4, first 2 shown]
.LBB122_251:
	s_or_b32 exec_lo, exec_lo, s8
	v_mov_b32_e32 v4, s40
	v_cmp_lt_u32_e64 s5, 26, v0
	s_clause 0x3
	buffer_load_dword v1, v4, s[0:3], 0 offen
	buffer_load_dword v2, v4, s[0:3], 0 offen offset:4
	buffer_load_dword v3, v4, s[0:3], 0 offen offset:8
	;; [unrolled: 1-line block ×3, first 2 shown]
	s_waitcnt vmcnt(0)
	ds_write_b128 v124, v[1:4]
	s_waitcnt lgkmcnt(0)
	s_waitcnt_vscnt null, 0x0
	s_barrier
	buffer_gl0_inv
	s_and_saveexec_b32 s8, s5
	s_cbranch_execz .LBB122_259
; %bb.252:
	ds_read_b128 v[1:4], v124
	s_andn2_b32 vcc_lo, exec_lo, s66
	s_cbranch_vccnz .LBB122_254
; %bb.253:
	s_clause 0x3
	buffer_load_dword v125, v123, s[0:3], 0 offen offset:8
	buffer_load_dword v126, v123, s[0:3], 0 offen offset:12
	buffer_load_dword v127, v123, s[0:3], 0 offen
	buffer_load_dword v128, v123, s[0:3], 0 offen offset:4
	s_waitcnt vmcnt(2) lgkmcnt(0)
	v_mul_f64 v[130:131], v[3:4], v[125:126]
	v_mul_f64 v[125:126], v[1:2], v[125:126]
	s_waitcnt vmcnt(0)
	v_fma_f64 v[1:2], v[1:2], v[127:128], -v[130:131]
	v_fma_f64 v[3:4], v[3:4], v[127:128], v[125:126]
.LBB122_254:
	s_and_saveexec_b32 s67, s4
	s_cbranch_execz .LBB122_258
; %bb.255:
	v_subrev_nc_u32_e32 v125, 27, v0
	s_movk_i32 s68, 0x560
	s_mov_b32 s4, 0
	s_mov_b32 s69, s39
	.p2align	6
.LBB122_256:                            ; =>This Inner Loop Header: Depth=1
	v_mov_b32_e32 v128, s69
	v_add_nc_u32_e32 v125, -1, v125
	s_add_i32 s69, s69, 16
	s_clause 0x3
	buffer_load_dword v126, v128, s[0:3], 0 offen offset:8
	buffer_load_dword v127, v128, s[0:3], 0 offen offset:12
	buffer_load_dword v134, v128, s[0:3], 0 offen
	buffer_load_dword v135, v128, s[0:3], 0 offen offset:4
	v_mov_b32_e32 v128, s68
	v_cmp_eq_u32_e32 vcc_lo, 0, v125
	s_add_i32 s68, s68, 16
	ds_read_b128 v[130:133], v128
	s_or_b32 s4, vcc_lo, s4
	s_waitcnt vmcnt(2) lgkmcnt(0)
	v_mul_f64 v[136:137], v[132:133], v[126:127]
	v_mul_f64 v[126:127], v[130:131], v[126:127]
	s_waitcnt vmcnt(0)
	v_fma_f64 v[130:131], v[130:131], v[134:135], -v[136:137]
	v_fma_f64 v[126:127], v[132:133], v[134:135], v[126:127]
	v_add_f64 v[1:2], v[1:2], v[130:131]
	v_add_f64 v[3:4], v[3:4], v[126:127]
	s_andn2_b32 exec_lo, exec_lo, s4
	s_cbranch_execnz .LBB122_256
; %bb.257:
	s_or_b32 exec_lo, exec_lo, s4
.LBB122_258:
	s_or_b32 exec_lo, exec_lo, s67
	v_mov_b32_e32 v125, 0
	ds_read_b128 v[125:128], v125 offset:416
	s_waitcnt lgkmcnt(0)
	v_mul_f64 v[130:131], v[3:4], v[127:128]
	v_mul_f64 v[127:128], v[1:2], v[127:128]
	v_fma_f64 v[1:2], v[1:2], v[125:126], -v[130:131]
	v_fma_f64 v[3:4], v[3:4], v[125:126], v[127:128]
	buffer_store_dword v2, off, s[0:3], 0 offset:420
	buffer_store_dword v1, off, s[0:3], 0 offset:416
	;; [unrolled: 1-line block ×4, first 2 shown]
.LBB122_259:
	s_or_b32 exec_lo, exec_lo, s8
	v_mov_b32_e32 v4, s41
	v_cmp_lt_u32_e64 s4, 25, v0
	s_clause 0x3
	buffer_load_dword v1, v4, s[0:3], 0 offen
	buffer_load_dword v2, v4, s[0:3], 0 offen offset:4
	buffer_load_dword v3, v4, s[0:3], 0 offen offset:8
	;; [unrolled: 1-line block ×3, first 2 shown]
	s_waitcnt vmcnt(0)
	ds_write_b128 v124, v[1:4]
	s_waitcnt lgkmcnt(0)
	s_waitcnt_vscnt null, 0x0
	s_barrier
	buffer_gl0_inv
	s_and_saveexec_b32 s8, s4
	s_cbranch_execz .LBB122_267
; %bb.260:
	ds_read_b128 v[1:4], v124
	s_andn2_b32 vcc_lo, exec_lo, s66
	s_cbranch_vccnz .LBB122_262
; %bb.261:
	s_clause 0x3
	buffer_load_dword v125, v123, s[0:3], 0 offen offset:8
	buffer_load_dword v126, v123, s[0:3], 0 offen offset:12
	buffer_load_dword v127, v123, s[0:3], 0 offen
	buffer_load_dword v128, v123, s[0:3], 0 offen offset:4
	s_waitcnt vmcnt(2) lgkmcnt(0)
	v_mul_f64 v[130:131], v[3:4], v[125:126]
	v_mul_f64 v[125:126], v[1:2], v[125:126]
	s_waitcnt vmcnt(0)
	v_fma_f64 v[1:2], v[1:2], v[127:128], -v[130:131]
	v_fma_f64 v[3:4], v[3:4], v[127:128], v[125:126]
.LBB122_262:
	s_and_saveexec_b32 s67, s5
	s_cbranch_execz .LBB122_266
; %bb.263:
	v_subrev_nc_u32_e32 v125, 26, v0
	s_movk_i32 s68, 0x550
	s_mov_b32 s5, 0
	s_mov_b32 s69, s40
	.p2align	6
.LBB122_264:                            ; =>This Inner Loop Header: Depth=1
	v_mov_b32_e32 v128, s69
	v_add_nc_u32_e32 v125, -1, v125
	s_add_i32 s69, s69, 16
	s_clause 0x3
	buffer_load_dword v126, v128, s[0:3], 0 offen offset:8
	buffer_load_dword v127, v128, s[0:3], 0 offen offset:12
	buffer_load_dword v134, v128, s[0:3], 0 offen
	buffer_load_dword v135, v128, s[0:3], 0 offen offset:4
	v_mov_b32_e32 v128, s68
	v_cmp_eq_u32_e32 vcc_lo, 0, v125
	s_add_i32 s68, s68, 16
	ds_read_b128 v[130:133], v128
	s_or_b32 s5, vcc_lo, s5
	s_waitcnt vmcnt(2) lgkmcnt(0)
	v_mul_f64 v[136:137], v[132:133], v[126:127]
	v_mul_f64 v[126:127], v[130:131], v[126:127]
	s_waitcnt vmcnt(0)
	v_fma_f64 v[130:131], v[130:131], v[134:135], -v[136:137]
	v_fma_f64 v[126:127], v[132:133], v[134:135], v[126:127]
	v_add_f64 v[1:2], v[1:2], v[130:131]
	v_add_f64 v[3:4], v[3:4], v[126:127]
	s_andn2_b32 exec_lo, exec_lo, s5
	s_cbranch_execnz .LBB122_264
; %bb.265:
	s_or_b32 exec_lo, exec_lo, s5
.LBB122_266:
	s_or_b32 exec_lo, exec_lo, s67
	v_mov_b32_e32 v125, 0
	ds_read_b128 v[125:128], v125 offset:400
	s_waitcnt lgkmcnt(0)
	v_mul_f64 v[130:131], v[3:4], v[127:128]
	v_mul_f64 v[127:128], v[1:2], v[127:128]
	v_fma_f64 v[1:2], v[1:2], v[125:126], -v[130:131]
	v_fma_f64 v[3:4], v[3:4], v[125:126], v[127:128]
	buffer_store_dword v2, off, s[0:3], 0 offset:404
	buffer_store_dword v1, off, s[0:3], 0 offset:400
	;; [unrolled: 1-line block ×4, first 2 shown]
.LBB122_267:
	s_or_b32 exec_lo, exec_lo, s8
	v_mov_b32_e32 v4, s42
	v_cmp_lt_u32_e64 s5, 24, v0
	s_clause 0x3
	buffer_load_dword v1, v4, s[0:3], 0 offen
	buffer_load_dword v2, v4, s[0:3], 0 offen offset:4
	buffer_load_dword v3, v4, s[0:3], 0 offen offset:8
	buffer_load_dword v4, v4, s[0:3], 0 offen offset:12
	s_waitcnt vmcnt(0)
	ds_write_b128 v124, v[1:4]
	s_waitcnt lgkmcnt(0)
	s_waitcnt_vscnt null, 0x0
	s_barrier
	buffer_gl0_inv
	s_and_saveexec_b32 s8, s5
	s_cbranch_execz .LBB122_275
; %bb.268:
	ds_read_b128 v[1:4], v124
	s_andn2_b32 vcc_lo, exec_lo, s66
	s_cbranch_vccnz .LBB122_270
; %bb.269:
	s_clause 0x3
	buffer_load_dword v125, v123, s[0:3], 0 offen offset:8
	buffer_load_dword v126, v123, s[0:3], 0 offen offset:12
	buffer_load_dword v127, v123, s[0:3], 0 offen
	buffer_load_dword v128, v123, s[0:3], 0 offen offset:4
	s_waitcnt vmcnt(2) lgkmcnt(0)
	v_mul_f64 v[130:131], v[3:4], v[125:126]
	v_mul_f64 v[125:126], v[1:2], v[125:126]
	s_waitcnt vmcnt(0)
	v_fma_f64 v[1:2], v[1:2], v[127:128], -v[130:131]
	v_fma_f64 v[3:4], v[3:4], v[127:128], v[125:126]
.LBB122_270:
	s_and_saveexec_b32 s67, s4
	s_cbranch_execz .LBB122_274
; %bb.271:
	v_subrev_nc_u32_e32 v125, 25, v0
	s_movk_i32 s68, 0x540
	s_mov_b32 s4, 0
	s_mov_b32 s69, s41
	.p2align	6
.LBB122_272:                            ; =>This Inner Loop Header: Depth=1
	v_mov_b32_e32 v128, s69
	v_add_nc_u32_e32 v125, -1, v125
	s_add_i32 s69, s69, 16
	s_clause 0x3
	buffer_load_dword v126, v128, s[0:3], 0 offen offset:8
	buffer_load_dword v127, v128, s[0:3], 0 offen offset:12
	buffer_load_dword v134, v128, s[0:3], 0 offen
	buffer_load_dword v135, v128, s[0:3], 0 offen offset:4
	v_mov_b32_e32 v128, s68
	v_cmp_eq_u32_e32 vcc_lo, 0, v125
	s_add_i32 s68, s68, 16
	ds_read_b128 v[130:133], v128
	s_or_b32 s4, vcc_lo, s4
	s_waitcnt vmcnt(2) lgkmcnt(0)
	v_mul_f64 v[136:137], v[132:133], v[126:127]
	v_mul_f64 v[126:127], v[130:131], v[126:127]
	s_waitcnt vmcnt(0)
	v_fma_f64 v[130:131], v[130:131], v[134:135], -v[136:137]
	v_fma_f64 v[126:127], v[132:133], v[134:135], v[126:127]
	v_add_f64 v[1:2], v[1:2], v[130:131]
	v_add_f64 v[3:4], v[3:4], v[126:127]
	s_andn2_b32 exec_lo, exec_lo, s4
	s_cbranch_execnz .LBB122_272
; %bb.273:
	s_or_b32 exec_lo, exec_lo, s4
.LBB122_274:
	s_or_b32 exec_lo, exec_lo, s67
	v_mov_b32_e32 v125, 0
	ds_read_b128 v[125:128], v125 offset:384
	s_waitcnt lgkmcnt(0)
	v_mul_f64 v[130:131], v[3:4], v[127:128]
	v_mul_f64 v[127:128], v[1:2], v[127:128]
	v_fma_f64 v[1:2], v[1:2], v[125:126], -v[130:131]
	v_fma_f64 v[3:4], v[3:4], v[125:126], v[127:128]
	buffer_store_dword v2, off, s[0:3], 0 offset:388
	buffer_store_dword v1, off, s[0:3], 0 offset:384
	buffer_store_dword v4, off, s[0:3], 0 offset:396
	buffer_store_dword v3, off, s[0:3], 0 offset:392
.LBB122_275:
	s_or_b32 exec_lo, exec_lo, s8
	v_mov_b32_e32 v4, s43
	v_cmp_lt_u32_e64 s4, 23, v0
	s_clause 0x3
	buffer_load_dword v1, v4, s[0:3], 0 offen
	buffer_load_dword v2, v4, s[0:3], 0 offen offset:4
	buffer_load_dword v3, v4, s[0:3], 0 offen offset:8
	;; [unrolled: 1-line block ×3, first 2 shown]
	s_waitcnt vmcnt(0)
	ds_write_b128 v124, v[1:4]
	s_waitcnt lgkmcnt(0)
	s_waitcnt_vscnt null, 0x0
	s_barrier
	buffer_gl0_inv
	s_and_saveexec_b32 s8, s4
	s_cbranch_execz .LBB122_283
; %bb.276:
	ds_read_b128 v[1:4], v124
	s_andn2_b32 vcc_lo, exec_lo, s66
	s_cbranch_vccnz .LBB122_278
; %bb.277:
	s_clause 0x3
	buffer_load_dword v125, v123, s[0:3], 0 offen offset:8
	buffer_load_dword v126, v123, s[0:3], 0 offen offset:12
	buffer_load_dword v127, v123, s[0:3], 0 offen
	buffer_load_dword v128, v123, s[0:3], 0 offen offset:4
	s_waitcnt vmcnt(2) lgkmcnt(0)
	v_mul_f64 v[130:131], v[3:4], v[125:126]
	v_mul_f64 v[125:126], v[1:2], v[125:126]
	s_waitcnt vmcnt(0)
	v_fma_f64 v[1:2], v[1:2], v[127:128], -v[130:131]
	v_fma_f64 v[3:4], v[3:4], v[127:128], v[125:126]
.LBB122_278:
	s_and_saveexec_b32 s67, s5
	s_cbranch_execz .LBB122_282
; %bb.279:
	v_subrev_nc_u32_e32 v125, 24, v0
	s_movk_i32 s68, 0x530
	s_mov_b32 s5, 0
	s_mov_b32 s69, s42
	.p2align	6
.LBB122_280:                            ; =>This Inner Loop Header: Depth=1
	v_mov_b32_e32 v128, s69
	v_add_nc_u32_e32 v125, -1, v125
	s_add_i32 s69, s69, 16
	s_clause 0x3
	buffer_load_dword v126, v128, s[0:3], 0 offen offset:8
	buffer_load_dword v127, v128, s[0:3], 0 offen offset:12
	buffer_load_dword v134, v128, s[0:3], 0 offen
	buffer_load_dword v135, v128, s[0:3], 0 offen offset:4
	v_mov_b32_e32 v128, s68
	v_cmp_eq_u32_e32 vcc_lo, 0, v125
	s_add_i32 s68, s68, 16
	ds_read_b128 v[130:133], v128
	s_or_b32 s5, vcc_lo, s5
	s_waitcnt vmcnt(2) lgkmcnt(0)
	v_mul_f64 v[136:137], v[132:133], v[126:127]
	v_mul_f64 v[126:127], v[130:131], v[126:127]
	s_waitcnt vmcnt(0)
	v_fma_f64 v[130:131], v[130:131], v[134:135], -v[136:137]
	v_fma_f64 v[126:127], v[132:133], v[134:135], v[126:127]
	v_add_f64 v[1:2], v[1:2], v[130:131]
	v_add_f64 v[3:4], v[3:4], v[126:127]
	s_andn2_b32 exec_lo, exec_lo, s5
	s_cbranch_execnz .LBB122_280
; %bb.281:
	s_or_b32 exec_lo, exec_lo, s5
.LBB122_282:
	s_or_b32 exec_lo, exec_lo, s67
	v_mov_b32_e32 v125, 0
	ds_read_b128 v[125:128], v125 offset:368
	s_waitcnt lgkmcnt(0)
	v_mul_f64 v[130:131], v[3:4], v[127:128]
	v_mul_f64 v[127:128], v[1:2], v[127:128]
	v_fma_f64 v[1:2], v[1:2], v[125:126], -v[130:131]
	v_fma_f64 v[3:4], v[3:4], v[125:126], v[127:128]
	buffer_store_dword v2, off, s[0:3], 0 offset:372
	buffer_store_dword v1, off, s[0:3], 0 offset:368
	;; [unrolled: 1-line block ×4, first 2 shown]
.LBB122_283:
	s_or_b32 exec_lo, exec_lo, s8
	v_mov_b32_e32 v4, s44
	v_cmp_lt_u32_e64 s5, 22, v0
	s_clause 0x3
	buffer_load_dword v1, v4, s[0:3], 0 offen
	buffer_load_dword v2, v4, s[0:3], 0 offen offset:4
	buffer_load_dword v3, v4, s[0:3], 0 offen offset:8
	;; [unrolled: 1-line block ×3, first 2 shown]
	s_waitcnt vmcnt(0)
	ds_write_b128 v124, v[1:4]
	s_waitcnt lgkmcnt(0)
	s_waitcnt_vscnt null, 0x0
	s_barrier
	buffer_gl0_inv
	s_and_saveexec_b32 s8, s5
	s_cbranch_execz .LBB122_291
; %bb.284:
	ds_read_b128 v[1:4], v124
	s_andn2_b32 vcc_lo, exec_lo, s66
	s_cbranch_vccnz .LBB122_286
; %bb.285:
	s_clause 0x3
	buffer_load_dword v125, v123, s[0:3], 0 offen offset:8
	buffer_load_dword v126, v123, s[0:3], 0 offen offset:12
	buffer_load_dword v127, v123, s[0:3], 0 offen
	buffer_load_dword v128, v123, s[0:3], 0 offen offset:4
	s_waitcnt vmcnt(2) lgkmcnt(0)
	v_mul_f64 v[130:131], v[3:4], v[125:126]
	v_mul_f64 v[125:126], v[1:2], v[125:126]
	s_waitcnt vmcnt(0)
	v_fma_f64 v[1:2], v[1:2], v[127:128], -v[130:131]
	v_fma_f64 v[3:4], v[3:4], v[127:128], v[125:126]
.LBB122_286:
	s_and_saveexec_b32 s67, s4
	s_cbranch_execz .LBB122_290
; %bb.287:
	v_subrev_nc_u32_e32 v125, 23, v0
	s_movk_i32 s68, 0x520
	s_mov_b32 s4, 0
	s_mov_b32 s69, s43
	.p2align	6
.LBB122_288:                            ; =>This Inner Loop Header: Depth=1
	v_mov_b32_e32 v128, s69
	v_add_nc_u32_e32 v125, -1, v125
	s_add_i32 s69, s69, 16
	s_clause 0x3
	buffer_load_dword v126, v128, s[0:3], 0 offen offset:8
	buffer_load_dword v127, v128, s[0:3], 0 offen offset:12
	buffer_load_dword v134, v128, s[0:3], 0 offen
	buffer_load_dword v135, v128, s[0:3], 0 offen offset:4
	v_mov_b32_e32 v128, s68
	v_cmp_eq_u32_e32 vcc_lo, 0, v125
	s_add_i32 s68, s68, 16
	ds_read_b128 v[130:133], v128
	s_or_b32 s4, vcc_lo, s4
	s_waitcnt vmcnt(2) lgkmcnt(0)
	v_mul_f64 v[136:137], v[132:133], v[126:127]
	v_mul_f64 v[126:127], v[130:131], v[126:127]
	s_waitcnt vmcnt(0)
	v_fma_f64 v[130:131], v[130:131], v[134:135], -v[136:137]
	v_fma_f64 v[126:127], v[132:133], v[134:135], v[126:127]
	v_add_f64 v[1:2], v[1:2], v[130:131]
	v_add_f64 v[3:4], v[3:4], v[126:127]
	s_andn2_b32 exec_lo, exec_lo, s4
	s_cbranch_execnz .LBB122_288
; %bb.289:
	s_or_b32 exec_lo, exec_lo, s4
.LBB122_290:
	s_or_b32 exec_lo, exec_lo, s67
	v_mov_b32_e32 v125, 0
	ds_read_b128 v[125:128], v125 offset:352
	s_waitcnt lgkmcnt(0)
	v_mul_f64 v[130:131], v[3:4], v[127:128]
	v_mul_f64 v[127:128], v[1:2], v[127:128]
	v_fma_f64 v[1:2], v[1:2], v[125:126], -v[130:131]
	v_fma_f64 v[3:4], v[3:4], v[125:126], v[127:128]
	buffer_store_dword v2, off, s[0:3], 0 offset:356
	buffer_store_dword v1, off, s[0:3], 0 offset:352
	buffer_store_dword v4, off, s[0:3], 0 offset:364
	buffer_store_dword v3, off, s[0:3], 0 offset:360
.LBB122_291:
	s_or_b32 exec_lo, exec_lo, s8
	v_mov_b32_e32 v4, s45
	v_cmp_lt_u32_e64 s4, 21, v0
	s_clause 0x3
	buffer_load_dword v1, v4, s[0:3], 0 offen
	buffer_load_dword v2, v4, s[0:3], 0 offen offset:4
	buffer_load_dword v3, v4, s[0:3], 0 offen offset:8
	;; [unrolled: 1-line block ×3, first 2 shown]
	s_waitcnt vmcnt(0)
	ds_write_b128 v124, v[1:4]
	s_waitcnt lgkmcnt(0)
	s_waitcnt_vscnt null, 0x0
	s_barrier
	buffer_gl0_inv
	s_and_saveexec_b32 s8, s4
	s_cbranch_execz .LBB122_299
; %bb.292:
	ds_read_b128 v[1:4], v124
	s_andn2_b32 vcc_lo, exec_lo, s66
	s_cbranch_vccnz .LBB122_294
; %bb.293:
	s_clause 0x3
	buffer_load_dword v125, v123, s[0:3], 0 offen offset:8
	buffer_load_dword v126, v123, s[0:3], 0 offen offset:12
	buffer_load_dword v127, v123, s[0:3], 0 offen
	buffer_load_dword v128, v123, s[0:3], 0 offen offset:4
	s_waitcnt vmcnt(2) lgkmcnt(0)
	v_mul_f64 v[130:131], v[3:4], v[125:126]
	v_mul_f64 v[125:126], v[1:2], v[125:126]
	s_waitcnt vmcnt(0)
	v_fma_f64 v[1:2], v[1:2], v[127:128], -v[130:131]
	v_fma_f64 v[3:4], v[3:4], v[127:128], v[125:126]
.LBB122_294:
	s_and_saveexec_b32 s67, s5
	s_cbranch_execz .LBB122_298
; %bb.295:
	v_subrev_nc_u32_e32 v125, 22, v0
	s_movk_i32 s68, 0x510
	s_mov_b32 s5, 0
	s_mov_b32 s69, s44
	.p2align	6
.LBB122_296:                            ; =>This Inner Loop Header: Depth=1
	v_mov_b32_e32 v128, s69
	v_add_nc_u32_e32 v125, -1, v125
	s_add_i32 s69, s69, 16
	s_clause 0x3
	buffer_load_dword v126, v128, s[0:3], 0 offen offset:8
	buffer_load_dword v127, v128, s[0:3], 0 offen offset:12
	buffer_load_dword v134, v128, s[0:3], 0 offen
	buffer_load_dword v135, v128, s[0:3], 0 offen offset:4
	v_mov_b32_e32 v128, s68
	v_cmp_eq_u32_e32 vcc_lo, 0, v125
	s_add_i32 s68, s68, 16
	ds_read_b128 v[130:133], v128
	s_or_b32 s5, vcc_lo, s5
	s_waitcnt vmcnt(2) lgkmcnt(0)
	v_mul_f64 v[136:137], v[132:133], v[126:127]
	v_mul_f64 v[126:127], v[130:131], v[126:127]
	s_waitcnt vmcnt(0)
	v_fma_f64 v[130:131], v[130:131], v[134:135], -v[136:137]
	v_fma_f64 v[126:127], v[132:133], v[134:135], v[126:127]
	v_add_f64 v[1:2], v[1:2], v[130:131]
	v_add_f64 v[3:4], v[3:4], v[126:127]
	s_andn2_b32 exec_lo, exec_lo, s5
	s_cbranch_execnz .LBB122_296
; %bb.297:
	s_or_b32 exec_lo, exec_lo, s5
.LBB122_298:
	s_or_b32 exec_lo, exec_lo, s67
	v_mov_b32_e32 v125, 0
	ds_read_b128 v[125:128], v125 offset:336
	s_waitcnt lgkmcnt(0)
	v_mul_f64 v[130:131], v[3:4], v[127:128]
	v_mul_f64 v[127:128], v[1:2], v[127:128]
	v_fma_f64 v[1:2], v[1:2], v[125:126], -v[130:131]
	v_fma_f64 v[3:4], v[3:4], v[125:126], v[127:128]
	buffer_store_dword v2, off, s[0:3], 0 offset:340
	buffer_store_dword v1, off, s[0:3], 0 offset:336
	;; [unrolled: 1-line block ×4, first 2 shown]
.LBB122_299:
	s_or_b32 exec_lo, exec_lo, s8
	v_mov_b32_e32 v4, s46
	v_cmp_lt_u32_e64 s5, 20, v0
	s_clause 0x3
	buffer_load_dword v1, v4, s[0:3], 0 offen
	buffer_load_dword v2, v4, s[0:3], 0 offen offset:4
	buffer_load_dword v3, v4, s[0:3], 0 offen offset:8
	;; [unrolled: 1-line block ×3, first 2 shown]
	s_waitcnt vmcnt(0)
	ds_write_b128 v124, v[1:4]
	s_waitcnt lgkmcnt(0)
	s_waitcnt_vscnt null, 0x0
	s_barrier
	buffer_gl0_inv
	s_and_saveexec_b32 s8, s5
	s_cbranch_execz .LBB122_307
; %bb.300:
	ds_read_b128 v[1:4], v124
	s_andn2_b32 vcc_lo, exec_lo, s66
	s_cbranch_vccnz .LBB122_302
; %bb.301:
	s_clause 0x3
	buffer_load_dword v125, v123, s[0:3], 0 offen offset:8
	buffer_load_dword v126, v123, s[0:3], 0 offen offset:12
	buffer_load_dword v127, v123, s[0:3], 0 offen
	buffer_load_dword v128, v123, s[0:3], 0 offen offset:4
	s_waitcnt vmcnt(2) lgkmcnt(0)
	v_mul_f64 v[130:131], v[3:4], v[125:126]
	v_mul_f64 v[125:126], v[1:2], v[125:126]
	s_waitcnt vmcnt(0)
	v_fma_f64 v[1:2], v[1:2], v[127:128], -v[130:131]
	v_fma_f64 v[3:4], v[3:4], v[127:128], v[125:126]
.LBB122_302:
	s_and_saveexec_b32 s67, s4
	s_cbranch_execz .LBB122_306
; %bb.303:
	v_subrev_nc_u32_e32 v125, 21, v0
	s_movk_i32 s68, 0x500
	s_mov_b32 s4, 0
	s_mov_b32 s69, s45
	.p2align	6
.LBB122_304:                            ; =>This Inner Loop Header: Depth=1
	v_mov_b32_e32 v128, s69
	v_add_nc_u32_e32 v125, -1, v125
	s_add_i32 s69, s69, 16
	s_clause 0x3
	buffer_load_dword v126, v128, s[0:3], 0 offen offset:8
	buffer_load_dword v127, v128, s[0:3], 0 offen offset:12
	buffer_load_dword v134, v128, s[0:3], 0 offen
	buffer_load_dword v135, v128, s[0:3], 0 offen offset:4
	v_mov_b32_e32 v128, s68
	v_cmp_eq_u32_e32 vcc_lo, 0, v125
	s_add_i32 s68, s68, 16
	ds_read_b128 v[130:133], v128
	s_or_b32 s4, vcc_lo, s4
	s_waitcnt vmcnt(2) lgkmcnt(0)
	v_mul_f64 v[136:137], v[132:133], v[126:127]
	v_mul_f64 v[126:127], v[130:131], v[126:127]
	s_waitcnt vmcnt(0)
	v_fma_f64 v[130:131], v[130:131], v[134:135], -v[136:137]
	v_fma_f64 v[126:127], v[132:133], v[134:135], v[126:127]
	v_add_f64 v[1:2], v[1:2], v[130:131]
	v_add_f64 v[3:4], v[3:4], v[126:127]
	s_andn2_b32 exec_lo, exec_lo, s4
	s_cbranch_execnz .LBB122_304
; %bb.305:
	s_or_b32 exec_lo, exec_lo, s4
.LBB122_306:
	s_or_b32 exec_lo, exec_lo, s67
	v_mov_b32_e32 v125, 0
	ds_read_b128 v[125:128], v125 offset:320
	s_waitcnt lgkmcnt(0)
	v_mul_f64 v[130:131], v[3:4], v[127:128]
	v_mul_f64 v[127:128], v[1:2], v[127:128]
	v_fma_f64 v[1:2], v[1:2], v[125:126], -v[130:131]
	v_fma_f64 v[3:4], v[3:4], v[125:126], v[127:128]
	buffer_store_dword v2, off, s[0:3], 0 offset:324
	buffer_store_dword v1, off, s[0:3], 0 offset:320
	;; [unrolled: 1-line block ×4, first 2 shown]
.LBB122_307:
	s_or_b32 exec_lo, exec_lo, s8
	v_mov_b32_e32 v4, s47
	v_cmp_lt_u32_e64 s4, 19, v0
	s_clause 0x3
	buffer_load_dword v1, v4, s[0:3], 0 offen
	buffer_load_dword v2, v4, s[0:3], 0 offen offset:4
	buffer_load_dword v3, v4, s[0:3], 0 offen offset:8
	;; [unrolled: 1-line block ×3, first 2 shown]
	s_waitcnt vmcnt(0)
	ds_write_b128 v124, v[1:4]
	s_waitcnt lgkmcnt(0)
	s_waitcnt_vscnt null, 0x0
	s_barrier
	buffer_gl0_inv
	s_and_saveexec_b32 s8, s4
	s_cbranch_execz .LBB122_315
; %bb.308:
	ds_read_b128 v[1:4], v124
	s_andn2_b32 vcc_lo, exec_lo, s66
	s_cbranch_vccnz .LBB122_310
; %bb.309:
	s_clause 0x3
	buffer_load_dword v125, v123, s[0:3], 0 offen offset:8
	buffer_load_dword v126, v123, s[0:3], 0 offen offset:12
	buffer_load_dword v127, v123, s[0:3], 0 offen
	buffer_load_dword v128, v123, s[0:3], 0 offen offset:4
	s_waitcnt vmcnt(2) lgkmcnt(0)
	v_mul_f64 v[130:131], v[3:4], v[125:126]
	v_mul_f64 v[125:126], v[1:2], v[125:126]
	s_waitcnt vmcnt(0)
	v_fma_f64 v[1:2], v[1:2], v[127:128], -v[130:131]
	v_fma_f64 v[3:4], v[3:4], v[127:128], v[125:126]
.LBB122_310:
	s_and_saveexec_b32 s67, s5
	s_cbranch_execz .LBB122_314
; %bb.311:
	v_subrev_nc_u32_e32 v125, 20, v0
	s_movk_i32 s68, 0x4f0
	s_mov_b32 s5, 0
	s_mov_b32 s69, s46
	.p2align	6
.LBB122_312:                            ; =>This Inner Loop Header: Depth=1
	v_mov_b32_e32 v128, s69
	v_add_nc_u32_e32 v125, -1, v125
	s_add_i32 s69, s69, 16
	s_clause 0x3
	buffer_load_dword v126, v128, s[0:3], 0 offen offset:8
	buffer_load_dword v127, v128, s[0:3], 0 offen offset:12
	buffer_load_dword v134, v128, s[0:3], 0 offen
	buffer_load_dword v135, v128, s[0:3], 0 offen offset:4
	v_mov_b32_e32 v128, s68
	v_cmp_eq_u32_e32 vcc_lo, 0, v125
	s_add_i32 s68, s68, 16
	ds_read_b128 v[130:133], v128
	s_or_b32 s5, vcc_lo, s5
	s_waitcnt vmcnt(2) lgkmcnt(0)
	v_mul_f64 v[136:137], v[132:133], v[126:127]
	v_mul_f64 v[126:127], v[130:131], v[126:127]
	s_waitcnt vmcnt(0)
	v_fma_f64 v[130:131], v[130:131], v[134:135], -v[136:137]
	v_fma_f64 v[126:127], v[132:133], v[134:135], v[126:127]
	v_add_f64 v[1:2], v[1:2], v[130:131]
	v_add_f64 v[3:4], v[3:4], v[126:127]
	s_andn2_b32 exec_lo, exec_lo, s5
	s_cbranch_execnz .LBB122_312
; %bb.313:
	s_or_b32 exec_lo, exec_lo, s5
.LBB122_314:
	s_or_b32 exec_lo, exec_lo, s67
	v_mov_b32_e32 v125, 0
	ds_read_b128 v[125:128], v125 offset:304
	s_waitcnt lgkmcnt(0)
	v_mul_f64 v[130:131], v[3:4], v[127:128]
	v_mul_f64 v[127:128], v[1:2], v[127:128]
	v_fma_f64 v[1:2], v[1:2], v[125:126], -v[130:131]
	v_fma_f64 v[3:4], v[3:4], v[125:126], v[127:128]
	buffer_store_dword v2, off, s[0:3], 0 offset:308
	buffer_store_dword v1, off, s[0:3], 0 offset:304
	;; [unrolled: 1-line block ×4, first 2 shown]
.LBB122_315:
	s_or_b32 exec_lo, exec_lo, s8
	v_mov_b32_e32 v4, s48
	v_cmp_lt_u32_e64 s5, 18, v0
	s_clause 0x3
	buffer_load_dword v1, v4, s[0:3], 0 offen
	buffer_load_dword v2, v4, s[0:3], 0 offen offset:4
	buffer_load_dword v3, v4, s[0:3], 0 offen offset:8
	;; [unrolled: 1-line block ×3, first 2 shown]
	s_waitcnt vmcnt(0)
	ds_write_b128 v124, v[1:4]
	s_waitcnt lgkmcnt(0)
	s_waitcnt_vscnt null, 0x0
	s_barrier
	buffer_gl0_inv
	s_and_saveexec_b32 s8, s5
	s_cbranch_execz .LBB122_323
; %bb.316:
	ds_read_b128 v[1:4], v124
	s_andn2_b32 vcc_lo, exec_lo, s66
	s_cbranch_vccnz .LBB122_318
; %bb.317:
	s_clause 0x3
	buffer_load_dword v125, v123, s[0:3], 0 offen offset:8
	buffer_load_dword v126, v123, s[0:3], 0 offen offset:12
	buffer_load_dword v127, v123, s[0:3], 0 offen
	buffer_load_dword v128, v123, s[0:3], 0 offen offset:4
	s_waitcnt vmcnt(2) lgkmcnt(0)
	v_mul_f64 v[130:131], v[3:4], v[125:126]
	v_mul_f64 v[125:126], v[1:2], v[125:126]
	s_waitcnt vmcnt(0)
	v_fma_f64 v[1:2], v[1:2], v[127:128], -v[130:131]
	v_fma_f64 v[3:4], v[3:4], v[127:128], v[125:126]
.LBB122_318:
	s_and_saveexec_b32 s67, s4
	s_cbranch_execz .LBB122_322
; %bb.319:
	v_subrev_nc_u32_e32 v125, 19, v0
	s_movk_i32 s68, 0x4e0
	s_mov_b32 s4, 0
	s_mov_b32 s69, s47
	.p2align	6
.LBB122_320:                            ; =>This Inner Loop Header: Depth=1
	v_mov_b32_e32 v128, s69
	v_add_nc_u32_e32 v125, -1, v125
	s_add_i32 s69, s69, 16
	s_clause 0x3
	buffer_load_dword v126, v128, s[0:3], 0 offen offset:8
	buffer_load_dword v127, v128, s[0:3], 0 offen offset:12
	buffer_load_dword v134, v128, s[0:3], 0 offen
	buffer_load_dword v135, v128, s[0:3], 0 offen offset:4
	v_mov_b32_e32 v128, s68
	v_cmp_eq_u32_e32 vcc_lo, 0, v125
	s_add_i32 s68, s68, 16
	ds_read_b128 v[130:133], v128
	s_or_b32 s4, vcc_lo, s4
	s_waitcnt vmcnt(2) lgkmcnt(0)
	v_mul_f64 v[136:137], v[132:133], v[126:127]
	v_mul_f64 v[126:127], v[130:131], v[126:127]
	s_waitcnt vmcnt(0)
	v_fma_f64 v[130:131], v[130:131], v[134:135], -v[136:137]
	v_fma_f64 v[126:127], v[132:133], v[134:135], v[126:127]
	v_add_f64 v[1:2], v[1:2], v[130:131]
	v_add_f64 v[3:4], v[3:4], v[126:127]
	s_andn2_b32 exec_lo, exec_lo, s4
	s_cbranch_execnz .LBB122_320
; %bb.321:
	s_or_b32 exec_lo, exec_lo, s4
.LBB122_322:
	s_or_b32 exec_lo, exec_lo, s67
	v_mov_b32_e32 v125, 0
	ds_read_b128 v[125:128], v125 offset:288
	s_waitcnt lgkmcnt(0)
	v_mul_f64 v[130:131], v[3:4], v[127:128]
	v_mul_f64 v[127:128], v[1:2], v[127:128]
	v_fma_f64 v[1:2], v[1:2], v[125:126], -v[130:131]
	v_fma_f64 v[3:4], v[3:4], v[125:126], v[127:128]
	buffer_store_dword v2, off, s[0:3], 0 offset:292
	buffer_store_dword v1, off, s[0:3], 0 offset:288
	;; [unrolled: 1-line block ×4, first 2 shown]
.LBB122_323:
	s_or_b32 exec_lo, exec_lo, s8
	v_mov_b32_e32 v4, s49
	v_cmp_lt_u32_e64 s4, 17, v0
	s_clause 0x3
	buffer_load_dword v1, v4, s[0:3], 0 offen
	buffer_load_dword v2, v4, s[0:3], 0 offen offset:4
	buffer_load_dword v3, v4, s[0:3], 0 offen offset:8
	;; [unrolled: 1-line block ×3, first 2 shown]
	s_waitcnt vmcnt(0)
	ds_write_b128 v124, v[1:4]
	s_waitcnt lgkmcnt(0)
	s_waitcnt_vscnt null, 0x0
	s_barrier
	buffer_gl0_inv
	s_and_saveexec_b32 s8, s4
	s_cbranch_execz .LBB122_331
; %bb.324:
	ds_read_b128 v[1:4], v124
	s_andn2_b32 vcc_lo, exec_lo, s66
	s_cbranch_vccnz .LBB122_326
; %bb.325:
	s_clause 0x3
	buffer_load_dword v125, v123, s[0:3], 0 offen offset:8
	buffer_load_dword v126, v123, s[0:3], 0 offen offset:12
	buffer_load_dword v127, v123, s[0:3], 0 offen
	buffer_load_dword v128, v123, s[0:3], 0 offen offset:4
	s_waitcnt vmcnt(2) lgkmcnt(0)
	v_mul_f64 v[130:131], v[3:4], v[125:126]
	v_mul_f64 v[125:126], v[1:2], v[125:126]
	s_waitcnt vmcnt(0)
	v_fma_f64 v[1:2], v[1:2], v[127:128], -v[130:131]
	v_fma_f64 v[3:4], v[3:4], v[127:128], v[125:126]
.LBB122_326:
	s_and_saveexec_b32 s67, s5
	s_cbranch_execz .LBB122_330
; %bb.327:
	v_subrev_nc_u32_e32 v125, 18, v0
	s_movk_i32 s68, 0x4d0
	s_mov_b32 s5, 0
	s_mov_b32 s69, s48
	.p2align	6
.LBB122_328:                            ; =>This Inner Loop Header: Depth=1
	v_mov_b32_e32 v128, s69
	v_add_nc_u32_e32 v125, -1, v125
	s_add_i32 s69, s69, 16
	s_clause 0x3
	buffer_load_dword v126, v128, s[0:3], 0 offen offset:8
	buffer_load_dword v127, v128, s[0:3], 0 offen offset:12
	buffer_load_dword v134, v128, s[0:3], 0 offen
	buffer_load_dword v135, v128, s[0:3], 0 offen offset:4
	v_mov_b32_e32 v128, s68
	v_cmp_eq_u32_e32 vcc_lo, 0, v125
	s_add_i32 s68, s68, 16
	ds_read_b128 v[130:133], v128
	s_or_b32 s5, vcc_lo, s5
	s_waitcnt vmcnt(2) lgkmcnt(0)
	v_mul_f64 v[136:137], v[132:133], v[126:127]
	v_mul_f64 v[126:127], v[130:131], v[126:127]
	s_waitcnt vmcnt(0)
	v_fma_f64 v[130:131], v[130:131], v[134:135], -v[136:137]
	v_fma_f64 v[126:127], v[132:133], v[134:135], v[126:127]
	v_add_f64 v[1:2], v[1:2], v[130:131]
	v_add_f64 v[3:4], v[3:4], v[126:127]
	s_andn2_b32 exec_lo, exec_lo, s5
	s_cbranch_execnz .LBB122_328
; %bb.329:
	s_or_b32 exec_lo, exec_lo, s5
.LBB122_330:
	s_or_b32 exec_lo, exec_lo, s67
	v_mov_b32_e32 v125, 0
	ds_read_b128 v[125:128], v125 offset:272
	s_waitcnt lgkmcnt(0)
	v_mul_f64 v[130:131], v[3:4], v[127:128]
	v_mul_f64 v[127:128], v[1:2], v[127:128]
	v_fma_f64 v[1:2], v[1:2], v[125:126], -v[130:131]
	v_fma_f64 v[3:4], v[3:4], v[125:126], v[127:128]
	buffer_store_dword v2, off, s[0:3], 0 offset:276
	buffer_store_dword v1, off, s[0:3], 0 offset:272
	buffer_store_dword v4, off, s[0:3], 0 offset:284
	buffer_store_dword v3, off, s[0:3], 0 offset:280
.LBB122_331:
	s_or_b32 exec_lo, exec_lo, s8
	v_mov_b32_e32 v4, s50
	v_cmp_lt_u32_e64 s5, 16, v0
	s_clause 0x3
	buffer_load_dword v1, v4, s[0:3], 0 offen
	buffer_load_dword v2, v4, s[0:3], 0 offen offset:4
	buffer_load_dword v3, v4, s[0:3], 0 offen offset:8
	buffer_load_dword v4, v4, s[0:3], 0 offen offset:12
	s_waitcnt vmcnt(0)
	ds_write_b128 v124, v[1:4]
	s_waitcnt lgkmcnt(0)
	s_waitcnt_vscnt null, 0x0
	s_barrier
	buffer_gl0_inv
	s_and_saveexec_b32 s8, s5
	s_cbranch_execz .LBB122_339
; %bb.332:
	ds_read_b128 v[1:4], v124
	s_andn2_b32 vcc_lo, exec_lo, s66
	s_cbranch_vccnz .LBB122_334
; %bb.333:
	s_clause 0x3
	buffer_load_dword v125, v123, s[0:3], 0 offen offset:8
	buffer_load_dword v126, v123, s[0:3], 0 offen offset:12
	buffer_load_dword v127, v123, s[0:3], 0 offen
	buffer_load_dword v128, v123, s[0:3], 0 offen offset:4
	s_waitcnt vmcnt(2) lgkmcnt(0)
	v_mul_f64 v[130:131], v[3:4], v[125:126]
	v_mul_f64 v[125:126], v[1:2], v[125:126]
	s_waitcnt vmcnt(0)
	v_fma_f64 v[1:2], v[1:2], v[127:128], -v[130:131]
	v_fma_f64 v[3:4], v[3:4], v[127:128], v[125:126]
.LBB122_334:
	s_and_saveexec_b32 s67, s4
	s_cbranch_execz .LBB122_338
; %bb.335:
	v_subrev_nc_u32_e32 v125, 17, v0
	s_movk_i32 s68, 0x4c0
	s_mov_b32 s4, 0
	s_mov_b32 s69, s49
	.p2align	6
.LBB122_336:                            ; =>This Inner Loop Header: Depth=1
	v_mov_b32_e32 v128, s69
	v_add_nc_u32_e32 v125, -1, v125
	s_add_i32 s69, s69, 16
	s_clause 0x3
	buffer_load_dword v126, v128, s[0:3], 0 offen offset:8
	buffer_load_dword v127, v128, s[0:3], 0 offen offset:12
	buffer_load_dword v134, v128, s[0:3], 0 offen
	buffer_load_dword v135, v128, s[0:3], 0 offen offset:4
	v_mov_b32_e32 v128, s68
	v_cmp_eq_u32_e32 vcc_lo, 0, v125
	s_add_i32 s68, s68, 16
	ds_read_b128 v[130:133], v128
	s_or_b32 s4, vcc_lo, s4
	s_waitcnt vmcnt(2) lgkmcnt(0)
	v_mul_f64 v[136:137], v[132:133], v[126:127]
	v_mul_f64 v[126:127], v[130:131], v[126:127]
	s_waitcnt vmcnt(0)
	v_fma_f64 v[130:131], v[130:131], v[134:135], -v[136:137]
	v_fma_f64 v[126:127], v[132:133], v[134:135], v[126:127]
	v_add_f64 v[1:2], v[1:2], v[130:131]
	v_add_f64 v[3:4], v[3:4], v[126:127]
	s_andn2_b32 exec_lo, exec_lo, s4
	s_cbranch_execnz .LBB122_336
; %bb.337:
	s_or_b32 exec_lo, exec_lo, s4
.LBB122_338:
	s_or_b32 exec_lo, exec_lo, s67
	v_mov_b32_e32 v125, 0
	ds_read_b128 v[125:128], v125 offset:256
	s_waitcnt lgkmcnt(0)
	v_mul_f64 v[130:131], v[3:4], v[127:128]
	v_mul_f64 v[127:128], v[1:2], v[127:128]
	v_fma_f64 v[1:2], v[1:2], v[125:126], -v[130:131]
	v_fma_f64 v[3:4], v[3:4], v[125:126], v[127:128]
	buffer_store_dword v2, off, s[0:3], 0 offset:260
	buffer_store_dword v1, off, s[0:3], 0 offset:256
	;; [unrolled: 1-line block ×4, first 2 shown]
.LBB122_339:
	s_or_b32 exec_lo, exec_lo, s8
	v_mov_b32_e32 v4, s51
	v_cmp_lt_u32_e64 s4, 15, v0
	s_clause 0x3
	buffer_load_dword v1, v4, s[0:3], 0 offen
	buffer_load_dword v2, v4, s[0:3], 0 offen offset:4
	buffer_load_dword v3, v4, s[0:3], 0 offen offset:8
	buffer_load_dword v4, v4, s[0:3], 0 offen offset:12
	s_waitcnt vmcnt(0)
	ds_write_b128 v124, v[1:4]
	s_waitcnt lgkmcnt(0)
	s_waitcnt_vscnt null, 0x0
	s_barrier
	buffer_gl0_inv
	s_and_saveexec_b32 s8, s4
	s_cbranch_execz .LBB122_347
; %bb.340:
	ds_read_b128 v[1:4], v124
	s_andn2_b32 vcc_lo, exec_lo, s66
	s_cbranch_vccnz .LBB122_342
; %bb.341:
	s_clause 0x3
	buffer_load_dword v125, v123, s[0:3], 0 offen offset:8
	buffer_load_dword v126, v123, s[0:3], 0 offen offset:12
	buffer_load_dword v127, v123, s[0:3], 0 offen
	buffer_load_dword v128, v123, s[0:3], 0 offen offset:4
	s_waitcnt vmcnt(2) lgkmcnt(0)
	v_mul_f64 v[130:131], v[3:4], v[125:126]
	v_mul_f64 v[125:126], v[1:2], v[125:126]
	s_waitcnt vmcnt(0)
	v_fma_f64 v[1:2], v[1:2], v[127:128], -v[130:131]
	v_fma_f64 v[3:4], v[3:4], v[127:128], v[125:126]
.LBB122_342:
	s_and_saveexec_b32 s67, s5
	s_cbranch_execz .LBB122_346
; %bb.343:
	v_add_nc_u32_e32 v125, -16, v0
	s_movk_i32 s68, 0x4b0
	s_mov_b32 s5, 0
	s_mov_b32 s69, s50
	.p2align	6
.LBB122_344:                            ; =>This Inner Loop Header: Depth=1
	v_mov_b32_e32 v128, s69
	v_add_nc_u32_e32 v125, -1, v125
	s_add_i32 s69, s69, 16
	s_clause 0x3
	buffer_load_dword v126, v128, s[0:3], 0 offen offset:8
	buffer_load_dword v127, v128, s[0:3], 0 offen offset:12
	buffer_load_dword v134, v128, s[0:3], 0 offen
	buffer_load_dword v135, v128, s[0:3], 0 offen offset:4
	v_mov_b32_e32 v128, s68
	v_cmp_eq_u32_e32 vcc_lo, 0, v125
	s_add_i32 s68, s68, 16
	ds_read_b128 v[130:133], v128
	s_or_b32 s5, vcc_lo, s5
	s_waitcnt vmcnt(2) lgkmcnt(0)
	v_mul_f64 v[136:137], v[132:133], v[126:127]
	v_mul_f64 v[126:127], v[130:131], v[126:127]
	s_waitcnt vmcnt(0)
	v_fma_f64 v[130:131], v[130:131], v[134:135], -v[136:137]
	v_fma_f64 v[126:127], v[132:133], v[134:135], v[126:127]
	v_add_f64 v[1:2], v[1:2], v[130:131]
	v_add_f64 v[3:4], v[3:4], v[126:127]
	s_andn2_b32 exec_lo, exec_lo, s5
	s_cbranch_execnz .LBB122_344
; %bb.345:
	s_or_b32 exec_lo, exec_lo, s5
.LBB122_346:
	s_or_b32 exec_lo, exec_lo, s67
	v_mov_b32_e32 v125, 0
	ds_read_b128 v[125:128], v125 offset:240
	s_waitcnt lgkmcnt(0)
	v_mul_f64 v[130:131], v[3:4], v[127:128]
	v_mul_f64 v[127:128], v[1:2], v[127:128]
	v_fma_f64 v[1:2], v[1:2], v[125:126], -v[130:131]
	v_fma_f64 v[3:4], v[3:4], v[125:126], v[127:128]
	buffer_store_dword v2, off, s[0:3], 0 offset:244
	buffer_store_dword v1, off, s[0:3], 0 offset:240
	;; [unrolled: 1-line block ×4, first 2 shown]
.LBB122_347:
	s_or_b32 exec_lo, exec_lo, s8
	v_mov_b32_e32 v4, s52
	v_cmp_lt_u32_e64 s5, 14, v0
	s_clause 0x3
	buffer_load_dword v1, v4, s[0:3], 0 offen
	buffer_load_dword v2, v4, s[0:3], 0 offen offset:4
	buffer_load_dword v3, v4, s[0:3], 0 offen offset:8
	;; [unrolled: 1-line block ×3, first 2 shown]
	s_waitcnt vmcnt(0)
	ds_write_b128 v124, v[1:4]
	s_waitcnt lgkmcnt(0)
	s_waitcnt_vscnt null, 0x0
	s_barrier
	buffer_gl0_inv
	s_and_saveexec_b32 s8, s5
	s_cbranch_execz .LBB122_355
; %bb.348:
	ds_read_b128 v[1:4], v124
	s_andn2_b32 vcc_lo, exec_lo, s66
	s_cbranch_vccnz .LBB122_350
; %bb.349:
	s_clause 0x3
	buffer_load_dword v125, v123, s[0:3], 0 offen offset:8
	buffer_load_dword v126, v123, s[0:3], 0 offen offset:12
	buffer_load_dword v127, v123, s[0:3], 0 offen
	buffer_load_dword v128, v123, s[0:3], 0 offen offset:4
	s_waitcnt vmcnt(2) lgkmcnt(0)
	v_mul_f64 v[130:131], v[3:4], v[125:126]
	v_mul_f64 v[125:126], v[1:2], v[125:126]
	s_waitcnt vmcnt(0)
	v_fma_f64 v[1:2], v[1:2], v[127:128], -v[130:131]
	v_fma_f64 v[3:4], v[3:4], v[127:128], v[125:126]
.LBB122_350:
	s_and_saveexec_b32 s67, s4
	s_cbranch_execz .LBB122_354
; %bb.351:
	v_add_nc_u32_e32 v125, -15, v0
	s_movk_i32 s68, 0x4a0
	s_mov_b32 s4, 0
	s_mov_b32 s69, s51
	.p2align	6
.LBB122_352:                            ; =>This Inner Loop Header: Depth=1
	v_mov_b32_e32 v128, s69
	v_add_nc_u32_e32 v125, -1, v125
	s_add_i32 s69, s69, 16
	s_clause 0x3
	buffer_load_dword v126, v128, s[0:3], 0 offen offset:8
	buffer_load_dword v127, v128, s[0:3], 0 offen offset:12
	buffer_load_dword v134, v128, s[0:3], 0 offen
	buffer_load_dword v135, v128, s[0:3], 0 offen offset:4
	v_mov_b32_e32 v128, s68
	v_cmp_eq_u32_e32 vcc_lo, 0, v125
	s_add_i32 s68, s68, 16
	ds_read_b128 v[130:133], v128
	s_or_b32 s4, vcc_lo, s4
	s_waitcnt vmcnt(2) lgkmcnt(0)
	v_mul_f64 v[136:137], v[132:133], v[126:127]
	v_mul_f64 v[126:127], v[130:131], v[126:127]
	s_waitcnt vmcnt(0)
	v_fma_f64 v[130:131], v[130:131], v[134:135], -v[136:137]
	v_fma_f64 v[126:127], v[132:133], v[134:135], v[126:127]
	v_add_f64 v[1:2], v[1:2], v[130:131]
	v_add_f64 v[3:4], v[3:4], v[126:127]
	s_andn2_b32 exec_lo, exec_lo, s4
	s_cbranch_execnz .LBB122_352
; %bb.353:
	s_or_b32 exec_lo, exec_lo, s4
.LBB122_354:
	s_or_b32 exec_lo, exec_lo, s67
	v_mov_b32_e32 v125, 0
	ds_read_b128 v[125:128], v125 offset:224
	s_waitcnt lgkmcnt(0)
	v_mul_f64 v[130:131], v[3:4], v[127:128]
	v_mul_f64 v[127:128], v[1:2], v[127:128]
	v_fma_f64 v[1:2], v[1:2], v[125:126], -v[130:131]
	v_fma_f64 v[3:4], v[3:4], v[125:126], v[127:128]
	buffer_store_dword v2, off, s[0:3], 0 offset:228
	buffer_store_dword v1, off, s[0:3], 0 offset:224
	;; [unrolled: 1-line block ×4, first 2 shown]
.LBB122_355:
	s_or_b32 exec_lo, exec_lo, s8
	v_mov_b32_e32 v4, s53
	v_cmp_lt_u32_e64 s4, 13, v0
	s_clause 0x3
	buffer_load_dword v1, v4, s[0:3], 0 offen
	buffer_load_dword v2, v4, s[0:3], 0 offen offset:4
	buffer_load_dword v3, v4, s[0:3], 0 offen offset:8
	;; [unrolled: 1-line block ×3, first 2 shown]
	s_waitcnt vmcnt(0)
	ds_write_b128 v124, v[1:4]
	s_waitcnt lgkmcnt(0)
	s_waitcnt_vscnt null, 0x0
	s_barrier
	buffer_gl0_inv
	s_and_saveexec_b32 s8, s4
	s_cbranch_execz .LBB122_363
; %bb.356:
	ds_read_b128 v[1:4], v124
	s_andn2_b32 vcc_lo, exec_lo, s66
	s_cbranch_vccnz .LBB122_358
; %bb.357:
	s_clause 0x3
	buffer_load_dword v125, v123, s[0:3], 0 offen offset:8
	buffer_load_dword v126, v123, s[0:3], 0 offen offset:12
	buffer_load_dword v127, v123, s[0:3], 0 offen
	buffer_load_dword v128, v123, s[0:3], 0 offen offset:4
	s_waitcnt vmcnt(2) lgkmcnt(0)
	v_mul_f64 v[130:131], v[3:4], v[125:126]
	v_mul_f64 v[125:126], v[1:2], v[125:126]
	s_waitcnt vmcnt(0)
	v_fma_f64 v[1:2], v[1:2], v[127:128], -v[130:131]
	v_fma_f64 v[3:4], v[3:4], v[127:128], v[125:126]
.LBB122_358:
	s_and_saveexec_b32 s67, s5
	s_cbranch_execz .LBB122_362
; %bb.359:
	v_add_nc_u32_e32 v125, -14, v0
	s_movk_i32 s68, 0x490
	s_mov_b32 s5, 0
	s_mov_b32 s69, s52
	.p2align	6
.LBB122_360:                            ; =>This Inner Loop Header: Depth=1
	v_mov_b32_e32 v128, s69
	v_add_nc_u32_e32 v125, -1, v125
	s_add_i32 s69, s69, 16
	s_clause 0x3
	buffer_load_dword v126, v128, s[0:3], 0 offen offset:8
	buffer_load_dword v127, v128, s[0:3], 0 offen offset:12
	buffer_load_dword v134, v128, s[0:3], 0 offen
	buffer_load_dword v135, v128, s[0:3], 0 offen offset:4
	v_mov_b32_e32 v128, s68
	v_cmp_eq_u32_e32 vcc_lo, 0, v125
	s_add_i32 s68, s68, 16
	ds_read_b128 v[130:133], v128
	s_or_b32 s5, vcc_lo, s5
	s_waitcnt vmcnt(2) lgkmcnt(0)
	v_mul_f64 v[136:137], v[132:133], v[126:127]
	v_mul_f64 v[126:127], v[130:131], v[126:127]
	s_waitcnt vmcnt(0)
	v_fma_f64 v[130:131], v[130:131], v[134:135], -v[136:137]
	v_fma_f64 v[126:127], v[132:133], v[134:135], v[126:127]
	v_add_f64 v[1:2], v[1:2], v[130:131]
	v_add_f64 v[3:4], v[3:4], v[126:127]
	s_andn2_b32 exec_lo, exec_lo, s5
	s_cbranch_execnz .LBB122_360
; %bb.361:
	s_or_b32 exec_lo, exec_lo, s5
.LBB122_362:
	s_or_b32 exec_lo, exec_lo, s67
	v_mov_b32_e32 v125, 0
	ds_read_b128 v[125:128], v125 offset:208
	s_waitcnt lgkmcnt(0)
	v_mul_f64 v[130:131], v[3:4], v[127:128]
	v_mul_f64 v[127:128], v[1:2], v[127:128]
	v_fma_f64 v[1:2], v[1:2], v[125:126], -v[130:131]
	v_fma_f64 v[3:4], v[3:4], v[125:126], v[127:128]
	buffer_store_dword v2, off, s[0:3], 0 offset:212
	buffer_store_dword v1, off, s[0:3], 0 offset:208
	;; [unrolled: 1-line block ×4, first 2 shown]
.LBB122_363:
	s_or_b32 exec_lo, exec_lo, s8
	v_mov_b32_e32 v4, s54
	v_cmp_lt_u32_e64 s5, 12, v0
	s_clause 0x3
	buffer_load_dword v1, v4, s[0:3], 0 offen
	buffer_load_dword v2, v4, s[0:3], 0 offen offset:4
	buffer_load_dword v3, v4, s[0:3], 0 offen offset:8
	;; [unrolled: 1-line block ×3, first 2 shown]
	s_waitcnt vmcnt(0)
	ds_write_b128 v124, v[1:4]
	s_waitcnt lgkmcnt(0)
	s_waitcnt_vscnt null, 0x0
	s_barrier
	buffer_gl0_inv
	s_and_saveexec_b32 s8, s5
	s_cbranch_execz .LBB122_371
; %bb.364:
	ds_read_b128 v[1:4], v124
	s_andn2_b32 vcc_lo, exec_lo, s66
	s_cbranch_vccnz .LBB122_366
; %bb.365:
	s_clause 0x3
	buffer_load_dword v125, v123, s[0:3], 0 offen offset:8
	buffer_load_dword v126, v123, s[0:3], 0 offen offset:12
	buffer_load_dword v127, v123, s[0:3], 0 offen
	buffer_load_dword v128, v123, s[0:3], 0 offen offset:4
	s_waitcnt vmcnt(2) lgkmcnt(0)
	v_mul_f64 v[130:131], v[3:4], v[125:126]
	v_mul_f64 v[125:126], v[1:2], v[125:126]
	s_waitcnt vmcnt(0)
	v_fma_f64 v[1:2], v[1:2], v[127:128], -v[130:131]
	v_fma_f64 v[3:4], v[3:4], v[127:128], v[125:126]
.LBB122_366:
	s_and_saveexec_b32 s67, s4
	s_cbranch_execz .LBB122_370
; %bb.367:
	v_add_nc_u32_e32 v125, -13, v0
	s_movk_i32 s68, 0x480
	s_mov_b32 s4, 0
	s_mov_b32 s69, s53
	.p2align	6
.LBB122_368:                            ; =>This Inner Loop Header: Depth=1
	v_mov_b32_e32 v128, s69
	v_add_nc_u32_e32 v125, -1, v125
	s_add_i32 s69, s69, 16
	s_clause 0x3
	buffer_load_dword v126, v128, s[0:3], 0 offen offset:8
	buffer_load_dword v127, v128, s[0:3], 0 offen offset:12
	buffer_load_dword v134, v128, s[0:3], 0 offen
	buffer_load_dword v135, v128, s[0:3], 0 offen offset:4
	v_mov_b32_e32 v128, s68
	v_cmp_eq_u32_e32 vcc_lo, 0, v125
	s_add_i32 s68, s68, 16
	ds_read_b128 v[130:133], v128
	s_or_b32 s4, vcc_lo, s4
	s_waitcnt vmcnt(2) lgkmcnt(0)
	v_mul_f64 v[136:137], v[132:133], v[126:127]
	v_mul_f64 v[126:127], v[130:131], v[126:127]
	s_waitcnt vmcnt(0)
	v_fma_f64 v[130:131], v[130:131], v[134:135], -v[136:137]
	v_fma_f64 v[126:127], v[132:133], v[134:135], v[126:127]
	v_add_f64 v[1:2], v[1:2], v[130:131]
	v_add_f64 v[3:4], v[3:4], v[126:127]
	s_andn2_b32 exec_lo, exec_lo, s4
	s_cbranch_execnz .LBB122_368
; %bb.369:
	s_or_b32 exec_lo, exec_lo, s4
.LBB122_370:
	s_or_b32 exec_lo, exec_lo, s67
	v_mov_b32_e32 v125, 0
	ds_read_b128 v[125:128], v125 offset:192
	s_waitcnt lgkmcnt(0)
	v_mul_f64 v[130:131], v[3:4], v[127:128]
	v_mul_f64 v[127:128], v[1:2], v[127:128]
	v_fma_f64 v[1:2], v[1:2], v[125:126], -v[130:131]
	v_fma_f64 v[3:4], v[3:4], v[125:126], v[127:128]
	buffer_store_dword v2, off, s[0:3], 0 offset:196
	buffer_store_dword v1, off, s[0:3], 0 offset:192
	;; [unrolled: 1-line block ×4, first 2 shown]
.LBB122_371:
	s_or_b32 exec_lo, exec_lo, s8
	v_mov_b32_e32 v4, s55
	v_cmp_lt_u32_e64 s4, 11, v0
	s_clause 0x3
	buffer_load_dword v1, v4, s[0:3], 0 offen
	buffer_load_dword v2, v4, s[0:3], 0 offen offset:4
	buffer_load_dword v3, v4, s[0:3], 0 offen offset:8
	;; [unrolled: 1-line block ×3, first 2 shown]
	s_waitcnt vmcnt(0)
	ds_write_b128 v124, v[1:4]
	s_waitcnt lgkmcnt(0)
	s_waitcnt_vscnt null, 0x0
	s_barrier
	buffer_gl0_inv
	s_and_saveexec_b32 s8, s4
	s_cbranch_execz .LBB122_379
; %bb.372:
	ds_read_b128 v[1:4], v124
	s_andn2_b32 vcc_lo, exec_lo, s66
	s_cbranch_vccnz .LBB122_374
; %bb.373:
	s_clause 0x3
	buffer_load_dword v125, v123, s[0:3], 0 offen offset:8
	buffer_load_dword v126, v123, s[0:3], 0 offen offset:12
	buffer_load_dword v127, v123, s[0:3], 0 offen
	buffer_load_dword v128, v123, s[0:3], 0 offen offset:4
	s_waitcnt vmcnt(2) lgkmcnt(0)
	v_mul_f64 v[130:131], v[3:4], v[125:126]
	v_mul_f64 v[125:126], v[1:2], v[125:126]
	s_waitcnt vmcnt(0)
	v_fma_f64 v[1:2], v[1:2], v[127:128], -v[130:131]
	v_fma_f64 v[3:4], v[3:4], v[127:128], v[125:126]
.LBB122_374:
	s_and_saveexec_b32 s67, s5
	s_cbranch_execz .LBB122_378
; %bb.375:
	v_add_nc_u32_e32 v125, -12, v0
	s_movk_i32 s68, 0x470
	s_mov_b32 s5, 0
	s_mov_b32 s69, s54
	.p2align	6
.LBB122_376:                            ; =>This Inner Loop Header: Depth=1
	v_mov_b32_e32 v128, s69
	v_add_nc_u32_e32 v125, -1, v125
	s_add_i32 s69, s69, 16
	s_clause 0x3
	buffer_load_dword v126, v128, s[0:3], 0 offen offset:8
	buffer_load_dword v127, v128, s[0:3], 0 offen offset:12
	buffer_load_dword v134, v128, s[0:3], 0 offen
	buffer_load_dword v135, v128, s[0:3], 0 offen offset:4
	v_mov_b32_e32 v128, s68
	v_cmp_eq_u32_e32 vcc_lo, 0, v125
	s_add_i32 s68, s68, 16
	ds_read_b128 v[130:133], v128
	s_or_b32 s5, vcc_lo, s5
	s_waitcnt vmcnt(2) lgkmcnt(0)
	v_mul_f64 v[136:137], v[132:133], v[126:127]
	v_mul_f64 v[126:127], v[130:131], v[126:127]
	s_waitcnt vmcnt(0)
	v_fma_f64 v[130:131], v[130:131], v[134:135], -v[136:137]
	v_fma_f64 v[126:127], v[132:133], v[134:135], v[126:127]
	v_add_f64 v[1:2], v[1:2], v[130:131]
	v_add_f64 v[3:4], v[3:4], v[126:127]
	s_andn2_b32 exec_lo, exec_lo, s5
	s_cbranch_execnz .LBB122_376
; %bb.377:
	s_or_b32 exec_lo, exec_lo, s5
.LBB122_378:
	s_or_b32 exec_lo, exec_lo, s67
	v_mov_b32_e32 v125, 0
	ds_read_b128 v[125:128], v125 offset:176
	s_waitcnt lgkmcnt(0)
	v_mul_f64 v[130:131], v[3:4], v[127:128]
	v_mul_f64 v[127:128], v[1:2], v[127:128]
	v_fma_f64 v[1:2], v[1:2], v[125:126], -v[130:131]
	v_fma_f64 v[3:4], v[3:4], v[125:126], v[127:128]
	buffer_store_dword v2, off, s[0:3], 0 offset:180
	buffer_store_dword v1, off, s[0:3], 0 offset:176
	;; [unrolled: 1-line block ×4, first 2 shown]
.LBB122_379:
	s_or_b32 exec_lo, exec_lo, s8
	v_mov_b32_e32 v4, s56
	v_cmp_lt_u32_e64 s5, 10, v0
	s_clause 0x3
	buffer_load_dword v1, v4, s[0:3], 0 offen
	buffer_load_dword v2, v4, s[0:3], 0 offen offset:4
	buffer_load_dword v3, v4, s[0:3], 0 offen offset:8
	;; [unrolled: 1-line block ×3, first 2 shown]
	s_waitcnt vmcnt(0)
	ds_write_b128 v124, v[1:4]
	s_waitcnt lgkmcnt(0)
	s_waitcnt_vscnt null, 0x0
	s_barrier
	buffer_gl0_inv
	s_and_saveexec_b32 s8, s5
	s_cbranch_execz .LBB122_387
; %bb.380:
	ds_read_b128 v[1:4], v124
	s_andn2_b32 vcc_lo, exec_lo, s66
	s_cbranch_vccnz .LBB122_382
; %bb.381:
	s_clause 0x3
	buffer_load_dword v125, v123, s[0:3], 0 offen offset:8
	buffer_load_dword v126, v123, s[0:3], 0 offen offset:12
	buffer_load_dword v127, v123, s[0:3], 0 offen
	buffer_load_dword v128, v123, s[0:3], 0 offen offset:4
	s_waitcnt vmcnt(2) lgkmcnt(0)
	v_mul_f64 v[130:131], v[3:4], v[125:126]
	v_mul_f64 v[125:126], v[1:2], v[125:126]
	s_waitcnt vmcnt(0)
	v_fma_f64 v[1:2], v[1:2], v[127:128], -v[130:131]
	v_fma_f64 v[3:4], v[3:4], v[127:128], v[125:126]
.LBB122_382:
	s_and_saveexec_b32 s67, s4
	s_cbranch_execz .LBB122_386
; %bb.383:
	v_add_nc_u32_e32 v125, -11, v0
	s_movk_i32 s68, 0x460
	s_mov_b32 s4, 0
	s_mov_b32 s69, s55
	.p2align	6
.LBB122_384:                            ; =>This Inner Loop Header: Depth=1
	v_mov_b32_e32 v128, s69
	v_add_nc_u32_e32 v125, -1, v125
	s_add_i32 s69, s69, 16
	s_clause 0x3
	buffer_load_dword v126, v128, s[0:3], 0 offen offset:8
	buffer_load_dword v127, v128, s[0:3], 0 offen offset:12
	buffer_load_dword v134, v128, s[0:3], 0 offen
	buffer_load_dword v135, v128, s[0:3], 0 offen offset:4
	v_mov_b32_e32 v128, s68
	v_cmp_eq_u32_e32 vcc_lo, 0, v125
	s_add_i32 s68, s68, 16
	ds_read_b128 v[130:133], v128
	s_or_b32 s4, vcc_lo, s4
	s_waitcnt vmcnt(2) lgkmcnt(0)
	v_mul_f64 v[136:137], v[132:133], v[126:127]
	v_mul_f64 v[126:127], v[130:131], v[126:127]
	s_waitcnt vmcnt(0)
	v_fma_f64 v[130:131], v[130:131], v[134:135], -v[136:137]
	v_fma_f64 v[126:127], v[132:133], v[134:135], v[126:127]
	v_add_f64 v[1:2], v[1:2], v[130:131]
	v_add_f64 v[3:4], v[3:4], v[126:127]
	s_andn2_b32 exec_lo, exec_lo, s4
	s_cbranch_execnz .LBB122_384
; %bb.385:
	s_or_b32 exec_lo, exec_lo, s4
.LBB122_386:
	s_or_b32 exec_lo, exec_lo, s67
	v_mov_b32_e32 v125, 0
	ds_read_b128 v[125:128], v125 offset:160
	s_waitcnt lgkmcnt(0)
	v_mul_f64 v[130:131], v[3:4], v[127:128]
	v_mul_f64 v[127:128], v[1:2], v[127:128]
	v_fma_f64 v[1:2], v[1:2], v[125:126], -v[130:131]
	v_fma_f64 v[3:4], v[3:4], v[125:126], v[127:128]
	buffer_store_dword v2, off, s[0:3], 0 offset:164
	buffer_store_dword v1, off, s[0:3], 0 offset:160
	;; [unrolled: 1-line block ×4, first 2 shown]
.LBB122_387:
	s_or_b32 exec_lo, exec_lo, s8
	v_mov_b32_e32 v4, s57
	v_cmp_lt_u32_e64 s4, 9, v0
	s_clause 0x3
	buffer_load_dword v1, v4, s[0:3], 0 offen
	buffer_load_dword v2, v4, s[0:3], 0 offen offset:4
	buffer_load_dword v3, v4, s[0:3], 0 offen offset:8
	;; [unrolled: 1-line block ×3, first 2 shown]
	s_waitcnt vmcnt(0)
	ds_write_b128 v124, v[1:4]
	s_waitcnt lgkmcnt(0)
	s_waitcnt_vscnt null, 0x0
	s_barrier
	buffer_gl0_inv
	s_and_saveexec_b32 s8, s4
	s_cbranch_execz .LBB122_395
; %bb.388:
	ds_read_b128 v[1:4], v124
	s_andn2_b32 vcc_lo, exec_lo, s66
	s_cbranch_vccnz .LBB122_390
; %bb.389:
	s_clause 0x3
	buffer_load_dword v125, v123, s[0:3], 0 offen offset:8
	buffer_load_dword v126, v123, s[0:3], 0 offen offset:12
	buffer_load_dword v127, v123, s[0:3], 0 offen
	buffer_load_dword v128, v123, s[0:3], 0 offen offset:4
	s_waitcnt vmcnt(2) lgkmcnt(0)
	v_mul_f64 v[130:131], v[3:4], v[125:126]
	v_mul_f64 v[125:126], v[1:2], v[125:126]
	s_waitcnt vmcnt(0)
	v_fma_f64 v[1:2], v[1:2], v[127:128], -v[130:131]
	v_fma_f64 v[3:4], v[3:4], v[127:128], v[125:126]
.LBB122_390:
	s_and_saveexec_b32 s67, s5
	s_cbranch_execz .LBB122_394
; %bb.391:
	v_add_nc_u32_e32 v125, -10, v0
	s_movk_i32 s68, 0x450
	s_mov_b32 s5, 0
	s_mov_b32 s69, s56
	.p2align	6
.LBB122_392:                            ; =>This Inner Loop Header: Depth=1
	v_mov_b32_e32 v128, s69
	v_add_nc_u32_e32 v125, -1, v125
	s_add_i32 s69, s69, 16
	s_clause 0x3
	buffer_load_dword v126, v128, s[0:3], 0 offen offset:8
	buffer_load_dword v127, v128, s[0:3], 0 offen offset:12
	buffer_load_dword v134, v128, s[0:3], 0 offen
	buffer_load_dword v135, v128, s[0:3], 0 offen offset:4
	v_mov_b32_e32 v128, s68
	v_cmp_eq_u32_e32 vcc_lo, 0, v125
	s_add_i32 s68, s68, 16
	ds_read_b128 v[130:133], v128
	s_or_b32 s5, vcc_lo, s5
	s_waitcnt vmcnt(2) lgkmcnt(0)
	v_mul_f64 v[136:137], v[132:133], v[126:127]
	v_mul_f64 v[126:127], v[130:131], v[126:127]
	s_waitcnt vmcnt(0)
	v_fma_f64 v[130:131], v[130:131], v[134:135], -v[136:137]
	v_fma_f64 v[126:127], v[132:133], v[134:135], v[126:127]
	v_add_f64 v[1:2], v[1:2], v[130:131]
	v_add_f64 v[3:4], v[3:4], v[126:127]
	s_andn2_b32 exec_lo, exec_lo, s5
	s_cbranch_execnz .LBB122_392
; %bb.393:
	s_or_b32 exec_lo, exec_lo, s5
.LBB122_394:
	s_or_b32 exec_lo, exec_lo, s67
	v_mov_b32_e32 v125, 0
	ds_read_b128 v[125:128], v125 offset:144
	s_waitcnt lgkmcnt(0)
	v_mul_f64 v[130:131], v[3:4], v[127:128]
	v_mul_f64 v[127:128], v[1:2], v[127:128]
	v_fma_f64 v[1:2], v[1:2], v[125:126], -v[130:131]
	v_fma_f64 v[3:4], v[3:4], v[125:126], v[127:128]
	buffer_store_dword v2, off, s[0:3], 0 offset:148
	buffer_store_dword v1, off, s[0:3], 0 offset:144
	;; [unrolled: 1-line block ×4, first 2 shown]
.LBB122_395:
	s_or_b32 exec_lo, exec_lo, s8
	v_mov_b32_e32 v4, s58
	v_cmp_lt_u32_e64 s5, 8, v0
	s_clause 0x3
	buffer_load_dword v1, v4, s[0:3], 0 offen
	buffer_load_dword v2, v4, s[0:3], 0 offen offset:4
	buffer_load_dword v3, v4, s[0:3], 0 offen offset:8
	;; [unrolled: 1-line block ×3, first 2 shown]
	s_waitcnt vmcnt(0)
	ds_write_b128 v124, v[1:4]
	s_waitcnt lgkmcnt(0)
	s_waitcnt_vscnt null, 0x0
	s_barrier
	buffer_gl0_inv
	s_and_saveexec_b32 s8, s5
	s_cbranch_execz .LBB122_403
; %bb.396:
	ds_read_b128 v[1:4], v124
	s_andn2_b32 vcc_lo, exec_lo, s66
	s_cbranch_vccnz .LBB122_398
; %bb.397:
	s_clause 0x3
	buffer_load_dword v125, v123, s[0:3], 0 offen offset:8
	buffer_load_dword v126, v123, s[0:3], 0 offen offset:12
	buffer_load_dword v127, v123, s[0:3], 0 offen
	buffer_load_dword v128, v123, s[0:3], 0 offen offset:4
	s_waitcnt vmcnt(2) lgkmcnt(0)
	v_mul_f64 v[130:131], v[3:4], v[125:126]
	v_mul_f64 v[125:126], v[1:2], v[125:126]
	s_waitcnt vmcnt(0)
	v_fma_f64 v[1:2], v[1:2], v[127:128], -v[130:131]
	v_fma_f64 v[3:4], v[3:4], v[127:128], v[125:126]
.LBB122_398:
	s_and_saveexec_b32 s67, s4
	s_cbranch_execz .LBB122_402
; %bb.399:
	v_add_nc_u32_e32 v125, -9, v0
	s_movk_i32 s68, 0x440
	s_mov_b32 s4, 0
	s_mov_b32 s69, s57
	.p2align	6
.LBB122_400:                            ; =>This Inner Loop Header: Depth=1
	v_mov_b32_e32 v128, s69
	v_add_nc_u32_e32 v125, -1, v125
	s_add_i32 s69, s69, 16
	s_clause 0x3
	buffer_load_dword v126, v128, s[0:3], 0 offen offset:8
	buffer_load_dword v127, v128, s[0:3], 0 offen offset:12
	buffer_load_dword v134, v128, s[0:3], 0 offen
	buffer_load_dword v135, v128, s[0:3], 0 offen offset:4
	v_mov_b32_e32 v128, s68
	v_cmp_eq_u32_e32 vcc_lo, 0, v125
	s_add_i32 s68, s68, 16
	ds_read_b128 v[130:133], v128
	s_or_b32 s4, vcc_lo, s4
	s_waitcnt vmcnt(2) lgkmcnt(0)
	v_mul_f64 v[136:137], v[132:133], v[126:127]
	v_mul_f64 v[126:127], v[130:131], v[126:127]
	s_waitcnt vmcnt(0)
	v_fma_f64 v[130:131], v[130:131], v[134:135], -v[136:137]
	v_fma_f64 v[126:127], v[132:133], v[134:135], v[126:127]
	v_add_f64 v[1:2], v[1:2], v[130:131]
	v_add_f64 v[3:4], v[3:4], v[126:127]
	s_andn2_b32 exec_lo, exec_lo, s4
	s_cbranch_execnz .LBB122_400
; %bb.401:
	s_or_b32 exec_lo, exec_lo, s4
.LBB122_402:
	s_or_b32 exec_lo, exec_lo, s67
	v_mov_b32_e32 v125, 0
	ds_read_b128 v[125:128], v125 offset:128
	s_waitcnt lgkmcnt(0)
	v_mul_f64 v[130:131], v[3:4], v[127:128]
	v_mul_f64 v[127:128], v[1:2], v[127:128]
	v_fma_f64 v[1:2], v[1:2], v[125:126], -v[130:131]
	v_fma_f64 v[3:4], v[3:4], v[125:126], v[127:128]
	buffer_store_dword v2, off, s[0:3], 0 offset:132
	buffer_store_dword v1, off, s[0:3], 0 offset:128
	;; [unrolled: 1-line block ×4, first 2 shown]
.LBB122_403:
	s_or_b32 exec_lo, exec_lo, s8
	v_mov_b32_e32 v4, s59
	v_cmp_lt_u32_e64 s4, 7, v0
	s_clause 0x3
	buffer_load_dword v1, v4, s[0:3], 0 offen
	buffer_load_dword v2, v4, s[0:3], 0 offen offset:4
	buffer_load_dword v3, v4, s[0:3], 0 offen offset:8
	;; [unrolled: 1-line block ×3, first 2 shown]
	s_waitcnt vmcnt(0)
	ds_write_b128 v124, v[1:4]
	s_waitcnt lgkmcnt(0)
	s_waitcnt_vscnt null, 0x0
	s_barrier
	buffer_gl0_inv
	s_and_saveexec_b32 s8, s4
	s_cbranch_execz .LBB122_411
; %bb.404:
	ds_read_b128 v[1:4], v124
	s_andn2_b32 vcc_lo, exec_lo, s66
	s_cbranch_vccnz .LBB122_406
; %bb.405:
	s_clause 0x3
	buffer_load_dword v125, v123, s[0:3], 0 offen offset:8
	buffer_load_dword v126, v123, s[0:3], 0 offen offset:12
	buffer_load_dword v127, v123, s[0:3], 0 offen
	buffer_load_dword v128, v123, s[0:3], 0 offen offset:4
	s_waitcnt vmcnt(2) lgkmcnt(0)
	v_mul_f64 v[130:131], v[3:4], v[125:126]
	v_mul_f64 v[125:126], v[1:2], v[125:126]
	s_waitcnt vmcnt(0)
	v_fma_f64 v[1:2], v[1:2], v[127:128], -v[130:131]
	v_fma_f64 v[3:4], v[3:4], v[127:128], v[125:126]
.LBB122_406:
	s_and_saveexec_b32 s67, s5
	s_cbranch_execz .LBB122_410
; %bb.407:
	v_add_nc_u32_e32 v125, -8, v0
	s_movk_i32 s68, 0x430
	s_mov_b32 s5, 0
	s_mov_b32 s69, s58
	.p2align	6
.LBB122_408:                            ; =>This Inner Loop Header: Depth=1
	v_mov_b32_e32 v128, s69
	v_add_nc_u32_e32 v125, -1, v125
	s_add_i32 s69, s69, 16
	s_clause 0x3
	buffer_load_dword v126, v128, s[0:3], 0 offen offset:8
	buffer_load_dword v127, v128, s[0:3], 0 offen offset:12
	buffer_load_dword v134, v128, s[0:3], 0 offen
	buffer_load_dword v135, v128, s[0:3], 0 offen offset:4
	v_mov_b32_e32 v128, s68
	v_cmp_eq_u32_e32 vcc_lo, 0, v125
	s_add_i32 s68, s68, 16
	ds_read_b128 v[130:133], v128
	s_or_b32 s5, vcc_lo, s5
	s_waitcnt vmcnt(2) lgkmcnt(0)
	v_mul_f64 v[136:137], v[132:133], v[126:127]
	v_mul_f64 v[126:127], v[130:131], v[126:127]
	s_waitcnt vmcnt(0)
	v_fma_f64 v[130:131], v[130:131], v[134:135], -v[136:137]
	v_fma_f64 v[126:127], v[132:133], v[134:135], v[126:127]
	v_add_f64 v[1:2], v[1:2], v[130:131]
	v_add_f64 v[3:4], v[3:4], v[126:127]
	s_andn2_b32 exec_lo, exec_lo, s5
	s_cbranch_execnz .LBB122_408
; %bb.409:
	s_or_b32 exec_lo, exec_lo, s5
.LBB122_410:
	s_or_b32 exec_lo, exec_lo, s67
	v_mov_b32_e32 v125, 0
	ds_read_b128 v[125:128], v125 offset:112
	s_waitcnt lgkmcnt(0)
	v_mul_f64 v[130:131], v[3:4], v[127:128]
	v_mul_f64 v[127:128], v[1:2], v[127:128]
	v_fma_f64 v[1:2], v[1:2], v[125:126], -v[130:131]
	v_fma_f64 v[3:4], v[3:4], v[125:126], v[127:128]
	buffer_store_dword v2, off, s[0:3], 0 offset:116
	buffer_store_dword v1, off, s[0:3], 0 offset:112
	;; [unrolled: 1-line block ×4, first 2 shown]
.LBB122_411:
	s_or_b32 exec_lo, exec_lo, s8
	v_mov_b32_e32 v4, s60
	v_cmp_lt_u32_e64 s5, 6, v0
	s_clause 0x3
	buffer_load_dword v1, v4, s[0:3], 0 offen
	buffer_load_dword v2, v4, s[0:3], 0 offen offset:4
	buffer_load_dword v3, v4, s[0:3], 0 offen offset:8
	;; [unrolled: 1-line block ×3, first 2 shown]
	s_waitcnt vmcnt(0)
	ds_write_b128 v124, v[1:4]
	s_waitcnt lgkmcnt(0)
	s_waitcnt_vscnt null, 0x0
	s_barrier
	buffer_gl0_inv
	s_and_saveexec_b32 s8, s5
	s_cbranch_execz .LBB122_419
; %bb.412:
	ds_read_b128 v[1:4], v124
	s_andn2_b32 vcc_lo, exec_lo, s66
	s_cbranch_vccnz .LBB122_414
; %bb.413:
	s_clause 0x3
	buffer_load_dword v125, v123, s[0:3], 0 offen offset:8
	buffer_load_dword v126, v123, s[0:3], 0 offen offset:12
	buffer_load_dword v127, v123, s[0:3], 0 offen
	buffer_load_dword v128, v123, s[0:3], 0 offen offset:4
	s_waitcnt vmcnt(2) lgkmcnt(0)
	v_mul_f64 v[130:131], v[3:4], v[125:126]
	v_mul_f64 v[125:126], v[1:2], v[125:126]
	s_waitcnt vmcnt(0)
	v_fma_f64 v[1:2], v[1:2], v[127:128], -v[130:131]
	v_fma_f64 v[3:4], v[3:4], v[127:128], v[125:126]
.LBB122_414:
	s_and_saveexec_b32 s67, s4
	s_cbranch_execz .LBB122_418
; %bb.415:
	v_add_nc_u32_e32 v125, -7, v0
	s_movk_i32 s68, 0x420
	s_mov_b32 s4, 0
	s_mov_b32 s69, s59
	.p2align	6
.LBB122_416:                            ; =>This Inner Loop Header: Depth=1
	v_mov_b32_e32 v128, s69
	v_add_nc_u32_e32 v125, -1, v125
	s_add_i32 s69, s69, 16
	s_clause 0x3
	buffer_load_dword v126, v128, s[0:3], 0 offen offset:8
	buffer_load_dword v127, v128, s[0:3], 0 offen offset:12
	buffer_load_dword v134, v128, s[0:3], 0 offen
	buffer_load_dword v135, v128, s[0:3], 0 offen offset:4
	v_mov_b32_e32 v128, s68
	v_cmp_eq_u32_e32 vcc_lo, 0, v125
	s_add_i32 s68, s68, 16
	ds_read_b128 v[130:133], v128
	s_or_b32 s4, vcc_lo, s4
	s_waitcnt vmcnt(2) lgkmcnt(0)
	v_mul_f64 v[136:137], v[132:133], v[126:127]
	v_mul_f64 v[126:127], v[130:131], v[126:127]
	s_waitcnt vmcnt(0)
	v_fma_f64 v[130:131], v[130:131], v[134:135], -v[136:137]
	v_fma_f64 v[126:127], v[132:133], v[134:135], v[126:127]
	v_add_f64 v[1:2], v[1:2], v[130:131]
	v_add_f64 v[3:4], v[3:4], v[126:127]
	s_andn2_b32 exec_lo, exec_lo, s4
	s_cbranch_execnz .LBB122_416
; %bb.417:
	s_or_b32 exec_lo, exec_lo, s4
.LBB122_418:
	s_or_b32 exec_lo, exec_lo, s67
	v_mov_b32_e32 v125, 0
	ds_read_b128 v[125:128], v125 offset:96
	s_waitcnt lgkmcnt(0)
	v_mul_f64 v[130:131], v[3:4], v[127:128]
	v_mul_f64 v[127:128], v[1:2], v[127:128]
	v_fma_f64 v[1:2], v[1:2], v[125:126], -v[130:131]
	v_fma_f64 v[3:4], v[3:4], v[125:126], v[127:128]
	buffer_store_dword v2, off, s[0:3], 0 offset:100
	buffer_store_dword v1, off, s[0:3], 0 offset:96
	;; [unrolled: 1-line block ×4, first 2 shown]
.LBB122_419:
	s_or_b32 exec_lo, exec_lo, s8
	v_mov_b32_e32 v4, s61
	v_cmp_lt_u32_e64 s4, 5, v0
	s_clause 0x3
	buffer_load_dword v1, v4, s[0:3], 0 offen
	buffer_load_dword v2, v4, s[0:3], 0 offen offset:4
	buffer_load_dword v3, v4, s[0:3], 0 offen offset:8
	;; [unrolled: 1-line block ×3, first 2 shown]
	s_waitcnt vmcnt(0)
	ds_write_b128 v124, v[1:4]
	s_waitcnt lgkmcnt(0)
	s_waitcnt_vscnt null, 0x0
	s_barrier
	buffer_gl0_inv
	s_and_saveexec_b32 s8, s4
	s_cbranch_execz .LBB122_427
; %bb.420:
	ds_read_b128 v[1:4], v124
	s_andn2_b32 vcc_lo, exec_lo, s66
	s_cbranch_vccnz .LBB122_422
; %bb.421:
	s_clause 0x3
	buffer_load_dword v125, v123, s[0:3], 0 offen offset:8
	buffer_load_dword v126, v123, s[0:3], 0 offen offset:12
	buffer_load_dword v127, v123, s[0:3], 0 offen
	buffer_load_dword v128, v123, s[0:3], 0 offen offset:4
	s_waitcnt vmcnt(2) lgkmcnt(0)
	v_mul_f64 v[130:131], v[3:4], v[125:126]
	v_mul_f64 v[125:126], v[1:2], v[125:126]
	s_waitcnt vmcnt(0)
	v_fma_f64 v[1:2], v[1:2], v[127:128], -v[130:131]
	v_fma_f64 v[3:4], v[3:4], v[127:128], v[125:126]
.LBB122_422:
	s_and_saveexec_b32 s67, s5
	s_cbranch_execz .LBB122_426
; %bb.423:
	v_add_nc_u32_e32 v125, -6, v0
	s_movk_i32 s68, 0x410
	s_mov_b32 s5, 0
	s_mov_b32 s69, s60
	.p2align	6
.LBB122_424:                            ; =>This Inner Loop Header: Depth=1
	v_mov_b32_e32 v128, s69
	v_add_nc_u32_e32 v125, -1, v125
	s_add_i32 s69, s69, 16
	s_clause 0x3
	buffer_load_dword v126, v128, s[0:3], 0 offen offset:8
	buffer_load_dword v127, v128, s[0:3], 0 offen offset:12
	buffer_load_dword v134, v128, s[0:3], 0 offen
	buffer_load_dword v135, v128, s[0:3], 0 offen offset:4
	v_mov_b32_e32 v128, s68
	v_cmp_eq_u32_e32 vcc_lo, 0, v125
	s_add_i32 s68, s68, 16
	ds_read_b128 v[130:133], v128
	s_or_b32 s5, vcc_lo, s5
	s_waitcnt vmcnt(2) lgkmcnt(0)
	v_mul_f64 v[136:137], v[132:133], v[126:127]
	v_mul_f64 v[126:127], v[130:131], v[126:127]
	s_waitcnt vmcnt(0)
	v_fma_f64 v[130:131], v[130:131], v[134:135], -v[136:137]
	v_fma_f64 v[126:127], v[132:133], v[134:135], v[126:127]
	v_add_f64 v[1:2], v[1:2], v[130:131]
	v_add_f64 v[3:4], v[3:4], v[126:127]
	s_andn2_b32 exec_lo, exec_lo, s5
	s_cbranch_execnz .LBB122_424
; %bb.425:
	s_or_b32 exec_lo, exec_lo, s5
.LBB122_426:
	s_or_b32 exec_lo, exec_lo, s67
	v_mov_b32_e32 v125, 0
	ds_read_b128 v[125:128], v125 offset:80
	s_waitcnt lgkmcnt(0)
	v_mul_f64 v[130:131], v[3:4], v[127:128]
	v_mul_f64 v[127:128], v[1:2], v[127:128]
	v_fma_f64 v[1:2], v[1:2], v[125:126], -v[130:131]
	v_fma_f64 v[3:4], v[3:4], v[125:126], v[127:128]
	buffer_store_dword v2, off, s[0:3], 0 offset:84
	buffer_store_dword v1, off, s[0:3], 0 offset:80
	;; [unrolled: 1-line block ×4, first 2 shown]
.LBB122_427:
	s_or_b32 exec_lo, exec_lo, s8
	v_mov_b32_e32 v4, s62
	v_cmp_lt_u32_e64 s5, 4, v0
	s_clause 0x3
	buffer_load_dword v1, v4, s[0:3], 0 offen
	buffer_load_dword v2, v4, s[0:3], 0 offen offset:4
	buffer_load_dword v3, v4, s[0:3], 0 offen offset:8
	;; [unrolled: 1-line block ×3, first 2 shown]
	s_waitcnt vmcnt(0)
	ds_write_b128 v124, v[1:4]
	s_waitcnt lgkmcnt(0)
	s_waitcnt_vscnt null, 0x0
	s_barrier
	buffer_gl0_inv
	s_and_saveexec_b32 s8, s5
	s_cbranch_execz .LBB122_435
; %bb.428:
	ds_read_b128 v[1:4], v124
	s_andn2_b32 vcc_lo, exec_lo, s66
	s_cbranch_vccnz .LBB122_430
; %bb.429:
	s_clause 0x3
	buffer_load_dword v125, v123, s[0:3], 0 offen offset:8
	buffer_load_dword v126, v123, s[0:3], 0 offen offset:12
	buffer_load_dword v127, v123, s[0:3], 0 offen
	buffer_load_dword v128, v123, s[0:3], 0 offen offset:4
	s_waitcnt vmcnt(2) lgkmcnt(0)
	v_mul_f64 v[130:131], v[3:4], v[125:126]
	v_mul_f64 v[125:126], v[1:2], v[125:126]
	s_waitcnt vmcnt(0)
	v_fma_f64 v[1:2], v[1:2], v[127:128], -v[130:131]
	v_fma_f64 v[3:4], v[3:4], v[127:128], v[125:126]
.LBB122_430:
	s_and_saveexec_b32 s67, s4
	s_cbranch_execz .LBB122_434
; %bb.431:
	v_add_nc_u32_e32 v125, -5, v0
	s_movk_i32 s68, 0x400
	s_mov_b32 s4, 0
	s_mov_b32 s69, s61
	.p2align	6
.LBB122_432:                            ; =>This Inner Loop Header: Depth=1
	v_mov_b32_e32 v128, s69
	v_add_nc_u32_e32 v125, -1, v125
	s_add_i32 s69, s69, 16
	s_clause 0x3
	buffer_load_dword v126, v128, s[0:3], 0 offen offset:8
	buffer_load_dword v127, v128, s[0:3], 0 offen offset:12
	buffer_load_dword v134, v128, s[0:3], 0 offen
	buffer_load_dword v135, v128, s[0:3], 0 offen offset:4
	v_mov_b32_e32 v128, s68
	v_cmp_eq_u32_e32 vcc_lo, 0, v125
	s_add_i32 s68, s68, 16
	ds_read_b128 v[130:133], v128
	s_or_b32 s4, vcc_lo, s4
	s_waitcnt vmcnt(2) lgkmcnt(0)
	v_mul_f64 v[136:137], v[132:133], v[126:127]
	v_mul_f64 v[126:127], v[130:131], v[126:127]
	s_waitcnt vmcnt(0)
	v_fma_f64 v[130:131], v[130:131], v[134:135], -v[136:137]
	v_fma_f64 v[126:127], v[132:133], v[134:135], v[126:127]
	v_add_f64 v[1:2], v[1:2], v[130:131]
	v_add_f64 v[3:4], v[3:4], v[126:127]
	s_andn2_b32 exec_lo, exec_lo, s4
	s_cbranch_execnz .LBB122_432
; %bb.433:
	s_or_b32 exec_lo, exec_lo, s4
.LBB122_434:
	s_or_b32 exec_lo, exec_lo, s67
	v_mov_b32_e32 v125, 0
	ds_read_b128 v[125:128], v125 offset:64
	s_waitcnt lgkmcnt(0)
	v_mul_f64 v[130:131], v[3:4], v[127:128]
	v_mul_f64 v[127:128], v[1:2], v[127:128]
	v_fma_f64 v[1:2], v[1:2], v[125:126], -v[130:131]
	v_fma_f64 v[3:4], v[3:4], v[125:126], v[127:128]
	buffer_store_dword v2, off, s[0:3], 0 offset:68
	buffer_store_dword v1, off, s[0:3], 0 offset:64
	;; [unrolled: 1-line block ×4, first 2 shown]
.LBB122_435:
	s_or_b32 exec_lo, exec_lo, s8
	v_mov_b32_e32 v4, s63
	v_cmp_lt_u32_e64 s4, 3, v0
	s_clause 0x3
	buffer_load_dword v1, v4, s[0:3], 0 offen
	buffer_load_dword v2, v4, s[0:3], 0 offen offset:4
	buffer_load_dword v3, v4, s[0:3], 0 offen offset:8
	;; [unrolled: 1-line block ×3, first 2 shown]
	s_waitcnt vmcnt(0)
	ds_write_b128 v124, v[1:4]
	s_waitcnt lgkmcnt(0)
	s_waitcnt_vscnt null, 0x0
	s_barrier
	buffer_gl0_inv
	s_and_saveexec_b32 s8, s4
	s_cbranch_execz .LBB122_443
; %bb.436:
	ds_read_b128 v[1:4], v124
	s_andn2_b32 vcc_lo, exec_lo, s66
	s_cbranch_vccnz .LBB122_438
; %bb.437:
	s_clause 0x3
	buffer_load_dword v125, v123, s[0:3], 0 offen offset:8
	buffer_load_dword v126, v123, s[0:3], 0 offen offset:12
	buffer_load_dword v127, v123, s[0:3], 0 offen
	buffer_load_dword v128, v123, s[0:3], 0 offen offset:4
	s_waitcnt vmcnt(2) lgkmcnt(0)
	v_mul_f64 v[130:131], v[3:4], v[125:126]
	v_mul_f64 v[125:126], v[1:2], v[125:126]
	s_waitcnt vmcnt(0)
	v_fma_f64 v[1:2], v[1:2], v[127:128], -v[130:131]
	v_fma_f64 v[3:4], v[3:4], v[127:128], v[125:126]
.LBB122_438:
	s_and_saveexec_b32 s67, s5
	s_cbranch_execz .LBB122_442
; %bb.439:
	v_add_nc_u32_e32 v125, -4, v0
	s_movk_i32 s68, 0x3f0
	s_mov_b32 s5, 0
	s_mov_b32 s69, s62
	.p2align	6
.LBB122_440:                            ; =>This Inner Loop Header: Depth=1
	v_mov_b32_e32 v128, s69
	v_add_nc_u32_e32 v125, -1, v125
	s_add_i32 s69, s69, 16
	s_clause 0x3
	buffer_load_dword v126, v128, s[0:3], 0 offen offset:8
	buffer_load_dword v127, v128, s[0:3], 0 offen offset:12
	buffer_load_dword v134, v128, s[0:3], 0 offen
	buffer_load_dword v135, v128, s[0:3], 0 offen offset:4
	v_mov_b32_e32 v128, s68
	v_cmp_eq_u32_e32 vcc_lo, 0, v125
	s_add_i32 s68, s68, 16
	ds_read_b128 v[130:133], v128
	s_or_b32 s5, vcc_lo, s5
	s_waitcnt vmcnt(2) lgkmcnt(0)
	v_mul_f64 v[136:137], v[132:133], v[126:127]
	v_mul_f64 v[126:127], v[130:131], v[126:127]
	s_waitcnt vmcnt(0)
	v_fma_f64 v[130:131], v[130:131], v[134:135], -v[136:137]
	v_fma_f64 v[126:127], v[132:133], v[134:135], v[126:127]
	v_add_f64 v[1:2], v[1:2], v[130:131]
	v_add_f64 v[3:4], v[3:4], v[126:127]
	s_andn2_b32 exec_lo, exec_lo, s5
	s_cbranch_execnz .LBB122_440
; %bb.441:
	s_or_b32 exec_lo, exec_lo, s5
.LBB122_442:
	s_or_b32 exec_lo, exec_lo, s67
	v_mov_b32_e32 v125, 0
	ds_read_b128 v[125:128], v125 offset:48
	s_waitcnt lgkmcnt(0)
	v_mul_f64 v[130:131], v[3:4], v[127:128]
	v_mul_f64 v[127:128], v[1:2], v[127:128]
	v_fma_f64 v[1:2], v[1:2], v[125:126], -v[130:131]
	v_fma_f64 v[3:4], v[3:4], v[125:126], v[127:128]
	buffer_store_dword v2, off, s[0:3], 0 offset:52
	buffer_store_dword v1, off, s[0:3], 0 offset:48
	;; [unrolled: 1-line block ×4, first 2 shown]
.LBB122_443:
	s_or_b32 exec_lo, exec_lo, s8
	v_mov_b32_e32 v4, s64
	v_cmp_lt_u32_e64 s5, 2, v0
	s_clause 0x3
	buffer_load_dword v1, v4, s[0:3], 0 offen
	buffer_load_dword v2, v4, s[0:3], 0 offen offset:4
	buffer_load_dword v3, v4, s[0:3], 0 offen offset:8
	;; [unrolled: 1-line block ×3, first 2 shown]
	s_waitcnt vmcnt(0)
	ds_write_b128 v124, v[1:4]
	s_waitcnt lgkmcnt(0)
	s_waitcnt_vscnt null, 0x0
	s_barrier
	buffer_gl0_inv
	s_and_saveexec_b32 s8, s5
	s_cbranch_execz .LBB122_451
; %bb.444:
	ds_read_b128 v[1:4], v124
	s_andn2_b32 vcc_lo, exec_lo, s66
	s_cbranch_vccnz .LBB122_446
; %bb.445:
	s_clause 0x3
	buffer_load_dword v125, v123, s[0:3], 0 offen offset:8
	buffer_load_dword v126, v123, s[0:3], 0 offen offset:12
	buffer_load_dword v127, v123, s[0:3], 0 offen
	buffer_load_dword v128, v123, s[0:3], 0 offen offset:4
	s_waitcnt vmcnt(2) lgkmcnt(0)
	v_mul_f64 v[130:131], v[3:4], v[125:126]
	v_mul_f64 v[125:126], v[1:2], v[125:126]
	s_waitcnt vmcnt(0)
	v_fma_f64 v[1:2], v[1:2], v[127:128], -v[130:131]
	v_fma_f64 v[3:4], v[3:4], v[127:128], v[125:126]
.LBB122_446:
	s_and_saveexec_b32 s67, s4
	s_cbranch_execz .LBB122_450
; %bb.447:
	v_add_nc_u32_e32 v125, -3, v0
	s_movk_i32 s68, 0x3e0
	s_mov_b32 s4, 0
	s_mov_b32 s69, s63
	.p2align	6
.LBB122_448:                            ; =>This Inner Loop Header: Depth=1
	v_mov_b32_e32 v128, s69
	v_add_nc_u32_e32 v125, -1, v125
	s_add_i32 s69, s69, 16
	s_clause 0x3
	buffer_load_dword v126, v128, s[0:3], 0 offen offset:8
	buffer_load_dword v127, v128, s[0:3], 0 offen offset:12
	buffer_load_dword v134, v128, s[0:3], 0 offen
	buffer_load_dword v135, v128, s[0:3], 0 offen offset:4
	v_mov_b32_e32 v128, s68
	v_cmp_eq_u32_e32 vcc_lo, 0, v125
	s_add_i32 s68, s68, 16
	ds_read_b128 v[130:133], v128
	s_or_b32 s4, vcc_lo, s4
	s_waitcnt vmcnt(2) lgkmcnt(0)
	v_mul_f64 v[136:137], v[132:133], v[126:127]
	v_mul_f64 v[126:127], v[130:131], v[126:127]
	s_waitcnt vmcnt(0)
	v_fma_f64 v[130:131], v[130:131], v[134:135], -v[136:137]
	v_fma_f64 v[126:127], v[132:133], v[134:135], v[126:127]
	v_add_f64 v[1:2], v[1:2], v[130:131]
	v_add_f64 v[3:4], v[3:4], v[126:127]
	s_andn2_b32 exec_lo, exec_lo, s4
	s_cbranch_execnz .LBB122_448
; %bb.449:
	s_or_b32 exec_lo, exec_lo, s4
.LBB122_450:
	s_or_b32 exec_lo, exec_lo, s67
	v_mov_b32_e32 v125, 0
	ds_read_b128 v[125:128], v125 offset:32
	s_waitcnt lgkmcnt(0)
	v_mul_f64 v[130:131], v[3:4], v[127:128]
	v_mul_f64 v[127:128], v[1:2], v[127:128]
	v_fma_f64 v[1:2], v[1:2], v[125:126], -v[130:131]
	v_fma_f64 v[3:4], v[3:4], v[125:126], v[127:128]
	buffer_store_dword v2, off, s[0:3], 0 offset:36
	buffer_store_dword v1, off, s[0:3], 0 offset:32
	;; [unrolled: 1-line block ×4, first 2 shown]
.LBB122_451:
	s_or_b32 exec_lo, exec_lo, s8
	v_mov_b32_e32 v4, s65
	v_cmp_lt_u32_e64 s4, 1, v0
	s_clause 0x3
	buffer_load_dword v1, v4, s[0:3], 0 offen
	buffer_load_dword v2, v4, s[0:3], 0 offen offset:4
	buffer_load_dword v3, v4, s[0:3], 0 offen offset:8
	;; [unrolled: 1-line block ×3, first 2 shown]
	s_waitcnt vmcnt(0)
	ds_write_b128 v124, v[1:4]
	s_waitcnt lgkmcnt(0)
	s_waitcnt_vscnt null, 0x0
	s_barrier
	buffer_gl0_inv
	s_and_saveexec_b32 s8, s4
	s_cbranch_execz .LBB122_459
; %bb.452:
	ds_read_b128 v[1:4], v124
	s_andn2_b32 vcc_lo, exec_lo, s66
	s_cbranch_vccnz .LBB122_454
; %bb.453:
	s_clause 0x3
	buffer_load_dword v125, v123, s[0:3], 0 offen offset:8
	buffer_load_dword v126, v123, s[0:3], 0 offen offset:12
	buffer_load_dword v127, v123, s[0:3], 0 offen
	buffer_load_dword v128, v123, s[0:3], 0 offen offset:4
	s_waitcnt vmcnt(2) lgkmcnt(0)
	v_mul_f64 v[130:131], v[3:4], v[125:126]
	v_mul_f64 v[125:126], v[1:2], v[125:126]
	s_waitcnt vmcnt(0)
	v_fma_f64 v[1:2], v[1:2], v[127:128], -v[130:131]
	v_fma_f64 v[3:4], v[3:4], v[127:128], v[125:126]
.LBB122_454:
	s_and_saveexec_b32 s67, s5
	s_cbranch_execz .LBB122_458
; %bb.455:
	v_add_nc_u32_e32 v125, -2, v0
	s_movk_i32 s68, 0x3d0
	s_mov_b32 s5, 0
	s_mov_b32 s69, s64
	.p2align	6
.LBB122_456:                            ; =>This Inner Loop Header: Depth=1
	v_mov_b32_e32 v128, s69
	v_add_nc_u32_e32 v125, -1, v125
	s_add_i32 s69, s69, 16
	s_clause 0x3
	buffer_load_dword v126, v128, s[0:3], 0 offen offset:8
	buffer_load_dword v127, v128, s[0:3], 0 offen offset:12
	buffer_load_dword v134, v128, s[0:3], 0 offen
	buffer_load_dword v135, v128, s[0:3], 0 offen offset:4
	v_mov_b32_e32 v128, s68
	v_cmp_eq_u32_e32 vcc_lo, 0, v125
	s_add_i32 s68, s68, 16
	ds_read_b128 v[130:133], v128
	s_or_b32 s5, vcc_lo, s5
	s_waitcnt vmcnt(2) lgkmcnt(0)
	v_mul_f64 v[136:137], v[132:133], v[126:127]
	v_mul_f64 v[126:127], v[130:131], v[126:127]
	s_waitcnt vmcnt(0)
	v_fma_f64 v[130:131], v[130:131], v[134:135], -v[136:137]
	v_fma_f64 v[126:127], v[132:133], v[134:135], v[126:127]
	v_add_f64 v[1:2], v[1:2], v[130:131]
	v_add_f64 v[3:4], v[3:4], v[126:127]
	s_andn2_b32 exec_lo, exec_lo, s5
	s_cbranch_execnz .LBB122_456
; %bb.457:
	s_or_b32 exec_lo, exec_lo, s5
.LBB122_458:
	s_or_b32 exec_lo, exec_lo, s67
	v_mov_b32_e32 v125, 0
	ds_read_b128 v[125:128], v125 offset:16
	s_waitcnt lgkmcnt(0)
	v_mul_f64 v[130:131], v[3:4], v[127:128]
	v_mul_f64 v[127:128], v[1:2], v[127:128]
	v_fma_f64 v[1:2], v[1:2], v[125:126], -v[130:131]
	v_fma_f64 v[3:4], v[3:4], v[125:126], v[127:128]
	buffer_store_dword v2, off, s[0:3], 0 offset:20
	buffer_store_dword v1, off, s[0:3], 0 offset:16
	;; [unrolled: 1-line block ×4, first 2 shown]
.LBB122_459:
	s_or_b32 exec_lo, exec_lo, s8
	s_clause 0x3
	buffer_load_dword v1, off, s[0:3], 0
	buffer_load_dword v2, off, s[0:3], 0 offset:4
	buffer_load_dword v3, off, s[0:3], 0 offset:8
	;; [unrolled: 1-line block ×3, first 2 shown]
	s_mov_b32 s8, 0
	s_mov_b32 s5, 0
	s_mov_b32 s67, exec_lo
                                        ; implicit-def: $sgpr68
	s_waitcnt vmcnt(0)
	ds_write_b128 v124, v[1:4]
	s_waitcnt lgkmcnt(0)
	s_waitcnt_vscnt null, 0x0
	s_barrier
	buffer_gl0_inv
                                        ; implicit-def: $vgpr1_vgpr2
	v_cmpx_ne_u32_e32 0, v0
	s_cbranch_execz .LBB122_467
; %bb.460:
	ds_read_b128 v[1:4], v124
	s_andn2_b32 vcc_lo, exec_lo, s66
	s_cbranch_vccnz .LBB122_462
; %bb.461:
	s_clause 0x3
	buffer_load_dword v125, v123, s[0:3], 0 offen offset:8
	buffer_load_dword v126, v123, s[0:3], 0 offen offset:12
	buffer_load_dword v127, v123, s[0:3], 0 offen
	buffer_load_dword v128, v123, s[0:3], 0 offen offset:4
	s_waitcnt vmcnt(2) lgkmcnt(0)
	v_mul_f64 v[130:131], v[3:4], v[125:126]
	v_mul_f64 v[125:126], v[1:2], v[125:126]
	s_waitcnt vmcnt(0)
	v_fma_f64 v[1:2], v[1:2], v[127:128], -v[130:131]
	v_fma_f64 v[3:4], v[3:4], v[127:128], v[125:126]
.LBB122_462:
	s_and_saveexec_b32 s5, s4
	s_cbranch_execz .LBB122_466
; %bb.463:
	v_add_nc_u32_e32 v125, -1, v0
	s_movk_i32 s68, 0x3c0
	s_mov_b32 s4, 0
	s_mov_b32 s69, s65
	.p2align	6
.LBB122_464:                            ; =>This Inner Loop Header: Depth=1
	v_mov_b32_e32 v128, s69
	v_add_nc_u32_e32 v125, -1, v125
	s_add_i32 s69, s69, 16
	s_clause 0x3
	buffer_load_dword v126, v128, s[0:3], 0 offen offset:8
	buffer_load_dword v127, v128, s[0:3], 0 offen offset:12
	buffer_load_dword v134, v128, s[0:3], 0 offen
	buffer_load_dword v135, v128, s[0:3], 0 offen offset:4
	v_mov_b32_e32 v128, s68
	v_cmp_eq_u32_e32 vcc_lo, 0, v125
	s_add_i32 s68, s68, 16
	ds_read_b128 v[130:133], v128
	s_or_b32 s4, vcc_lo, s4
	s_waitcnt vmcnt(2) lgkmcnt(0)
	v_mul_f64 v[136:137], v[132:133], v[126:127]
	v_mul_f64 v[126:127], v[130:131], v[126:127]
	s_waitcnt vmcnt(0)
	v_fma_f64 v[130:131], v[130:131], v[134:135], -v[136:137]
	v_fma_f64 v[126:127], v[132:133], v[134:135], v[126:127]
	v_add_f64 v[1:2], v[1:2], v[130:131]
	v_add_f64 v[3:4], v[3:4], v[126:127]
	s_andn2_b32 exec_lo, exec_lo, s4
	s_cbranch_execnz .LBB122_464
; %bb.465:
	s_or_b32 exec_lo, exec_lo, s4
.LBB122_466:
	s_or_b32 exec_lo, exec_lo, s5
	v_mov_b32_e32 v125, 0
	s_mov_b32 s5, exec_lo
	s_or_b32 s68, 0, 8
	ds_read_b128 v[125:128], v125
	s_waitcnt lgkmcnt(0)
	v_mul_f64 v[130:131], v[3:4], v[127:128]
	v_mul_f64 v[127:128], v[1:2], v[127:128]
	v_fma_f64 v[130:131], v[1:2], v[125:126], -v[130:131]
	v_fma_f64 v[1:2], v[3:4], v[125:126], v[127:128]
	buffer_store_dword v131, off, s[0:3], 0 offset:4
	buffer_store_dword v130, off, s[0:3], 0
.LBB122_467:
	s_or_b32 exec_lo, exec_lo, s67
	s_and_b32 vcc_lo, exec_lo, s8
	s_cbranch_vccnz .LBB122_469
	s_branch .LBB122_928
.LBB122_468:
	s_mov_b32 s5, 0
                                        ; implicit-def: $vgpr1_vgpr2
                                        ; implicit-def: $sgpr68
	s_cbranch_execz .LBB122_928
.LBB122_469:
	v_mov_b32_e32 v4, s65
	v_cmp_eq_u32_e64 s4, 0, v0
	v_cndmask_b32_e64 v125, 0, 1, s66
	s_clause 0x3
	buffer_load_dword v1, v4, s[0:3], 0 offen
	buffer_load_dword v2, v4, s[0:3], 0 offen offset:4
	buffer_load_dword v3, v4, s[0:3], 0 offen offset:8
	;; [unrolled: 1-line block ×3, first 2 shown]
	s_waitcnt vmcnt(0)
	ds_write_b128 v124, v[1:4]
	s_waitcnt lgkmcnt(0)
	s_waitcnt_vscnt null, 0x0
	s_barrier
	buffer_gl0_inv
	s_and_saveexec_b32 s8, s4
	s_cbranch_execz .LBB122_473
; %bb.470:
	ds_read_b128 v[1:4], v124
	s_andn2_b32 vcc_lo, exec_lo, s66
	s_cbranch_vccnz .LBB122_472
; %bb.471:
	s_clause 0x3
	buffer_load_dword v126, v123, s[0:3], 0 offen offset:8
	buffer_load_dword v127, v123, s[0:3], 0 offen offset:12
	buffer_load_dword v130, v123, s[0:3], 0 offen
	buffer_load_dword v131, v123, s[0:3], 0 offen offset:4
	s_waitcnt vmcnt(2) lgkmcnt(0)
	v_mul_f64 v[132:133], v[3:4], v[126:127]
	v_mul_f64 v[126:127], v[1:2], v[126:127]
	s_waitcnt vmcnt(0)
	v_fma_f64 v[1:2], v[1:2], v[130:131], -v[132:133]
	v_fma_f64 v[3:4], v[3:4], v[130:131], v[126:127]
.LBB122_472:
	v_mov_b32_e32 v126, 0
	ds_read_b128 v[130:133], v126 offset:16
	s_waitcnt lgkmcnt(0)
	v_mul_f64 v[126:127], v[3:4], v[132:133]
	v_mul_f64 v[132:133], v[1:2], v[132:133]
	v_fma_f64 v[1:2], v[1:2], v[130:131], -v[126:127]
	v_fma_f64 v[3:4], v[3:4], v[130:131], v[132:133]
	buffer_store_dword v2, off, s[0:3], 0 offset:20
	buffer_store_dword v1, off, s[0:3], 0 offset:16
	;; [unrolled: 1-line block ×4, first 2 shown]
.LBB122_473:
	s_or_b32 exec_lo, exec_lo, s8
	v_mov_b32_e32 v4, s64
	s_mov_b32 s8, exec_lo
	s_clause 0x3
	buffer_load_dword v1, v4, s[0:3], 0 offen
	buffer_load_dword v2, v4, s[0:3], 0 offen offset:4
	buffer_load_dword v3, v4, s[0:3], 0 offen offset:8
	;; [unrolled: 1-line block ×3, first 2 shown]
	s_waitcnt vmcnt(0)
	ds_write_b128 v124, v[1:4]
	s_waitcnt lgkmcnt(0)
	s_waitcnt_vscnt null, 0x0
	s_barrier
	buffer_gl0_inv
	v_cmpx_gt_u32_e32 2, v0
	s_cbranch_execz .LBB122_479
; %bb.474:
	ds_read_b128 v[1:4], v124
	v_cmp_ne_u32_e32 vcc_lo, 1, v125
	s_cbranch_vccnz .LBB122_476
; %bb.475:
	s_clause 0x3
	buffer_load_dword v126, v123, s[0:3], 0 offen offset:8
	buffer_load_dword v127, v123, s[0:3], 0 offen offset:12
	buffer_load_dword v130, v123, s[0:3], 0 offen
	buffer_load_dword v131, v123, s[0:3], 0 offen offset:4
	s_waitcnt vmcnt(2) lgkmcnt(0)
	v_mul_f64 v[132:133], v[3:4], v[126:127]
	v_mul_f64 v[126:127], v[1:2], v[126:127]
	s_waitcnt vmcnt(0)
	v_fma_f64 v[1:2], v[1:2], v[130:131], -v[132:133]
	v_fma_f64 v[3:4], v[3:4], v[130:131], v[126:127]
.LBB122_476:
	s_and_saveexec_b32 s66, s4
	s_cbranch_execz .LBB122_478
; %bb.477:
	s_clause 0x3
	buffer_load_dword v126, off, s[0:3], 0 offset:24
	buffer_load_dword v127, off, s[0:3], 0 offset:28
	;; [unrolled: 1-line block ×4, first 2 shown]
	v_mov_b32_e32 v128, 0
	ds_read_b128 v[130:133], v128 offset:960
	s_waitcnt vmcnt(2) lgkmcnt(0)
	v_mul_f64 v[136:137], v[132:133], v[126:127]
	v_mul_f64 v[126:127], v[130:131], v[126:127]
	s_waitcnt vmcnt(0)
	v_fma_f64 v[130:131], v[130:131], v[134:135], -v[136:137]
	v_fma_f64 v[126:127], v[132:133], v[134:135], v[126:127]
	v_add_f64 v[1:2], v[1:2], v[130:131]
	v_add_f64 v[3:4], v[3:4], v[126:127]
.LBB122_478:
	s_or_b32 exec_lo, exec_lo, s66
	v_mov_b32_e32 v126, 0
	ds_read_b128 v[130:133], v126 offset:32
	s_waitcnt lgkmcnt(0)
	v_mul_f64 v[126:127], v[3:4], v[132:133]
	v_mul_f64 v[132:133], v[1:2], v[132:133]
	v_fma_f64 v[1:2], v[1:2], v[130:131], -v[126:127]
	v_fma_f64 v[3:4], v[3:4], v[130:131], v[132:133]
	buffer_store_dword v2, off, s[0:3], 0 offset:36
	buffer_store_dword v1, off, s[0:3], 0 offset:32
	buffer_store_dword v4, off, s[0:3], 0 offset:44
	buffer_store_dword v3, off, s[0:3], 0 offset:40
.LBB122_479:
	s_or_b32 exec_lo, exec_lo, s8
	v_mov_b32_e32 v4, s63
	s_mov_b32 s8, exec_lo
	s_clause 0x3
	buffer_load_dword v1, v4, s[0:3], 0 offen
	buffer_load_dword v2, v4, s[0:3], 0 offen offset:4
	buffer_load_dword v3, v4, s[0:3], 0 offen offset:8
	;; [unrolled: 1-line block ×3, first 2 shown]
	s_waitcnt vmcnt(0)
	ds_write_b128 v124, v[1:4]
	s_waitcnt lgkmcnt(0)
	s_waitcnt_vscnt null, 0x0
	s_barrier
	buffer_gl0_inv
	v_cmpx_gt_u32_e32 3, v0
	s_cbranch_execz .LBB122_487
; %bb.480:
	ds_read_b128 v[1:4], v124
	v_cmp_ne_u32_e32 vcc_lo, 1, v125
	s_cbranch_vccnz .LBB122_482
; %bb.481:
	s_clause 0x3
	buffer_load_dword v126, v123, s[0:3], 0 offen offset:8
	buffer_load_dword v127, v123, s[0:3], 0 offen offset:12
	buffer_load_dword v130, v123, s[0:3], 0 offen
	buffer_load_dword v131, v123, s[0:3], 0 offen offset:4
	s_waitcnt vmcnt(2) lgkmcnt(0)
	v_mul_f64 v[132:133], v[3:4], v[126:127]
	v_mul_f64 v[126:127], v[1:2], v[126:127]
	s_waitcnt vmcnt(0)
	v_fma_f64 v[1:2], v[1:2], v[130:131], -v[132:133]
	v_fma_f64 v[3:4], v[3:4], v[130:131], v[126:127]
.LBB122_482:
	s_mov_b32 s66, exec_lo
	v_cmpx_ne_u32_e32 2, v0
	s_cbranch_execz .LBB122_486
; %bb.483:
	s_clause 0x3
	buffer_load_dword v126, v123, s[0:3], 0 offen offset:24
	buffer_load_dword v127, v123, s[0:3], 0 offen offset:28
	;; [unrolled: 1-line block ×4, first 2 shown]
	ds_read_b128 v[130:133], v124 offset:16
	s_waitcnt vmcnt(2) lgkmcnt(0)
	v_mul_f64 v[136:137], v[132:133], v[126:127]
	v_mul_f64 v[126:127], v[130:131], v[126:127]
	s_waitcnt vmcnt(0)
	v_fma_f64 v[130:131], v[130:131], v[134:135], -v[136:137]
	v_fma_f64 v[126:127], v[132:133], v[134:135], v[126:127]
	v_add_f64 v[1:2], v[1:2], v[130:131]
	v_add_f64 v[3:4], v[3:4], v[126:127]
	s_and_saveexec_b32 s67, s4
	s_cbranch_execz .LBB122_485
; %bb.484:
	s_clause 0x3
	buffer_load_dword v126, off, s[0:3], 0 offset:40
	buffer_load_dword v127, off, s[0:3], 0 offset:44
	;; [unrolled: 1-line block ×4, first 2 shown]
	v_mov_b32_e32 v128, 0
	ds_read_b128 v[130:133], v128 offset:976
	s_waitcnt vmcnt(2) lgkmcnt(0)
	v_mul_f64 v[136:137], v[130:131], v[126:127]
	v_mul_f64 v[126:127], v[132:133], v[126:127]
	s_waitcnt vmcnt(0)
	v_fma_f64 v[132:133], v[132:133], v[134:135], v[136:137]
	v_fma_f64 v[126:127], v[130:131], v[134:135], -v[126:127]
	v_add_f64 v[3:4], v[3:4], v[132:133]
	v_add_f64 v[1:2], v[1:2], v[126:127]
.LBB122_485:
	s_or_b32 exec_lo, exec_lo, s67
.LBB122_486:
	s_or_b32 exec_lo, exec_lo, s66
	v_mov_b32_e32 v126, 0
	ds_read_b128 v[130:133], v126 offset:48
	s_waitcnt lgkmcnt(0)
	v_mul_f64 v[126:127], v[3:4], v[132:133]
	v_mul_f64 v[132:133], v[1:2], v[132:133]
	v_fma_f64 v[1:2], v[1:2], v[130:131], -v[126:127]
	v_fma_f64 v[3:4], v[3:4], v[130:131], v[132:133]
	buffer_store_dword v2, off, s[0:3], 0 offset:52
	buffer_store_dword v1, off, s[0:3], 0 offset:48
	;; [unrolled: 1-line block ×4, first 2 shown]
.LBB122_487:
	s_or_b32 exec_lo, exec_lo, s8
	v_mov_b32_e32 v4, s62
	s_mov_b32 s4, exec_lo
	s_clause 0x3
	buffer_load_dword v1, v4, s[0:3], 0 offen
	buffer_load_dword v2, v4, s[0:3], 0 offen offset:4
	buffer_load_dword v3, v4, s[0:3], 0 offen offset:8
	buffer_load_dword v4, v4, s[0:3], 0 offen offset:12
	s_waitcnt vmcnt(0)
	ds_write_b128 v124, v[1:4]
	s_waitcnt lgkmcnt(0)
	s_waitcnt_vscnt null, 0x0
	s_barrier
	buffer_gl0_inv
	v_cmpx_gt_u32_e32 4, v0
	s_cbranch_execz .LBB122_495
; %bb.488:
	ds_read_b128 v[1:4], v124
	v_cmp_ne_u32_e32 vcc_lo, 1, v125
	s_cbranch_vccnz .LBB122_490
; %bb.489:
	s_clause 0x3
	buffer_load_dword v126, v123, s[0:3], 0 offen offset:8
	buffer_load_dword v127, v123, s[0:3], 0 offen offset:12
	buffer_load_dword v130, v123, s[0:3], 0 offen
	buffer_load_dword v131, v123, s[0:3], 0 offen offset:4
	s_waitcnt vmcnt(2) lgkmcnt(0)
	v_mul_f64 v[132:133], v[3:4], v[126:127]
	v_mul_f64 v[126:127], v[1:2], v[126:127]
	s_waitcnt vmcnt(0)
	v_fma_f64 v[1:2], v[1:2], v[130:131], -v[132:133]
	v_fma_f64 v[3:4], v[3:4], v[130:131], v[126:127]
.LBB122_490:
	s_mov_b32 s8, exec_lo
	v_cmpx_ne_u32_e32 3, v0
	s_cbranch_execz .LBB122_494
; %bb.491:
	v_add_nc_u32_e32 v126, 0x3c0, v129
	v_add3_u32 v127, 0, v129, 16
	v_mov_b32_e32 v128, v0
	s_mov_b32 s66, 0
	.p2align	6
.LBB122_492:                            ; =>This Inner Loop Header: Depth=1
	s_clause 0x3
	buffer_load_dword v134, v127, s[0:3], 0 offen offset:8
	buffer_load_dword v135, v127, s[0:3], 0 offen offset:12
	buffer_load_dword v136, v127, s[0:3], 0 offen
	buffer_load_dword v137, v127, s[0:3], 0 offen offset:4
	ds_read_b128 v[130:133], v126
	v_add_nc_u32_e32 v128, 1, v128
	v_add_nc_u32_e32 v126, 16, v126
	;; [unrolled: 1-line block ×3, first 2 shown]
	v_cmp_lt_u32_e32 vcc_lo, 2, v128
	s_or_b32 s66, vcc_lo, s66
	s_waitcnt vmcnt(2) lgkmcnt(0)
	v_mul_f64 v[138:139], v[132:133], v[134:135]
	v_mul_f64 v[134:135], v[130:131], v[134:135]
	s_waitcnt vmcnt(0)
	v_fma_f64 v[130:131], v[130:131], v[136:137], -v[138:139]
	v_fma_f64 v[132:133], v[132:133], v[136:137], v[134:135]
	v_add_f64 v[1:2], v[1:2], v[130:131]
	v_add_f64 v[3:4], v[3:4], v[132:133]
	s_andn2_b32 exec_lo, exec_lo, s66
	s_cbranch_execnz .LBB122_492
; %bb.493:
	s_or_b32 exec_lo, exec_lo, s66
.LBB122_494:
	s_or_b32 exec_lo, exec_lo, s8
	v_mov_b32_e32 v126, 0
	ds_read_b128 v[130:133], v126 offset:64
	s_waitcnt lgkmcnt(0)
	v_mul_f64 v[126:127], v[3:4], v[132:133]
	v_mul_f64 v[132:133], v[1:2], v[132:133]
	v_fma_f64 v[1:2], v[1:2], v[130:131], -v[126:127]
	v_fma_f64 v[3:4], v[3:4], v[130:131], v[132:133]
	buffer_store_dword v2, off, s[0:3], 0 offset:68
	buffer_store_dword v1, off, s[0:3], 0 offset:64
	;; [unrolled: 1-line block ×4, first 2 shown]
.LBB122_495:
	s_or_b32 exec_lo, exec_lo, s4
	v_mov_b32_e32 v4, s61
	s_mov_b32 s4, exec_lo
	s_clause 0x3
	buffer_load_dword v1, v4, s[0:3], 0 offen
	buffer_load_dword v2, v4, s[0:3], 0 offen offset:4
	buffer_load_dword v3, v4, s[0:3], 0 offen offset:8
	;; [unrolled: 1-line block ×3, first 2 shown]
	s_waitcnt vmcnt(0)
	ds_write_b128 v124, v[1:4]
	s_waitcnt lgkmcnt(0)
	s_waitcnt_vscnt null, 0x0
	s_barrier
	buffer_gl0_inv
	v_cmpx_gt_u32_e32 5, v0
	s_cbranch_execz .LBB122_503
; %bb.496:
	ds_read_b128 v[1:4], v124
	v_cmp_ne_u32_e32 vcc_lo, 1, v125
	s_cbranch_vccnz .LBB122_498
; %bb.497:
	s_clause 0x3
	buffer_load_dword v126, v123, s[0:3], 0 offen offset:8
	buffer_load_dword v127, v123, s[0:3], 0 offen offset:12
	buffer_load_dword v130, v123, s[0:3], 0 offen
	buffer_load_dword v131, v123, s[0:3], 0 offen offset:4
	s_waitcnt vmcnt(2) lgkmcnt(0)
	v_mul_f64 v[132:133], v[3:4], v[126:127]
	v_mul_f64 v[126:127], v[1:2], v[126:127]
	s_waitcnt vmcnt(0)
	v_fma_f64 v[1:2], v[1:2], v[130:131], -v[132:133]
	v_fma_f64 v[3:4], v[3:4], v[130:131], v[126:127]
.LBB122_498:
	s_mov_b32 s8, exec_lo
	v_cmpx_ne_u32_e32 4, v0
	s_cbranch_execz .LBB122_502
; %bb.499:
	v_add_nc_u32_e32 v126, 0x3c0, v129
	v_add3_u32 v127, 0, v129, 16
	v_mov_b32_e32 v128, v0
	s_mov_b32 s66, 0
	.p2align	6
.LBB122_500:                            ; =>This Inner Loop Header: Depth=1
	s_clause 0x3
	buffer_load_dword v134, v127, s[0:3], 0 offen offset:8
	buffer_load_dword v135, v127, s[0:3], 0 offen offset:12
	buffer_load_dword v136, v127, s[0:3], 0 offen
	buffer_load_dword v137, v127, s[0:3], 0 offen offset:4
	ds_read_b128 v[130:133], v126
	v_add_nc_u32_e32 v128, 1, v128
	v_add_nc_u32_e32 v126, 16, v126
	;; [unrolled: 1-line block ×3, first 2 shown]
	v_cmp_lt_u32_e32 vcc_lo, 3, v128
	s_or_b32 s66, vcc_lo, s66
	s_waitcnt vmcnt(2) lgkmcnt(0)
	v_mul_f64 v[138:139], v[132:133], v[134:135]
	v_mul_f64 v[134:135], v[130:131], v[134:135]
	s_waitcnt vmcnt(0)
	v_fma_f64 v[130:131], v[130:131], v[136:137], -v[138:139]
	v_fma_f64 v[132:133], v[132:133], v[136:137], v[134:135]
	v_add_f64 v[1:2], v[1:2], v[130:131]
	v_add_f64 v[3:4], v[3:4], v[132:133]
	s_andn2_b32 exec_lo, exec_lo, s66
	s_cbranch_execnz .LBB122_500
; %bb.501:
	s_or_b32 exec_lo, exec_lo, s66
.LBB122_502:
	s_or_b32 exec_lo, exec_lo, s8
	v_mov_b32_e32 v126, 0
	ds_read_b128 v[130:133], v126 offset:80
	s_waitcnt lgkmcnt(0)
	v_mul_f64 v[126:127], v[3:4], v[132:133]
	v_mul_f64 v[132:133], v[1:2], v[132:133]
	v_fma_f64 v[1:2], v[1:2], v[130:131], -v[126:127]
	v_fma_f64 v[3:4], v[3:4], v[130:131], v[132:133]
	buffer_store_dword v2, off, s[0:3], 0 offset:84
	buffer_store_dword v1, off, s[0:3], 0 offset:80
	;; [unrolled: 1-line block ×4, first 2 shown]
.LBB122_503:
	s_or_b32 exec_lo, exec_lo, s4
	v_mov_b32_e32 v4, s60
	s_mov_b32 s4, exec_lo
	s_clause 0x3
	buffer_load_dword v1, v4, s[0:3], 0 offen
	buffer_load_dword v2, v4, s[0:3], 0 offen offset:4
	buffer_load_dword v3, v4, s[0:3], 0 offen offset:8
	;; [unrolled: 1-line block ×3, first 2 shown]
	s_waitcnt vmcnt(0)
	ds_write_b128 v124, v[1:4]
	s_waitcnt lgkmcnt(0)
	s_waitcnt_vscnt null, 0x0
	s_barrier
	buffer_gl0_inv
	v_cmpx_gt_u32_e32 6, v0
	s_cbranch_execz .LBB122_511
; %bb.504:
	ds_read_b128 v[1:4], v124
	v_cmp_ne_u32_e32 vcc_lo, 1, v125
	s_cbranch_vccnz .LBB122_506
; %bb.505:
	s_clause 0x3
	buffer_load_dword v126, v123, s[0:3], 0 offen offset:8
	buffer_load_dword v127, v123, s[0:3], 0 offen offset:12
	buffer_load_dword v130, v123, s[0:3], 0 offen
	buffer_load_dword v131, v123, s[0:3], 0 offen offset:4
	s_waitcnt vmcnt(2) lgkmcnt(0)
	v_mul_f64 v[132:133], v[3:4], v[126:127]
	v_mul_f64 v[126:127], v[1:2], v[126:127]
	s_waitcnt vmcnt(0)
	v_fma_f64 v[1:2], v[1:2], v[130:131], -v[132:133]
	v_fma_f64 v[3:4], v[3:4], v[130:131], v[126:127]
.LBB122_506:
	s_mov_b32 s8, exec_lo
	v_cmpx_ne_u32_e32 5, v0
	s_cbranch_execz .LBB122_510
; %bb.507:
	v_add_nc_u32_e32 v126, 0x3c0, v129
	v_add3_u32 v127, 0, v129, 16
	v_mov_b32_e32 v128, v0
	s_mov_b32 s66, 0
	.p2align	6
.LBB122_508:                            ; =>This Inner Loop Header: Depth=1
	s_clause 0x3
	buffer_load_dword v134, v127, s[0:3], 0 offen offset:8
	buffer_load_dword v135, v127, s[0:3], 0 offen offset:12
	buffer_load_dword v136, v127, s[0:3], 0 offen
	buffer_load_dword v137, v127, s[0:3], 0 offen offset:4
	ds_read_b128 v[130:133], v126
	v_add_nc_u32_e32 v128, 1, v128
	v_add_nc_u32_e32 v126, 16, v126
	;; [unrolled: 1-line block ×3, first 2 shown]
	v_cmp_lt_u32_e32 vcc_lo, 4, v128
	s_or_b32 s66, vcc_lo, s66
	s_waitcnt vmcnt(2) lgkmcnt(0)
	v_mul_f64 v[138:139], v[132:133], v[134:135]
	v_mul_f64 v[134:135], v[130:131], v[134:135]
	s_waitcnt vmcnt(0)
	v_fma_f64 v[130:131], v[130:131], v[136:137], -v[138:139]
	v_fma_f64 v[132:133], v[132:133], v[136:137], v[134:135]
	v_add_f64 v[1:2], v[1:2], v[130:131]
	v_add_f64 v[3:4], v[3:4], v[132:133]
	s_andn2_b32 exec_lo, exec_lo, s66
	s_cbranch_execnz .LBB122_508
; %bb.509:
	s_or_b32 exec_lo, exec_lo, s66
.LBB122_510:
	s_or_b32 exec_lo, exec_lo, s8
	v_mov_b32_e32 v126, 0
	ds_read_b128 v[130:133], v126 offset:96
	s_waitcnt lgkmcnt(0)
	v_mul_f64 v[126:127], v[3:4], v[132:133]
	v_mul_f64 v[132:133], v[1:2], v[132:133]
	v_fma_f64 v[1:2], v[1:2], v[130:131], -v[126:127]
	v_fma_f64 v[3:4], v[3:4], v[130:131], v[132:133]
	buffer_store_dword v2, off, s[0:3], 0 offset:100
	buffer_store_dword v1, off, s[0:3], 0 offset:96
	;; [unrolled: 1-line block ×4, first 2 shown]
.LBB122_511:
	s_or_b32 exec_lo, exec_lo, s4
	v_mov_b32_e32 v4, s59
	s_mov_b32 s4, exec_lo
	s_clause 0x3
	buffer_load_dword v1, v4, s[0:3], 0 offen
	buffer_load_dword v2, v4, s[0:3], 0 offen offset:4
	buffer_load_dword v3, v4, s[0:3], 0 offen offset:8
	;; [unrolled: 1-line block ×3, first 2 shown]
	s_waitcnt vmcnt(0)
	ds_write_b128 v124, v[1:4]
	s_waitcnt lgkmcnt(0)
	s_waitcnt_vscnt null, 0x0
	s_barrier
	buffer_gl0_inv
	v_cmpx_gt_u32_e32 7, v0
	s_cbranch_execz .LBB122_519
; %bb.512:
	ds_read_b128 v[1:4], v124
	v_cmp_ne_u32_e32 vcc_lo, 1, v125
	s_cbranch_vccnz .LBB122_514
; %bb.513:
	s_clause 0x3
	buffer_load_dword v126, v123, s[0:3], 0 offen offset:8
	buffer_load_dword v127, v123, s[0:3], 0 offen offset:12
	buffer_load_dword v130, v123, s[0:3], 0 offen
	buffer_load_dword v131, v123, s[0:3], 0 offen offset:4
	s_waitcnt vmcnt(2) lgkmcnt(0)
	v_mul_f64 v[132:133], v[3:4], v[126:127]
	v_mul_f64 v[126:127], v[1:2], v[126:127]
	s_waitcnt vmcnt(0)
	v_fma_f64 v[1:2], v[1:2], v[130:131], -v[132:133]
	v_fma_f64 v[3:4], v[3:4], v[130:131], v[126:127]
.LBB122_514:
	s_mov_b32 s8, exec_lo
	v_cmpx_ne_u32_e32 6, v0
	s_cbranch_execz .LBB122_518
; %bb.515:
	v_add_nc_u32_e32 v126, 0x3c0, v129
	v_add3_u32 v127, 0, v129, 16
	v_mov_b32_e32 v128, v0
	s_mov_b32 s66, 0
	.p2align	6
.LBB122_516:                            ; =>This Inner Loop Header: Depth=1
	s_clause 0x3
	buffer_load_dword v134, v127, s[0:3], 0 offen offset:8
	buffer_load_dword v135, v127, s[0:3], 0 offen offset:12
	buffer_load_dword v136, v127, s[0:3], 0 offen
	buffer_load_dword v137, v127, s[0:3], 0 offen offset:4
	ds_read_b128 v[130:133], v126
	v_add_nc_u32_e32 v128, 1, v128
	v_add_nc_u32_e32 v126, 16, v126
	;; [unrolled: 1-line block ×3, first 2 shown]
	v_cmp_lt_u32_e32 vcc_lo, 5, v128
	s_or_b32 s66, vcc_lo, s66
	s_waitcnt vmcnt(2) lgkmcnt(0)
	v_mul_f64 v[138:139], v[132:133], v[134:135]
	v_mul_f64 v[134:135], v[130:131], v[134:135]
	s_waitcnt vmcnt(0)
	v_fma_f64 v[130:131], v[130:131], v[136:137], -v[138:139]
	v_fma_f64 v[132:133], v[132:133], v[136:137], v[134:135]
	v_add_f64 v[1:2], v[1:2], v[130:131]
	v_add_f64 v[3:4], v[3:4], v[132:133]
	s_andn2_b32 exec_lo, exec_lo, s66
	s_cbranch_execnz .LBB122_516
; %bb.517:
	s_or_b32 exec_lo, exec_lo, s66
.LBB122_518:
	s_or_b32 exec_lo, exec_lo, s8
	v_mov_b32_e32 v126, 0
	ds_read_b128 v[130:133], v126 offset:112
	s_waitcnt lgkmcnt(0)
	v_mul_f64 v[126:127], v[3:4], v[132:133]
	v_mul_f64 v[132:133], v[1:2], v[132:133]
	v_fma_f64 v[1:2], v[1:2], v[130:131], -v[126:127]
	v_fma_f64 v[3:4], v[3:4], v[130:131], v[132:133]
	buffer_store_dword v2, off, s[0:3], 0 offset:116
	buffer_store_dword v1, off, s[0:3], 0 offset:112
	;; [unrolled: 1-line block ×4, first 2 shown]
.LBB122_519:
	s_or_b32 exec_lo, exec_lo, s4
	v_mov_b32_e32 v4, s58
	s_mov_b32 s4, exec_lo
	s_clause 0x3
	buffer_load_dword v1, v4, s[0:3], 0 offen
	buffer_load_dword v2, v4, s[0:3], 0 offen offset:4
	buffer_load_dword v3, v4, s[0:3], 0 offen offset:8
	;; [unrolled: 1-line block ×3, first 2 shown]
	s_waitcnt vmcnt(0)
	ds_write_b128 v124, v[1:4]
	s_waitcnt lgkmcnt(0)
	s_waitcnt_vscnt null, 0x0
	s_barrier
	buffer_gl0_inv
	v_cmpx_gt_u32_e32 8, v0
	s_cbranch_execz .LBB122_527
; %bb.520:
	ds_read_b128 v[1:4], v124
	v_cmp_ne_u32_e32 vcc_lo, 1, v125
	s_cbranch_vccnz .LBB122_522
; %bb.521:
	s_clause 0x3
	buffer_load_dword v126, v123, s[0:3], 0 offen offset:8
	buffer_load_dword v127, v123, s[0:3], 0 offen offset:12
	buffer_load_dword v130, v123, s[0:3], 0 offen
	buffer_load_dword v131, v123, s[0:3], 0 offen offset:4
	s_waitcnt vmcnt(2) lgkmcnt(0)
	v_mul_f64 v[132:133], v[3:4], v[126:127]
	v_mul_f64 v[126:127], v[1:2], v[126:127]
	s_waitcnt vmcnt(0)
	v_fma_f64 v[1:2], v[1:2], v[130:131], -v[132:133]
	v_fma_f64 v[3:4], v[3:4], v[130:131], v[126:127]
.LBB122_522:
	s_mov_b32 s8, exec_lo
	v_cmpx_ne_u32_e32 7, v0
	s_cbranch_execz .LBB122_526
; %bb.523:
	v_add_nc_u32_e32 v126, 0x3c0, v129
	v_add3_u32 v127, 0, v129, 16
	v_mov_b32_e32 v128, v0
	s_mov_b32 s66, 0
	.p2align	6
.LBB122_524:                            ; =>This Inner Loop Header: Depth=1
	s_clause 0x3
	buffer_load_dword v134, v127, s[0:3], 0 offen offset:8
	buffer_load_dword v135, v127, s[0:3], 0 offen offset:12
	buffer_load_dword v136, v127, s[0:3], 0 offen
	buffer_load_dword v137, v127, s[0:3], 0 offen offset:4
	ds_read_b128 v[130:133], v126
	v_add_nc_u32_e32 v128, 1, v128
	v_add_nc_u32_e32 v126, 16, v126
	;; [unrolled: 1-line block ×3, first 2 shown]
	v_cmp_lt_u32_e32 vcc_lo, 6, v128
	s_or_b32 s66, vcc_lo, s66
	s_waitcnt vmcnt(2) lgkmcnt(0)
	v_mul_f64 v[138:139], v[132:133], v[134:135]
	v_mul_f64 v[134:135], v[130:131], v[134:135]
	s_waitcnt vmcnt(0)
	v_fma_f64 v[130:131], v[130:131], v[136:137], -v[138:139]
	v_fma_f64 v[132:133], v[132:133], v[136:137], v[134:135]
	v_add_f64 v[1:2], v[1:2], v[130:131]
	v_add_f64 v[3:4], v[3:4], v[132:133]
	s_andn2_b32 exec_lo, exec_lo, s66
	s_cbranch_execnz .LBB122_524
; %bb.525:
	s_or_b32 exec_lo, exec_lo, s66
.LBB122_526:
	s_or_b32 exec_lo, exec_lo, s8
	v_mov_b32_e32 v126, 0
	ds_read_b128 v[130:133], v126 offset:128
	s_waitcnt lgkmcnt(0)
	v_mul_f64 v[126:127], v[3:4], v[132:133]
	v_mul_f64 v[132:133], v[1:2], v[132:133]
	v_fma_f64 v[1:2], v[1:2], v[130:131], -v[126:127]
	v_fma_f64 v[3:4], v[3:4], v[130:131], v[132:133]
	buffer_store_dword v2, off, s[0:3], 0 offset:132
	buffer_store_dword v1, off, s[0:3], 0 offset:128
	;; [unrolled: 1-line block ×4, first 2 shown]
.LBB122_527:
	s_or_b32 exec_lo, exec_lo, s4
	v_mov_b32_e32 v4, s57
	s_mov_b32 s4, exec_lo
	s_clause 0x3
	buffer_load_dword v1, v4, s[0:3], 0 offen
	buffer_load_dword v2, v4, s[0:3], 0 offen offset:4
	buffer_load_dword v3, v4, s[0:3], 0 offen offset:8
	;; [unrolled: 1-line block ×3, first 2 shown]
	s_waitcnt vmcnt(0)
	ds_write_b128 v124, v[1:4]
	s_waitcnt lgkmcnt(0)
	s_waitcnt_vscnt null, 0x0
	s_barrier
	buffer_gl0_inv
	v_cmpx_gt_u32_e32 9, v0
	s_cbranch_execz .LBB122_535
; %bb.528:
	ds_read_b128 v[1:4], v124
	v_cmp_ne_u32_e32 vcc_lo, 1, v125
	s_cbranch_vccnz .LBB122_530
; %bb.529:
	s_clause 0x3
	buffer_load_dword v126, v123, s[0:3], 0 offen offset:8
	buffer_load_dword v127, v123, s[0:3], 0 offen offset:12
	buffer_load_dword v130, v123, s[0:3], 0 offen
	buffer_load_dword v131, v123, s[0:3], 0 offen offset:4
	s_waitcnt vmcnt(2) lgkmcnt(0)
	v_mul_f64 v[132:133], v[3:4], v[126:127]
	v_mul_f64 v[126:127], v[1:2], v[126:127]
	s_waitcnt vmcnt(0)
	v_fma_f64 v[1:2], v[1:2], v[130:131], -v[132:133]
	v_fma_f64 v[3:4], v[3:4], v[130:131], v[126:127]
.LBB122_530:
	s_mov_b32 s8, exec_lo
	v_cmpx_ne_u32_e32 8, v0
	s_cbranch_execz .LBB122_534
; %bb.531:
	v_add_nc_u32_e32 v126, 0x3c0, v129
	v_add3_u32 v127, 0, v129, 16
	v_mov_b32_e32 v128, v0
	s_mov_b32 s66, 0
	.p2align	6
.LBB122_532:                            ; =>This Inner Loop Header: Depth=1
	s_clause 0x3
	buffer_load_dword v134, v127, s[0:3], 0 offen offset:8
	buffer_load_dword v135, v127, s[0:3], 0 offen offset:12
	buffer_load_dword v136, v127, s[0:3], 0 offen
	buffer_load_dword v137, v127, s[0:3], 0 offen offset:4
	ds_read_b128 v[130:133], v126
	v_add_nc_u32_e32 v128, 1, v128
	v_add_nc_u32_e32 v126, 16, v126
	;; [unrolled: 1-line block ×3, first 2 shown]
	v_cmp_lt_u32_e32 vcc_lo, 7, v128
	s_or_b32 s66, vcc_lo, s66
	s_waitcnt vmcnt(2) lgkmcnt(0)
	v_mul_f64 v[138:139], v[132:133], v[134:135]
	v_mul_f64 v[134:135], v[130:131], v[134:135]
	s_waitcnt vmcnt(0)
	v_fma_f64 v[130:131], v[130:131], v[136:137], -v[138:139]
	v_fma_f64 v[132:133], v[132:133], v[136:137], v[134:135]
	v_add_f64 v[1:2], v[1:2], v[130:131]
	v_add_f64 v[3:4], v[3:4], v[132:133]
	s_andn2_b32 exec_lo, exec_lo, s66
	s_cbranch_execnz .LBB122_532
; %bb.533:
	s_or_b32 exec_lo, exec_lo, s66
.LBB122_534:
	s_or_b32 exec_lo, exec_lo, s8
	v_mov_b32_e32 v126, 0
	ds_read_b128 v[130:133], v126 offset:144
	s_waitcnt lgkmcnt(0)
	v_mul_f64 v[126:127], v[3:4], v[132:133]
	v_mul_f64 v[132:133], v[1:2], v[132:133]
	v_fma_f64 v[1:2], v[1:2], v[130:131], -v[126:127]
	v_fma_f64 v[3:4], v[3:4], v[130:131], v[132:133]
	buffer_store_dword v2, off, s[0:3], 0 offset:148
	buffer_store_dword v1, off, s[0:3], 0 offset:144
	;; [unrolled: 1-line block ×4, first 2 shown]
.LBB122_535:
	s_or_b32 exec_lo, exec_lo, s4
	v_mov_b32_e32 v4, s56
	s_mov_b32 s4, exec_lo
	s_clause 0x3
	buffer_load_dword v1, v4, s[0:3], 0 offen
	buffer_load_dword v2, v4, s[0:3], 0 offen offset:4
	buffer_load_dword v3, v4, s[0:3], 0 offen offset:8
	;; [unrolled: 1-line block ×3, first 2 shown]
	s_waitcnt vmcnt(0)
	ds_write_b128 v124, v[1:4]
	s_waitcnt lgkmcnt(0)
	s_waitcnt_vscnt null, 0x0
	s_barrier
	buffer_gl0_inv
	v_cmpx_gt_u32_e32 10, v0
	s_cbranch_execz .LBB122_543
; %bb.536:
	ds_read_b128 v[1:4], v124
	v_cmp_ne_u32_e32 vcc_lo, 1, v125
	s_cbranch_vccnz .LBB122_538
; %bb.537:
	s_clause 0x3
	buffer_load_dword v126, v123, s[0:3], 0 offen offset:8
	buffer_load_dword v127, v123, s[0:3], 0 offen offset:12
	buffer_load_dword v130, v123, s[0:3], 0 offen
	buffer_load_dword v131, v123, s[0:3], 0 offen offset:4
	s_waitcnt vmcnt(2) lgkmcnt(0)
	v_mul_f64 v[132:133], v[3:4], v[126:127]
	v_mul_f64 v[126:127], v[1:2], v[126:127]
	s_waitcnt vmcnt(0)
	v_fma_f64 v[1:2], v[1:2], v[130:131], -v[132:133]
	v_fma_f64 v[3:4], v[3:4], v[130:131], v[126:127]
.LBB122_538:
	s_mov_b32 s8, exec_lo
	v_cmpx_ne_u32_e32 9, v0
	s_cbranch_execz .LBB122_542
; %bb.539:
	v_add_nc_u32_e32 v126, 0x3c0, v129
	v_add3_u32 v127, 0, v129, 16
	v_mov_b32_e32 v128, v0
	s_mov_b32 s66, 0
	.p2align	6
.LBB122_540:                            ; =>This Inner Loop Header: Depth=1
	s_clause 0x3
	buffer_load_dword v134, v127, s[0:3], 0 offen offset:8
	buffer_load_dword v135, v127, s[0:3], 0 offen offset:12
	buffer_load_dword v136, v127, s[0:3], 0 offen
	buffer_load_dword v137, v127, s[0:3], 0 offen offset:4
	ds_read_b128 v[130:133], v126
	v_add_nc_u32_e32 v128, 1, v128
	v_add_nc_u32_e32 v126, 16, v126
	;; [unrolled: 1-line block ×3, first 2 shown]
	v_cmp_lt_u32_e32 vcc_lo, 8, v128
	s_or_b32 s66, vcc_lo, s66
	s_waitcnt vmcnt(2) lgkmcnt(0)
	v_mul_f64 v[138:139], v[132:133], v[134:135]
	v_mul_f64 v[134:135], v[130:131], v[134:135]
	s_waitcnt vmcnt(0)
	v_fma_f64 v[130:131], v[130:131], v[136:137], -v[138:139]
	v_fma_f64 v[132:133], v[132:133], v[136:137], v[134:135]
	v_add_f64 v[1:2], v[1:2], v[130:131]
	v_add_f64 v[3:4], v[3:4], v[132:133]
	s_andn2_b32 exec_lo, exec_lo, s66
	s_cbranch_execnz .LBB122_540
; %bb.541:
	s_or_b32 exec_lo, exec_lo, s66
.LBB122_542:
	s_or_b32 exec_lo, exec_lo, s8
	v_mov_b32_e32 v126, 0
	ds_read_b128 v[130:133], v126 offset:160
	s_waitcnt lgkmcnt(0)
	v_mul_f64 v[126:127], v[3:4], v[132:133]
	v_mul_f64 v[132:133], v[1:2], v[132:133]
	v_fma_f64 v[1:2], v[1:2], v[130:131], -v[126:127]
	v_fma_f64 v[3:4], v[3:4], v[130:131], v[132:133]
	buffer_store_dword v2, off, s[0:3], 0 offset:164
	buffer_store_dword v1, off, s[0:3], 0 offset:160
	;; [unrolled: 1-line block ×4, first 2 shown]
.LBB122_543:
	s_or_b32 exec_lo, exec_lo, s4
	v_mov_b32_e32 v4, s55
	s_mov_b32 s4, exec_lo
	s_clause 0x3
	buffer_load_dword v1, v4, s[0:3], 0 offen
	buffer_load_dword v2, v4, s[0:3], 0 offen offset:4
	buffer_load_dword v3, v4, s[0:3], 0 offen offset:8
	;; [unrolled: 1-line block ×3, first 2 shown]
	s_waitcnt vmcnt(0)
	ds_write_b128 v124, v[1:4]
	s_waitcnt lgkmcnt(0)
	s_waitcnt_vscnt null, 0x0
	s_barrier
	buffer_gl0_inv
	v_cmpx_gt_u32_e32 11, v0
	s_cbranch_execz .LBB122_551
; %bb.544:
	ds_read_b128 v[1:4], v124
	v_cmp_ne_u32_e32 vcc_lo, 1, v125
	s_cbranch_vccnz .LBB122_546
; %bb.545:
	s_clause 0x3
	buffer_load_dword v126, v123, s[0:3], 0 offen offset:8
	buffer_load_dword v127, v123, s[0:3], 0 offen offset:12
	buffer_load_dword v130, v123, s[0:3], 0 offen
	buffer_load_dword v131, v123, s[0:3], 0 offen offset:4
	s_waitcnt vmcnt(2) lgkmcnt(0)
	v_mul_f64 v[132:133], v[3:4], v[126:127]
	v_mul_f64 v[126:127], v[1:2], v[126:127]
	s_waitcnt vmcnt(0)
	v_fma_f64 v[1:2], v[1:2], v[130:131], -v[132:133]
	v_fma_f64 v[3:4], v[3:4], v[130:131], v[126:127]
.LBB122_546:
	s_mov_b32 s8, exec_lo
	v_cmpx_ne_u32_e32 10, v0
	s_cbranch_execz .LBB122_550
; %bb.547:
	v_add_nc_u32_e32 v126, 0x3c0, v129
	v_add3_u32 v127, 0, v129, 16
	v_mov_b32_e32 v128, v0
	s_mov_b32 s66, 0
	.p2align	6
.LBB122_548:                            ; =>This Inner Loop Header: Depth=1
	s_clause 0x3
	buffer_load_dword v134, v127, s[0:3], 0 offen offset:8
	buffer_load_dword v135, v127, s[0:3], 0 offen offset:12
	buffer_load_dword v136, v127, s[0:3], 0 offen
	buffer_load_dword v137, v127, s[0:3], 0 offen offset:4
	ds_read_b128 v[130:133], v126
	v_add_nc_u32_e32 v128, 1, v128
	v_add_nc_u32_e32 v126, 16, v126
	;; [unrolled: 1-line block ×3, first 2 shown]
	v_cmp_lt_u32_e32 vcc_lo, 9, v128
	s_or_b32 s66, vcc_lo, s66
	s_waitcnt vmcnt(2) lgkmcnt(0)
	v_mul_f64 v[138:139], v[132:133], v[134:135]
	v_mul_f64 v[134:135], v[130:131], v[134:135]
	s_waitcnt vmcnt(0)
	v_fma_f64 v[130:131], v[130:131], v[136:137], -v[138:139]
	v_fma_f64 v[132:133], v[132:133], v[136:137], v[134:135]
	v_add_f64 v[1:2], v[1:2], v[130:131]
	v_add_f64 v[3:4], v[3:4], v[132:133]
	s_andn2_b32 exec_lo, exec_lo, s66
	s_cbranch_execnz .LBB122_548
; %bb.549:
	s_or_b32 exec_lo, exec_lo, s66
.LBB122_550:
	s_or_b32 exec_lo, exec_lo, s8
	v_mov_b32_e32 v126, 0
	ds_read_b128 v[130:133], v126 offset:176
	s_waitcnt lgkmcnt(0)
	v_mul_f64 v[126:127], v[3:4], v[132:133]
	v_mul_f64 v[132:133], v[1:2], v[132:133]
	v_fma_f64 v[1:2], v[1:2], v[130:131], -v[126:127]
	v_fma_f64 v[3:4], v[3:4], v[130:131], v[132:133]
	buffer_store_dword v2, off, s[0:3], 0 offset:180
	buffer_store_dword v1, off, s[0:3], 0 offset:176
	;; [unrolled: 1-line block ×4, first 2 shown]
.LBB122_551:
	s_or_b32 exec_lo, exec_lo, s4
	v_mov_b32_e32 v4, s54
	s_mov_b32 s4, exec_lo
	s_clause 0x3
	buffer_load_dword v1, v4, s[0:3], 0 offen
	buffer_load_dword v2, v4, s[0:3], 0 offen offset:4
	buffer_load_dword v3, v4, s[0:3], 0 offen offset:8
	;; [unrolled: 1-line block ×3, first 2 shown]
	s_waitcnt vmcnt(0)
	ds_write_b128 v124, v[1:4]
	s_waitcnt lgkmcnt(0)
	s_waitcnt_vscnt null, 0x0
	s_barrier
	buffer_gl0_inv
	v_cmpx_gt_u32_e32 12, v0
	s_cbranch_execz .LBB122_559
; %bb.552:
	ds_read_b128 v[1:4], v124
	v_cmp_ne_u32_e32 vcc_lo, 1, v125
	s_cbranch_vccnz .LBB122_554
; %bb.553:
	s_clause 0x3
	buffer_load_dword v126, v123, s[0:3], 0 offen offset:8
	buffer_load_dword v127, v123, s[0:3], 0 offen offset:12
	buffer_load_dword v130, v123, s[0:3], 0 offen
	buffer_load_dword v131, v123, s[0:3], 0 offen offset:4
	s_waitcnt vmcnt(2) lgkmcnt(0)
	v_mul_f64 v[132:133], v[3:4], v[126:127]
	v_mul_f64 v[126:127], v[1:2], v[126:127]
	s_waitcnt vmcnt(0)
	v_fma_f64 v[1:2], v[1:2], v[130:131], -v[132:133]
	v_fma_f64 v[3:4], v[3:4], v[130:131], v[126:127]
.LBB122_554:
	s_mov_b32 s8, exec_lo
	v_cmpx_ne_u32_e32 11, v0
	s_cbranch_execz .LBB122_558
; %bb.555:
	v_add_nc_u32_e32 v126, 0x3c0, v129
	v_add3_u32 v127, 0, v129, 16
	v_mov_b32_e32 v128, v0
	s_mov_b32 s66, 0
	.p2align	6
.LBB122_556:                            ; =>This Inner Loop Header: Depth=1
	s_clause 0x3
	buffer_load_dword v134, v127, s[0:3], 0 offen offset:8
	buffer_load_dword v135, v127, s[0:3], 0 offen offset:12
	buffer_load_dword v136, v127, s[0:3], 0 offen
	buffer_load_dword v137, v127, s[0:3], 0 offen offset:4
	ds_read_b128 v[130:133], v126
	v_add_nc_u32_e32 v128, 1, v128
	v_add_nc_u32_e32 v126, 16, v126
	v_add_nc_u32_e32 v127, 16, v127
	v_cmp_lt_u32_e32 vcc_lo, 10, v128
	s_or_b32 s66, vcc_lo, s66
	s_waitcnt vmcnt(2) lgkmcnt(0)
	v_mul_f64 v[138:139], v[132:133], v[134:135]
	v_mul_f64 v[134:135], v[130:131], v[134:135]
	s_waitcnt vmcnt(0)
	v_fma_f64 v[130:131], v[130:131], v[136:137], -v[138:139]
	v_fma_f64 v[132:133], v[132:133], v[136:137], v[134:135]
	v_add_f64 v[1:2], v[1:2], v[130:131]
	v_add_f64 v[3:4], v[3:4], v[132:133]
	s_andn2_b32 exec_lo, exec_lo, s66
	s_cbranch_execnz .LBB122_556
; %bb.557:
	s_or_b32 exec_lo, exec_lo, s66
.LBB122_558:
	s_or_b32 exec_lo, exec_lo, s8
	v_mov_b32_e32 v126, 0
	ds_read_b128 v[130:133], v126 offset:192
	s_waitcnt lgkmcnt(0)
	v_mul_f64 v[126:127], v[3:4], v[132:133]
	v_mul_f64 v[132:133], v[1:2], v[132:133]
	v_fma_f64 v[1:2], v[1:2], v[130:131], -v[126:127]
	v_fma_f64 v[3:4], v[3:4], v[130:131], v[132:133]
	buffer_store_dword v2, off, s[0:3], 0 offset:196
	buffer_store_dword v1, off, s[0:3], 0 offset:192
	;; [unrolled: 1-line block ×4, first 2 shown]
.LBB122_559:
	s_or_b32 exec_lo, exec_lo, s4
	v_mov_b32_e32 v4, s53
	s_mov_b32 s4, exec_lo
	s_clause 0x3
	buffer_load_dword v1, v4, s[0:3], 0 offen
	buffer_load_dword v2, v4, s[0:3], 0 offen offset:4
	buffer_load_dword v3, v4, s[0:3], 0 offen offset:8
	;; [unrolled: 1-line block ×3, first 2 shown]
	s_waitcnt vmcnt(0)
	ds_write_b128 v124, v[1:4]
	s_waitcnt lgkmcnt(0)
	s_waitcnt_vscnt null, 0x0
	s_barrier
	buffer_gl0_inv
	v_cmpx_gt_u32_e32 13, v0
	s_cbranch_execz .LBB122_567
; %bb.560:
	ds_read_b128 v[1:4], v124
	v_cmp_ne_u32_e32 vcc_lo, 1, v125
	s_cbranch_vccnz .LBB122_562
; %bb.561:
	s_clause 0x3
	buffer_load_dword v126, v123, s[0:3], 0 offen offset:8
	buffer_load_dword v127, v123, s[0:3], 0 offen offset:12
	buffer_load_dword v130, v123, s[0:3], 0 offen
	buffer_load_dword v131, v123, s[0:3], 0 offen offset:4
	s_waitcnt vmcnt(2) lgkmcnt(0)
	v_mul_f64 v[132:133], v[3:4], v[126:127]
	v_mul_f64 v[126:127], v[1:2], v[126:127]
	s_waitcnt vmcnt(0)
	v_fma_f64 v[1:2], v[1:2], v[130:131], -v[132:133]
	v_fma_f64 v[3:4], v[3:4], v[130:131], v[126:127]
.LBB122_562:
	s_mov_b32 s8, exec_lo
	v_cmpx_ne_u32_e32 12, v0
	s_cbranch_execz .LBB122_566
; %bb.563:
	v_add_nc_u32_e32 v126, 0x3c0, v129
	v_add3_u32 v127, 0, v129, 16
	v_mov_b32_e32 v128, v0
	s_mov_b32 s66, 0
	.p2align	6
.LBB122_564:                            ; =>This Inner Loop Header: Depth=1
	s_clause 0x3
	buffer_load_dword v134, v127, s[0:3], 0 offen offset:8
	buffer_load_dword v135, v127, s[0:3], 0 offen offset:12
	buffer_load_dword v136, v127, s[0:3], 0 offen
	buffer_load_dword v137, v127, s[0:3], 0 offen offset:4
	ds_read_b128 v[130:133], v126
	v_add_nc_u32_e32 v128, 1, v128
	v_add_nc_u32_e32 v126, 16, v126
	;; [unrolled: 1-line block ×3, first 2 shown]
	v_cmp_lt_u32_e32 vcc_lo, 11, v128
	s_or_b32 s66, vcc_lo, s66
	s_waitcnt vmcnt(2) lgkmcnt(0)
	v_mul_f64 v[138:139], v[132:133], v[134:135]
	v_mul_f64 v[134:135], v[130:131], v[134:135]
	s_waitcnt vmcnt(0)
	v_fma_f64 v[130:131], v[130:131], v[136:137], -v[138:139]
	v_fma_f64 v[132:133], v[132:133], v[136:137], v[134:135]
	v_add_f64 v[1:2], v[1:2], v[130:131]
	v_add_f64 v[3:4], v[3:4], v[132:133]
	s_andn2_b32 exec_lo, exec_lo, s66
	s_cbranch_execnz .LBB122_564
; %bb.565:
	s_or_b32 exec_lo, exec_lo, s66
.LBB122_566:
	s_or_b32 exec_lo, exec_lo, s8
	v_mov_b32_e32 v126, 0
	ds_read_b128 v[130:133], v126 offset:208
	s_waitcnt lgkmcnt(0)
	v_mul_f64 v[126:127], v[3:4], v[132:133]
	v_mul_f64 v[132:133], v[1:2], v[132:133]
	v_fma_f64 v[1:2], v[1:2], v[130:131], -v[126:127]
	v_fma_f64 v[3:4], v[3:4], v[130:131], v[132:133]
	buffer_store_dword v2, off, s[0:3], 0 offset:212
	buffer_store_dword v1, off, s[0:3], 0 offset:208
	;; [unrolled: 1-line block ×4, first 2 shown]
.LBB122_567:
	s_or_b32 exec_lo, exec_lo, s4
	v_mov_b32_e32 v4, s52
	s_mov_b32 s4, exec_lo
	s_clause 0x3
	buffer_load_dword v1, v4, s[0:3], 0 offen
	buffer_load_dword v2, v4, s[0:3], 0 offen offset:4
	buffer_load_dword v3, v4, s[0:3], 0 offen offset:8
	;; [unrolled: 1-line block ×3, first 2 shown]
	s_waitcnt vmcnt(0)
	ds_write_b128 v124, v[1:4]
	s_waitcnt lgkmcnt(0)
	s_waitcnt_vscnt null, 0x0
	s_barrier
	buffer_gl0_inv
	v_cmpx_gt_u32_e32 14, v0
	s_cbranch_execz .LBB122_575
; %bb.568:
	ds_read_b128 v[1:4], v124
	v_cmp_ne_u32_e32 vcc_lo, 1, v125
	s_cbranch_vccnz .LBB122_570
; %bb.569:
	s_clause 0x3
	buffer_load_dword v126, v123, s[0:3], 0 offen offset:8
	buffer_load_dword v127, v123, s[0:3], 0 offen offset:12
	buffer_load_dword v130, v123, s[0:3], 0 offen
	buffer_load_dword v131, v123, s[0:3], 0 offen offset:4
	s_waitcnt vmcnt(2) lgkmcnt(0)
	v_mul_f64 v[132:133], v[3:4], v[126:127]
	v_mul_f64 v[126:127], v[1:2], v[126:127]
	s_waitcnt vmcnt(0)
	v_fma_f64 v[1:2], v[1:2], v[130:131], -v[132:133]
	v_fma_f64 v[3:4], v[3:4], v[130:131], v[126:127]
.LBB122_570:
	s_mov_b32 s8, exec_lo
	v_cmpx_ne_u32_e32 13, v0
	s_cbranch_execz .LBB122_574
; %bb.571:
	v_add_nc_u32_e32 v126, 0x3c0, v129
	v_add3_u32 v127, 0, v129, 16
	v_mov_b32_e32 v128, v0
	s_mov_b32 s66, 0
	.p2align	6
.LBB122_572:                            ; =>This Inner Loop Header: Depth=1
	s_clause 0x3
	buffer_load_dword v134, v127, s[0:3], 0 offen offset:8
	buffer_load_dword v135, v127, s[0:3], 0 offen offset:12
	buffer_load_dword v136, v127, s[0:3], 0 offen
	buffer_load_dword v137, v127, s[0:3], 0 offen offset:4
	ds_read_b128 v[130:133], v126
	v_add_nc_u32_e32 v128, 1, v128
	v_add_nc_u32_e32 v126, 16, v126
	v_add_nc_u32_e32 v127, 16, v127
	v_cmp_lt_u32_e32 vcc_lo, 12, v128
	s_or_b32 s66, vcc_lo, s66
	s_waitcnt vmcnt(2) lgkmcnt(0)
	v_mul_f64 v[138:139], v[132:133], v[134:135]
	v_mul_f64 v[134:135], v[130:131], v[134:135]
	s_waitcnt vmcnt(0)
	v_fma_f64 v[130:131], v[130:131], v[136:137], -v[138:139]
	v_fma_f64 v[132:133], v[132:133], v[136:137], v[134:135]
	v_add_f64 v[1:2], v[1:2], v[130:131]
	v_add_f64 v[3:4], v[3:4], v[132:133]
	s_andn2_b32 exec_lo, exec_lo, s66
	s_cbranch_execnz .LBB122_572
; %bb.573:
	s_or_b32 exec_lo, exec_lo, s66
.LBB122_574:
	s_or_b32 exec_lo, exec_lo, s8
	v_mov_b32_e32 v126, 0
	ds_read_b128 v[130:133], v126 offset:224
	s_waitcnt lgkmcnt(0)
	v_mul_f64 v[126:127], v[3:4], v[132:133]
	v_mul_f64 v[132:133], v[1:2], v[132:133]
	v_fma_f64 v[1:2], v[1:2], v[130:131], -v[126:127]
	v_fma_f64 v[3:4], v[3:4], v[130:131], v[132:133]
	buffer_store_dword v2, off, s[0:3], 0 offset:228
	buffer_store_dword v1, off, s[0:3], 0 offset:224
	;; [unrolled: 1-line block ×4, first 2 shown]
.LBB122_575:
	s_or_b32 exec_lo, exec_lo, s4
	v_mov_b32_e32 v4, s51
	s_mov_b32 s4, exec_lo
	s_clause 0x3
	buffer_load_dword v1, v4, s[0:3], 0 offen
	buffer_load_dword v2, v4, s[0:3], 0 offen offset:4
	buffer_load_dword v3, v4, s[0:3], 0 offen offset:8
	;; [unrolled: 1-line block ×3, first 2 shown]
	s_waitcnt vmcnt(0)
	ds_write_b128 v124, v[1:4]
	s_waitcnt lgkmcnt(0)
	s_waitcnt_vscnt null, 0x0
	s_barrier
	buffer_gl0_inv
	v_cmpx_gt_u32_e32 15, v0
	s_cbranch_execz .LBB122_583
; %bb.576:
	ds_read_b128 v[1:4], v124
	v_cmp_ne_u32_e32 vcc_lo, 1, v125
	s_cbranch_vccnz .LBB122_578
; %bb.577:
	s_clause 0x3
	buffer_load_dword v126, v123, s[0:3], 0 offen offset:8
	buffer_load_dword v127, v123, s[0:3], 0 offen offset:12
	buffer_load_dword v130, v123, s[0:3], 0 offen
	buffer_load_dword v131, v123, s[0:3], 0 offen offset:4
	s_waitcnt vmcnt(2) lgkmcnt(0)
	v_mul_f64 v[132:133], v[3:4], v[126:127]
	v_mul_f64 v[126:127], v[1:2], v[126:127]
	s_waitcnt vmcnt(0)
	v_fma_f64 v[1:2], v[1:2], v[130:131], -v[132:133]
	v_fma_f64 v[3:4], v[3:4], v[130:131], v[126:127]
.LBB122_578:
	s_mov_b32 s8, exec_lo
	v_cmpx_ne_u32_e32 14, v0
	s_cbranch_execz .LBB122_582
; %bb.579:
	v_add_nc_u32_e32 v126, 0x3c0, v129
	v_add3_u32 v127, 0, v129, 16
	v_mov_b32_e32 v128, v0
	s_mov_b32 s66, 0
	.p2align	6
.LBB122_580:                            ; =>This Inner Loop Header: Depth=1
	s_clause 0x3
	buffer_load_dword v134, v127, s[0:3], 0 offen offset:8
	buffer_load_dword v135, v127, s[0:3], 0 offen offset:12
	buffer_load_dword v136, v127, s[0:3], 0 offen
	buffer_load_dword v137, v127, s[0:3], 0 offen offset:4
	ds_read_b128 v[130:133], v126
	v_add_nc_u32_e32 v128, 1, v128
	v_add_nc_u32_e32 v126, 16, v126
	;; [unrolled: 1-line block ×3, first 2 shown]
	v_cmp_lt_u32_e32 vcc_lo, 13, v128
	s_or_b32 s66, vcc_lo, s66
	s_waitcnt vmcnt(2) lgkmcnt(0)
	v_mul_f64 v[138:139], v[132:133], v[134:135]
	v_mul_f64 v[134:135], v[130:131], v[134:135]
	s_waitcnt vmcnt(0)
	v_fma_f64 v[130:131], v[130:131], v[136:137], -v[138:139]
	v_fma_f64 v[132:133], v[132:133], v[136:137], v[134:135]
	v_add_f64 v[1:2], v[1:2], v[130:131]
	v_add_f64 v[3:4], v[3:4], v[132:133]
	s_andn2_b32 exec_lo, exec_lo, s66
	s_cbranch_execnz .LBB122_580
; %bb.581:
	s_or_b32 exec_lo, exec_lo, s66
.LBB122_582:
	s_or_b32 exec_lo, exec_lo, s8
	v_mov_b32_e32 v126, 0
	ds_read_b128 v[130:133], v126 offset:240
	s_waitcnt lgkmcnt(0)
	v_mul_f64 v[126:127], v[3:4], v[132:133]
	v_mul_f64 v[132:133], v[1:2], v[132:133]
	v_fma_f64 v[1:2], v[1:2], v[130:131], -v[126:127]
	v_fma_f64 v[3:4], v[3:4], v[130:131], v[132:133]
	buffer_store_dword v2, off, s[0:3], 0 offset:244
	buffer_store_dword v1, off, s[0:3], 0 offset:240
	;; [unrolled: 1-line block ×4, first 2 shown]
.LBB122_583:
	s_or_b32 exec_lo, exec_lo, s4
	v_mov_b32_e32 v4, s50
	s_mov_b32 s4, exec_lo
	s_clause 0x3
	buffer_load_dword v1, v4, s[0:3], 0 offen
	buffer_load_dword v2, v4, s[0:3], 0 offen offset:4
	buffer_load_dword v3, v4, s[0:3], 0 offen offset:8
	;; [unrolled: 1-line block ×3, first 2 shown]
	s_waitcnt vmcnt(0)
	ds_write_b128 v124, v[1:4]
	s_waitcnt lgkmcnt(0)
	s_waitcnt_vscnt null, 0x0
	s_barrier
	buffer_gl0_inv
	v_cmpx_gt_u32_e32 16, v0
	s_cbranch_execz .LBB122_591
; %bb.584:
	ds_read_b128 v[1:4], v124
	v_cmp_ne_u32_e32 vcc_lo, 1, v125
	s_cbranch_vccnz .LBB122_586
; %bb.585:
	s_clause 0x3
	buffer_load_dword v126, v123, s[0:3], 0 offen offset:8
	buffer_load_dword v127, v123, s[0:3], 0 offen offset:12
	buffer_load_dword v130, v123, s[0:3], 0 offen
	buffer_load_dword v131, v123, s[0:3], 0 offen offset:4
	s_waitcnt vmcnt(2) lgkmcnt(0)
	v_mul_f64 v[132:133], v[3:4], v[126:127]
	v_mul_f64 v[126:127], v[1:2], v[126:127]
	s_waitcnt vmcnt(0)
	v_fma_f64 v[1:2], v[1:2], v[130:131], -v[132:133]
	v_fma_f64 v[3:4], v[3:4], v[130:131], v[126:127]
.LBB122_586:
	s_mov_b32 s8, exec_lo
	v_cmpx_ne_u32_e32 15, v0
	s_cbranch_execz .LBB122_590
; %bb.587:
	v_add_nc_u32_e32 v126, 0x3c0, v129
	v_add3_u32 v127, 0, v129, 16
	v_mov_b32_e32 v128, v0
	s_mov_b32 s66, 0
	.p2align	6
.LBB122_588:                            ; =>This Inner Loop Header: Depth=1
	s_clause 0x3
	buffer_load_dword v134, v127, s[0:3], 0 offen offset:8
	buffer_load_dword v135, v127, s[0:3], 0 offen offset:12
	buffer_load_dword v136, v127, s[0:3], 0 offen
	buffer_load_dword v137, v127, s[0:3], 0 offen offset:4
	ds_read_b128 v[130:133], v126
	v_add_nc_u32_e32 v128, 1, v128
	v_add_nc_u32_e32 v126, 16, v126
	;; [unrolled: 1-line block ×3, first 2 shown]
	v_cmp_lt_u32_e32 vcc_lo, 14, v128
	s_or_b32 s66, vcc_lo, s66
	s_waitcnt vmcnt(2) lgkmcnt(0)
	v_mul_f64 v[138:139], v[132:133], v[134:135]
	v_mul_f64 v[134:135], v[130:131], v[134:135]
	s_waitcnt vmcnt(0)
	v_fma_f64 v[130:131], v[130:131], v[136:137], -v[138:139]
	v_fma_f64 v[132:133], v[132:133], v[136:137], v[134:135]
	v_add_f64 v[1:2], v[1:2], v[130:131]
	v_add_f64 v[3:4], v[3:4], v[132:133]
	s_andn2_b32 exec_lo, exec_lo, s66
	s_cbranch_execnz .LBB122_588
; %bb.589:
	s_or_b32 exec_lo, exec_lo, s66
.LBB122_590:
	s_or_b32 exec_lo, exec_lo, s8
	v_mov_b32_e32 v126, 0
	ds_read_b128 v[130:133], v126 offset:256
	s_waitcnt lgkmcnt(0)
	v_mul_f64 v[126:127], v[3:4], v[132:133]
	v_mul_f64 v[132:133], v[1:2], v[132:133]
	v_fma_f64 v[1:2], v[1:2], v[130:131], -v[126:127]
	v_fma_f64 v[3:4], v[3:4], v[130:131], v[132:133]
	buffer_store_dword v2, off, s[0:3], 0 offset:260
	buffer_store_dword v1, off, s[0:3], 0 offset:256
	;; [unrolled: 1-line block ×4, first 2 shown]
.LBB122_591:
	s_or_b32 exec_lo, exec_lo, s4
	v_mov_b32_e32 v4, s49
	s_mov_b32 s4, exec_lo
	s_clause 0x3
	buffer_load_dword v1, v4, s[0:3], 0 offen
	buffer_load_dword v2, v4, s[0:3], 0 offen offset:4
	buffer_load_dword v3, v4, s[0:3], 0 offen offset:8
	;; [unrolled: 1-line block ×3, first 2 shown]
	s_waitcnt vmcnt(0)
	ds_write_b128 v124, v[1:4]
	s_waitcnt lgkmcnt(0)
	s_waitcnt_vscnt null, 0x0
	s_barrier
	buffer_gl0_inv
	v_cmpx_gt_u32_e32 17, v0
	s_cbranch_execz .LBB122_599
; %bb.592:
	ds_read_b128 v[1:4], v124
	v_cmp_ne_u32_e32 vcc_lo, 1, v125
	s_cbranch_vccnz .LBB122_594
; %bb.593:
	s_clause 0x3
	buffer_load_dword v126, v123, s[0:3], 0 offen offset:8
	buffer_load_dword v127, v123, s[0:3], 0 offen offset:12
	buffer_load_dword v130, v123, s[0:3], 0 offen
	buffer_load_dword v131, v123, s[0:3], 0 offen offset:4
	s_waitcnt vmcnt(2) lgkmcnt(0)
	v_mul_f64 v[132:133], v[3:4], v[126:127]
	v_mul_f64 v[126:127], v[1:2], v[126:127]
	s_waitcnt vmcnt(0)
	v_fma_f64 v[1:2], v[1:2], v[130:131], -v[132:133]
	v_fma_f64 v[3:4], v[3:4], v[130:131], v[126:127]
.LBB122_594:
	s_mov_b32 s8, exec_lo
	v_cmpx_ne_u32_e32 16, v0
	s_cbranch_execz .LBB122_598
; %bb.595:
	v_add_nc_u32_e32 v126, 0x3c0, v129
	v_add3_u32 v127, 0, v129, 16
	v_mov_b32_e32 v128, v0
	s_mov_b32 s66, 0
	.p2align	6
.LBB122_596:                            ; =>This Inner Loop Header: Depth=1
	s_clause 0x3
	buffer_load_dword v134, v127, s[0:3], 0 offen offset:8
	buffer_load_dword v135, v127, s[0:3], 0 offen offset:12
	buffer_load_dword v136, v127, s[0:3], 0 offen
	buffer_load_dword v137, v127, s[0:3], 0 offen offset:4
	ds_read_b128 v[130:133], v126
	v_add_nc_u32_e32 v128, 1, v128
	v_add_nc_u32_e32 v126, 16, v126
	;; [unrolled: 1-line block ×3, first 2 shown]
	v_cmp_lt_u32_e32 vcc_lo, 15, v128
	s_or_b32 s66, vcc_lo, s66
	s_waitcnt vmcnt(2) lgkmcnt(0)
	v_mul_f64 v[138:139], v[132:133], v[134:135]
	v_mul_f64 v[134:135], v[130:131], v[134:135]
	s_waitcnt vmcnt(0)
	v_fma_f64 v[130:131], v[130:131], v[136:137], -v[138:139]
	v_fma_f64 v[132:133], v[132:133], v[136:137], v[134:135]
	v_add_f64 v[1:2], v[1:2], v[130:131]
	v_add_f64 v[3:4], v[3:4], v[132:133]
	s_andn2_b32 exec_lo, exec_lo, s66
	s_cbranch_execnz .LBB122_596
; %bb.597:
	s_or_b32 exec_lo, exec_lo, s66
.LBB122_598:
	s_or_b32 exec_lo, exec_lo, s8
	v_mov_b32_e32 v126, 0
	ds_read_b128 v[130:133], v126 offset:272
	s_waitcnt lgkmcnt(0)
	v_mul_f64 v[126:127], v[3:4], v[132:133]
	v_mul_f64 v[132:133], v[1:2], v[132:133]
	v_fma_f64 v[1:2], v[1:2], v[130:131], -v[126:127]
	v_fma_f64 v[3:4], v[3:4], v[130:131], v[132:133]
	buffer_store_dword v2, off, s[0:3], 0 offset:276
	buffer_store_dword v1, off, s[0:3], 0 offset:272
	;; [unrolled: 1-line block ×4, first 2 shown]
.LBB122_599:
	s_or_b32 exec_lo, exec_lo, s4
	v_mov_b32_e32 v4, s48
	s_mov_b32 s4, exec_lo
	s_clause 0x3
	buffer_load_dword v1, v4, s[0:3], 0 offen
	buffer_load_dword v2, v4, s[0:3], 0 offen offset:4
	buffer_load_dword v3, v4, s[0:3], 0 offen offset:8
	;; [unrolled: 1-line block ×3, first 2 shown]
	s_waitcnt vmcnt(0)
	ds_write_b128 v124, v[1:4]
	s_waitcnt lgkmcnt(0)
	s_waitcnt_vscnt null, 0x0
	s_barrier
	buffer_gl0_inv
	v_cmpx_gt_u32_e32 18, v0
	s_cbranch_execz .LBB122_607
; %bb.600:
	ds_read_b128 v[1:4], v124
	v_cmp_ne_u32_e32 vcc_lo, 1, v125
	s_cbranch_vccnz .LBB122_602
; %bb.601:
	s_clause 0x3
	buffer_load_dword v126, v123, s[0:3], 0 offen offset:8
	buffer_load_dword v127, v123, s[0:3], 0 offen offset:12
	buffer_load_dword v130, v123, s[0:3], 0 offen
	buffer_load_dword v131, v123, s[0:3], 0 offen offset:4
	s_waitcnt vmcnt(2) lgkmcnt(0)
	v_mul_f64 v[132:133], v[3:4], v[126:127]
	v_mul_f64 v[126:127], v[1:2], v[126:127]
	s_waitcnt vmcnt(0)
	v_fma_f64 v[1:2], v[1:2], v[130:131], -v[132:133]
	v_fma_f64 v[3:4], v[3:4], v[130:131], v[126:127]
.LBB122_602:
	s_mov_b32 s8, exec_lo
	v_cmpx_ne_u32_e32 17, v0
	s_cbranch_execz .LBB122_606
; %bb.603:
	v_add_nc_u32_e32 v126, 0x3c0, v129
	v_add3_u32 v127, 0, v129, 16
	v_mov_b32_e32 v128, v0
	s_mov_b32 s66, 0
	.p2align	6
.LBB122_604:                            ; =>This Inner Loop Header: Depth=1
	s_clause 0x3
	buffer_load_dword v134, v127, s[0:3], 0 offen offset:8
	buffer_load_dword v135, v127, s[0:3], 0 offen offset:12
	buffer_load_dword v136, v127, s[0:3], 0 offen
	buffer_load_dword v137, v127, s[0:3], 0 offen offset:4
	ds_read_b128 v[130:133], v126
	v_add_nc_u32_e32 v128, 1, v128
	v_add_nc_u32_e32 v126, 16, v126
	;; [unrolled: 1-line block ×3, first 2 shown]
	v_cmp_lt_u32_e32 vcc_lo, 16, v128
	s_or_b32 s66, vcc_lo, s66
	s_waitcnt vmcnt(2) lgkmcnt(0)
	v_mul_f64 v[138:139], v[132:133], v[134:135]
	v_mul_f64 v[134:135], v[130:131], v[134:135]
	s_waitcnt vmcnt(0)
	v_fma_f64 v[130:131], v[130:131], v[136:137], -v[138:139]
	v_fma_f64 v[132:133], v[132:133], v[136:137], v[134:135]
	v_add_f64 v[1:2], v[1:2], v[130:131]
	v_add_f64 v[3:4], v[3:4], v[132:133]
	s_andn2_b32 exec_lo, exec_lo, s66
	s_cbranch_execnz .LBB122_604
; %bb.605:
	s_or_b32 exec_lo, exec_lo, s66
.LBB122_606:
	s_or_b32 exec_lo, exec_lo, s8
	v_mov_b32_e32 v126, 0
	ds_read_b128 v[130:133], v126 offset:288
	s_waitcnt lgkmcnt(0)
	v_mul_f64 v[126:127], v[3:4], v[132:133]
	v_mul_f64 v[132:133], v[1:2], v[132:133]
	v_fma_f64 v[1:2], v[1:2], v[130:131], -v[126:127]
	v_fma_f64 v[3:4], v[3:4], v[130:131], v[132:133]
	buffer_store_dword v2, off, s[0:3], 0 offset:292
	buffer_store_dword v1, off, s[0:3], 0 offset:288
	buffer_store_dword v4, off, s[0:3], 0 offset:300
	buffer_store_dword v3, off, s[0:3], 0 offset:296
.LBB122_607:
	s_or_b32 exec_lo, exec_lo, s4
	v_mov_b32_e32 v4, s47
	s_mov_b32 s4, exec_lo
	s_clause 0x3
	buffer_load_dword v1, v4, s[0:3], 0 offen
	buffer_load_dword v2, v4, s[0:3], 0 offen offset:4
	buffer_load_dword v3, v4, s[0:3], 0 offen offset:8
	;; [unrolled: 1-line block ×3, first 2 shown]
	s_waitcnt vmcnt(0)
	ds_write_b128 v124, v[1:4]
	s_waitcnt lgkmcnt(0)
	s_waitcnt_vscnt null, 0x0
	s_barrier
	buffer_gl0_inv
	v_cmpx_gt_u32_e32 19, v0
	s_cbranch_execz .LBB122_615
; %bb.608:
	ds_read_b128 v[1:4], v124
	v_cmp_ne_u32_e32 vcc_lo, 1, v125
	s_cbranch_vccnz .LBB122_610
; %bb.609:
	s_clause 0x3
	buffer_load_dword v126, v123, s[0:3], 0 offen offset:8
	buffer_load_dword v127, v123, s[0:3], 0 offen offset:12
	buffer_load_dword v130, v123, s[0:3], 0 offen
	buffer_load_dword v131, v123, s[0:3], 0 offen offset:4
	s_waitcnt vmcnt(2) lgkmcnt(0)
	v_mul_f64 v[132:133], v[3:4], v[126:127]
	v_mul_f64 v[126:127], v[1:2], v[126:127]
	s_waitcnt vmcnt(0)
	v_fma_f64 v[1:2], v[1:2], v[130:131], -v[132:133]
	v_fma_f64 v[3:4], v[3:4], v[130:131], v[126:127]
.LBB122_610:
	s_mov_b32 s8, exec_lo
	v_cmpx_ne_u32_e32 18, v0
	s_cbranch_execz .LBB122_614
; %bb.611:
	v_add_nc_u32_e32 v126, 0x3c0, v129
	v_add3_u32 v127, 0, v129, 16
	v_mov_b32_e32 v128, v0
	s_mov_b32 s66, 0
	.p2align	6
.LBB122_612:                            ; =>This Inner Loop Header: Depth=1
	s_clause 0x3
	buffer_load_dword v134, v127, s[0:3], 0 offen offset:8
	buffer_load_dword v135, v127, s[0:3], 0 offen offset:12
	buffer_load_dword v136, v127, s[0:3], 0 offen
	buffer_load_dword v137, v127, s[0:3], 0 offen offset:4
	ds_read_b128 v[130:133], v126
	v_add_nc_u32_e32 v128, 1, v128
	v_add_nc_u32_e32 v126, 16, v126
	;; [unrolled: 1-line block ×3, first 2 shown]
	v_cmp_lt_u32_e32 vcc_lo, 17, v128
	s_or_b32 s66, vcc_lo, s66
	s_waitcnt vmcnt(2) lgkmcnt(0)
	v_mul_f64 v[138:139], v[132:133], v[134:135]
	v_mul_f64 v[134:135], v[130:131], v[134:135]
	s_waitcnt vmcnt(0)
	v_fma_f64 v[130:131], v[130:131], v[136:137], -v[138:139]
	v_fma_f64 v[132:133], v[132:133], v[136:137], v[134:135]
	v_add_f64 v[1:2], v[1:2], v[130:131]
	v_add_f64 v[3:4], v[3:4], v[132:133]
	s_andn2_b32 exec_lo, exec_lo, s66
	s_cbranch_execnz .LBB122_612
; %bb.613:
	s_or_b32 exec_lo, exec_lo, s66
.LBB122_614:
	s_or_b32 exec_lo, exec_lo, s8
	v_mov_b32_e32 v126, 0
	ds_read_b128 v[130:133], v126 offset:304
	s_waitcnt lgkmcnt(0)
	v_mul_f64 v[126:127], v[3:4], v[132:133]
	v_mul_f64 v[132:133], v[1:2], v[132:133]
	v_fma_f64 v[1:2], v[1:2], v[130:131], -v[126:127]
	v_fma_f64 v[3:4], v[3:4], v[130:131], v[132:133]
	buffer_store_dword v2, off, s[0:3], 0 offset:308
	buffer_store_dword v1, off, s[0:3], 0 offset:304
	;; [unrolled: 1-line block ×4, first 2 shown]
.LBB122_615:
	s_or_b32 exec_lo, exec_lo, s4
	v_mov_b32_e32 v4, s46
	s_mov_b32 s4, exec_lo
	s_clause 0x3
	buffer_load_dword v1, v4, s[0:3], 0 offen
	buffer_load_dword v2, v4, s[0:3], 0 offen offset:4
	buffer_load_dword v3, v4, s[0:3], 0 offen offset:8
	;; [unrolled: 1-line block ×3, first 2 shown]
	s_waitcnt vmcnt(0)
	ds_write_b128 v124, v[1:4]
	s_waitcnt lgkmcnt(0)
	s_waitcnt_vscnt null, 0x0
	s_barrier
	buffer_gl0_inv
	v_cmpx_gt_u32_e32 20, v0
	s_cbranch_execz .LBB122_623
; %bb.616:
	ds_read_b128 v[1:4], v124
	v_cmp_ne_u32_e32 vcc_lo, 1, v125
	s_cbranch_vccnz .LBB122_618
; %bb.617:
	s_clause 0x3
	buffer_load_dword v126, v123, s[0:3], 0 offen offset:8
	buffer_load_dword v127, v123, s[0:3], 0 offen offset:12
	buffer_load_dword v130, v123, s[0:3], 0 offen
	buffer_load_dword v131, v123, s[0:3], 0 offen offset:4
	s_waitcnt vmcnt(2) lgkmcnt(0)
	v_mul_f64 v[132:133], v[3:4], v[126:127]
	v_mul_f64 v[126:127], v[1:2], v[126:127]
	s_waitcnt vmcnt(0)
	v_fma_f64 v[1:2], v[1:2], v[130:131], -v[132:133]
	v_fma_f64 v[3:4], v[3:4], v[130:131], v[126:127]
.LBB122_618:
	s_mov_b32 s8, exec_lo
	v_cmpx_ne_u32_e32 19, v0
	s_cbranch_execz .LBB122_622
; %bb.619:
	v_add_nc_u32_e32 v126, 0x3c0, v129
	v_add3_u32 v127, 0, v129, 16
	v_mov_b32_e32 v128, v0
	s_mov_b32 s66, 0
	.p2align	6
.LBB122_620:                            ; =>This Inner Loop Header: Depth=1
	s_clause 0x3
	buffer_load_dword v134, v127, s[0:3], 0 offen offset:8
	buffer_load_dword v135, v127, s[0:3], 0 offen offset:12
	buffer_load_dword v136, v127, s[0:3], 0 offen
	buffer_load_dword v137, v127, s[0:3], 0 offen offset:4
	ds_read_b128 v[130:133], v126
	v_add_nc_u32_e32 v128, 1, v128
	v_add_nc_u32_e32 v126, 16, v126
	v_add_nc_u32_e32 v127, 16, v127
	v_cmp_lt_u32_e32 vcc_lo, 18, v128
	s_or_b32 s66, vcc_lo, s66
	s_waitcnt vmcnt(2) lgkmcnt(0)
	v_mul_f64 v[138:139], v[132:133], v[134:135]
	v_mul_f64 v[134:135], v[130:131], v[134:135]
	s_waitcnt vmcnt(0)
	v_fma_f64 v[130:131], v[130:131], v[136:137], -v[138:139]
	v_fma_f64 v[132:133], v[132:133], v[136:137], v[134:135]
	v_add_f64 v[1:2], v[1:2], v[130:131]
	v_add_f64 v[3:4], v[3:4], v[132:133]
	s_andn2_b32 exec_lo, exec_lo, s66
	s_cbranch_execnz .LBB122_620
; %bb.621:
	s_or_b32 exec_lo, exec_lo, s66
.LBB122_622:
	s_or_b32 exec_lo, exec_lo, s8
	v_mov_b32_e32 v126, 0
	ds_read_b128 v[130:133], v126 offset:320
	s_waitcnt lgkmcnt(0)
	v_mul_f64 v[126:127], v[3:4], v[132:133]
	v_mul_f64 v[132:133], v[1:2], v[132:133]
	v_fma_f64 v[1:2], v[1:2], v[130:131], -v[126:127]
	v_fma_f64 v[3:4], v[3:4], v[130:131], v[132:133]
	buffer_store_dword v2, off, s[0:3], 0 offset:324
	buffer_store_dword v1, off, s[0:3], 0 offset:320
	;; [unrolled: 1-line block ×4, first 2 shown]
.LBB122_623:
	s_or_b32 exec_lo, exec_lo, s4
	v_mov_b32_e32 v4, s45
	s_mov_b32 s4, exec_lo
	s_clause 0x3
	buffer_load_dword v1, v4, s[0:3], 0 offen
	buffer_load_dword v2, v4, s[0:3], 0 offen offset:4
	buffer_load_dword v3, v4, s[0:3], 0 offen offset:8
	;; [unrolled: 1-line block ×3, first 2 shown]
	s_waitcnt vmcnt(0)
	ds_write_b128 v124, v[1:4]
	s_waitcnt lgkmcnt(0)
	s_waitcnt_vscnt null, 0x0
	s_barrier
	buffer_gl0_inv
	v_cmpx_gt_u32_e32 21, v0
	s_cbranch_execz .LBB122_631
; %bb.624:
	ds_read_b128 v[1:4], v124
	v_cmp_ne_u32_e32 vcc_lo, 1, v125
	s_cbranch_vccnz .LBB122_626
; %bb.625:
	s_clause 0x3
	buffer_load_dword v126, v123, s[0:3], 0 offen offset:8
	buffer_load_dword v127, v123, s[0:3], 0 offen offset:12
	buffer_load_dword v130, v123, s[0:3], 0 offen
	buffer_load_dword v131, v123, s[0:3], 0 offen offset:4
	s_waitcnt vmcnt(2) lgkmcnt(0)
	v_mul_f64 v[132:133], v[3:4], v[126:127]
	v_mul_f64 v[126:127], v[1:2], v[126:127]
	s_waitcnt vmcnt(0)
	v_fma_f64 v[1:2], v[1:2], v[130:131], -v[132:133]
	v_fma_f64 v[3:4], v[3:4], v[130:131], v[126:127]
.LBB122_626:
	s_mov_b32 s8, exec_lo
	v_cmpx_ne_u32_e32 20, v0
	s_cbranch_execz .LBB122_630
; %bb.627:
	v_add_nc_u32_e32 v126, 0x3c0, v129
	v_add3_u32 v127, 0, v129, 16
	v_mov_b32_e32 v128, v0
	s_mov_b32 s66, 0
	.p2align	6
.LBB122_628:                            ; =>This Inner Loop Header: Depth=1
	s_clause 0x3
	buffer_load_dword v134, v127, s[0:3], 0 offen offset:8
	buffer_load_dword v135, v127, s[0:3], 0 offen offset:12
	buffer_load_dword v136, v127, s[0:3], 0 offen
	buffer_load_dword v137, v127, s[0:3], 0 offen offset:4
	ds_read_b128 v[130:133], v126
	v_add_nc_u32_e32 v128, 1, v128
	v_add_nc_u32_e32 v126, 16, v126
	;; [unrolled: 1-line block ×3, first 2 shown]
	v_cmp_lt_u32_e32 vcc_lo, 19, v128
	s_or_b32 s66, vcc_lo, s66
	s_waitcnt vmcnt(2) lgkmcnt(0)
	v_mul_f64 v[138:139], v[132:133], v[134:135]
	v_mul_f64 v[134:135], v[130:131], v[134:135]
	s_waitcnt vmcnt(0)
	v_fma_f64 v[130:131], v[130:131], v[136:137], -v[138:139]
	v_fma_f64 v[132:133], v[132:133], v[136:137], v[134:135]
	v_add_f64 v[1:2], v[1:2], v[130:131]
	v_add_f64 v[3:4], v[3:4], v[132:133]
	s_andn2_b32 exec_lo, exec_lo, s66
	s_cbranch_execnz .LBB122_628
; %bb.629:
	s_or_b32 exec_lo, exec_lo, s66
.LBB122_630:
	s_or_b32 exec_lo, exec_lo, s8
	v_mov_b32_e32 v126, 0
	ds_read_b128 v[130:133], v126 offset:336
	s_waitcnt lgkmcnt(0)
	v_mul_f64 v[126:127], v[3:4], v[132:133]
	v_mul_f64 v[132:133], v[1:2], v[132:133]
	v_fma_f64 v[1:2], v[1:2], v[130:131], -v[126:127]
	v_fma_f64 v[3:4], v[3:4], v[130:131], v[132:133]
	buffer_store_dword v2, off, s[0:3], 0 offset:340
	buffer_store_dword v1, off, s[0:3], 0 offset:336
	;; [unrolled: 1-line block ×4, first 2 shown]
.LBB122_631:
	s_or_b32 exec_lo, exec_lo, s4
	v_mov_b32_e32 v4, s44
	s_mov_b32 s4, exec_lo
	s_clause 0x3
	buffer_load_dword v1, v4, s[0:3], 0 offen
	buffer_load_dword v2, v4, s[0:3], 0 offen offset:4
	buffer_load_dword v3, v4, s[0:3], 0 offen offset:8
	;; [unrolled: 1-line block ×3, first 2 shown]
	s_waitcnt vmcnt(0)
	ds_write_b128 v124, v[1:4]
	s_waitcnt lgkmcnt(0)
	s_waitcnt_vscnt null, 0x0
	s_barrier
	buffer_gl0_inv
	v_cmpx_gt_u32_e32 22, v0
	s_cbranch_execz .LBB122_639
; %bb.632:
	ds_read_b128 v[1:4], v124
	v_cmp_ne_u32_e32 vcc_lo, 1, v125
	s_cbranch_vccnz .LBB122_634
; %bb.633:
	s_clause 0x3
	buffer_load_dword v126, v123, s[0:3], 0 offen offset:8
	buffer_load_dword v127, v123, s[0:3], 0 offen offset:12
	buffer_load_dword v130, v123, s[0:3], 0 offen
	buffer_load_dword v131, v123, s[0:3], 0 offen offset:4
	s_waitcnt vmcnt(2) lgkmcnt(0)
	v_mul_f64 v[132:133], v[3:4], v[126:127]
	v_mul_f64 v[126:127], v[1:2], v[126:127]
	s_waitcnt vmcnt(0)
	v_fma_f64 v[1:2], v[1:2], v[130:131], -v[132:133]
	v_fma_f64 v[3:4], v[3:4], v[130:131], v[126:127]
.LBB122_634:
	s_mov_b32 s8, exec_lo
	v_cmpx_ne_u32_e32 21, v0
	s_cbranch_execz .LBB122_638
; %bb.635:
	v_add_nc_u32_e32 v126, 0x3c0, v129
	v_add3_u32 v127, 0, v129, 16
	v_mov_b32_e32 v128, v0
	s_mov_b32 s66, 0
	.p2align	6
.LBB122_636:                            ; =>This Inner Loop Header: Depth=1
	s_clause 0x3
	buffer_load_dword v134, v127, s[0:3], 0 offen offset:8
	buffer_load_dword v135, v127, s[0:3], 0 offen offset:12
	buffer_load_dword v136, v127, s[0:3], 0 offen
	buffer_load_dword v137, v127, s[0:3], 0 offen offset:4
	ds_read_b128 v[130:133], v126
	v_add_nc_u32_e32 v128, 1, v128
	v_add_nc_u32_e32 v126, 16, v126
	;; [unrolled: 1-line block ×3, first 2 shown]
	v_cmp_lt_u32_e32 vcc_lo, 20, v128
	s_or_b32 s66, vcc_lo, s66
	s_waitcnt vmcnt(2) lgkmcnt(0)
	v_mul_f64 v[138:139], v[132:133], v[134:135]
	v_mul_f64 v[134:135], v[130:131], v[134:135]
	s_waitcnt vmcnt(0)
	v_fma_f64 v[130:131], v[130:131], v[136:137], -v[138:139]
	v_fma_f64 v[132:133], v[132:133], v[136:137], v[134:135]
	v_add_f64 v[1:2], v[1:2], v[130:131]
	v_add_f64 v[3:4], v[3:4], v[132:133]
	s_andn2_b32 exec_lo, exec_lo, s66
	s_cbranch_execnz .LBB122_636
; %bb.637:
	s_or_b32 exec_lo, exec_lo, s66
.LBB122_638:
	s_or_b32 exec_lo, exec_lo, s8
	v_mov_b32_e32 v126, 0
	ds_read_b128 v[130:133], v126 offset:352
	s_waitcnt lgkmcnt(0)
	v_mul_f64 v[126:127], v[3:4], v[132:133]
	v_mul_f64 v[132:133], v[1:2], v[132:133]
	v_fma_f64 v[1:2], v[1:2], v[130:131], -v[126:127]
	v_fma_f64 v[3:4], v[3:4], v[130:131], v[132:133]
	buffer_store_dword v2, off, s[0:3], 0 offset:356
	buffer_store_dword v1, off, s[0:3], 0 offset:352
	;; [unrolled: 1-line block ×4, first 2 shown]
.LBB122_639:
	s_or_b32 exec_lo, exec_lo, s4
	v_mov_b32_e32 v4, s43
	s_mov_b32 s4, exec_lo
	s_clause 0x3
	buffer_load_dword v1, v4, s[0:3], 0 offen
	buffer_load_dword v2, v4, s[0:3], 0 offen offset:4
	buffer_load_dword v3, v4, s[0:3], 0 offen offset:8
	;; [unrolled: 1-line block ×3, first 2 shown]
	s_waitcnt vmcnt(0)
	ds_write_b128 v124, v[1:4]
	s_waitcnt lgkmcnt(0)
	s_waitcnt_vscnt null, 0x0
	s_barrier
	buffer_gl0_inv
	v_cmpx_gt_u32_e32 23, v0
	s_cbranch_execz .LBB122_647
; %bb.640:
	ds_read_b128 v[1:4], v124
	v_cmp_ne_u32_e32 vcc_lo, 1, v125
	s_cbranch_vccnz .LBB122_642
; %bb.641:
	s_clause 0x3
	buffer_load_dword v126, v123, s[0:3], 0 offen offset:8
	buffer_load_dword v127, v123, s[0:3], 0 offen offset:12
	buffer_load_dword v130, v123, s[0:3], 0 offen
	buffer_load_dword v131, v123, s[0:3], 0 offen offset:4
	s_waitcnt vmcnt(2) lgkmcnt(0)
	v_mul_f64 v[132:133], v[3:4], v[126:127]
	v_mul_f64 v[126:127], v[1:2], v[126:127]
	s_waitcnt vmcnt(0)
	v_fma_f64 v[1:2], v[1:2], v[130:131], -v[132:133]
	v_fma_f64 v[3:4], v[3:4], v[130:131], v[126:127]
.LBB122_642:
	s_mov_b32 s8, exec_lo
	v_cmpx_ne_u32_e32 22, v0
	s_cbranch_execz .LBB122_646
; %bb.643:
	v_add_nc_u32_e32 v126, 0x3c0, v129
	v_add3_u32 v127, 0, v129, 16
	v_mov_b32_e32 v128, v0
	s_mov_b32 s66, 0
	.p2align	6
.LBB122_644:                            ; =>This Inner Loop Header: Depth=1
	s_clause 0x3
	buffer_load_dword v134, v127, s[0:3], 0 offen offset:8
	buffer_load_dword v135, v127, s[0:3], 0 offen offset:12
	buffer_load_dword v136, v127, s[0:3], 0 offen
	buffer_load_dword v137, v127, s[0:3], 0 offen offset:4
	ds_read_b128 v[130:133], v126
	v_add_nc_u32_e32 v128, 1, v128
	v_add_nc_u32_e32 v126, 16, v126
	;; [unrolled: 1-line block ×3, first 2 shown]
	v_cmp_lt_u32_e32 vcc_lo, 21, v128
	s_or_b32 s66, vcc_lo, s66
	s_waitcnt vmcnt(2) lgkmcnt(0)
	v_mul_f64 v[138:139], v[132:133], v[134:135]
	v_mul_f64 v[134:135], v[130:131], v[134:135]
	s_waitcnt vmcnt(0)
	v_fma_f64 v[130:131], v[130:131], v[136:137], -v[138:139]
	v_fma_f64 v[132:133], v[132:133], v[136:137], v[134:135]
	v_add_f64 v[1:2], v[1:2], v[130:131]
	v_add_f64 v[3:4], v[3:4], v[132:133]
	s_andn2_b32 exec_lo, exec_lo, s66
	s_cbranch_execnz .LBB122_644
; %bb.645:
	s_or_b32 exec_lo, exec_lo, s66
.LBB122_646:
	s_or_b32 exec_lo, exec_lo, s8
	v_mov_b32_e32 v126, 0
	ds_read_b128 v[130:133], v126 offset:368
	s_waitcnt lgkmcnt(0)
	v_mul_f64 v[126:127], v[3:4], v[132:133]
	v_mul_f64 v[132:133], v[1:2], v[132:133]
	v_fma_f64 v[1:2], v[1:2], v[130:131], -v[126:127]
	v_fma_f64 v[3:4], v[3:4], v[130:131], v[132:133]
	buffer_store_dword v2, off, s[0:3], 0 offset:372
	buffer_store_dword v1, off, s[0:3], 0 offset:368
	;; [unrolled: 1-line block ×4, first 2 shown]
.LBB122_647:
	s_or_b32 exec_lo, exec_lo, s4
	v_mov_b32_e32 v4, s42
	s_mov_b32 s4, exec_lo
	s_clause 0x3
	buffer_load_dword v1, v4, s[0:3], 0 offen
	buffer_load_dword v2, v4, s[0:3], 0 offen offset:4
	buffer_load_dword v3, v4, s[0:3], 0 offen offset:8
	;; [unrolled: 1-line block ×3, first 2 shown]
	s_waitcnt vmcnt(0)
	ds_write_b128 v124, v[1:4]
	s_waitcnt lgkmcnt(0)
	s_waitcnt_vscnt null, 0x0
	s_barrier
	buffer_gl0_inv
	v_cmpx_gt_u32_e32 24, v0
	s_cbranch_execz .LBB122_655
; %bb.648:
	ds_read_b128 v[1:4], v124
	v_cmp_ne_u32_e32 vcc_lo, 1, v125
	s_cbranch_vccnz .LBB122_650
; %bb.649:
	s_clause 0x3
	buffer_load_dword v126, v123, s[0:3], 0 offen offset:8
	buffer_load_dword v127, v123, s[0:3], 0 offen offset:12
	buffer_load_dword v130, v123, s[0:3], 0 offen
	buffer_load_dword v131, v123, s[0:3], 0 offen offset:4
	s_waitcnt vmcnt(2) lgkmcnt(0)
	v_mul_f64 v[132:133], v[3:4], v[126:127]
	v_mul_f64 v[126:127], v[1:2], v[126:127]
	s_waitcnt vmcnt(0)
	v_fma_f64 v[1:2], v[1:2], v[130:131], -v[132:133]
	v_fma_f64 v[3:4], v[3:4], v[130:131], v[126:127]
.LBB122_650:
	s_mov_b32 s8, exec_lo
	v_cmpx_ne_u32_e32 23, v0
	s_cbranch_execz .LBB122_654
; %bb.651:
	v_add_nc_u32_e32 v126, 0x3c0, v129
	v_add3_u32 v127, 0, v129, 16
	v_mov_b32_e32 v128, v0
	s_mov_b32 s66, 0
	.p2align	6
.LBB122_652:                            ; =>This Inner Loop Header: Depth=1
	s_clause 0x3
	buffer_load_dword v134, v127, s[0:3], 0 offen offset:8
	buffer_load_dword v135, v127, s[0:3], 0 offen offset:12
	buffer_load_dword v136, v127, s[0:3], 0 offen
	buffer_load_dword v137, v127, s[0:3], 0 offen offset:4
	ds_read_b128 v[130:133], v126
	v_add_nc_u32_e32 v128, 1, v128
	v_add_nc_u32_e32 v126, 16, v126
	;; [unrolled: 1-line block ×3, first 2 shown]
	v_cmp_lt_u32_e32 vcc_lo, 22, v128
	s_or_b32 s66, vcc_lo, s66
	s_waitcnt vmcnt(2) lgkmcnt(0)
	v_mul_f64 v[138:139], v[132:133], v[134:135]
	v_mul_f64 v[134:135], v[130:131], v[134:135]
	s_waitcnt vmcnt(0)
	v_fma_f64 v[130:131], v[130:131], v[136:137], -v[138:139]
	v_fma_f64 v[132:133], v[132:133], v[136:137], v[134:135]
	v_add_f64 v[1:2], v[1:2], v[130:131]
	v_add_f64 v[3:4], v[3:4], v[132:133]
	s_andn2_b32 exec_lo, exec_lo, s66
	s_cbranch_execnz .LBB122_652
; %bb.653:
	s_or_b32 exec_lo, exec_lo, s66
.LBB122_654:
	s_or_b32 exec_lo, exec_lo, s8
	v_mov_b32_e32 v126, 0
	ds_read_b128 v[130:133], v126 offset:384
	s_waitcnt lgkmcnt(0)
	v_mul_f64 v[126:127], v[3:4], v[132:133]
	v_mul_f64 v[132:133], v[1:2], v[132:133]
	v_fma_f64 v[1:2], v[1:2], v[130:131], -v[126:127]
	v_fma_f64 v[3:4], v[3:4], v[130:131], v[132:133]
	buffer_store_dword v2, off, s[0:3], 0 offset:388
	buffer_store_dword v1, off, s[0:3], 0 offset:384
	;; [unrolled: 1-line block ×4, first 2 shown]
.LBB122_655:
	s_or_b32 exec_lo, exec_lo, s4
	v_mov_b32_e32 v4, s41
	s_mov_b32 s4, exec_lo
	s_clause 0x3
	buffer_load_dword v1, v4, s[0:3], 0 offen
	buffer_load_dword v2, v4, s[0:3], 0 offen offset:4
	buffer_load_dword v3, v4, s[0:3], 0 offen offset:8
	;; [unrolled: 1-line block ×3, first 2 shown]
	s_waitcnt vmcnt(0)
	ds_write_b128 v124, v[1:4]
	s_waitcnt lgkmcnt(0)
	s_waitcnt_vscnt null, 0x0
	s_barrier
	buffer_gl0_inv
	v_cmpx_gt_u32_e32 25, v0
	s_cbranch_execz .LBB122_663
; %bb.656:
	ds_read_b128 v[1:4], v124
	v_cmp_ne_u32_e32 vcc_lo, 1, v125
	s_cbranch_vccnz .LBB122_658
; %bb.657:
	s_clause 0x3
	buffer_load_dword v126, v123, s[0:3], 0 offen offset:8
	buffer_load_dword v127, v123, s[0:3], 0 offen offset:12
	buffer_load_dword v130, v123, s[0:3], 0 offen
	buffer_load_dword v131, v123, s[0:3], 0 offen offset:4
	s_waitcnt vmcnt(2) lgkmcnt(0)
	v_mul_f64 v[132:133], v[3:4], v[126:127]
	v_mul_f64 v[126:127], v[1:2], v[126:127]
	s_waitcnt vmcnt(0)
	v_fma_f64 v[1:2], v[1:2], v[130:131], -v[132:133]
	v_fma_f64 v[3:4], v[3:4], v[130:131], v[126:127]
.LBB122_658:
	s_mov_b32 s8, exec_lo
	v_cmpx_ne_u32_e32 24, v0
	s_cbranch_execz .LBB122_662
; %bb.659:
	v_add_nc_u32_e32 v126, 0x3c0, v129
	v_add3_u32 v127, 0, v129, 16
	v_mov_b32_e32 v128, v0
	s_mov_b32 s66, 0
	.p2align	6
.LBB122_660:                            ; =>This Inner Loop Header: Depth=1
	s_clause 0x3
	buffer_load_dword v134, v127, s[0:3], 0 offen offset:8
	buffer_load_dword v135, v127, s[0:3], 0 offen offset:12
	buffer_load_dword v136, v127, s[0:3], 0 offen
	buffer_load_dword v137, v127, s[0:3], 0 offen offset:4
	ds_read_b128 v[130:133], v126
	v_add_nc_u32_e32 v128, 1, v128
	v_add_nc_u32_e32 v126, 16, v126
	v_add_nc_u32_e32 v127, 16, v127
	v_cmp_lt_u32_e32 vcc_lo, 23, v128
	s_or_b32 s66, vcc_lo, s66
	s_waitcnt vmcnt(2) lgkmcnt(0)
	v_mul_f64 v[138:139], v[132:133], v[134:135]
	v_mul_f64 v[134:135], v[130:131], v[134:135]
	s_waitcnt vmcnt(0)
	v_fma_f64 v[130:131], v[130:131], v[136:137], -v[138:139]
	v_fma_f64 v[132:133], v[132:133], v[136:137], v[134:135]
	v_add_f64 v[1:2], v[1:2], v[130:131]
	v_add_f64 v[3:4], v[3:4], v[132:133]
	s_andn2_b32 exec_lo, exec_lo, s66
	s_cbranch_execnz .LBB122_660
; %bb.661:
	s_or_b32 exec_lo, exec_lo, s66
.LBB122_662:
	s_or_b32 exec_lo, exec_lo, s8
	v_mov_b32_e32 v126, 0
	ds_read_b128 v[130:133], v126 offset:400
	s_waitcnt lgkmcnt(0)
	v_mul_f64 v[126:127], v[3:4], v[132:133]
	v_mul_f64 v[132:133], v[1:2], v[132:133]
	v_fma_f64 v[1:2], v[1:2], v[130:131], -v[126:127]
	v_fma_f64 v[3:4], v[3:4], v[130:131], v[132:133]
	buffer_store_dword v2, off, s[0:3], 0 offset:404
	buffer_store_dword v1, off, s[0:3], 0 offset:400
	buffer_store_dword v4, off, s[0:3], 0 offset:412
	buffer_store_dword v3, off, s[0:3], 0 offset:408
.LBB122_663:
	s_or_b32 exec_lo, exec_lo, s4
	v_mov_b32_e32 v4, s40
	s_mov_b32 s4, exec_lo
	s_clause 0x3
	buffer_load_dword v1, v4, s[0:3], 0 offen
	buffer_load_dword v2, v4, s[0:3], 0 offen offset:4
	buffer_load_dword v3, v4, s[0:3], 0 offen offset:8
	;; [unrolled: 1-line block ×3, first 2 shown]
	s_waitcnt vmcnt(0)
	ds_write_b128 v124, v[1:4]
	s_waitcnt lgkmcnt(0)
	s_waitcnt_vscnt null, 0x0
	s_barrier
	buffer_gl0_inv
	v_cmpx_gt_u32_e32 26, v0
	s_cbranch_execz .LBB122_671
; %bb.664:
	ds_read_b128 v[1:4], v124
	v_cmp_ne_u32_e32 vcc_lo, 1, v125
	s_cbranch_vccnz .LBB122_666
; %bb.665:
	s_clause 0x3
	buffer_load_dword v126, v123, s[0:3], 0 offen offset:8
	buffer_load_dword v127, v123, s[0:3], 0 offen offset:12
	buffer_load_dword v130, v123, s[0:3], 0 offen
	buffer_load_dword v131, v123, s[0:3], 0 offen offset:4
	s_waitcnt vmcnt(2) lgkmcnt(0)
	v_mul_f64 v[132:133], v[3:4], v[126:127]
	v_mul_f64 v[126:127], v[1:2], v[126:127]
	s_waitcnt vmcnt(0)
	v_fma_f64 v[1:2], v[1:2], v[130:131], -v[132:133]
	v_fma_f64 v[3:4], v[3:4], v[130:131], v[126:127]
.LBB122_666:
	s_mov_b32 s8, exec_lo
	v_cmpx_ne_u32_e32 25, v0
	s_cbranch_execz .LBB122_670
; %bb.667:
	v_add_nc_u32_e32 v126, 0x3c0, v129
	v_add3_u32 v127, 0, v129, 16
	v_mov_b32_e32 v128, v0
	s_mov_b32 s66, 0
	.p2align	6
.LBB122_668:                            ; =>This Inner Loop Header: Depth=1
	s_clause 0x3
	buffer_load_dword v134, v127, s[0:3], 0 offen offset:8
	buffer_load_dword v135, v127, s[0:3], 0 offen offset:12
	buffer_load_dword v136, v127, s[0:3], 0 offen
	buffer_load_dword v137, v127, s[0:3], 0 offen offset:4
	ds_read_b128 v[130:133], v126
	v_add_nc_u32_e32 v128, 1, v128
	v_add_nc_u32_e32 v126, 16, v126
	;; [unrolled: 1-line block ×3, first 2 shown]
	v_cmp_lt_u32_e32 vcc_lo, 24, v128
	s_or_b32 s66, vcc_lo, s66
	s_waitcnt vmcnt(2) lgkmcnt(0)
	v_mul_f64 v[138:139], v[132:133], v[134:135]
	v_mul_f64 v[134:135], v[130:131], v[134:135]
	s_waitcnt vmcnt(0)
	v_fma_f64 v[130:131], v[130:131], v[136:137], -v[138:139]
	v_fma_f64 v[132:133], v[132:133], v[136:137], v[134:135]
	v_add_f64 v[1:2], v[1:2], v[130:131]
	v_add_f64 v[3:4], v[3:4], v[132:133]
	s_andn2_b32 exec_lo, exec_lo, s66
	s_cbranch_execnz .LBB122_668
; %bb.669:
	s_or_b32 exec_lo, exec_lo, s66
.LBB122_670:
	s_or_b32 exec_lo, exec_lo, s8
	v_mov_b32_e32 v126, 0
	ds_read_b128 v[130:133], v126 offset:416
	s_waitcnt lgkmcnt(0)
	v_mul_f64 v[126:127], v[3:4], v[132:133]
	v_mul_f64 v[132:133], v[1:2], v[132:133]
	v_fma_f64 v[1:2], v[1:2], v[130:131], -v[126:127]
	v_fma_f64 v[3:4], v[3:4], v[130:131], v[132:133]
	buffer_store_dword v2, off, s[0:3], 0 offset:420
	buffer_store_dword v1, off, s[0:3], 0 offset:416
	;; [unrolled: 1-line block ×4, first 2 shown]
.LBB122_671:
	s_or_b32 exec_lo, exec_lo, s4
	v_mov_b32_e32 v4, s39
	s_mov_b32 s4, exec_lo
	s_clause 0x3
	buffer_load_dword v1, v4, s[0:3], 0 offen
	buffer_load_dword v2, v4, s[0:3], 0 offen offset:4
	buffer_load_dword v3, v4, s[0:3], 0 offen offset:8
	;; [unrolled: 1-line block ×3, first 2 shown]
	s_waitcnt vmcnt(0)
	ds_write_b128 v124, v[1:4]
	s_waitcnt lgkmcnt(0)
	s_waitcnt_vscnt null, 0x0
	s_barrier
	buffer_gl0_inv
	v_cmpx_gt_u32_e32 27, v0
	s_cbranch_execz .LBB122_679
; %bb.672:
	ds_read_b128 v[1:4], v124
	v_cmp_ne_u32_e32 vcc_lo, 1, v125
	s_cbranch_vccnz .LBB122_674
; %bb.673:
	s_clause 0x3
	buffer_load_dword v126, v123, s[0:3], 0 offen offset:8
	buffer_load_dword v127, v123, s[0:3], 0 offen offset:12
	buffer_load_dword v130, v123, s[0:3], 0 offen
	buffer_load_dword v131, v123, s[0:3], 0 offen offset:4
	s_waitcnt vmcnt(2) lgkmcnt(0)
	v_mul_f64 v[132:133], v[3:4], v[126:127]
	v_mul_f64 v[126:127], v[1:2], v[126:127]
	s_waitcnt vmcnt(0)
	v_fma_f64 v[1:2], v[1:2], v[130:131], -v[132:133]
	v_fma_f64 v[3:4], v[3:4], v[130:131], v[126:127]
.LBB122_674:
	s_mov_b32 s8, exec_lo
	v_cmpx_ne_u32_e32 26, v0
	s_cbranch_execz .LBB122_678
; %bb.675:
	v_add_nc_u32_e32 v126, 0x3c0, v129
	v_add3_u32 v127, 0, v129, 16
	v_mov_b32_e32 v128, v0
	s_mov_b32 s66, 0
	.p2align	6
.LBB122_676:                            ; =>This Inner Loop Header: Depth=1
	s_clause 0x3
	buffer_load_dword v134, v127, s[0:3], 0 offen offset:8
	buffer_load_dword v135, v127, s[0:3], 0 offen offset:12
	buffer_load_dword v136, v127, s[0:3], 0 offen
	buffer_load_dword v137, v127, s[0:3], 0 offen offset:4
	ds_read_b128 v[130:133], v126
	v_add_nc_u32_e32 v128, 1, v128
	v_add_nc_u32_e32 v126, 16, v126
	;; [unrolled: 1-line block ×3, first 2 shown]
	v_cmp_lt_u32_e32 vcc_lo, 25, v128
	s_or_b32 s66, vcc_lo, s66
	s_waitcnt vmcnt(2) lgkmcnt(0)
	v_mul_f64 v[138:139], v[132:133], v[134:135]
	v_mul_f64 v[134:135], v[130:131], v[134:135]
	s_waitcnt vmcnt(0)
	v_fma_f64 v[130:131], v[130:131], v[136:137], -v[138:139]
	v_fma_f64 v[132:133], v[132:133], v[136:137], v[134:135]
	v_add_f64 v[1:2], v[1:2], v[130:131]
	v_add_f64 v[3:4], v[3:4], v[132:133]
	s_andn2_b32 exec_lo, exec_lo, s66
	s_cbranch_execnz .LBB122_676
; %bb.677:
	s_or_b32 exec_lo, exec_lo, s66
.LBB122_678:
	s_or_b32 exec_lo, exec_lo, s8
	v_mov_b32_e32 v126, 0
	ds_read_b128 v[130:133], v126 offset:432
	s_waitcnt lgkmcnt(0)
	v_mul_f64 v[126:127], v[3:4], v[132:133]
	v_mul_f64 v[132:133], v[1:2], v[132:133]
	v_fma_f64 v[1:2], v[1:2], v[130:131], -v[126:127]
	v_fma_f64 v[3:4], v[3:4], v[130:131], v[132:133]
	buffer_store_dword v2, off, s[0:3], 0 offset:436
	buffer_store_dword v1, off, s[0:3], 0 offset:432
	;; [unrolled: 1-line block ×4, first 2 shown]
.LBB122_679:
	s_or_b32 exec_lo, exec_lo, s4
	v_mov_b32_e32 v4, s38
	s_mov_b32 s4, exec_lo
	s_clause 0x3
	buffer_load_dword v1, v4, s[0:3], 0 offen
	buffer_load_dword v2, v4, s[0:3], 0 offen offset:4
	buffer_load_dword v3, v4, s[0:3], 0 offen offset:8
	;; [unrolled: 1-line block ×3, first 2 shown]
	s_waitcnt vmcnt(0)
	ds_write_b128 v124, v[1:4]
	s_waitcnt lgkmcnt(0)
	s_waitcnt_vscnt null, 0x0
	s_barrier
	buffer_gl0_inv
	v_cmpx_gt_u32_e32 28, v0
	s_cbranch_execz .LBB122_687
; %bb.680:
	ds_read_b128 v[1:4], v124
	v_cmp_ne_u32_e32 vcc_lo, 1, v125
	s_cbranch_vccnz .LBB122_682
; %bb.681:
	s_clause 0x3
	buffer_load_dword v126, v123, s[0:3], 0 offen offset:8
	buffer_load_dword v127, v123, s[0:3], 0 offen offset:12
	buffer_load_dword v130, v123, s[0:3], 0 offen
	buffer_load_dword v131, v123, s[0:3], 0 offen offset:4
	s_waitcnt vmcnt(2) lgkmcnt(0)
	v_mul_f64 v[132:133], v[3:4], v[126:127]
	v_mul_f64 v[126:127], v[1:2], v[126:127]
	s_waitcnt vmcnt(0)
	v_fma_f64 v[1:2], v[1:2], v[130:131], -v[132:133]
	v_fma_f64 v[3:4], v[3:4], v[130:131], v[126:127]
.LBB122_682:
	s_mov_b32 s8, exec_lo
	v_cmpx_ne_u32_e32 27, v0
	s_cbranch_execz .LBB122_686
; %bb.683:
	v_add_nc_u32_e32 v126, 0x3c0, v129
	v_add3_u32 v127, 0, v129, 16
	v_mov_b32_e32 v128, v0
	s_mov_b32 s66, 0
	.p2align	6
.LBB122_684:                            ; =>This Inner Loop Header: Depth=1
	s_clause 0x3
	buffer_load_dword v134, v127, s[0:3], 0 offen offset:8
	buffer_load_dword v135, v127, s[0:3], 0 offen offset:12
	buffer_load_dword v136, v127, s[0:3], 0 offen
	buffer_load_dword v137, v127, s[0:3], 0 offen offset:4
	ds_read_b128 v[130:133], v126
	v_add_nc_u32_e32 v128, 1, v128
	v_add_nc_u32_e32 v126, 16, v126
	;; [unrolled: 1-line block ×3, first 2 shown]
	v_cmp_lt_u32_e32 vcc_lo, 26, v128
	s_or_b32 s66, vcc_lo, s66
	s_waitcnt vmcnt(2) lgkmcnt(0)
	v_mul_f64 v[138:139], v[132:133], v[134:135]
	v_mul_f64 v[134:135], v[130:131], v[134:135]
	s_waitcnt vmcnt(0)
	v_fma_f64 v[130:131], v[130:131], v[136:137], -v[138:139]
	v_fma_f64 v[132:133], v[132:133], v[136:137], v[134:135]
	v_add_f64 v[1:2], v[1:2], v[130:131]
	v_add_f64 v[3:4], v[3:4], v[132:133]
	s_andn2_b32 exec_lo, exec_lo, s66
	s_cbranch_execnz .LBB122_684
; %bb.685:
	s_or_b32 exec_lo, exec_lo, s66
.LBB122_686:
	s_or_b32 exec_lo, exec_lo, s8
	v_mov_b32_e32 v126, 0
	ds_read_b128 v[130:133], v126 offset:448
	s_waitcnt lgkmcnt(0)
	v_mul_f64 v[126:127], v[3:4], v[132:133]
	v_mul_f64 v[132:133], v[1:2], v[132:133]
	v_fma_f64 v[1:2], v[1:2], v[130:131], -v[126:127]
	v_fma_f64 v[3:4], v[3:4], v[130:131], v[132:133]
	buffer_store_dword v2, off, s[0:3], 0 offset:452
	buffer_store_dword v1, off, s[0:3], 0 offset:448
	;; [unrolled: 1-line block ×4, first 2 shown]
.LBB122_687:
	s_or_b32 exec_lo, exec_lo, s4
	v_mov_b32_e32 v4, s37
	s_mov_b32 s4, exec_lo
	s_clause 0x3
	buffer_load_dword v1, v4, s[0:3], 0 offen
	buffer_load_dword v2, v4, s[0:3], 0 offen offset:4
	buffer_load_dword v3, v4, s[0:3], 0 offen offset:8
	buffer_load_dword v4, v4, s[0:3], 0 offen offset:12
	s_waitcnt vmcnt(0)
	ds_write_b128 v124, v[1:4]
	s_waitcnt lgkmcnt(0)
	s_waitcnt_vscnt null, 0x0
	s_barrier
	buffer_gl0_inv
	v_cmpx_gt_u32_e32 29, v0
	s_cbranch_execz .LBB122_695
; %bb.688:
	ds_read_b128 v[1:4], v124
	v_cmp_ne_u32_e32 vcc_lo, 1, v125
	s_cbranch_vccnz .LBB122_690
; %bb.689:
	s_clause 0x3
	buffer_load_dword v126, v123, s[0:3], 0 offen offset:8
	buffer_load_dword v127, v123, s[0:3], 0 offen offset:12
	buffer_load_dword v130, v123, s[0:3], 0 offen
	buffer_load_dword v131, v123, s[0:3], 0 offen offset:4
	s_waitcnt vmcnt(2) lgkmcnt(0)
	v_mul_f64 v[132:133], v[3:4], v[126:127]
	v_mul_f64 v[126:127], v[1:2], v[126:127]
	s_waitcnt vmcnt(0)
	v_fma_f64 v[1:2], v[1:2], v[130:131], -v[132:133]
	v_fma_f64 v[3:4], v[3:4], v[130:131], v[126:127]
.LBB122_690:
	s_mov_b32 s8, exec_lo
	v_cmpx_ne_u32_e32 28, v0
	s_cbranch_execz .LBB122_694
; %bb.691:
	v_add_nc_u32_e32 v126, 0x3c0, v129
	v_add3_u32 v127, 0, v129, 16
	v_mov_b32_e32 v128, v0
	s_mov_b32 s66, 0
	.p2align	6
.LBB122_692:                            ; =>This Inner Loop Header: Depth=1
	s_clause 0x3
	buffer_load_dword v134, v127, s[0:3], 0 offen offset:8
	buffer_load_dword v135, v127, s[0:3], 0 offen offset:12
	buffer_load_dword v136, v127, s[0:3], 0 offen
	buffer_load_dword v137, v127, s[0:3], 0 offen offset:4
	ds_read_b128 v[130:133], v126
	v_add_nc_u32_e32 v128, 1, v128
	v_add_nc_u32_e32 v126, 16, v126
	;; [unrolled: 1-line block ×3, first 2 shown]
	v_cmp_lt_u32_e32 vcc_lo, 27, v128
	s_or_b32 s66, vcc_lo, s66
	s_waitcnt vmcnt(2) lgkmcnt(0)
	v_mul_f64 v[138:139], v[132:133], v[134:135]
	v_mul_f64 v[134:135], v[130:131], v[134:135]
	s_waitcnt vmcnt(0)
	v_fma_f64 v[130:131], v[130:131], v[136:137], -v[138:139]
	v_fma_f64 v[132:133], v[132:133], v[136:137], v[134:135]
	v_add_f64 v[1:2], v[1:2], v[130:131]
	v_add_f64 v[3:4], v[3:4], v[132:133]
	s_andn2_b32 exec_lo, exec_lo, s66
	s_cbranch_execnz .LBB122_692
; %bb.693:
	s_or_b32 exec_lo, exec_lo, s66
.LBB122_694:
	s_or_b32 exec_lo, exec_lo, s8
	v_mov_b32_e32 v126, 0
	ds_read_b128 v[130:133], v126 offset:464
	s_waitcnt lgkmcnt(0)
	v_mul_f64 v[126:127], v[3:4], v[132:133]
	v_mul_f64 v[132:133], v[1:2], v[132:133]
	v_fma_f64 v[1:2], v[1:2], v[130:131], -v[126:127]
	v_fma_f64 v[3:4], v[3:4], v[130:131], v[132:133]
	buffer_store_dword v2, off, s[0:3], 0 offset:468
	buffer_store_dword v1, off, s[0:3], 0 offset:464
	;; [unrolled: 1-line block ×4, first 2 shown]
.LBB122_695:
	s_or_b32 exec_lo, exec_lo, s4
	v_mov_b32_e32 v4, s36
	s_mov_b32 s4, exec_lo
	s_clause 0x3
	buffer_load_dword v1, v4, s[0:3], 0 offen
	buffer_load_dword v2, v4, s[0:3], 0 offen offset:4
	buffer_load_dword v3, v4, s[0:3], 0 offen offset:8
	;; [unrolled: 1-line block ×3, first 2 shown]
	s_waitcnt vmcnt(0)
	ds_write_b128 v124, v[1:4]
	s_waitcnt lgkmcnt(0)
	s_waitcnt_vscnt null, 0x0
	s_barrier
	buffer_gl0_inv
	v_cmpx_gt_u32_e32 30, v0
	s_cbranch_execz .LBB122_703
; %bb.696:
	ds_read_b128 v[1:4], v124
	v_cmp_ne_u32_e32 vcc_lo, 1, v125
	s_cbranch_vccnz .LBB122_698
; %bb.697:
	s_clause 0x3
	buffer_load_dword v126, v123, s[0:3], 0 offen offset:8
	buffer_load_dword v127, v123, s[0:3], 0 offen offset:12
	buffer_load_dword v130, v123, s[0:3], 0 offen
	buffer_load_dword v131, v123, s[0:3], 0 offen offset:4
	s_waitcnt vmcnt(2) lgkmcnt(0)
	v_mul_f64 v[132:133], v[3:4], v[126:127]
	v_mul_f64 v[126:127], v[1:2], v[126:127]
	s_waitcnt vmcnt(0)
	v_fma_f64 v[1:2], v[1:2], v[130:131], -v[132:133]
	v_fma_f64 v[3:4], v[3:4], v[130:131], v[126:127]
.LBB122_698:
	s_mov_b32 s8, exec_lo
	v_cmpx_ne_u32_e32 29, v0
	s_cbranch_execz .LBB122_702
; %bb.699:
	v_add_nc_u32_e32 v126, 0x3c0, v129
	v_add3_u32 v127, 0, v129, 16
	v_mov_b32_e32 v128, v0
	s_mov_b32 s66, 0
	.p2align	6
.LBB122_700:                            ; =>This Inner Loop Header: Depth=1
	s_clause 0x3
	buffer_load_dword v134, v127, s[0:3], 0 offen offset:8
	buffer_load_dword v135, v127, s[0:3], 0 offen offset:12
	buffer_load_dword v136, v127, s[0:3], 0 offen
	buffer_load_dword v137, v127, s[0:3], 0 offen offset:4
	ds_read_b128 v[130:133], v126
	v_add_nc_u32_e32 v128, 1, v128
	v_add_nc_u32_e32 v126, 16, v126
	;; [unrolled: 1-line block ×3, first 2 shown]
	v_cmp_lt_u32_e32 vcc_lo, 28, v128
	s_or_b32 s66, vcc_lo, s66
	s_waitcnt vmcnt(2) lgkmcnt(0)
	v_mul_f64 v[138:139], v[132:133], v[134:135]
	v_mul_f64 v[134:135], v[130:131], v[134:135]
	s_waitcnt vmcnt(0)
	v_fma_f64 v[130:131], v[130:131], v[136:137], -v[138:139]
	v_fma_f64 v[132:133], v[132:133], v[136:137], v[134:135]
	v_add_f64 v[1:2], v[1:2], v[130:131]
	v_add_f64 v[3:4], v[3:4], v[132:133]
	s_andn2_b32 exec_lo, exec_lo, s66
	s_cbranch_execnz .LBB122_700
; %bb.701:
	s_or_b32 exec_lo, exec_lo, s66
.LBB122_702:
	s_or_b32 exec_lo, exec_lo, s8
	v_mov_b32_e32 v126, 0
	ds_read_b128 v[130:133], v126 offset:480
	s_waitcnt lgkmcnt(0)
	v_mul_f64 v[126:127], v[3:4], v[132:133]
	v_mul_f64 v[132:133], v[1:2], v[132:133]
	v_fma_f64 v[1:2], v[1:2], v[130:131], -v[126:127]
	v_fma_f64 v[3:4], v[3:4], v[130:131], v[132:133]
	buffer_store_dword v2, off, s[0:3], 0 offset:484
	buffer_store_dword v1, off, s[0:3], 0 offset:480
	;; [unrolled: 1-line block ×4, first 2 shown]
.LBB122_703:
	s_or_b32 exec_lo, exec_lo, s4
	v_mov_b32_e32 v4, s35
	s_mov_b32 s4, exec_lo
	s_clause 0x3
	buffer_load_dword v1, v4, s[0:3], 0 offen
	buffer_load_dword v2, v4, s[0:3], 0 offen offset:4
	buffer_load_dword v3, v4, s[0:3], 0 offen offset:8
	;; [unrolled: 1-line block ×3, first 2 shown]
	s_waitcnt vmcnt(0)
	ds_write_b128 v124, v[1:4]
	s_waitcnt lgkmcnt(0)
	s_waitcnt_vscnt null, 0x0
	s_barrier
	buffer_gl0_inv
	v_cmpx_gt_u32_e32 31, v0
	s_cbranch_execz .LBB122_711
; %bb.704:
	ds_read_b128 v[1:4], v124
	v_cmp_ne_u32_e32 vcc_lo, 1, v125
	s_cbranch_vccnz .LBB122_706
; %bb.705:
	s_clause 0x3
	buffer_load_dword v126, v123, s[0:3], 0 offen offset:8
	buffer_load_dword v127, v123, s[0:3], 0 offen offset:12
	buffer_load_dword v130, v123, s[0:3], 0 offen
	buffer_load_dword v131, v123, s[0:3], 0 offen offset:4
	s_waitcnt vmcnt(2) lgkmcnt(0)
	v_mul_f64 v[132:133], v[3:4], v[126:127]
	v_mul_f64 v[126:127], v[1:2], v[126:127]
	s_waitcnt vmcnt(0)
	v_fma_f64 v[1:2], v[1:2], v[130:131], -v[132:133]
	v_fma_f64 v[3:4], v[3:4], v[130:131], v[126:127]
.LBB122_706:
	s_mov_b32 s8, exec_lo
	v_cmpx_ne_u32_e32 30, v0
	s_cbranch_execz .LBB122_710
; %bb.707:
	v_add_nc_u32_e32 v126, 0x3c0, v129
	v_add3_u32 v127, 0, v129, 16
	v_mov_b32_e32 v128, v0
	s_mov_b32 s66, 0
	.p2align	6
.LBB122_708:                            ; =>This Inner Loop Header: Depth=1
	s_clause 0x3
	buffer_load_dword v134, v127, s[0:3], 0 offen offset:8
	buffer_load_dword v135, v127, s[0:3], 0 offen offset:12
	buffer_load_dword v136, v127, s[0:3], 0 offen
	buffer_load_dword v137, v127, s[0:3], 0 offen offset:4
	ds_read_b128 v[130:133], v126
	v_add_nc_u32_e32 v128, 1, v128
	v_add_nc_u32_e32 v126, 16, v126
	v_add_nc_u32_e32 v127, 16, v127
	v_cmp_lt_u32_e32 vcc_lo, 29, v128
	s_or_b32 s66, vcc_lo, s66
	s_waitcnt vmcnt(2) lgkmcnt(0)
	v_mul_f64 v[138:139], v[132:133], v[134:135]
	v_mul_f64 v[134:135], v[130:131], v[134:135]
	s_waitcnt vmcnt(0)
	v_fma_f64 v[130:131], v[130:131], v[136:137], -v[138:139]
	v_fma_f64 v[132:133], v[132:133], v[136:137], v[134:135]
	v_add_f64 v[1:2], v[1:2], v[130:131]
	v_add_f64 v[3:4], v[3:4], v[132:133]
	s_andn2_b32 exec_lo, exec_lo, s66
	s_cbranch_execnz .LBB122_708
; %bb.709:
	s_or_b32 exec_lo, exec_lo, s66
.LBB122_710:
	s_or_b32 exec_lo, exec_lo, s8
	v_mov_b32_e32 v126, 0
	ds_read_b128 v[130:133], v126 offset:496
	s_waitcnt lgkmcnt(0)
	v_mul_f64 v[126:127], v[3:4], v[132:133]
	v_mul_f64 v[132:133], v[1:2], v[132:133]
	v_fma_f64 v[1:2], v[1:2], v[130:131], -v[126:127]
	v_fma_f64 v[3:4], v[3:4], v[130:131], v[132:133]
	buffer_store_dword v2, off, s[0:3], 0 offset:500
	buffer_store_dword v1, off, s[0:3], 0 offset:496
	;; [unrolled: 1-line block ×4, first 2 shown]
.LBB122_711:
	s_or_b32 exec_lo, exec_lo, s4
	v_mov_b32_e32 v4, s34
	s_mov_b32 s4, exec_lo
	s_clause 0x3
	buffer_load_dword v1, v4, s[0:3], 0 offen
	buffer_load_dword v2, v4, s[0:3], 0 offen offset:4
	buffer_load_dword v3, v4, s[0:3], 0 offen offset:8
	;; [unrolled: 1-line block ×3, first 2 shown]
	s_waitcnt vmcnt(0)
	ds_write_b128 v124, v[1:4]
	s_waitcnt lgkmcnt(0)
	s_waitcnt_vscnt null, 0x0
	s_barrier
	buffer_gl0_inv
	v_cmpx_gt_u32_e32 32, v0
	s_cbranch_execz .LBB122_719
; %bb.712:
	ds_read_b128 v[1:4], v124
	v_cmp_ne_u32_e32 vcc_lo, 1, v125
	s_cbranch_vccnz .LBB122_714
; %bb.713:
	s_clause 0x3
	buffer_load_dword v126, v123, s[0:3], 0 offen offset:8
	buffer_load_dword v127, v123, s[0:3], 0 offen offset:12
	buffer_load_dword v130, v123, s[0:3], 0 offen
	buffer_load_dword v131, v123, s[0:3], 0 offen offset:4
	s_waitcnt vmcnt(2) lgkmcnt(0)
	v_mul_f64 v[132:133], v[3:4], v[126:127]
	v_mul_f64 v[126:127], v[1:2], v[126:127]
	s_waitcnt vmcnt(0)
	v_fma_f64 v[1:2], v[1:2], v[130:131], -v[132:133]
	v_fma_f64 v[3:4], v[3:4], v[130:131], v[126:127]
.LBB122_714:
	s_mov_b32 s8, exec_lo
	v_cmpx_ne_u32_e32 31, v0
	s_cbranch_execz .LBB122_718
; %bb.715:
	v_add_nc_u32_e32 v126, 0x3c0, v129
	v_add3_u32 v127, 0, v129, 16
	v_mov_b32_e32 v128, v0
	s_mov_b32 s66, 0
	.p2align	6
.LBB122_716:                            ; =>This Inner Loop Header: Depth=1
	s_clause 0x3
	buffer_load_dword v134, v127, s[0:3], 0 offen offset:8
	buffer_load_dword v135, v127, s[0:3], 0 offen offset:12
	buffer_load_dword v136, v127, s[0:3], 0 offen
	buffer_load_dword v137, v127, s[0:3], 0 offen offset:4
	ds_read_b128 v[130:133], v126
	v_add_nc_u32_e32 v128, 1, v128
	v_add_nc_u32_e32 v126, 16, v126
	;; [unrolled: 1-line block ×3, first 2 shown]
	v_cmp_lt_u32_e32 vcc_lo, 30, v128
	s_or_b32 s66, vcc_lo, s66
	s_waitcnt vmcnt(2) lgkmcnt(0)
	v_mul_f64 v[138:139], v[132:133], v[134:135]
	v_mul_f64 v[134:135], v[130:131], v[134:135]
	s_waitcnt vmcnt(0)
	v_fma_f64 v[130:131], v[130:131], v[136:137], -v[138:139]
	v_fma_f64 v[132:133], v[132:133], v[136:137], v[134:135]
	v_add_f64 v[1:2], v[1:2], v[130:131]
	v_add_f64 v[3:4], v[3:4], v[132:133]
	s_andn2_b32 exec_lo, exec_lo, s66
	s_cbranch_execnz .LBB122_716
; %bb.717:
	s_or_b32 exec_lo, exec_lo, s66
.LBB122_718:
	s_or_b32 exec_lo, exec_lo, s8
	v_mov_b32_e32 v126, 0
	ds_read_b128 v[130:133], v126 offset:512
	s_waitcnt lgkmcnt(0)
	v_mul_f64 v[126:127], v[3:4], v[132:133]
	v_mul_f64 v[132:133], v[1:2], v[132:133]
	v_fma_f64 v[1:2], v[1:2], v[130:131], -v[126:127]
	v_fma_f64 v[3:4], v[3:4], v[130:131], v[132:133]
	buffer_store_dword v2, off, s[0:3], 0 offset:516
	buffer_store_dword v1, off, s[0:3], 0 offset:512
	buffer_store_dword v4, off, s[0:3], 0 offset:524
	buffer_store_dword v3, off, s[0:3], 0 offset:520
.LBB122_719:
	s_or_b32 exec_lo, exec_lo, s4
	v_mov_b32_e32 v4, s33
	s_mov_b32 s4, exec_lo
	s_clause 0x3
	buffer_load_dword v1, v4, s[0:3], 0 offen
	buffer_load_dword v2, v4, s[0:3], 0 offen offset:4
	buffer_load_dword v3, v4, s[0:3], 0 offen offset:8
	;; [unrolled: 1-line block ×3, first 2 shown]
	s_waitcnt vmcnt(0)
	ds_write_b128 v124, v[1:4]
	s_waitcnt lgkmcnt(0)
	s_waitcnt_vscnt null, 0x0
	s_barrier
	buffer_gl0_inv
	v_cmpx_gt_u32_e32 33, v0
	s_cbranch_execz .LBB122_727
; %bb.720:
	ds_read_b128 v[1:4], v124
	v_cmp_ne_u32_e32 vcc_lo, 1, v125
	s_cbranch_vccnz .LBB122_722
; %bb.721:
	s_clause 0x3
	buffer_load_dword v126, v123, s[0:3], 0 offen offset:8
	buffer_load_dword v127, v123, s[0:3], 0 offen offset:12
	buffer_load_dword v130, v123, s[0:3], 0 offen
	buffer_load_dword v131, v123, s[0:3], 0 offen offset:4
	s_waitcnt vmcnt(2) lgkmcnt(0)
	v_mul_f64 v[132:133], v[3:4], v[126:127]
	v_mul_f64 v[126:127], v[1:2], v[126:127]
	s_waitcnt vmcnt(0)
	v_fma_f64 v[1:2], v[1:2], v[130:131], -v[132:133]
	v_fma_f64 v[3:4], v[3:4], v[130:131], v[126:127]
.LBB122_722:
	s_mov_b32 s8, exec_lo
	v_cmpx_ne_u32_e32 32, v0
	s_cbranch_execz .LBB122_726
; %bb.723:
	v_add_nc_u32_e32 v126, 0x3c0, v129
	v_add3_u32 v127, 0, v129, 16
	v_mov_b32_e32 v128, v0
	s_mov_b32 s66, 0
	.p2align	6
.LBB122_724:                            ; =>This Inner Loop Header: Depth=1
	s_clause 0x3
	buffer_load_dword v134, v127, s[0:3], 0 offen offset:8
	buffer_load_dword v135, v127, s[0:3], 0 offen offset:12
	buffer_load_dword v136, v127, s[0:3], 0 offen
	buffer_load_dword v137, v127, s[0:3], 0 offen offset:4
	ds_read_b128 v[130:133], v126
	v_add_nc_u32_e32 v128, 1, v128
	v_add_nc_u32_e32 v126, 16, v126
	;; [unrolled: 1-line block ×3, first 2 shown]
	v_cmp_lt_u32_e32 vcc_lo, 31, v128
	s_or_b32 s66, vcc_lo, s66
	s_waitcnt vmcnt(2) lgkmcnt(0)
	v_mul_f64 v[138:139], v[132:133], v[134:135]
	v_mul_f64 v[134:135], v[130:131], v[134:135]
	s_waitcnt vmcnt(0)
	v_fma_f64 v[130:131], v[130:131], v[136:137], -v[138:139]
	v_fma_f64 v[132:133], v[132:133], v[136:137], v[134:135]
	v_add_f64 v[1:2], v[1:2], v[130:131]
	v_add_f64 v[3:4], v[3:4], v[132:133]
	s_andn2_b32 exec_lo, exec_lo, s66
	s_cbranch_execnz .LBB122_724
; %bb.725:
	s_or_b32 exec_lo, exec_lo, s66
.LBB122_726:
	s_or_b32 exec_lo, exec_lo, s8
	v_mov_b32_e32 v126, 0
	ds_read_b128 v[130:133], v126 offset:528
	s_waitcnt lgkmcnt(0)
	v_mul_f64 v[126:127], v[3:4], v[132:133]
	v_mul_f64 v[132:133], v[1:2], v[132:133]
	v_fma_f64 v[1:2], v[1:2], v[130:131], -v[126:127]
	v_fma_f64 v[3:4], v[3:4], v[130:131], v[132:133]
	buffer_store_dword v2, off, s[0:3], 0 offset:532
	buffer_store_dword v1, off, s[0:3], 0 offset:528
	buffer_store_dword v4, off, s[0:3], 0 offset:540
	buffer_store_dword v3, off, s[0:3], 0 offset:536
.LBB122_727:
	s_or_b32 exec_lo, exec_lo, s4
	v_mov_b32_e32 v4, s31
	s_mov_b32 s4, exec_lo
	s_clause 0x3
	buffer_load_dword v1, v4, s[0:3], 0 offen
	buffer_load_dword v2, v4, s[0:3], 0 offen offset:4
	buffer_load_dword v3, v4, s[0:3], 0 offen offset:8
	;; [unrolled: 1-line block ×3, first 2 shown]
	s_waitcnt vmcnt(0)
	ds_write_b128 v124, v[1:4]
	s_waitcnt lgkmcnt(0)
	s_waitcnt_vscnt null, 0x0
	s_barrier
	buffer_gl0_inv
	v_cmpx_gt_u32_e32 34, v0
	s_cbranch_execz .LBB122_735
; %bb.728:
	ds_read_b128 v[1:4], v124
	v_cmp_ne_u32_e32 vcc_lo, 1, v125
	s_cbranch_vccnz .LBB122_730
; %bb.729:
	s_clause 0x3
	buffer_load_dword v126, v123, s[0:3], 0 offen offset:8
	buffer_load_dword v127, v123, s[0:3], 0 offen offset:12
	buffer_load_dword v130, v123, s[0:3], 0 offen
	buffer_load_dword v131, v123, s[0:3], 0 offen offset:4
	s_waitcnt vmcnt(2) lgkmcnt(0)
	v_mul_f64 v[132:133], v[3:4], v[126:127]
	v_mul_f64 v[126:127], v[1:2], v[126:127]
	s_waitcnt vmcnt(0)
	v_fma_f64 v[1:2], v[1:2], v[130:131], -v[132:133]
	v_fma_f64 v[3:4], v[3:4], v[130:131], v[126:127]
.LBB122_730:
	s_mov_b32 s8, exec_lo
	v_cmpx_ne_u32_e32 33, v0
	s_cbranch_execz .LBB122_734
; %bb.731:
	v_add_nc_u32_e32 v126, 0x3c0, v129
	v_add3_u32 v127, 0, v129, 16
	v_mov_b32_e32 v128, v0
	s_mov_b32 s66, 0
	.p2align	6
.LBB122_732:                            ; =>This Inner Loop Header: Depth=1
	s_clause 0x3
	buffer_load_dword v134, v127, s[0:3], 0 offen offset:8
	buffer_load_dword v135, v127, s[0:3], 0 offen offset:12
	buffer_load_dword v136, v127, s[0:3], 0 offen
	buffer_load_dword v137, v127, s[0:3], 0 offen offset:4
	ds_read_b128 v[130:133], v126
	v_add_nc_u32_e32 v128, 1, v128
	v_add_nc_u32_e32 v126, 16, v126
	;; [unrolled: 1-line block ×3, first 2 shown]
	v_cmp_lt_u32_e32 vcc_lo, 32, v128
	s_or_b32 s66, vcc_lo, s66
	s_waitcnt vmcnt(2) lgkmcnt(0)
	v_mul_f64 v[138:139], v[132:133], v[134:135]
	v_mul_f64 v[134:135], v[130:131], v[134:135]
	s_waitcnt vmcnt(0)
	v_fma_f64 v[130:131], v[130:131], v[136:137], -v[138:139]
	v_fma_f64 v[132:133], v[132:133], v[136:137], v[134:135]
	v_add_f64 v[1:2], v[1:2], v[130:131]
	v_add_f64 v[3:4], v[3:4], v[132:133]
	s_andn2_b32 exec_lo, exec_lo, s66
	s_cbranch_execnz .LBB122_732
; %bb.733:
	s_or_b32 exec_lo, exec_lo, s66
.LBB122_734:
	s_or_b32 exec_lo, exec_lo, s8
	v_mov_b32_e32 v126, 0
	ds_read_b128 v[130:133], v126 offset:544
	s_waitcnt lgkmcnt(0)
	v_mul_f64 v[126:127], v[3:4], v[132:133]
	v_mul_f64 v[132:133], v[1:2], v[132:133]
	v_fma_f64 v[1:2], v[1:2], v[130:131], -v[126:127]
	v_fma_f64 v[3:4], v[3:4], v[130:131], v[132:133]
	buffer_store_dword v2, off, s[0:3], 0 offset:548
	buffer_store_dword v1, off, s[0:3], 0 offset:544
	;; [unrolled: 1-line block ×4, first 2 shown]
.LBB122_735:
	s_or_b32 exec_lo, exec_lo, s4
	v_mov_b32_e32 v4, s30
	s_mov_b32 s4, exec_lo
	s_clause 0x3
	buffer_load_dword v1, v4, s[0:3], 0 offen
	buffer_load_dword v2, v4, s[0:3], 0 offen offset:4
	buffer_load_dword v3, v4, s[0:3], 0 offen offset:8
	;; [unrolled: 1-line block ×3, first 2 shown]
	s_waitcnt vmcnt(0)
	ds_write_b128 v124, v[1:4]
	s_waitcnt lgkmcnt(0)
	s_waitcnt_vscnt null, 0x0
	s_barrier
	buffer_gl0_inv
	v_cmpx_gt_u32_e32 35, v0
	s_cbranch_execz .LBB122_743
; %bb.736:
	ds_read_b128 v[1:4], v124
	v_cmp_ne_u32_e32 vcc_lo, 1, v125
	s_cbranch_vccnz .LBB122_738
; %bb.737:
	s_clause 0x3
	buffer_load_dword v126, v123, s[0:3], 0 offen offset:8
	buffer_load_dword v127, v123, s[0:3], 0 offen offset:12
	buffer_load_dword v130, v123, s[0:3], 0 offen
	buffer_load_dword v131, v123, s[0:3], 0 offen offset:4
	s_waitcnt vmcnt(2) lgkmcnt(0)
	v_mul_f64 v[132:133], v[3:4], v[126:127]
	v_mul_f64 v[126:127], v[1:2], v[126:127]
	s_waitcnt vmcnt(0)
	v_fma_f64 v[1:2], v[1:2], v[130:131], -v[132:133]
	v_fma_f64 v[3:4], v[3:4], v[130:131], v[126:127]
.LBB122_738:
	s_mov_b32 s8, exec_lo
	v_cmpx_ne_u32_e32 34, v0
	s_cbranch_execz .LBB122_742
; %bb.739:
	v_add_nc_u32_e32 v126, 0x3c0, v129
	v_add3_u32 v127, 0, v129, 16
	v_mov_b32_e32 v128, v0
	s_mov_b32 s66, 0
	.p2align	6
.LBB122_740:                            ; =>This Inner Loop Header: Depth=1
	s_clause 0x3
	buffer_load_dword v134, v127, s[0:3], 0 offen offset:8
	buffer_load_dword v135, v127, s[0:3], 0 offen offset:12
	buffer_load_dword v136, v127, s[0:3], 0 offen
	buffer_load_dword v137, v127, s[0:3], 0 offen offset:4
	ds_read_b128 v[130:133], v126
	v_add_nc_u32_e32 v128, 1, v128
	v_add_nc_u32_e32 v126, 16, v126
	;; [unrolled: 1-line block ×3, first 2 shown]
	v_cmp_lt_u32_e32 vcc_lo, 33, v128
	s_or_b32 s66, vcc_lo, s66
	s_waitcnt vmcnt(2) lgkmcnt(0)
	v_mul_f64 v[138:139], v[132:133], v[134:135]
	v_mul_f64 v[134:135], v[130:131], v[134:135]
	s_waitcnt vmcnt(0)
	v_fma_f64 v[130:131], v[130:131], v[136:137], -v[138:139]
	v_fma_f64 v[132:133], v[132:133], v[136:137], v[134:135]
	v_add_f64 v[1:2], v[1:2], v[130:131]
	v_add_f64 v[3:4], v[3:4], v[132:133]
	s_andn2_b32 exec_lo, exec_lo, s66
	s_cbranch_execnz .LBB122_740
; %bb.741:
	s_or_b32 exec_lo, exec_lo, s66
.LBB122_742:
	s_or_b32 exec_lo, exec_lo, s8
	v_mov_b32_e32 v126, 0
	ds_read_b128 v[130:133], v126 offset:560
	s_waitcnt lgkmcnt(0)
	v_mul_f64 v[126:127], v[3:4], v[132:133]
	v_mul_f64 v[132:133], v[1:2], v[132:133]
	v_fma_f64 v[1:2], v[1:2], v[130:131], -v[126:127]
	v_fma_f64 v[3:4], v[3:4], v[130:131], v[132:133]
	buffer_store_dword v2, off, s[0:3], 0 offset:564
	buffer_store_dword v1, off, s[0:3], 0 offset:560
	;; [unrolled: 1-line block ×4, first 2 shown]
.LBB122_743:
	s_or_b32 exec_lo, exec_lo, s4
	v_mov_b32_e32 v4, s29
	s_mov_b32 s4, exec_lo
	s_clause 0x3
	buffer_load_dword v1, v4, s[0:3], 0 offen
	buffer_load_dword v2, v4, s[0:3], 0 offen offset:4
	buffer_load_dword v3, v4, s[0:3], 0 offen offset:8
	;; [unrolled: 1-line block ×3, first 2 shown]
	s_waitcnt vmcnt(0)
	ds_write_b128 v124, v[1:4]
	s_waitcnt lgkmcnt(0)
	s_waitcnt_vscnt null, 0x0
	s_barrier
	buffer_gl0_inv
	v_cmpx_gt_u32_e32 36, v0
	s_cbranch_execz .LBB122_751
; %bb.744:
	ds_read_b128 v[1:4], v124
	v_cmp_ne_u32_e32 vcc_lo, 1, v125
	s_cbranch_vccnz .LBB122_746
; %bb.745:
	s_clause 0x3
	buffer_load_dword v126, v123, s[0:3], 0 offen offset:8
	buffer_load_dword v127, v123, s[0:3], 0 offen offset:12
	buffer_load_dword v130, v123, s[0:3], 0 offen
	buffer_load_dword v131, v123, s[0:3], 0 offen offset:4
	s_waitcnt vmcnt(2) lgkmcnt(0)
	v_mul_f64 v[132:133], v[3:4], v[126:127]
	v_mul_f64 v[126:127], v[1:2], v[126:127]
	s_waitcnt vmcnt(0)
	v_fma_f64 v[1:2], v[1:2], v[130:131], -v[132:133]
	v_fma_f64 v[3:4], v[3:4], v[130:131], v[126:127]
.LBB122_746:
	s_mov_b32 s8, exec_lo
	v_cmpx_ne_u32_e32 35, v0
	s_cbranch_execz .LBB122_750
; %bb.747:
	v_add_nc_u32_e32 v126, 0x3c0, v129
	v_add3_u32 v127, 0, v129, 16
	v_mov_b32_e32 v128, v0
	s_mov_b32 s66, 0
	.p2align	6
.LBB122_748:                            ; =>This Inner Loop Header: Depth=1
	s_clause 0x3
	buffer_load_dword v134, v127, s[0:3], 0 offen offset:8
	buffer_load_dword v135, v127, s[0:3], 0 offen offset:12
	buffer_load_dword v136, v127, s[0:3], 0 offen
	buffer_load_dword v137, v127, s[0:3], 0 offen offset:4
	ds_read_b128 v[130:133], v126
	v_add_nc_u32_e32 v128, 1, v128
	v_add_nc_u32_e32 v126, 16, v126
	;; [unrolled: 1-line block ×3, first 2 shown]
	v_cmp_lt_u32_e32 vcc_lo, 34, v128
	s_or_b32 s66, vcc_lo, s66
	s_waitcnt vmcnt(2) lgkmcnt(0)
	v_mul_f64 v[138:139], v[132:133], v[134:135]
	v_mul_f64 v[134:135], v[130:131], v[134:135]
	s_waitcnt vmcnt(0)
	v_fma_f64 v[130:131], v[130:131], v[136:137], -v[138:139]
	v_fma_f64 v[132:133], v[132:133], v[136:137], v[134:135]
	v_add_f64 v[1:2], v[1:2], v[130:131]
	v_add_f64 v[3:4], v[3:4], v[132:133]
	s_andn2_b32 exec_lo, exec_lo, s66
	s_cbranch_execnz .LBB122_748
; %bb.749:
	s_or_b32 exec_lo, exec_lo, s66
.LBB122_750:
	s_or_b32 exec_lo, exec_lo, s8
	v_mov_b32_e32 v126, 0
	ds_read_b128 v[130:133], v126 offset:576
	s_waitcnt lgkmcnt(0)
	v_mul_f64 v[126:127], v[3:4], v[132:133]
	v_mul_f64 v[132:133], v[1:2], v[132:133]
	v_fma_f64 v[1:2], v[1:2], v[130:131], -v[126:127]
	v_fma_f64 v[3:4], v[3:4], v[130:131], v[132:133]
	buffer_store_dword v2, off, s[0:3], 0 offset:580
	buffer_store_dword v1, off, s[0:3], 0 offset:576
	buffer_store_dword v4, off, s[0:3], 0 offset:588
	buffer_store_dword v3, off, s[0:3], 0 offset:584
.LBB122_751:
	s_or_b32 exec_lo, exec_lo, s4
	v_mov_b32_e32 v4, s28
	s_mov_b32 s4, exec_lo
	s_clause 0x3
	buffer_load_dword v1, v4, s[0:3], 0 offen
	buffer_load_dword v2, v4, s[0:3], 0 offen offset:4
	buffer_load_dword v3, v4, s[0:3], 0 offen offset:8
	buffer_load_dword v4, v4, s[0:3], 0 offen offset:12
	s_waitcnt vmcnt(0)
	ds_write_b128 v124, v[1:4]
	s_waitcnt lgkmcnt(0)
	s_waitcnt_vscnt null, 0x0
	s_barrier
	buffer_gl0_inv
	v_cmpx_gt_u32_e32 37, v0
	s_cbranch_execz .LBB122_759
; %bb.752:
	ds_read_b128 v[1:4], v124
	v_cmp_ne_u32_e32 vcc_lo, 1, v125
	s_cbranch_vccnz .LBB122_754
; %bb.753:
	s_clause 0x3
	buffer_load_dword v126, v123, s[0:3], 0 offen offset:8
	buffer_load_dword v127, v123, s[0:3], 0 offen offset:12
	buffer_load_dword v130, v123, s[0:3], 0 offen
	buffer_load_dword v131, v123, s[0:3], 0 offen offset:4
	s_waitcnt vmcnt(2) lgkmcnt(0)
	v_mul_f64 v[132:133], v[3:4], v[126:127]
	v_mul_f64 v[126:127], v[1:2], v[126:127]
	s_waitcnt vmcnt(0)
	v_fma_f64 v[1:2], v[1:2], v[130:131], -v[132:133]
	v_fma_f64 v[3:4], v[3:4], v[130:131], v[126:127]
.LBB122_754:
	s_mov_b32 s8, exec_lo
	v_cmpx_ne_u32_e32 36, v0
	s_cbranch_execz .LBB122_758
; %bb.755:
	v_add_nc_u32_e32 v126, 0x3c0, v129
	v_add3_u32 v127, 0, v129, 16
	v_mov_b32_e32 v128, v0
	s_mov_b32 s66, 0
	.p2align	6
.LBB122_756:                            ; =>This Inner Loop Header: Depth=1
	s_clause 0x3
	buffer_load_dword v134, v127, s[0:3], 0 offen offset:8
	buffer_load_dword v135, v127, s[0:3], 0 offen offset:12
	buffer_load_dword v136, v127, s[0:3], 0 offen
	buffer_load_dword v137, v127, s[0:3], 0 offen offset:4
	ds_read_b128 v[130:133], v126
	v_add_nc_u32_e32 v128, 1, v128
	v_add_nc_u32_e32 v126, 16, v126
	;; [unrolled: 1-line block ×3, first 2 shown]
	v_cmp_lt_u32_e32 vcc_lo, 35, v128
	s_or_b32 s66, vcc_lo, s66
	s_waitcnt vmcnt(2) lgkmcnt(0)
	v_mul_f64 v[138:139], v[132:133], v[134:135]
	v_mul_f64 v[134:135], v[130:131], v[134:135]
	s_waitcnt vmcnt(0)
	v_fma_f64 v[130:131], v[130:131], v[136:137], -v[138:139]
	v_fma_f64 v[132:133], v[132:133], v[136:137], v[134:135]
	v_add_f64 v[1:2], v[1:2], v[130:131]
	v_add_f64 v[3:4], v[3:4], v[132:133]
	s_andn2_b32 exec_lo, exec_lo, s66
	s_cbranch_execnz .LBB122_756
; %bb.757:
	s_or_b32 exec_lo, exec_lo, s66
.LBB122_758:
	s_or_b32 exec_lo, exec_lo, s8
	v_mov_b32_e32 v126, 0
	ds_read_b128 v[130:133], v126 offset:592
	s_waitcnt lgkmcnt(0)
	v_mul_f64 v[126:127], v[3:4], v[132:133]
	v_mul_f64 v[132:133], v[1:2], v[132:133]
	v_fma_f64 v[1:2], v[1:2], v[130:131], -v[126:127]
	v_fma_f64 v[3:4], v[3:4], v[130:131], v[132:133]
	buffer_store_dword v2, off, s[0:3], 0 offset:596
	buffer_store_dword v1, off, s[0:3], 0 offset:592
	;; [unrolled: 1-line block ×4, first 2 shown]
.LBB122_759:
	s_or_b32 exec_lo, exec_lo, s4
	v_mov_b32_e32 v4, s27
	s_mov_b32 s4, exec_lo
	s_clause 0x3
	buffer_load_dword v1, v4, s[0:3], 0 offen
	buffer_load_dword v2, v4, s[0:3], 0 offen offset:4
	buffer_load_dword v3, v4, s[0:3], 0 offen offset:8
	;; [unrolled: 1-line block ×3, first 2 shown]
	s_waitcnt vmcnt(0)
	ds_write_b128 v124, v[1:4]
	s_waitcnt lgkmcnt(0)
	s_waitcnt_vscnt null, 0x0
	s_barrier
	buffer_gl0_inv
	v_cmpx_gt_u32_e32 38, v0
	s_cbranch_execz .LBB122_767
; %bb.760:
	ds_read_b128 v[1:4], v124
	v_cmp_ne_u32_e32 vcc_lo, 1, v125
	s_cbranch_vccnz .LBB122_762
; %bb.761:
	s_clause 0x3
	buffer_load_dword v126, v123, s[0:3], 0 offen offset:8
	buffer_load_dword v127, v123, s[0:3], 0 offen offset:12
	buffer_load_dword v130, v123, s[0:3], 0 offen
	buffer_load_dword v131, v123, s[0:3], 0 offen offset:4
	s_waitcnt vmcnt(2) lgkmcnt(0)
	v_mul_f64 v[132:133], v[3:4], v[126:127]
	v_mul_f64 v[126:127], v[1:2], v[126:127]
	s_waitcnt vmcnt(0)
	v_fma_f64 v[1:2], v[1:2], v[130:131], -v[132:133]
	v_fma_f64 v[3:4], v[3:4], v[130:131], v[126:127]
.LBB122_762:
	s_mov_b32 s8, exec_lo
	v_cmpx_ne_u32_e32 37, v0
	s_cbranch_execz .LBB122_766
; %bb.763:
	v_add_nc_u32_e32 v126, 0x3c0, v129
	v_add3_u32 v127, 0, v129, 16
	v_mov_b32_e32 v128, v0
	s_mov_b32 s66, 0
	.p2align	6
.LBB122_764:                            ; =>This Inner Loop Header: Depth=1
	s_clause 0x3
	buffer_load_dword v134, v127, s[0:3], 0 offen offset:8
	buffer_load_dword v135, v127, s[0:3], 0 offen offset:12
	buffer_load_dword v136, v127, s[0:3], 0 offen
	buffer_load_dword v137, v127, s[0:3], 0 offen offset:4
	ds_read_b128 v[130:133], v126
	v_add_nc_u32_e32 v128, 1, v128
	v_add_nc_u32_e32 v126, 16, v126
	;; [unrolled: 1-line block ×3, first 2 shown]
	v_cmp_lt_u32_e32 vcc_lo, 36, v128
	s_or_b32 s66, vcc_lo, s66
	s_waitcnt vmcnt(2) lgkmcnt(0)
	v_mul_f64 v[138:139], v[132:133], v[134:135]
	v_mul_f64 v[134:135], v[130:131], v[134:135]
	s_waitcnt vmcnt(0)
	v_fma_f64 v[130:131], v[130:131], v[136:137], -v[138:139]
	v_fma_f64 v[132:133], v[132:133], v[136:137], v[134:135]
	v_add_f64 v[1:2], v[1:2], v[130:131]
	v_add_f64 v[3:4], v[3:4], v[132:133]
	s_andn2_b32 exec_lo, exec_lo, s66
	s_cbranch_execnz .LBB122_764
; %bb.765:
	s_or_b32 exec_lo, exec_lo, s66
.LBB122_766:
	s_or_b32 exec_lo, exec_lo, s8
	v_mov_b32_e32 v126, 0
	ds_read_b128 v[130:133], v126 offset:608
	s_waitcnt lgkmcnt(0)
	v_mul_f64 v[126:127], v[3:4], v[132:133]
	v_mul_f64 v[132:133], v[1:2], v[132:133]
	v_fma_f64 v[1:2], v[1:2], v[130:131], -v[126:127]
	v_fma_f64 v[3:4], v[3:4], v[130:131], v[132:133]
	buffer_store_dword v2, off, s[0:3], 0 offset:612
	buffer_store_dword v1, off, s[0:3], 0 offset:608
	;; [unrolled: 1-line block ×4, first 2 shown]
.LBB122_767:
	s_or_b32 exec_lo, exec_lo, s4
	v_mov_b32_e32 v4, s26
	s_mov_b32 s4, exec_lo
	s_clause 0x3
	buffer_load_dword v1, v4, s[0:3], 0 offen
	buffer_load_dword v2, v4, s[0:3], 0 offen offset:4
	buffer_load_dword v3, v4, s[0:3], 0 offen offset:8
	;; [unrolled: 1-line block ×3, first 2 shown]
	s_waitcnt vmcnt(0)
	ds_write_b128 v124, v[1:4]
	s_waitcnt lgkmcnt(0)
	s_waitcnt_vscnt null, 0x0
	s_barrier
	buffer_gl0_inv
	v_cmpx_gt_u32_e32 39, v0
	s_cbranch_execz .LBB122_775
; %bb.768:
	ds_read_b128 v[1:4], v124
	v_cmp_ne_u32_e32 vcc_lo, 1, v125
	s_cbranch_vccnz .LBB122_770
; %bb.769:
	s_clause 0x3
	buffer_load_dword v126, v123, s[0:3], 0 offen offset:8
	buffer_load_dword v127, v123, s[0:3], 0 offen offset:12
	buffer_load_dword v130, v123, s[0:3], 0 offen
	buffer_load_dword v131, v123, s[0:3], 0 offen offset:4
	s_waitcnt vmcnt(2) lgkmcnt(0)
	v_mul_f64 v[132:133], v[3:4], v[126:127]
	v_mul_f64 v[126:127], v[1:2], v[126:127]
	s_waitcnt vmcnt(0)
	v_fma_f64 v[1:2], v[1:2], v[130:131], -v[132:133]
	v_fma_f64 v[3:4], v[3:4], v[130:131], v[126:127]
.LBB122_770:
	s_mov_b32 s8, exec_lo
	v_cmpx_ne_u32_e32 38, v0
	s_cbranch_execz .LBB122_774
; %bb.771:
	v_add_nc_u32_e32 v126, 0x3c0, v129
	v_add3_u32 v127, 0, v129, 16
	v_mov_b32_e32 v128, v0
	s_mov_b32 s66, 0
	.p2align	6
.LBB122_772:                            ; =>This Inner Loop Header: Depth=1
	s_clause 0x3
	buffer_load_dword v134, v127, s[0:3], 0 offen offset:8
	buffer_load_dword v135, v127, s[0:3], 0 offen offset:12
	buffer_load_dword v136, v127, s[0:3], 0 offen
	buffer_load_dword v137, v127, s[0:3], 0 offen offset:4
	ds_read_b128 v[130:133], v126
	v_add_nc_u32_e32 v128, 1, v128
	v_add_nc_u32_e32 v126, 16, v126
	;; [unrolled: 1-line block ×3, first 2 shown]
	v_cmp_lt_u32_e32 vcc_lo, 37, v128
	s_or_b32 s66, vcc_lo, s66
	s_waitcnt vmcnt(2) lgkmcnt(0)
	v_mul_f64 v[138:139], v[132:133], v[134:135]
	v_mul_f64 v[134:135], v[130:131], v[134:135]
	s_waitcnt vmcnt(0)
	v_fma_f64 v[130:131], v[130:131], v[136:137], -v[138:139]
	v_fma_f64 v[132:133], v[132:133], v[136:137], v[134:135]
	v_add_f64 v[1:2], v[1:2], v[130:131]
	v_add_f64 v[3:4], v[3:4], v[132:133]
	s_andn2_b32 exec_lo, exec_lo, s66
	s_cbranch_execnz .LBB122_772
; %bb.773:
	s_or_b32 exec_lo, exec_lo, s66
.LBB122_774:
	s_or_b32 exec_lo, exec_lo, s8
	v_mov_b32_e32 v126, 0
	ds_read_b128 v[130:133], v126 offset:624
	s_waitcnt lgkmcnt(0)
	v_mul_f64 v[126:127], v[3:4], v[132:133]
	v_mul_f64 v[132:133], v[1:2], v[132:133]
	v_fma_f64 v[1:2], v[1:2], v[130:131], -v[126:127]
	v_fma_f64 v[3:4], v[3:4], v[130:131], v[132:133]
	buffer_store_dword v2, off, s[0:3], 0 offset:628
	buffer_store_dword v1, off, s[0:3], 0 offset:624
	;; [unrolled: 1-line block ×4, first 2 shown]
.LBB122_775:
	s_or_b32 exec_lo, exec_lo, s4
	v_mov_b32_e32 v4, s25
	s_mov_b32 s4, exec_lo
	s_clause 0x3
	buffer_load_dword v1, v4, s[0:3], 0 offen
	buffer_load_dword v2, v4, s[0:3], 0 offen offset:4
	buffer_load_dword v3, v4, s[0:3], 0 offen offset:8
	;; [unrolled: 1-line block ×3, first 2 shown]
	s_waitcnt vmcnt(0)
	ds_write_b128 v124, v[1:4]
	s_waitcnt lgkmcnt(0)
	s_waitcnt_vscnt null, 0x0
	s_barrier
	buffer_gl0_inv
	v_cmpx_gt_u32_e32 40, v0
	s_cbranch_execz .LBB122_783
; %bb.776:
	ds_read_b128 v[1:4], v124
	v_cmp_ne_u32_e32 vcc_lo, 1, v125
	s_cbranch_vccnz .LBB122_778
; %bb.777:
	s_clause 0x3
	buffer_load_dword v126, v123, s[0:3], 0 offen offset:8
	buffer_load_dword v127, v123, s[0:3], 0 offen offset:12
	buffer_load_dword v130, v123, s[0:3], 0 offen
	buffer_load_dword v131, v123, s[0:3], 0 offen offset:4
	s_waitcnt vmcnt(2) lgkmcnt(0)
	v_mul_f64 v[132:133], v[3:4], v[126:127]
	v_mul_f64 v[126:127], v[1:2], v[126:127]
	s_waitcnt vmcnt(0)
	v_fma_f64 v[1:2], v[1:2], v[130:131], -v[132:133]
	v_fma_f64 v[3:4], v[3:4], v[130:131], v[126:127]
.LBB122_778:
	s_mov_b32 s8, exec_lo
	v_cmpx_ne_u32_e32 39, v0
	s_cbranch_execz .LBB122_782
; %bb.779:
	v_add_nc_u32_e32 v126, 0x3c0, v129
	v_add3_u32 v127, 0, v129, 16
	v_mov_b32_e32 v128, v0
	s_mov_b32 s66, 0
	.p2align	6
.LBB122_780:                            ; =>This Inner Loop Header: Depth=1
	s_clause 0x3
	buffer_load_dword v134, v127, s[0:3], 0 offen offset:8
	buffer_load_dword v135, v127, s[0:3], 0 offen offset:12
	buffer_load_dword v136, v127, s[0:3], 0 offen
	buffer_load_dword v137, v127, s[0:3], 0 offen offset:4
	ds_read_b128 v[130:133], v126
	v_add_nc_u32_e32 v128, 1, v128
	v_add_nc_u32_e32 v126, 16, v126
	v_add_nc_u32_e32 v127, 16, v127
	v_cmp_lt_u32_e32 vcc_lo, 38, v128
	s_or_b32 s66, vcc_lo, s66
	s_waitcnt vmcnt(2) lgkmcnt(0)
	v_mul_f64 v[138:139], v[132:133], v[134:135]
	v_mul_f64 v[134:135], v[130:131], v[134:135]
	s_waitcnt vmcnt(0)
	v_fma_f64 v[130:131], v[130:131], v[136:137], -v[138:139]
	v_fma_f64 v[132:133], v[132:133], v[136:137], v[134:135]
	v_add_f64 v[1:2], v[1:2], v[130:131]
	v_add_f64 v[3:4], v[3:4], v[132:133]
	s_andn2_b32 exec_lo, exec_lo, s66
	s_cbranch_execnz .LBB122_780
; %bb.781:
	s_or_b32 exec_lo, exec_lo, s66
.LBB122_782:
	s_or_b32 exec_lo, exec_lo, s8
	v_mov_b32_e32 v126, 0
	ds_read_b128 v[130:133], v126 offset:640
	s_waitcnt lgkmcnt(0)
	v_mul_f64 v[126:127], v[3:4], v[132:133]
	v_mul_f64 v[132:133], v[1:2], v[132:133]
	v_fma_f64 v[1:2], v[1:2], v[130:131], -v[126:127]
	v_fma_f64 v[3:4], v[3:4], v[130:131], v[132:133]
	buffer_store_dword v2, off, s[0:3], 0 offset:644
	buffer_store_dword v1, off, s[0:3], 0 offset:640
	;; [unrolled: 1-line block ×4, first 2 shown]
.LBB122_783:
	s_or_b32 exec_lo, exec_lo, s4
	v_mov_b32_e32 v4, s24
	s_mov_b32 s4, exec_lo
	s_clause 0x3
	buffer_load_dword v1, v4, s[0:3], 0 offen
	buffer_load_dword v2, v4, s[0:3], 0 offen offset:4
	buffer_load_dword v3, v4, s[0:3], 0 offen offset:8
	;; [unrolled: 1-line block ×3, first 2 shown]
	s_waitcnt vmcnt(0)
	ds_write_b128 v124, v[1:4]
	s_waitcnt lgkmcnt(0)
	s_waitcnt_vscnt null, 0x0
	s_barrier
	buffer_gl0_inv
	v_cmpx_gt_u32_e32 41, v0
	s_cbranch_execz .LBB122_791
; %bb.784:
	ds_read_b128 v[1:4], v124
	v_cmp_ne_u32_e32 vcc_lo, 1, v125
	s_cbranch_vccnz .LBB122_786
; %bb.785:
	s_clause 0x3
	buffer_load_dword v126, v123, s[0:3], 0 offen offset:8
	buffer_load_dword v127, v123, s[0:3], 0 offen offset:12
	buffer_load_dword v130, v123, s[0:3], 0 offen
	buffer_load_dword v131, v123, s[0:3], 0 offen offset:4
	s_waitcnt vmcnt(2) lgkmcnt(0)
	v_mul_f64 v[132:133], v[3:4], v[126:127]
	v_mul_f64 v[126:127], v[1:2], v[126:127]
	s_waitcnt vmcnt(0)
	v_fma_f64 v[1:2], v[1:2], v[130:131], -v[132:133]
	v_fma_f64 v[3:4], v[3:4], v[130:131], v[126:127]
.LBB122_786:
	s_mov_b32 s8, exec_lo
	v_cmpx_ne_u32_e32 40, v0
	s_cbranch_execz .LBB122_790
; %bb.787:
	v_add_nc_u32_e32 v126, 0x3c0, v129
	v_add3_u32 v127, 0, v129, 16
	v_mov_b32_e32 v128, v0
	s_mov_b32 s66, 0
	.p2align	6
.LBB122_788:                            ; =>This Inner Loop Header: Depth=1
	s_clause 0x3
	buffer_load_dword v134, v127, s[0:3], 0 offen offset:8
	buffer_load_dword v135, v127, s[0:3], 0 offen offset:12
	buffer_load_dword v136, v127, s[0:3], 0 offen
	buffer_load_dword v137, v127, s[0:3], 0 offen offset:4
	ds_read_b128 v[130:133], v126
	v_add_nc_u32_e32 v128, 1, v128
	v_add_nc_u32_e32 v126, 16, v126
	;; [unrolled: 1-line block ×3, first 2 shown]
	v_cmp_lt_u32_e32 vcc_lo, 39, v128
	s_or_b32 s66, vcc_lo, s66
	s_waitcnt vmcnt(2) lgkmcnt(0)
	v_mul_f64 v[138:139], v[132:133], v[134:135]
	v_mul_f64 v[134:135], v[130:131], v[134:135]
	s_waitcnt vmcnt(0)
	v_fma_f64 v[130:131], v[130:131], v[136:137], -v[138:139]
	v_fma_f64 v[132:133], v[132:133], v[136:137], v[134:135]
	v_add_f64 v[1:2], v[1:2], v[130:131]
	v_add_f64 v[3:4], v[3:4], v[132:133]
	s_andn2_b32 exec_lo, exec_lo, s66
	s_cbranch_execnz .LBB122_788
; %bb.789:
	s_or_b32 exec_lo, exec_lo, s66
.LBB122_790:
	s_or_b32 exec_lo, exec_lo, s8
	v_mov_b32_e32 v126, 0
	ds_read_b128 v[130:133], v126 offset:656
	s_waitcnt lgkmcnt(0)
	v_mul_f64 v[126:127], v[3:4], v[132:133]
	v_mul_f64 v[132:133], v[1:2], v[132:133]
	v_fma_f64 v[1:2], v[1:2], v[130:131], -v[126:127]
	v_fma_f64 v[3:4], v[3:4], v[130:131], v[132:133]
	buffer_store_dword v2, off, s[0:3], 0 offset:660
	buffer_store_dword v1, off, s[0:3], 0 offset:656
	;; [unrolled: 1-line block ×4, first 2 shown]
.LBB122_791:
	s_or_b32 exec_lo, exec_lo, s4
	v_mov_b32_e32 v4, s23
	s_mov_b32 s4, exec_lo
	s_clause 0x3
	buffer_load_dword v1, v4, s[0:3], 0 offen
	buffer_load_dword v2, v4, s[0:3], 0 offen offset:4
	buffer_load_dword v3, v4, s[0:3], 0 offen offset:8
	;; [unrolled: 1-line block ×3, first 2 shown]
	s_waitcnt vmcnt(0)
	ds_write_b128 v124, v[1:4]
	s_waitcnt lgkmcnt(0)
	s_waitcnt_vscnt null, 0x0
	s_barrier
	buffer_gl0_inv
	v_cmpx_gt_u32_e32 42, v0
	s_cbranch_execz .LBB122_799
; %bb.792:
	ds_read_b128 v[1:4], v124
	v_cmp_ne_u32_e32 vcc_lo, 1, v125
	s_cbranch_vccnz .LBB122_794
; %bb.793:
	s_clause 0x3
	buffer_load_dword v126, v123, s[0:3], 0 offen offset:8
	buffer_load_dword v127, v123, s[0:3], 0 offen offset:12
	buffer_load_dword v130, v123, s[0:3], 0 offen
	buffer_load_dword v131, v123, s[0:3], 0 offen offset:4
	s_waitcnt vmcnt(2) lgkmcnt(0)
	v_mul_f64 v[132:133], v[3:4], v[126:127]
	v_mul_f64 v[126:127], v[1:2], v[126:127]
	s_waitcnt vmcnt(0)
	v_fma_f64 v[1:2], v[1:2], v[130:131], -v[132:133]
	v_fma_f64 v[3:4], v[3:4], v[130:131], v[126:127]
.LBB122_794:
	s_mov_b32 s8, exec_lo
	v_cmpx_ne_u32_e32 41, v0
	s_cbranch_execz .LBB122_798
; %bb.795:
	v_add_nc_u32_e32 v126, 0x3c0, v129
	v_add3_u32 v127, 0, v129, 16
	v_mov_b32_e32 v128, v0
	s_mov_b32 s66, 0
	.p2align	6
.LBB122_796:                            ; =>This Inner Loop Header: Depth=1
	s_clause 0x3
	buffer_load_dword v134, v127, s[0:3], 0 offen offset:8
	buffer_load_dword v135, v127, s[0:3], 0 offen offset:12
	buffer_load_dword v136, v127, s[0:3], 0 offen
	buffer_load_dword v137, v127, s[0:3], 0 offen offset:4
	ds_read_b128 v[130:133], v126
	v_add_nc_u32_e32 v128, 1, v128
	v_add_nc_u32_e32 v126, 16, v126
	;; [unrolled: 1-line block ×3, first 2 shown]
	v_cmp_lt_u32_e32 vcc_lo, 40, v128
	s_or_b32 s66, vcc_lo, s66
	s_waitcnt vmcnt(2) lgkmcnt(0)
	v_mul_f64 v[138:139], v[132:133], v[134:135]
	v_mul_f64 v[134:135], v[130:131], v[134:135]
	s_waitcnt vmcnt(0)
	v_fma_f64 v[130:131], v[130:131], v[136:137], -v[138:139]
	v_fma_f64 v[132:133], v[132:133], v[136:137], v[134:135]
	v_add_f64 v[1:2], v[1:2], v[130:131]
	v_add_f64 v[3:4], v[3:4], v[132:133]
	s_andn2_b32 exec_lo, exec_lo, s66
	s_cbranch_execnz .LBB122_796
; %bb.797:
	s_or_b32 exec_lo, exec_lo, s66
.LBB122_798:
	s_or_b32 exec_lo, exec_lo, s8
	v_mov_b32_e32 v126, 0
	ds_read_b128 v[130:133], v126 offset:672
	s_waitcnt lgkmcnt(0)
	v_mul_f64 v[126:127], v[3:4], v[132:133]
	v_mul_f64 v[132:133], v[1:2], v[132:133]
	v_fma_f64 v[1:2], v[1:2], v[130:131], -v[126:127]
	v_fma_f64 v[3:4], v[3:4], v[130:131], v[132:133]
	buffer_store_dword v2, off, s[0:3], 0 offset:676
	buffer_store_dword v1, off, s[0:3], 0 offset:672
	;; [unrolled: 1-line block ×4, first 2 shown]
.LBB122_799:
	s_or_b32 exec_lo, exec_lo, s4
	v_mov_b32_e32 v4, s22
	s_mov_b32 s4, exec_lo
	s_clause 0x3
	buffer_load_dword v1, v4, s[0:3], 0 offen
	buffer_load_dword v2, v4, s[0:3], 0 offen offset:4
	buffer_load_dword v3, v4, s[0:3], 0 offen offset:8
	;; [unrolled: 1-line block ×3, first 2 shown]
	s_waitcnt vmcnt(0)
	ds_write_b128 v124, v[1:4]
	s_waitcnt lgkmcnt(0)
	s_waitcnt_vscnt null, 0x0
	s_barrier
	buffer_gl0_inv
	v_cmpx_gt_u32_e32 43, v0
	s_cbranch_execz .LBB122_807
; %bb.800:
	ds_read_b128 v[1:4], v124
	v_cmp_ne_u32_e32 vcc_lo, 1, v125
	s_cbranch_vccnz .LBB122_802
; %bb.801:
	s_clause 0x3
	buffer_load_dword v126, v123, s[0:3], 0 offen offset:8
	buffer_load_dword v127, v123, s[0:3], 0 offen offset:12
	buffer_load_dword v130, v123, s[0:3], 0 offen
	buffer_load_dword v131, v123, s[0:3], 0 offen offset:4
	s_waitcnt vmcnt(2) lgkmcnt(0)
	v_mul_f64 v[132:133], v[3:4], v[126:127]
	v_mul_f64 v[126:127], v[1:2], v[126:127]
	s_waitcnt vmcnt(0)
	v_fma_f64 v[1:2], v[1:2], v[130:131], -v[132:133]
	v_fma_f64 v[3:4], v[3:4], v[130:131], v[126:127]
.LBB122_802:
	s_mov_b32 s8, exec_lo
	v_cmpx_ne_u32_e32 42, v0
	s_cbranch_execz .LBB122_806
; %bb.803:
	v_add_nc_u32_e32 v126, 0x3c0, v129
	v_add3_u32 v127, 0, v129, 16
	v_mov_b32_e32 v128, v0
	s_mov_b32 s66, 0
	.p2align	6
.LBB122_804:                            ; =>This Inner Loop Header: Depth=1
	s_clause 0x3
	buffer_load_dword v134, v127, s[0:3], 0 offen offset:8
	buffer_load_dword v135, v127, s[0:3], 0 offen offset:12
	buffer_load_dword v136, v127, s[0:3], 0 offen
	buffer_load_dword v137, v127, s[0:3], 0 offen offset:4
	ds_read_b128 v[130:133], v126
	v_add_nc_u32_e32 v128, 1, v128
	v_add_nc_u32_e32 v126, 16, v126
	;; [unrolled: 1-line block ×3, first 2 shown]
	v_cmp_lt_u32_e32 vcc_lo, 41, v128
	s_or_b32 s66, vcc_lo, s66
	s_waitcnt vmcnt(2) lgkmcnt(0)
	v_mul_f64 v[138:139], v[132:133], v[134:135]
	v_mul_f64 v[134:135], v[130:131], v[134:135]
	s_waitcnt vmcnt(0)
	v_fma_f64 v[130:131], v[130:131], v[136:137], -v[138:139]
	v_fma_f64 v[132:133], v[132:133], v[136:137], v[134:135]
	v_add_f64 v[1:2], v[1:2], v[130:131]
	v_add_f64 v[3:4], v[3:4], v[132:133]
	s_andn2_b32 exec_lo, exec_lo, s66
	s_cbranch_execnz .LBB122_804
; %bb.805:
	s_or_b32 exec_lo, exec_lo, s66
.LBB122_806:
	s_or_b32 exec_lo, exec_lo, s8
	v_mov_b32_e32 v126, 0
	ds_read_b128 v[130:133], v126 offset:688
	s_waitcnt lgkmcnt(0)
	v_mul_f64 v[126:127], v[3:4], v[132:133]
	v_mul_f64 v[132:133], v[1:2], v[132:133]
	v_fma_f64 v[1:2], v[1:2], v[130:131], -v[126:127]
	v_fma_f64 v[3:4], v[3:4], v[130:131], v[132:133]
	buffer_store_dword v2, off, s[0:3], 0 offset:692
	buffer_store_dword v1, off, s[0:3], 0 offset:688
	;; [unrolled: 1-line block ×4, first 2 shown]
.LBB122_807:
	s_or_b32 exec_lo, exec_lo, s4
	v_mov_b32_e32 v4, s21
	s_mov_b32 s4, exec_lo
	s_clause 0x3
	buffer_load_dword v1, v4, s[0:3], 0 offen
	buffer_load_dword v2, v4, s[0:3], 0 offen offset:4
	buffer_load_dword v3, v4, s[0:3], 0 offen offset:8
	;; [unrolled: 1-line block ×3, first 2 shown]
	s_waitcnt vmcnt(0)
	ds_write_b128 v124, v[1:4]
	s_waitcnt lgkmcnt(0)
	s_waitcnt_vscnt null, 0x0
	s_barrier
	buffer_gl0_inv
	v_cmpx_gt_u32_e32 44, v0
	s_cbranch_execz .LBB122_815
; %bb.808:
	ds_read_b128 v[1:4], v124
	v_cmp_ne_u32_e32 vcc_lo, 1, v125
	s_cbranch_vccnz .LBB122_810
; %bb.809:
	s_clause 0x3
	buffer_load_dword v126, v123, s[0:3], 0 offen offset:8
	buffer_load_dword v127, v123, s[0:3], 0 offen offset:12
	buffer_load_dword v130, v123, s[0:3], 0 offen
	buffer_load_dword v131, v123, s[0:3], 0 offen offset:4
	s_waitcnt vmcnt(2) lgkmcnt(0)
	v_mul_f64 v[132:133], v[3:4], v[126:127]
	v_mul_f64 v[126:127], v[1:2], v[126:127]
	s_waitcnt vmcnt(0)
	v_fma_f64 v[1:2], v[1:2], v[130:131], -v[132:133]
	v_fma_f64 v[3:4], v[3:4], v[130:131], v[126:127]
.LBB122_810:
	s_mov_b32 s8, exec_lo
	v_cmpx_ne_u32_e32 43, v0
	s_cbranch_execz .LBB122_814
; %bb.811:
	v_add_nc_u32_e32 v126, 0x3c0, v129
	v_add3_u32 v127, 0, v129, 16
	v_mov_b32_e32 v128, v0
	s_mov_b32 s66, 0
	.p2align	6
.LBB122_812:                            ; =>This Inner Loop Header: Depth=1
	s_clause 0x3
	buffer_load_dword v134, v127, s[0:3], 0 offen offset:8
	buffer_load_dword v135, v127, s[0:3], 0 offen offset:12
	buffer_load_dword v136, v127, s[0:3], 0 offen
	buffer_load_dword v137, v127, s[0:3], 0 offen offset:4
	ds_read_b128 v[130:133], v126
	v_add_nc_u32_e32 v128, 1, v128
	v_add_nc_u32_e32 v126, 16, v126
	;; [unrolled: 1-line block ×3, first 2 shown]
	v_cmp_lt_u32_e32 vcc_lo, 42, v128
	s_or_b32 s66, vcc_lo, s66
	s_waitcnt vmcnt(2) lgkmcnt(0)
	v_mul_f64 v[138:139], v[132:133], v[134:135]
	v_mul_f64 v[134:135], v[130:131], v[134:135]
	s_waitcnt vmcnt(0)
	v_fma_f64 v[130:131], v[130:131], v[136:137], -v[138:139]
	v_fma_f64 v[132:133], v[132:133], v[136:137], v[134:135]
	v_add_f64 v[1:2], v[1:2], v[130:131]
	v_add_f64 v[3:4], v[3:4], v[132:133]
	s_andn2_b32 exec_lo, exec_lo, s66
	s_cbranch_execnz .LBB122_812
; %bb.813:
	s_or_b32 exec_lo, exec_lo, s66
.LBB122_814:
	s_or_b32 exec_lo, exec_lo, s8
	v_mov_b32_e32 v126, 0
	ds_read_b128 v[130:133], v126 offset:704
	s_waitcnt lgkmcnt(0)
	v_mul_f64 v[126:127], v[3:4], v[132:133]
	v_mul_f64 v[132:133], v[1:2], v[132:133]
	v_fma_f64 v[1:2], v[1:2], v[130:131], -v[126:127]
	v_fma_f64 v[3:4], v[3:4], v[130:131], v[132:133]
	buffer_store_dword v2, off, s[0:3], 0 offset:708
	buffer_store_dword v1, off, s[0:3], 0 offset:704
	buffer_store_dword v4, off, s[0:3], 0 offset:716
	buffer_store_dword v3, off, s[0:3], 0 offset:712
.LBB122_815:
	s_or_b32 exec_lo, exec_lo, s4
	v_mov_b32_e32 v4, s20
	s_mov_b32 s4, exec_lo
	s_clause 0x3
	buffer_load_dword v1, v4, s[0:3], 0 offen
	buffer_load_dword v2, v4, s[0:3], 0 offen offset:4
	buffer_load_dword v3, v4, s[0:3], 0 offen offset:8
	;; [unrolled: 1-line block ×3, first 2 shown]
	s_waitcnt vmcnt(0)
	ds_write_b128 v124, v[1:4]
	s_waitcnt lgkmcnt(0)
	s_waitcnt_vscnt null, 0x0
	s_barrier
	buffer_gl0_inv
	v_cmpx_gt_u32_e32 45, v0
	s_cbranch_execz .LBB122_823
; %bb.816:
	ds_read_b128 v[1:4], v124
	v_cmp_ne_u32_e32 vcc_lo, 1, v125
	s_cbranch_vccnz .LBB122_818
; %bb.817:
	s_clause 0x3
	buffer_load_dword v126, v123, s[0:3], 0 offen offset:8
	buffer_load_dword v127, v123, s[0:3], 0 offen offset:12
	buffer_load_dword v130, v123, s[0:3], 0 offen
	buffer_load_dword v131, v123, s[0:3], 0 offen offset:4
	s_waitcnt vmcnt(2) lgkmcnt(0)
	v_mul_f64 v[132:133], v[3:4], v[126:127]
	v_mul_f64 v[126:127], v[1:2], v[126:127]
	s_waitcnt vmcnt(0)
	v_fma_f64 v[1:2], v[1:2], v[130:131], -v[132:133]
	v_fma_f64 v[3:4], v[3:4], v[130:131], v[126:127]
.LBB122_818:
	s_mov_b32 s8, exec_lo
	v_cmpx_ne_u32_e32 44, v0
	s_cbranch_execz .LBB122_822
; %bb.819:
	v_add_nc_u32_e32 v126, 0x3c0, v129
	v_add3_u32 v127, 0, v129, 16
	v_mov_b32_e32 v128, v0
	s_mov_b32 s66, 0
	.p2align	6
.LBB122_820:                            ; =>This Inner Loop Header: Depth=1
	s_clause 0x3
	buffer_load_dword v134, v127, s[0:3], 0 offen offset:8
	buffer_load_dword v135, v127, s[0:3], 0 offen offset:12
	buffer_load_dword v136, v127, s[0:3], 0 offen
	buffer_load_dword v137, v127, s[0:3], 0 offen offset:4
	ds_read_b128 v[130:133], v126
	v_add_nc_u32_e32 v128, 1, v128
	v_add_nc_u32_e32 v126, 16, v126
	v_add_nc_u32_e32 v127, 16, v127
	v_cmp_lt_u32_e32 vcc_lo, 43, v128
	s_or_b32 s66, vcc_lo, s66
	s_waitcnt vmcnt(2) lgkmcnt(0)
	v_mul_f64 v[138:139], v[132:133], v[134:135]
	v_mul_f64 v[134:135], v[130:131], v[134:135]
	s_waitcnt vmcnt(0)
	v_fma_f64 v[130:131], v[130:131], v[136:137], -v[138:139]
	v_fma_f64 v[132:133], v[132:133], v[136:137], v[134:135]
	v_add_f64 v[1:2], v[1:2], v[130:131]
	v_add_f64 v[3:4], v[3:4], v[132:133]
	s_andn2_b32 exec_lo, exec_lo, s66
	s_cbranch_execnz .LBB122_820
; %bb.821:
	s_or_b32 exec_lo, exec_lo, s66
.LBB122_822:
	s_or_b32 exec_lo, exec_lo, s8
	v_mov_b32_e32 v126, 0
	ds_read_b128 v[130:133], v126 offset:720
	s_waitcnt lgkmcnt(0)
	v_mul_f64 v[126:127], v[3:4], v[132:133]
	v_mul_f64 v[132:133], v[1:2], v[132:133]
	v_fma_f64 v[1:2], v[1:2], v[130:131], -v[126:127]
	v_fma_f64 v[3:4], v[3:4], v[130:131], v[132:133]
	buffer_store_dword v2, off, s[0:3], 0 offset:724
	buffer_store_dword v1, off, s[0:3], 0 offset:720
	;; [unrolled: 1-line block ×4, first 2 shown]
.LBB122_823:
	s_or_b32 exec_lo, exec_lo, s4
	v_mov_b32_e32 v4, s19
	s_mov_b32 s4, exec_lo
	s_clause 0x3
	buffer_load_dword v1, v4, s[0:3], 0 offen
	buffer_load_dword v2, v4, s[0:3], 0 offen offset:4
	buffer_load_dword v3, v4, s[0:3], 0 offen offset:8
	buffer_load_dword v4, v4, s[0:3], 0 offen offset:12
	s_waitcnt vmcnt(0)
	ds_write_b128 v124, v[1:4]
	s_waitcnt lgkmcnt(0)
	s_waitcnt_vscnt null, 0x0
	s_barrier
	buffer_gl0_inv
	v_cmpx_gt_u32_e32 46, v0
	s_cbranch_execz .LBB122_831
; %bb.824:
	ds_read_b128 v[1:4], v124
	v_cmp_ne_u32_e32 vcc_lo, 1, v125
	s_cbranch_vccnz .LBB122_826
; %bb.825:
	s_clause 0x3
	buffer_load_dword v126, v123, s[0:3], 0 offen offset:8
	buffer_load_dword v127, v123, s[0:3], 0 offen offset:12
	buffer_load_dword v130, v123, s[0:3], 0 offen
	buffer_load_dword v131, v123, s[0:3], 0 offen offset:4
	s_waitcnt vmcnt(2) lgkmcnt(0)
	v_mul_f64 v[132:133], v[3:4], v[126:127]
	v_mul_f64 v[126:127], v[1:2], v[126:127]
	s_waitcnt vmcnt(0)
	v_fma_f64 v[1:2], v[1:2], v[130:131], -v[132:133]
	v_fma_f64 v[3:4], v[3:4], v[130:131], v[126:127]
.LBB122_826:
	s_mov_b32 s8, exec_lo
	v_cmpx_ne_u32_e32 45, v0
	s_cbranch_execz .LBB122_830
; %bb.827:
	v_add_nc_u32_e32 v126, 0x3c0, v129
	v_add3_u32 v127, 0, v129, 16
	v_mov_b32_e32 v128, v0
	s_mov_b32 s66, 0
	.p2align	6
.LBB122_828:                            ; =>This Inner Loop Header: Depth=1
	s_clause 0x3
	buffer_load_dword v134, v127, s[0:3], 0 offen offset:8
	buffer_load_dword v135, v127, s[0:3], 0 offen offset:12
	buffer_load_dword v136, v127, s[0:3], 0 offen
	buffer_load_dword v137, v127, s[0:3], 0 offen offset:4
	ds_read_b128 v[130:133], v126
	v_add_nc_u32_e32 v128, 1, v128
	v_add_nc_u32_e32 v126, 16, v126
	;; [unrolled: 1-line block ×3, first 2 shown]
	v_cmp_lt_u32_e32 vcc_lo, 44, v128
	s_or_b32 s66, vcc_lo, s66
	s_waitcnt vmcnt(2) lgkmcnt(0)
	v_mul_f64 v[138:139], v[132:133], v[134:135]
	v_mul_f64 v[134:135], v[130:131], v[134:135]
	s_waitcnt vmcnt(0)
	v_fma_f64 v[130:131], v[130:131], v[136:137], -v[138:139]
	v_fma_f64 v[132:133], v[132:133], v[136:137], v[134:135]
	v_add_f64 v[1:2], v[1:2], v[130:131]
	v_add_f64 v[3:4], v[3:4], v[132:133]
	s_andn2_b32 exec_lo, exec_lo, s66
	s_cbranch_execnz .LBB122_828
; %bb.829:
	s_or_b32 exec_lo, exec_lo, s66
.LBB122_830:
	s_or_b32 exec_lo, exec_lo, s8
	v_mov_b32_e32 v126, 0
	ds_read_b128 v[130:133], v126 offset:736
	s_waitcnt lgkmcnt(0)
	v_mul_f64 v[126:127], v[3:4], v[132:133]
	v_mul_f64 v[132:133], v[1:2], v[132:133]
	v_fma_f64 v[1:2], v[1:2], v[130:131], -v[126:127]
	v_fma_f64 v[3:4], v[3:4], v[130:131], v[132:133]
	buffer_store_dword v2, off, s[0:3], 0 offset:740
	buffer_store_dword v1, off, s[0:3], 0 offset:736
	;; [unrolled: 1-line block ×4, first 2 shown]
.LBB122_831:
	s_or_b32 exec_lo, exec_lo, s4
	v_mov_b32_e32 v4, s18
	s_mov_b32 s4, exec_lo
	s_clause 0x3
	buffer_load_dword v1, v4, s[0:3], 0 offen
	buffer_load_dword v2, v4, s[0:3], 0 offen offset:4
	buffer_load_dword v3, v4, s[0:3], 0 offen offset:8
	;; [unrolled: 1-line block ×3, first 2 shown]
	s_waitcnt vmcnt(0)
	ds_write_b128 v124, v[1:4]
	s_waitcnt lgkmcnt(0)
	s_waitcnt_vscnt null, 0x0
	s_barrier
	buffer_gl0_inv
	v_cmpx_gt_u32_e32 47, v0
	s_cbranch_execz .LBB122_839
; %bb.832:
	ds_read_b128 v[1:4], v124
	v_cmp_ne_u32_e32 vcc_lo, 1, v125
	s_cbranch_vccnz .LBB122_834
; %bb.833:
	s_clause 0x3
	buffer_load_dword v126, v123, s[0:3], 0 offen offset:8
	buffer_load_dword v127, v123, s[0:3], 0 offen offset:12
	buffer_load_dword v130, v123, s[0:3], 0 offen
	buffer_load_dword v131, v123, s[0:3], 0 offen offset:4
	s_waitcnt vmcnt(2) lgkmcnt(0)
	v_mul_f64 v[132:133], v[3:4], v[126:127]
	v_mul_f64 v[126:127], v[1:2], v[126:127]
	s_waitcnt vmcnt(0)
	v_fma_f64 v[1:2], v[1:2], v[130:131], -v[132:133]
	v_fma_f64 v[3:4], v[3:4], v[130:131], v[126:127]
.LBB122_834:
	s_mov_b32 s8, exec_lo
	v_cmpx_ne_u32_e32 46, v0
	s_cbranch_execz .LBB122_838
; %bb.835:
	v_add_nc_u32_e32 v126, 0x3c0, v129
	v_add3_u32 v127, 0, v129, 16
	v_mov_b32_e32 v128, v0
	s_mov_b32 s66, 0
	.p2align	6
.LBB122_836:                            ; =>This Inner Loop Header: Depth=1
	s_clause 0x3
	buffer_load_dword v134, v127, s[0:3], 0 offen offset:8
	buffer_load_dword v135, v127, s[0:3], 0 offen offset:12
	buffer_load_dword v136, v127, s[0:3], 0 offen
	buffer_load_dword v137, v127, s[0:3], 0 offen offset:4
	ds_read_b128 v[130:133], v126
	v_add_nc_u32_e32 v128, 1, v128
	v_add_nc_u32_e32 v126, 16, v126
	;; [unrolled: 1-line block ×3, first 2 shown]
	v_cmp_lt_u32_e32 vcc_lo, 45, v128
	s_or_b32 s66, vcc_lo, s66
	s_waitcnt vmcnt(2) lgkmcnt(0)
	v_mul_f64 v[138:139], v[132:133], v[134:135]
	v_mul_f64 v[134:135], v[130:131], v[134:135]
	s_waitcnt vmcnt(0)
	v_fma_f64 v[130:131], v[130:131], v[136:137], -v[138:139]
	v_fma_f64 v[132:133], v[132:133], v[136:137], v[134:135]
	v_add_f64 v[1:2], v[1:2], v[130:131]
	v_add_f64 v[3:4], v[3:4], v[132:133]
	s_andn2_b32 exec_lo, exec_lo, s66
	s_cbranch_execnz .LBB122_836
; %bb.837:
	s_or_b32 exec_lo, exec_lo, s66
.LBB122_838:
	s_or_b32 exec_lo, exec_lo, s8
	v_mov_b32_e32 v126, 0
	ds_read_b128 v[130:133], v126 offset:752
	s_waitcnt lgkmcnt(0)
	v_mul_f64 v[126:127], v[3:4], v[132:133]
	v_mul_f64 v[132:133], v[1:2], v[132:133]
	v_fma_f64 v[1:2], v[1:2], v[130:131], -v[126:127]
	v_fma_f64 v[3:4], v[3:4], v[130:131], v[132:133]
	buffer_store_dword v2, off, s[0:3], 0 offset:756
	buffer_store_dword v1, off, s[0:3], 0 offset:752
	;; [unrolled: 1-line block ×4, first 2 shown]
.LBB122_839:
	s_or_b32 exec_lo, exec_lo, s4
	v_mov_b32_e32 v4, s17
	s_mov_b32 s4, exec_lo
	s_clause 0x3
	buffer_load_dword v1, v4, s[0:3], 0 offen
	buffer_load_dword v2, v4, s[0:3], 0 offen offset:4
	buffer_load_dword v3, v4, s[0:3], 0 offen offset:8
	;; [unrolled: 1-line block ×3, first 2 shown]
	s_waitcnt vmcnt(0)
	ds_write_b128 v124, v[1:4]
	s_waitcnt lgkmcnt(0)
	s_waitcnt_vscnt null, 0x0
	s_barrier
	buffer_gl0_inv
	v_cmpx_gt_u32_e32 48, v0
	s_cbranch_execz .LBB122_847
; %bb.840:
	ds_read_b128 v[1:4], v124
	v_cmp_ne_u32_e32 vcc_lo, 1, v125
	s_cbranch_vccnz .LBB122_842
; %bb.841:
	s_clause 0x3
	buffer_load_dword v126, v123, s[0:3], 0 offen offset:8
	buffer_load_dword v127, v123, s[0:3], 0 offen offset:12
	buffer_load_dword v130, v123, s[0:3], 0 offen
	buffer_load_dword v131, v123, s[0:3], 0 offen offset:4
	s_waitcnt vmcnt(2) lgkmcnt(0)
	v_mul_f64 v[132:133], v[3:4], v[126:127]
	v_mul_f64 v[126:127], v[1:2], v[126:127]
	s_waitcnt vmcnt(0)
	v_fma_f64 v[1:2], v[1:2], v[130:131], -v[132:133]
	v_fma_f64 v[3:4], v[3:4], v[130:131], v[126:127]
.LBB122_842:
	s_mov_b32 s8, exec_lo
	v_cmpx_ne_u32_e32 47, v0
	s_cbranch_execz .LBB122_846
; %bb.843:
	v_add_nc_u32_e32 v126, 0x3c0, v129
	v_add3_u32 v127, 0, v129, 16
	v_mov_b32_e32 v128, v0
	s_mov_b32 s66, 0
	.p2align	6
.LBB122_844:                            ; =>This Inner Loop Header: Depth=1
	s_clause 0x3
	buffer_load_dword v134, v127, s[0:3], 0 offen offset:8
	buffer_load_dword v135, v127, s[0:3], 0 offen offset:12
	buffer_load_dword v136, v127, s[0:3], 0 offen
	buffer_load_dword v137, v127, s[0:3], 0 offen offset:4
	ds_read_b128 v[130:133], v126
	v_add_nc_u32_e32 v128, 1, v128
	v_add_nc_u32_e32 v126, 16, v126
	;; [unrolled: 1-line block ×3, first 2 shown]
	v_cmp_lt_u32_e32 vcc_lo, 46, v128
	s_or_b32 s66, vcc_lo, s66
	s_waitcnt vmcnt(2) lgkmcnt(0)
	v_mul_f64 v[138:139], v[132:133], v[134:135]
	v_mul_f64 v[134:135], v[130:131], v[134:135]
	s_waitcnt vmcnt(0)
	v_fma_f64 v[130:131], v[130:131], v[136:137], -v[138:139]
	v_fma_f64 v[132:133], v[132:133], v[136:137], v[134:135]
	v_add_f64 v[1:2], v[1:2], v[130:131]
	v_add_f64 v[3:4], v[3:4], v[132:133]
	s_andn2_b32 exec_lo, exec_lo, s66
	s_cbranch_execnz .LBB122_844
; %bb.845:
	s_or_b32 exec_lo, exec_lo, s66
.LBB122_846:
	s_or_b32 exec_lo, exec_lo, s8
	v_mov_b32_e32 v126, 0
	ds_read_b128 v[130:133], v126 offset:768
	s_waitcnt lgkmcnt(0)
	v_mul_f64 v[126:127], v[3:4], v[132:133]
	v_mul_f64 v[132:133], v[1:2], v[132:133]
	v_fma_f64 v[1:2], v[1:2], v[130:131], -v[126:127]
	v_fma_f64 v[3:4], v[3:4], v[130:131], v[132:133]
	buffer_store_dword v2, off, s[0:3], 0 offset:772
	buffer_store_dword v1, off, s[0:3], 0 offset:768
	;; [unrolled: 1-line block ×4, first 2 shown]
.LBB122_847:
	s_or_b32 exec_lo, exec_lo, s4
	v_mov_b32_e32 v4, s16
	s_mov_b32 s4, exec_lo
	s_clause 0x3
	buffer_load_dword v1, v4, s[0:3], 0 offen
	buffer_load_dword v2, v4, s[0:3], 0 offen offset:4
	buffer_load_dword v3, v4, s[0:3], 0 offen offset:8
	;; [unrolled: 1-line block ×3, first 2 shown]
	s_waitcnt vmcnt(0)
	ds_write_b128 v124, v[1:4]
	s_waitcnt lgkmcnt(0)
	s_waitcnt_vscnt null, 0x0
	s_barrier
	buffer_gl0_inv
	v_cmpx_gt_u32_e32 49, v0
	s_cbranch_execz .LBB122_855
; %bb.848:
	ds_read_b128 v[1:4], v124
	v_cmp_ne_u32_e32 vcc_lo, 1, v125
	s_cbranch_vccnz .LBB122_850
; %bb.849:
	s_clause 0x3
	buffer_load_dword v126, v123, s[0:3], 0 offen offset:8
	buffer_load_dword v127, v123, s[0:3], 0 offen offset:12
	buffer_load_dword v130, v123, s[0:3], 0 offen
	buffer_load_dword v131, v123, s[0:3], 0 offen offset:4
	s_waitcnt vmcnt(2) lgkmcnt(0)
	v_mul_f64 v[132:133], v[3:4], v[126:127]
	v_mul_f64 v[126:127], v[1:2], v[126:127]
	s_waitcnt vmcnt(0)
	v_fma_f64 v[1:2], v[1:2], v[130:131], -v[132:133]
	v_fma_f64 v[3:4], v[3:4], v[130:131], v[126:127]
.LBB122_850:
	s_mov_b32 s8, exec_lo
	v_cmpx_ne_u32_e32 48, v0
	s_cbranch_execz .LBB122_854
; %bb.851:
	v_add_nc_u32_e32 v126, 0x3c0, v129
	v_add3_u32 v127, 0, v129, 16
	v_mov_b32_e32 v128, v0
	s_mov_b32 s66, 0
	.p2align	6
.LBB122_852:                            ; =>This Inner Loop Header: Depth=1
	s_clause 0x3
	buffer_load_dword v134, v127, s[0:3], 0 offen offset:8
	buffer_load_dword v135, v127, s[0:3], 0 offen offset:12
	buffer_load_dword v136, v127, s[0:3], 0 offen
	buffer_load_dword v137, v127, s[0:3], 0 offen offset:4
	ds_read_b128 v[130:133], v126
	v_add_nc_u32_e32 v128, 1, v128
	v_add_nc_u32_e32 v126, 16, v126
	;; [unrolled: 1-line block ×3, first 2 shown]
	v_cmp_lt_u32_e32 vcc_lo, 47, v128
	s_or_b32 s66, vcc_lo, s66
	s_waitcnt vmcnt(2) lgkmcnt(0)
	v_mul_f64 v[138:139], v[132:133], v[134:135]
	v_mul_f64 v[134:135], v[130:131], v[134:135]
	s_waitcnt vmcnt(0)
	v_fma_f64 v[130:131], v[130:131], v[136:137], -v[138:139]
	v_fma_f64 v[132:133], v[132:133], v[136:137], v[134:135]
	v_add_f64 v[1:2], v[1:2], v[130:131]
	v_add_f64 v[3:4], v[3:4], v[132:133]
	s_andn2_b32 exec_lo, exec_lo, s66
	s_cbranch_execnz .LBB122_852
; %bb.853:
	s_or_b32 exec_lo, exec_lo, s66
.LBB122_854:
	s_or_b32 exec_lo, exec_lo, s8
	v_mov_b32_e32 v126, 0
	ds_read_b128 v[130:133], v126 offset:784
	s_waitcnt lgkmcnt(0)
	v_mul_f64 v[126:127], v[3:4], v[132:133]
	v_mul_f64 v[132:133], v[1:2], v[132:133]
	v_fma_f64 v[1:2], v[1:2], v[130:131], -v[126:127]
	v_fma_f64 v[3:4], v[3:4], v[130:131], v[132:133]
	buffer_store_dword v2, off, s[0:3], 0 offset:788
	buffer_store_dword v1, off, s[0:3], 0 offset:784
	;; [unrolled: 1-line block ×4, first 2 shown]
.LBB122_855:
	s_or_b32 exec_lo, exec_lo, s4
	v_mov_b32_e32 v4, s15
	s_mov_b32 s4, exec_lo
	s_clause 0x3
	buffer_load_dword v1, v4, s[0:3], 0 offen
	buffer_load_dword v2, v4, s[0:3], 0 offen offset:4
	buffer_load_dword v3, v4, s[0:3], 0 offen offset:8
	;; [unrolled: 1-line block ×3, first 2 shown]
	s_waitcnt vmcnt(0)
	ds_write_b128 v124, v[1:4]
	s_waitcnt lgkmcnt(0)
	s_waitcnt_vscnt null, 0x0
	s_barrier
	buffer_gl0_inv
	v_cmpx_gt_u32_e32 50, v0
	s_cbranch_execz .LBB122_863
; %bb.856:
	ds_read_b128 v[1:4], v124
	v_cmp_ne_u32_e32 vcc_lo, 1, v125
	s_cbranch_vccnz .LBB122_858
; %bb.857:
	s_clause 0x3
	buffer_load_dword v126, v123, s[0:3], 0 offen offset:8
	buffer_load_dword v127, v123, s[0:3], 0 offen offset:12
	buffer_load_dword v130, v123, s[0:3], 0 offen
	buffer_load_dword v131, v123, s[0:3], 0 offen offset:4
	s_waitcnt vmcnt(2) lgkmcnt(0)
	v_mul_f64 v[132:133], v[3:4], v[126:127]
	v_mul_f64 v[126:127], v[1:2], v[126:127]
	s_waitcnt vmcnt(0)
	v_fma_f64 v[1:2], v[1:2], v[130:131], -v[132:133]
	v_fma_f64 v[3:4], v[3:4], v[130:131], v[126:127]
.LBB122_858:
	s_mov_b32 s8, exec_lo
	v_cmpx_ne_u32_e32 49, v0
	s_cbranch_execz .LBB122_862
; %bb.859:
	v_add_nc_u32_e32 v126, 0x3c0, v129
	v_add3_u32 v127, 0, v129, 16
	v_mov_b32_e32 v128, v0
	s_mov_b32 s66, 0
	.p2align	6
.LBB122_860:                            ; =>This Inner Loop Header: Depth=1
	s_clause 0x3
	buffer_load_dword v134, v127, s[0:3], 0 offen offset:8
	buffer_load_dword v135, v127, s[0:3], 0 offen offset:12
	buffer_load_dword v136, v127, s[0:3], 0 offen
	buffer_load_dword v137, v127, s[0:3], 0 offen offset:4
	ds_read_b128 v[130:133], v126
	v_add_nc_u32_e32 v128, 1, v128
	v_add_nc_u32_e32 v126, 16, v126
	;; [unrolled: 1-line block ×3, first 2 shown]
	v_cmp_lt_u32_e32 vcc_lo, 48, v128
	s_or_b32 s66, vcc_lo, s66
	s_waitcnt vmcnt(2) lgkmcnt(0)
	v_mul_f64 v[138:139], v[132:133], v[134:135]
	v_mul_f64 v[134:135], v[130:131], v[134:135]
	s_waitcnt vmcnt(0)
	v_fma_f64 v[130:131], v[130:131], v[136:137], -v[138:139]
	v_fma_f64 v[132:133], v[132:133], v[136:137], v[134:135]
	v_add_f64 v[1:2], v[1:2], v[130:131]
	v_add_f64 v[3:4], v[3:4], v[132:133]
	s_andn2_b32 exec_lo, exec_lo, s66
	s_cbranch_execnz .LBB122_860
; %bb.861:
	s_or_b32 exec_lo, exec_lo, s66
.LBB122_862:
	s_or_b32 exec_lo, exec_lo, s8
	v_mov_b32_e32 v126, 0
	ds_read_b128 v[130:133], v126 offset:800
	s_waitcnt lgkmcnt(0)
	v_mul_f64 v[126:127], v[3:4], v[132:133]
	v_mul_f64 v[132:133], v[1:2], v[132:133]
	v_fma_f64 v[1:2], v[1:2], v[130:131], -v[126:127]
	v_fma_f64 v[3:4], v[3:4], v[130:131], v[132:133]
	buffer_store_dword v2, off, s[0:3], 0 offset:804
	buffer_store_dword v1, off, s[0:3], 0 offset:800
	;; [unrolled: 1-line block ×4, first 2 shown]
.LBB122_863:
	s_or_b32 exec_lo, exec_lo, s4
	v_mov_b32_e32 v4, s14
	s_mov_b32 s4, exec_lo
	s_clause 0x3
	buffer_load_dword v1, v4, s[0:3], 0 offen
	buffer_load_dword v2, v4, s[0:3], 0 offen offset:4
	buffer_load_dword v3, v4, s[0:3], 0 offen offset:8
	buffer_load_dword v4, v4, s[0:3], 0 offen offset:12
	s_waitcnt vmcnt(0)
	ds_write_b128 v124, v[1:4]
	s_waitcnt lgkmcnt(0)
	s_waitcnt_vscnt null, 0x0
	s_barrier
	buffer_gl0_inv
	v_cmpx_gt_u32_e32 51, v0
	s_cbranch_execz .LBB122_871
; %bb.864:
	ds_read_b128 v[1:4], v124
	v_cmp_ne_u32_e32 vcc_lo, 1, v125
	s_cbranch_vccnz .LBB122_866
; %bb.865:
	s_clause 0x3
	buffer_load_dword v126, v123, s[0:3], 0 offen offset:8
	buffer_load_dword v127, v123, s[0:3], 0 offen offset:12
	buffer_load_dword v130, v123, s[0:3], 0 offen
	buffer_load_dword v131, v123, s[0:3], 0 offen offset:4
	s_waitcnt vmcnt(2) lgkmcnt(0)
	v_mul_f64 v[132:133], v[3:4], v[126:127]
	v_mul_f64 v[126:127], v[1:2], v[126:127]
	s_waitcnt vmcnt(0)
	v_fma_f64 v[1:2], v[1:2], v[130:131], -v[132:133]
	v_fma_f64 v[3:4], v[3:4], v[130:131], v[126:127]
.LBB122_866:
	s_mov_b32 s8, exec_lo
	v_cmpx_ne_u32_e32 50, v0
	s_cbranch_execz .LBB122_870
; %bb.867:
	v_add_nc_u32_e32 v126, 0x3c0, v129
	v_add3_u32 v127, 0, v129, 16
	v_mov_b32_e32 v128, v0
	s_mov_b32 s66, 0
	.p2align	6
.LBB122_868:                            ; =>This Inner Loop Header: Depth=1
	s_clause 0x3
	buffer_load_dword v134, v127, s[0:3], 0 offen offset:8
	buffer_load_dword v135, v127, s[0:3], 0 offen offset:12
	buffer_load_dword v136, v127, s[0:3], 0 offen
	buffer_load_dword v137, v127, s[0:3], 0 offen offset:4
	ds_read_b128 v[130:133], v126
	v_add_nc_u32_e32 v128, 1, v128
	v_add_nc_u32_e32 v126, 16, v126
	;; [unrolled: 1-line block ×3, first 2 shown]
	v_cmp_lt_u32_e32 vcc_lo, 49, v128
	s_or_b32 s66, vcc_lo, s66
	s_waitcnt vmcnt(2) lgkmcnt(0)
	v_mul_f64 v[138:139], v[132:133], v[134:135]
	v_mul_f64 v[134:135], v[130:131], v[134:135]
	s_waitcnt vmcnt(0)
	v_fma_f64 v[130:131], v[130:131], v[136:137], -v[138:139]
	v_fma_f64 v[132:133], v[132:133], v[136:137], v[134:135]
	v_add_f64 v[1:2], v[1:2], v[130:131]
	v_add_f64 v[3:4], v[3:4], v[132:133]
	s_andn2_b32 exec_lo, exec_lo, s66
	s_cbranch_execnz .LBB122_868
; %bb.869:
	s_or_b32 exec_lo, exec_lo, s66
.LBB122_870:
	s_or_b32 exec_lo, exec_lo, s8
	v_mov_b32_e32 v126, 0
	ds_read_b128 v[130:133], v126 offset:816
	s_waitcnt lgkmcnt(0)
	v_mul_f64 v[126:127], v[3:4], v[132:133]
	v_mul_f64 v[132:133], v[1:2], v[132:133]
	v_fma_f64 v[1:2], v[1:2], v[130:131], -v[126:127]
	v_fma_f64 v[3:4], v[3:4], v[130:131], v[132:133]
	buffer_store_dword v2, off, s[0:3], 0 offset:820
	buffer_store_dword v1, off, s[0:3], 0 offset:816
	;; [unrolled: 1-line block ×4, first 2 shown]
.LBB122_871:
	s_or_b32 exec_lo, exec_lo, s4
	v_mov_b32_e32 v4, s13
	s_mov_b32 s4, exec_lo
	s_clause 0x3
	buffer_load_dword v1, v4, s[0:3], 0 offen
	buffer_load_dword v2, v4, s[0:3], 0 offen offset:4
	buffer_load_dword v3, v4, s[0:3], 0 offen offset:8
	;; [unrolled: 1-line block ×3, first 2 shown]
	s_waitcnt vmcnt(0)
	ds_write_b128 v124, v[1:4]
	s_waitcnt lgkmcnt(0)
	s_waitcnt_vscnt null, 0x0
	s_barrier
	buffer_gl0_inv
	v_cmpx_gt_u32_e32 52, v0
	s_cbranch_execz .LBB122_879
; %bb.872:
	ds_read_b128 v[1:4], v124
	v_cmp_ne_u32_e32 vcc_lo, 1, v125
	s_cbranch_vccnz .LBB122_874
; %bb.873:
	s_clause 0x3
	buffer_load_dword v126, v123, s[0:3], 0 offen offset:8
	buffer_load_dword v127, v123, s[0:3], 0 offen offset:12
	buffer_load_dword v130, v123, s[0:3], 0 offen
	buffer_load_dword v131, v123, s[0:3], 0 offen offset:4
	s_waitcnt vmcnt(2) lgkmcnt(0)
	v_mul_f64 v[132:133], v[3:4], v[126:127]
	v_mul_f64 v[126:127], v[1:2], v[126:127]
	s_waitcnt vmcnt(0)
	v_fma_f64 v[1:2], v[1:2], v[130:131], -v[132:133]
	v_fma_f64 v[3:4], v[3:4], v[130:131], v[126:127]
.LBB122_874:
	s_mov_b32 s8, exec_lo
	v_cmpx_ne_u32_e32 51, v0
	s_cbranch_execz .LBB122_878
; %bb.875:
	v_add_nc_u32_e32 v126, 0x3c0, v129
	v_add3_u32 v127, 0, v129, 16
	v_mov_b32_e32 v128, v0
	s_mov_b32 s66, 0
	.p2align	6
.LBB122_876:                            ; =>This Inner Loop Header: Depth=1
	s_clause 0x3
	buffer_load_dword v134, v127, s[0:3], 0 offen offset:8
	buffer_load_dword v135, v127, s[0:3], 0 offen offset:12
	buffer_load_dword v136, v127, s[0:3], 0 offen
	buffer_load_dword v137, v127, s[0:3], 0 offen offset:4
	ds_read_b128 v[130:133], v126
	v_add_nc_u32_e32 v128, 1, v128
	v_add_nc_u32_e32 v126, 16, v126
	;; [unrolled: 1-line block ×3, first 2 shown]
	v_cmp_lt_u32_e32 vcc_lo, 50, v128
	s_or_b32 s66, vcc_lo, s66
	s_waitcnt vmcnt(2) lgkmcnt(0)
	v_mul_f64 v[138:139], v[132:133], v[134:135]
	v_mul_f64 v[134:135], v[130:131], v[134:135]
	s_waitcnt vmcnt(0)
	v_fma_f64 v[130:131], v[130:131], v[136:137], -v[138:139]
	v_fma_f64 v[132:133], v[132:133], v[136:137], v[134:135]
	v_add_f64 v[1:2], v[1:2], v[130:131]
	v_add_f64 v[3:4], v[3:4], v[132:133]
	s_andn2_b32 exec_lo, exec_lo, s66
	s_cbranch_execnz .LBB122_876
; %bb.877:
	s_or_b32 exec_lo, exec_lo, s66
.LBB122_878:
	s_or_b32 exec_lo, exec_lo, s8
	v_mov_b32_e32 v126, 0
	ds_read_b128 v[130:133], v126 offset:832
	s_waitcnt lgkmcnt(0)
	v_mul_f64 v[126:127], v[3:4], v[132:133]
	v_mul_f64 v[132:133], v[1:2], v[132:133]
	v_fma_f64 v[1:2], v[1:2], v[130:131], -v[126:127]
	v_fma_f64 v[3:4], v[3:4], v[130:131], v[132:133]
	buffer_store_dword v2, off, s[0:3], 0 offset:836
	buffer_store_dword v1, off, s[0:3], 0 offset:832
	;; [unrolled: 1-line block ×4, first 2 shown]
.LBB122_879:
	s_or_b32 exec_lo, exec_lo, s4
	v_mov_b32_e32 v4, s12
	s_mov_b32 s4, exec_lo
	s_clause 0x3
	buffer_load_dword v1, v4, s[0:3], 0 offen
	buffer_load_dword v2, v4, s[0:3], 0 offen offset:4
	buffer_load_dword v3, v4, s[0:3], 0 offen offset:8
	;; [unrolled: 1-line block ×3, first 2 shown]
	s_waitcnt vmcnt(0)
	ds_write_b128 v124, v[1:4]
	s_waitcnt lgkmcnt(0)
	s_waitcnt_vscnt null, 0x0
	s_barrier
	buffer_gl0_inv
	v_cmpx_gt_u32_e32 53, v0
	s_cbranch_execz .LBB122_887
; %bb.880:
	ds_read_b128 v[1:4], v124
	v_cmp_ne_u32_e32 vcc_lo, 1, v125
	s_cbranch_vccnz .LBB122_882
; %bb.881:
	s_clause 0x3
	buffer_load_dword v126, v123, s[0:3], 0 offen offset:8
	buffer_load_dword v127, v123, s[0:3], 0 offen offset:12
	buffer_load_dword v130, v123, s[0:3], 0 offen
	buffer_load_dword v131, v123, s[0:3], 0 offen offset:4
	s_waitcnt vmcnt(2) lgkmcnt(0)
	v_mul_f64 v[132:133], v[3:4], v[126:127]
	v_mul_f64 v[126:127], v[1:2], v[126:127]
	s_waitcnt vmcnt(0)
	v_fma_f64 v[1:2], v[1:2], v[130:131], -v[132:133]
	v_fma_f64 v[3:4], v[3:4], v[130:131], v[126:127]
.LBB122_882:
	s_mov_b32 s8, exec_lo
	v_cmpx_ne_u32_e32 52, v0
	s_cbranch_execz .LBB122_886
; %bb.883:
	v_add_nc_u32_e32 v126, 0x3c0, v129
	v_add3_u32 v127, 0, v129, 16
	v_mov_b32_e32 v128, v0
	s_mov_b32 s66, 0
	.p2align	6
.LBB122_884:                            ; =>This Inner Loop Header: Depth=1
	s_clause 0x3
	buffer_load_dword v134, v127, s[0:3], 0 offen offset:8
	buffer_load_dword v135, v127, s[0:3], 0 offen offset:12
	buffer_load_dword v136, v127, s[0:3], 0 offen
	buffer_load_dword v137, v127, s[0:3], 0 offen offset:4
	ds_read_b128 v[130:133], v126
	v_add_nc_u32_e32 v128, 1, v128
	v_add_nc_u32_e32 v126, 16, v126
	;; [unrolled: 1-line block ×3, first 2 shown]
	v_cmp_lt_u32_e32 vcc_lo, 51, v128
	s_or_b32 s66, vcc_lo, s66
	s_waitcnt vmcnt(2) lgkmcnt(0)
	v_mul_f64 v[138:139], v[132:133], v[134:135]
	v_mul_f64 v[134:135], v[130:131], v[134:135]
	s_waitcnt vmcnt(0)
	v_fma_f64 v[130:131], v[130:131], v[136:137], -v[138:139]
	v_fma_f64 v[132:133], v[132:133], v[136:137], v[134:135]
	v_add_f64 v[1:2], v[1:2], v[130:131]
	v_add_f64 v[3:4], v[3:4], v[132:133]
	s_andn2_b32 exec_lo, exec_lo, s66
	s_cbranch_execnz .LBB122_884
; %bb.885:
	s_or_b32 exec_lo, exec_lo, s66
.LBB122_886:
	s_or_b32 exec_lo, exec_lo, s8
	v_mov_b32_e32 v126, 0
	ds_read_b128 v[130:133], v126 offset:848
	s_waitcnt lgkmcnt(0)
	v_mul_f64 v[126:127], v[3:4], v[132:133]
	v_mul_f64 v[132:133], v[1:2], v[132:133]
	v_fma_f64 v[1:2], v[1:2], v[130:131], -v[126:127]
	v_fma_f64 v[3:4], v[3:4], v[130:131], v[132:133]
	buffer_store_dword v2, off, s[0:3], 0 offset:852
	buffer_store_dword v1, off, s[0:3], 0 offset:848
	;; [unrolled: 1-line block ×4, first 2 shown]
.LBB122_887:
	s_or_b32 exec_lo, exec_lo, s4
	v_mov_b32_e32 v4, s11
	s_mov_b32 s4, exec_lo
	s_clause 0x3
	buffer_load_dword v1, v4, s[0:3], 0 offen
	buffer_load_dword v2, v4, s[0:3], 0 offen offset:4
	buffer_load_dword v3, v4, s[0:3], 0 offen offset:8
	;; [unrolled: 1-line block ×3, first 2 shown]
	s_waitcnt vmcnt(0)
	ds_write_b128 v124, v[1:4]
	s_waitcnt lgkmcnt(0)
	s_waitcnt_vscnt null, 0x0
	s_barrier
	buffer_gl0_inv
	v_cmpx_gt_u32_e32 54, v0
	s_cbranch_execz .LBB122_895
; %bb.888:
	ds_read_b128 v[1:4], v124
	v_cmp_ne_u32_e32 vcc_lo, 1, v125
	s_cbranch_vccnz .LBB122_890
; %bb.889:
	s_clause 0x3
	buffer_load_dword v126, v123, s[0:3], 0 offen offset:8
	buffer_load_dword v127, v123, s[0:3], 0 offen offset:12
	buffer_load_dword v130, v123, s[0:3], 0 offen
	buffer_load_dword v131, v123, s[0:3], 0 offen offset:4
	s_waitcnt vmcnt(2) lgkmcnt(0)
	v_mul_f64 v[132:133], v[3:4], v[126:127]
	v_mul_f64 v[126:127], v[1:2], v[126:127]
	s_waitcnt vmcnt(0)
	v_fma_f64 v[1:2], v[1:2], v[130:131], -v[132:133]
	v_fma_f64 v[3:4], v[3:4], v[130:131], v[126:127]
.LBB122_890:
	s_mov_b32 s8, exec_lo
	v_cmpx_ne_u32_e32 53, v0
	s_cbranch_execz .LBB122_894
; %bb.891:
	v_add_nc_u32_e32 v126, 0x3c0, v129
	v_add3_u32 v127, 0, v129, 16
	v_mov_b32_e32 v128, v0
	s_mov_b32 s66, 0
	.p2align	6
.LBB122_892:                            ; =>This Inner Loop Header: Depth=1
	s_clause 0x3
	buffer_load_dword v134, v127, s[0:3], 0 offen offset:8
	buffer_load_dword v135, v127, s[0:3], 0 offen offset:12
	buffer_load_dword v136, v127, s[0:3], 0 offen
	buffer_load_dword v137, v127, s[0:3], 0 offen offset:4
	ds_read_b128 v[130:133], v126
	v_add_nc_u32_e32 v128, 1, v128
	v_add_nc_u32_e32 v126, 16, v126
	;; [unrolled: 1-line block ×3, first 2 shown]
	v_cmp_lt_u32_e32 vcc_lo, 52, v128
	s_or_b32 s66, vcc_lo, s66
	s_waitcnt vmcnt(2) lgkmcnt(0)
	v_mul_f64 v[138:139], v[132:133], v[134:135]
	v_mul_f64 v[134:135], v[130:131], v[134:135]
	s_waitcnt vmcnt(0)
	v_fma_f64 v[130:131], v[130:131], v[136:137], -v[138:139]
	v_fma_f64 v[132:133], v[132:133], v[136:137], v[134:135]
	v_add_f64 v[1:2], v[1:2], v[130:131]
	v_add_f64 v[3:4], v[3:4], v[132:133]
	s_andn2_b32 exec_lo, exec_lo, s66
	s_cbranch_execnz .LBB122_892
; %bb.893:
	s_or_b32 exec_lo, exec_lo, s66
.LBB122_894:
	s_or_b32 exec_lo, exec_lo, s8
	v_mov_b32_e32 v126, 0
	ds_read_b128 v[130:133], v126 offset:864
	s_waitcnt lgkmcnt(0)
	v_mul_f64 v[126:127], v[3:4], v[132:133]
	v_mul_f64 v[132:133], v[1:2], v[132:133]
	v_fma_f64 v[1:2], v[1:2], v[130:131], -v[126:127]
	v_fma_f64 v[3:4], v[3:4], v[130:131], v[132:133]
	buffer_store_dword v2, off, s[0:3], 0 offset:868
	buffer_store_dword v1, off, s[0:3], 0 offset:864
	buffer_store_dword v4, off, s[0:3], 0 offset:876
	buffer_store_dword v3, off, s[0:3], 0 offset:872
.LBB122_895:
	s_or_b32 exec_lo, exec_lo, s4
	v_mov_b32_e32 v4, s10
	s_mov_b32 s4, exec_lo
	s_clause 0x3
	buffer_load_dword v1, v4, s[0:3], 0 offen
	buffer_load_dword v2, v4, s[0:3], 0 offen offset:4
	buffer_load_dword v3, v4, s[0:3], 0 offen offset:8
	;; [unrolled: 1-line block ×3, first 2 shown]
	s_waitcnt vmcnt(0)
	ds_write_b128 v124, v[1:4]
	s_waitcnt lgkmcnt(0)
	s_waitcnt_vscnt null, 0x0
	s_barrier
	buffer_gl0_inv
	v_cmpx_gt_u32_e32 55, v0
	s_cbranch_execz .LBB122_903
; %bb.896:
	ds_read_b128 v[1:4], v124
	v_cmp_ne_u32_e32 vcc_lo, 1, v125
	s_cbranch_vccnz .LBB122_898
; %bb.897:
	s_clause 0x3
	buffer_load_dword v126, v123, s[0:3], 0 offen offset:8
	buffer_load_dword v127, v123, s[0:3], 0 offen offset:12
	buffer_load_dword v130, v123, s[0:3], 0 offen
	buffer_load_dword v131, v123, s[0:3], 0 offen offset:4
	s_waitcnt vmcnt(2) lgkmcnt(0)
	v_mul_f64 v[132:133], v[3:4], v[126:127]
	v_mul_f64 v[126:127], v[1:2], v[126:127]
	s_waitcnt vmcnt(0)
	v_fma_f64 v[1:2], v[1:2], v[130:131], -v[132:133]
	v_fma_f64 v[3:4], v[3:4], v[130:131], v[126:127]
.LBB122_898:
	s_mov_b32 s8, exec_lo
	v_cmpx_ne_u32_e32 54, v0
	s_cbranch_execz .LBB122_902
; %bb.899:
	v_add_nc_u32_e32 v126, 0x3c0, v129
	v_add3_u32 v127, 0, v129, 16
	v_mov_b32_e32 v128, v0
	s_mov_b32 s66, 0
	.p2align	6
.LBB122_900:                            ; =>This Inner Loop Header: Depth=1
	s_clause 0x3
	buffer_load_dword v134, v127, s[0:3], 0 offen offset:8
	buffer_load_dword v135, v127, s[0:3], 0 offen offset:12
	buffer_load_dword v136, v127, s[0:3], 0 offen
	buffer_load_dword v137, v127, s[0:3], 0 offen offset:4
	ds_read_b128 v[130:133], v126
	v_add_nc_u32_e32 v128, 1, v128
	v_add_nc_u32_e32 v126, 16, v126
	;; [unrolled: 1-line block ×3, first 2 shown]
	v_cmp_lt_u32_e32 vcc_lo, 53, v128
	s_or_b32 s66, vcc_lo, s66
	s_waitcnt vmcnt(2) lgkmcnt(0)
	v_mul_f64 v[138:139], v[132:133], v[134:135]
	v_mul_f64 v[134:135], v[130:131], v[134:135]
	s_waitcnt vmcnt(0)
	v_fma_f64 v[130:131], v[130:131], v[136:137], -v[138:139]
	v_fma_f64 v[132:133], v[132:133], v[136:137], v[134:135]
	v_add_f64 v[1:2], v[1:2], v[130:131]
	v_add_f64 v[3:4], v[3:4], v[132:133]
	s_andn2_b32 exec_lo, exec_lo, s66
	s_cbranch_execnz .LBB122_900
; %bb.901:
	s_or_b32 exec_lo, exec_lo, s66
.LBB122_902:
	s_or_b32 exec_lo, exec_lo, s8
	v_mov_b32_e32 v126, 0
	ds_read_b128 v[130:133], v126 offset:880
	s_waitcnt lgkmcnt(0)
	v_mul_f64 v[126:127], v[3:4], v[132:133]
	v_mul_f64 v[132:133], v[1:2], v[132:133]
	v_fma_f64 v[1:2], v[1:2], v[130:131], -v[126:127]
	v_fma_f64 v[3:4], v[3:4], v[130:131], v[132:133]
	buffer_store_dword v2, off, s[0:3], 0 offset:884
	buffer_store_dword v1, off, s[0:3], 0 offset:880
	;; [unrolled: 1-line block ×4, first 2 shown]
.LBB122_903:
	s_or_b32 exec_lo, exec_lo, s4
	v_mov_b32_e32 v4, s9
	s_mov_b32 s4, exec_lo
	s_clause 0x3
	buffer_load_dword v1, v4, s[0:3], 0 offen
	buffer_load_dword v2, v4, s[0:3], 0 offen offset:4
	buffer_load_dword v3, v4, s[0:3], 0 offen offset:8
	;; [unrolled: 1-line block ×3, first 2 shown]
	s_waitcnt vmcnt(0)
	ds_write_b128 v124, v[1:4]
	s_waitcnt lgkmcnt(0)
	s_waitcnt_vscnt null, 0x0
	s_barrier
	buffer_gl0_inv
	v_cmpx_gt_u32_e32 56, v0
	s_cbranch_execz .LBB122_911
; %bb.904:
	ds_read_b128 v[1:4], v124
	v_cmp_ne_u32_e32 vcc_lo, 1, v125
	s_cbranch_vccnz .LBB122_906
; %bb.905:
	s_clause 0x3
	buffer_load_dword v126, v123, s[0:3], 0 offen offset:8
	buffer_load_dword v127, v123, s[0:3], 0 offen offset:12
	buffer_load_dword v130, v123, s[0:3], 0 offen
	buffer_load_dword v131, v123, s[0:3], 0 offen offset:4
	s_waitcnt vmcnt(2) lgkmcnt(0)
	v_mul_f64 v[132:133], v[3:4], v[126:127]
	v_mul_f64 v[126:127], v[1:2], v[126:127]
	s_waitcnt vmcnt(0)
	v_fma_f64 v[1:2], v[1:2], v[130:131], -v[132:133]
	v_fma_f64 v[3:4], v[3:4], v[130:131], v[126:127]
.LBB122_906:
	s_mov_b32 s8, exec_lo
	v_cmpx_ne_u32_e32 55, v0
	s_cbranch_execz .LBB122_910
; %bb.907:
	v_add_nc_u32_e32 v126, 0x3c0, v129
	v_add3_u32 v127, 0, v129, 16
	v_mov_b32_e32 v128, v0
	s_mov_b32 s66, 0
	.p2align	6
.LBB122_908:                            ; =>This Inner Loop Header: Depth=1
	s_clause 0x3
	buffer_load_dword v134, v127, s[0:3], 0 offen offset:8
	buffer_load_dword v135, v127, s[0:3], 0 offen offset:12
	buffer_load_dword v136, v127, s[0:3], 0 offen
	buffer_load_dword v137, v127, s[0:3], 0 offen offset:4
	ds_read_b128 v[130:133], v126
	v_add_nc_u32_e32 v128, 1, v128
	v_add_nc_u32_e32 v126, 16, v126
	;; [unrolled: 1-line block ×3, first 2 shown]
	v_cmp_lt_u32_e32 vcc_lo, 54, v128
	s_or_b32 s66, vcc_lo, s66
	s_waitcnt vmcnt(2) lgkmcnt(0)
	v_mul_f64 v[138:139], v[132:133], v[134:135]
	v_mul_f64 v[134:135], v[130:131], v[134:135]
	s_waitcnt vmcnt(0)
	v_fma_f64 v[130:131], v[130:131], v[136:137], -v[138:139]
	v_fma_f64 v[132:133], v[132:133], v[136:137], v[134:135]
	v_add_f64 v[1:2], v[1:2], v[130:131]
	v_add_f64 v[3:4], v[3:4], v[132:133]
	s_andn2_b32 exec_lo, exec_lo, s66
	s_cbranch_execnz .LBB122_908
; %bb.909:
	s_or_b32 exec_lo, exec_lo, s66
.LBB122_910:
	s_or_b32 exec_lo, exec_lo, s8
	v_mov_b32_e32 v126, 0
	ds_read_b128 v[130:133], v126 offset:896
	s_waitcnt lgkmcnt(0)
	v_mul_f64 v[126:127], v[3:4], v[132:133]
	v_mul_f64 v[132:133], v[1:2], v[132:133]
	v_fma_f64 v[1:2], v[1:2], v[130:131], -v[126:127]
	v_fma_f64 v[3:4], v[3:4], v[130:131], v[132:133]
	buffer_store_dword v2, off, s[0:3], 0 offset:900
	buffer_store_dword v1, off, s[0:3], 0 offset:896
	;; [unrolled: 1-line block ×4, first 2 shown]
.LBB122_911:
	s_or_b32 exec_lo, exec_lo, s4
	v_mov_b32_e32 v4, s7
	v_cmp_gt_u32_e64 s4, 57, v0
	s_clause 0x3
	buffer_load_dword v1, v4, s[0:3], 0 offen
	buffer_load_dword v2, v4, s[0:3], 0 offen offset:4
	buffer_load_dword v3, v4, s[0:3], 0 offen offset:8
	;; [unrolled: 1-line block ×3, first 2 shown]
	s_waitcnt vmcnt(0)
	ds_write_b128 v124, v[1:4]
	s_waitcnt lgkmcnt(0)
	s_waitcnt_vscnt null, 0x0
	s_barrier
	buffer_gl0_inv
	s_and_saveexec_b32 s8, s4
	s_cbranch_execz .LBB122_919
; %bb.912:
	ds_read_b128 v[1:4], v124
	v_cmp_ne_u32_e32 vcc_lo, 1, v125
	s_cbranch_vccnz .LBB122_914
; %bb.913:
	s_clause 0x3
	buffer_load_dword v126, v123, s[0:3], 0 offen offset:8
	buffer_load_dword v127, v123, s[0:3], 0 offen offset:12
	buffer_load_dword v130, v123, s[0:3], 0 offen
	buffer_load_dword v131, v123, s[0:3], 0 offen offset:4
	s_waitcnt vmcnt(2) lgkmcnt(0)
	v_mul_f64 v[132:133], v[3:4], v[126:127]
	v_mul_f64 v[126:127], v[1:2], v[126:127]
	s_waitcnt vmcnt(0)
	v_fma_f64 v[1:2], v[1:2], v[130:131], -v[132:133]
	v_fma_f64 v[3:4], v[3:4], v[130:131], v[126:127]
.LBB122_914:
	s_mov_b32 s66, exec_lo
	v_cmpx_ne_u32_e32 56, v0
	s_cbranch_execz .LBB122_918
; %bb.915:
	v_add_nc_u32_e32 v126, 0x3c0, v129
	v_add3_u32 v127, 0, v129, 16
	v_mov_b32_e32 v128, v0
	s_mov_b32 s67, 0
	.p2align	6
.LBB122_916:                            ; =>This Inner Loop Header: Depth=1
	s_clause 0x3
	buffer_load_dword v134, v127, s[0:3], 0 offen offset:8
	buffer_load_dword v135, v127, s[0:3], 0 offen offset:12
	buffer_load_dword v136, v127, s[0:3], 0 offen
	buffer_load_dword v137, v127, s[0:3], 0 offen offset:4
	ds_read_b128 v[130:133], v126
	v_add_nc_u32_e32 v128, 1, v128
	v_add_nc_u32_e32 v126, 16, v126
	;; [unrolled: 1-line block ×3, first 2 shown]
	v_cmp_lt_u32_e32 vcc_lo, 55, v128
	s_or_b32 s67, vcc_lo, s67
	s_waitcnt vmcnt(2) lgkmcnt(0)
	v_mul_f64 v[138:139], v[132:133], v[134:135]
	v_mul_f64 v[134:135], v[130:131], v[134:135]
	s_waitcnt vmcnt(0)
	v_fma_f64 v[130:131], v[130:131], v[136:137], -v[138:139]
	v_fma_f64 v[132:133], v[132:133], v[136:137], v[134:135]
	v_add_f64 v[1:2], v[1:2], v[130:131]
	v_add_f64 v[3:4], v[3:4], v[132:133]
	s_andn2_b32 exec_lo, exec_lo, s67
	s_cbranch_execnz .LBB122_916
; %bb.917:
	s_or_b32 exec_lo, exec_lo, s67
.LBB122_918:
	s_or_b32 exec_lo, exec_lo, s66
	v_mov_b32_e32 v126, 0
	ds_read_b128 v[130:133], v126 offset:912
	s_waitcnt lgkmcnt(0)
	v_mul_f64 v[126:127], v[3:4], v[132:133]
	v_mul_f64 v[132:133], v[1:2], v[132:133]
	v_fma_f64 v[1:2], v[1:2], v[130:131], -v[126:127]
	v_fma_f64 v[3:4], v[3:4], v[130:131], v[132:133]
	buffer_store_dword v2, off, s[0:3], 0 offset:916
	buffer_store_dword v1, off, s[0:3], 0 offset:912
	;; [unrolled: 1-line block ×4, first 2 shown]
.LBB122_919:
	s_or_b32 exec_lo, exec_lo, s8
	v_mov_b32_e32 v4, s6
	s_mov_b32 s8, exec_lo
                                        ; implicit-def: $sgpr68
	s_clause 0x3
	buffer_load_dword v1, v4, s[0:3], 0 offen
	buffer_load_dword v2, v4, s[0:3], 0 offen offset:4
	buffer_load_dword v3, v4, s[0:3], 0 offen offset:8
	;; [unrolled: 1-line block ×3, first 2 shown]
	s_waitcnt vmcnt(0)
	ds_write_b128 v124, v[1:4]
	s_waitcnt lgkmcnt(0)
	s_waitcnt_vscnt null, 0x0
	s_barrier
	buffer_gl0_inv
                                        ; implicit-def: $vgpr1_vgpr2
	v_cmpx_ne_u32_e32 58, v0
	s_cbranch_execz .LBB122_927
; %bb.920:
	ds_read_b128 v[1:4], v124
	v_cmp_ne_u32_e32 vcc_lo, 1, v125
	s_cbranch_vccnz .LBB122_922
; %bb.921:
	s_clause 0x3
	buffer_load_dword v124, v123, s[0:3], 0 offen offset:8
	buffer_load_dword v125, v123, s[0:3], 0 offen offset:12
	buffer_load_dword v126, v123, s[0:3], 0 offen
	buffer_load_dword v127, v123, s[0:3], 0 offen offset:4
	s_waitcnt vmcnt(2) lgkmcnt(0)
	v_mul_f64 v[130:131], v[3:4], v[124:125]
	v_mul_f64 v[123:124], v[1:2], v[124:125]
	s_waitcnt vmcnt(0)
	v_fma_f64 v[1:2], v[1:2], v[126:127], -v[130:131]
	v_fma_f64 v[3:4], v[3:4], v[126:127], v[123:124]
.LBB122_922:
	s_and_saveexec_b32 s66, s4
	s_cbranch_execz .LBB122_926
; %bb.923:
	v_add_nc_u32_e32 v123, 0x3c0, v129
	v_add3_u32 v124, 0, v129, 16
	s_mov_b32 s4, 0
	.p2align	6
.LBB122_924:                            ; =>This Inner Loop Header: Depth=1
	s_clause 0x3
	buffer_load_dword v129, v124, s[0:3], 0 offen offset:8
	buffer_load_dword v130, v124, s[0:3], 0 offen offset:12
	buffer_load_dword v131, v124, s[0:3], 0 offen
	buffer_load_dword v132, v124, s[0:3], 0 offen offset:4
	ds_read_b128 v[125:128], v123
	v_add_nc_u32_e32 v0, 1, v0
	v_add_nc_u32_e32 v123, 16, v123
	;; [unrolled: 1-line block ×3, first 2 shown]
	v_cmp_lt_u32_e32 vcc_lo, 56, v0
	s_or_b32 s4, vcc_lo, s4
	s_waitcnt vmcnt(2) lgkmcnt(0)
	v_mul_f64 v[133:134], v[127:128], v[129:130]
	v_mul_f64 v[129:130], v[125:126], v[129:130]
	s_waitcnt vmcnt(0)
	v_fma_f64 v[125:126], v[125:126], v[131:132], -v[133:134]
	v_fma_f64 v[127:128], v[127:128], v[131:132], v[129:130]
	v_add_f64 v[1:2], v[1:2], v[125:126]
	v_add_f64 v[3:4], v[3:4], v[127:128]
	s_andn2_b32 exec_lo, exec_lo, s4
	s_cbranch_execnz .LBB122_924
; %bb.925:
	s_or_b32 exec_lo, exec_lo, s4
.LBB122_926:
	s_or_b32 exec_lo, exec_lo, s66
	v_mov_b32_e32 v0, 0
	s_movk_i32 s68, 0x3a8
	s_or_b32 s5, s5, exec_lo
	ds_read_b128 v[123:126], v0 offset:928
	s_waitcnt lgkmcnt(0)
	v_mul_f64 v[127:128], v[3:4], v[125:126]
	v_mul_f64 v[125:126], v[1:2], v[125:126]
	v_fma_f64 v[127:128], v[1:2], v[123:124], -v[127:128]
	v_fma_f64 v[1:2], v[3:4], v[123:124], v[125:126]
	buffer_store_dword v128, off, s[0:3], 0 offset:932
	buffer_store_dword v127, off, s[0:3], 0 offset:928
.LBB122_927:
	s_or_b32 exec_lo, exec_lo, s8
.LBB122_928:
	s_and_saveexec_b32 s4, s5
	s_cbranch_execz .LBB122_930
; %bb.929:
	v_mov_b32_e32 v0, s68
	buffer_store_dword v2, v0, s[0:3], 0 offen offset:4
	buffer_store_dword v1, v0, s[0:3], 0 offen
.LBB122_930:
	s_or_b32 exec_lo, exec_lo, s4
	s_clause 0x3
	buffer_load_dword v0, off, s[0:3], 0
	buffer_load_dword v1, off, s[0:3], 0 offset:4
	buffer_load_dword v2, off, s[0:3], 0 offset:8
	;; [unrolled: 1-line block ×3, first 2 shown]
	v_mov_b32_e32 v4, s65
	s_waitcnt vmcnt(0)
	flat_store_dwordx4 v[5:6], v[0:3]
	s_clause 0x3
	buffer_load_dword v0, v4, s[0:3], 0 offen
	buffer_load_dword v1, v4, s[0:3], 0 offen offset:4
	buffer_load_dword v2, v4, s[0:3], 0 offen offset:8
	buffer_load_dword v3, v4, s[0:3], 0 offen offset:12
	v_mov_b32_e32 v4, s64
	s_waitcnt vmcnt(0)
	flat_store_dwordx4 v[59:60], v[0:3]
	s_clause 0x3
	buffer_load_dword v0, v4, s[0:3], 0 offen
	buffer_load_dword v1, v4, s[0:3], 0 offen offset:4
	buffer_load_dword v2, v4, s[0:3], 0 offen offset:8
	buffer_load_dword v3, v4, s[0:3], 0 offen offset:12
	;; [unrolled: 8-line block ×58, first 2 shown]
	s_waitcnt vmcnt(0)
	flat_store_dwordx4 v[121:122], v[0:3]
.LBB122_931:
	s_endpgm
	.section	.rodata,"a",@progbits
	.p2align	6, 0x0
	.amdhsa_kernel _ZN9rocsolver6v33100L18trti2_kernel_smallILi59E19rocblas_complex_numIdEPKPS3_EEv13rocblas_fill_17rocblas_diagonal_T1_iil
		.amdhsa_group_segment_fixed_size 1888
		.amdhsa_private_segment_fixed_size 960
		.amdhsa_kernarg_size 32
		.amdhsa_user_sgpr_count 6
		.amdhsa_user_sgpr_private_segment_buffer 1
		.amdhsa_user_sgpr_dispatch_ptr 0
		.amdhsa_user_sgpr_queue_ptr 0
		.amdhsa_user_sgpr_kernarg_segment_ptr 1
		.amdhsa_user_sgpr_dispatch_id 0
		.amdhsa_user_sgpr_flat_scratch_init 0
		.amdhsa_user_sgpr_private_segment_size 0
		.amdhsa_wavefront_size32 1
		.amdhsa_uses_dynamic_stack 0
		.amdhsa_system_sgpr_private_segment_wavefront_offset 1
		.amdhsa_system_sgpr_workgroup_id_x 1
		.amdhsa_system_sgpr_workgroup_id_y 0
		.amdhsa_system_sgpr_workgroup_id_z 0
		.amdhsa_system_sgpr_workgroup_info 0
		.amdhsa_system_vgpr_workitem_id 0
		.amdhsa_next_free_vgpr 140
		.amdhsa_next_free_sgpr 93
		.amdhsa_reserve_vcc 1
		.amdhsa_reserve_flat_scratch 0
		.amdhsa_float_round_mode_32 0
		.amdhsa_float_round_mode_16_64 0
		.amdhsa_float_denorm_mode_32 3
		.amdhsa_float_denorm_mode_16_64 3
		.amdhsa_dx10_clamp 1
		.amdhsa_ieee_mode 1
		.amdhsa_fp16_overflow 0
		.amdhsa_workgroup_processor_mode 1
		.amdhsa_memory_ordered 1
		.amdhsa_forward_progress 1
		.amdhsa_shared_vgpr_count 0
		.amdhsa_exception_fp_ieee_invalid_op 0
		.amdhsa_exception_fp_denorm_src 0
		.amdhsa_exception_fp_ieee_div_zero 0
		.amdhsa_exception_fp_ieee_overflow 0
		.amdhsa_exception_fp_ieee_underflow 0
		.amdhsa_exception_fp_ieee_inexact 0
		.amdhsa_exception_int_div_zero 0
	.end_amdhsa_kernel
	.section	.text._ZN9rocsolver6v33100L18trti2_kernel_smallILi59E19rocblas_complex_numIdEPKPS3_EEv13rocblas_fill_17rocblas_diagonal_T1_iil,"axG",@progbits,_ZN9rocsolver6v33100L18trti2_kernel_smallILi59E19rocblas_complex_numIdEPKPS3_EEv13rocblas_fill_17rocblas_diagonal_T1_iil,comdat
.Lfunc_end122:
	.size	_ZN9rocsolver6v33100L18trti2_kernel_smallILi59E19rocblas_complex_numIdEPKPS3_EEv13rocblas_fill_17rocblas_diagonal_T1_iil, .Lfunc_end122-_ZN9rocsolver6v33100L18trti2_kernel_smallILi59E19rocblas_complex_numIdEPKPS3_EEv13rocblas_fill_17rocblas_diagonal_T1_iil
                                        ; -- End function
	.set _ZN9rocsolver6v33100L18trti2_kernel_smallILi59E19rocblas_complex_numIdEPKPS3_EEv13rocblas_fill_17rocblas_diagonal_T1_iil.num_vgpr, 140
	.set _ZN9rocsolver6v33100L18trti2_kernel_smallILi59E19rocblas_complex_numIdEPKPS3_EEv13rocblas_fill_17rocblas_diagonal_T1_iil.num_agpr, 0
	.set _ZN9rocsolver6v33100L18trti2_kernel_smallILi59E19rocblas_complex_numIdEPKPS3_EEv13rocblas_fill_17rocblas_diagonal_T1_iil.numbered_sgpr, 93
	.set _ZN9rocsolver6v33100L18trti2_kernel_smallILi59E19rocblas_complex_numIdEPKPS3_EEv13rocblas_fill_17rocblas_diagonal_T1_iil.num_named_barrier, 0
	.set _ZN9rocsolver6v33100L18trti2_kernel_smallILi59E19rocblas_complex_numIdEPKPS3_EEv13rocblas_fill_17rocblas_diagonal_T1_iil.private_seg_size, 960
	.set _ZN9rocsolver6v33100L18trti2_kernel_smallILi59E19rocblas_complex_numIdEPKPS3_EEv13rocblas_fill_17rocblas_diagonal_T1_iil.uses_vcc, 1
	.set _ZN9rocsolver6v33100L18trti2_kernel_smallILi59E19rocblas_complex_numIdEPKPS3_EEv13rocblas_fill_17rocblas_diagonal_T1_iil.uses_flat_scratch, 0
	.set _ZN9rocsolver6v33100L18trti2_kernel_smallILi59E19rocblas_complex_numIdEPKPS3_EEv13rocblas_fill_17rocblas_diagonal_T1_iil.has_dyn_sized_stack, 0
	.set _ZN9rocsolver6v33100L18trti2_kernel_smallILi59E19rocblas_complex_numIdEPKPS3_EEv13rocblas_fill_17rocblas_diagonal_T1_iil.has_recursion, 0
	.set _ZN9rocsolver6v33100L18trti2_kernel_smallILi59E19rocblas_complex_numIdEPKPS3_EEv13rocblas_fill_17rocblas_diagonal_T1_iil.has_indirect_call, 0
	.section	.AMDGPU.csdata,"",@progbits
; Kernel info:
; codeLenInByte = 60208
; TotalNumSgprs: 95
; NumVgprs: 140
; ScratchSize: 960
; MemoryBound: 0
; FloatMode: 240
; IeeeMode: 1
; LDSByteSize: 1888 bytes/workgroup (compile time only)
; SGPRBlocks: 0
; VGPRBlocks: 17
; NumSGPRsForWavesPerEU: 95
; NumVGPRsForWavesPerEU: 140
; Occupancy: 7
; WaveLimiterHint : 1
; COMPUTE_PGM_RSRC2:SCRATCH_EN: 1
; COMPUTE_PGM_RSRC2:USER_SGPR: 6
; COMPUTE_PGM_RSRC2:TRAP_HANDLER: 0
; COMPUTE_PGM_RSRC2:TGID_X_EN: 1
; COMPUTE_PGM_RSRC2:TGID_Y_EN: 0
; COMPUTE_PGM_RSRC2:TGID_Z_EN: 0
; COMPUTE_PGM_RSRC2:TIDIG_COMP_CNT: 0
	.section	.text._ZN9rocsolver6v33100L18trti2_kernel_smallILi60E19rocblas_complex_numIdEPKPS3_EEv13rocblas_fill_17rocblas_diagonal_T1_iil,"axG",@progbits,_ZN9rocsolver6v33100L18trti2_kernel_smallILi60E19rocblas_complex_numIdEPKPS3_EEv13rocblas_fill_17rocblas_diagonal_T1_iil,comdat
	.globl	_ZN9rocsolver6v33100L18trti2_kernel_smallILi60E19rocblas_complex_numIdEPKPS3_EEv13rocblas_fill_17rocblas_diagonal_T1_iil ; -- Begin function _ZN9rocsolver6v33100L18trti2_kernel_smallILi60E19rocblas_complex_numIdEPKPS3_EEv13rocblas_fill_17rocblas_diagonal_T1_iil
	.p2align	8
	.type	_ZN9rocsolver6v33100L18trti2_kernel_smallILi60E19rocblas_complex_numIdEPKPS3_EEv13rocblas_fill_17rocblas_diagonal_T1_iil,@function
_ZN9rocsolver6v33100L18trti2_kernel_smallILi60E19rocblas_complex_numIdEPKPS3_EEv13rocblas_fill_17rocblas_diagonal_T1_iil: ; @_ZN9rocsolver6v33100L18trti2_kernel_smallILi60E19rocblas_complex_numIdEPKPS3_EEv13rocblas_fill_17rocblas_diagonal_T1_iil
; %bb.0:
	s_add_u32 s0, s0, s7
	s_addc_u32 s1, s1, 0
	s_mov_b32 s7, exec_lo
	v_cmpx_gt_u32_e32 60, v0
	s_cbranch_execz .LBB123_947
; %bb.1:
	s_clause 0x1
	s_load_dwordx2 s[12:13], s[4:5], 0x10
	s_load_dwordx4 s[8:11], s[4:5], 0x0
	s_ashr_i32 s7, s6, 31
	v_lshlrev_b32_e32 v131, 4, v0
	s_lshl_b64 s[4:5], s[6:7], 3
	s_movk_i32 s14, 0xd0
	s_movk_i32 s15, 0xe0
	;; [unrolled: 1-line block ×15, first 2 shown]
	s_waitcnt lgkmcnt(0)
	s_ashr_i32 s7, s12, 31
	s_add_u32 s4, s10, s4
	s_addc_u32 s5, s11, s5
	s_mov_b32 s6, s12
	s_load_dwordx2 s[4:5], s[4:5], 0x0
	s_lshl_b64 s[6:7], s[6:7], 4
	v_add3_u32 v7, s13, s13, v0
	s_movk_i32 s10, 0x90
	s_movk_i32 s11, 0xa0
	;; [unrolled: 1-line block ×4, first 2 shown]
	v_ashrrev_i32_e32 v8, 31, v7
	s_movk_i32 s30, 0x1d0
	s_movk_i32 s31, 0x1e0
	;; [unrolled: 1-line block ×4, first 2 shown]
	v_lshlrev_b64 v[8:9], 4, v[7:8]
	v_add_nc_u32_e32 v7, s13, v7
	s_movk_i32 s35, 0x210
	s_movk_i32 s69, 0x220
	s_movk_i32 s70, 0x230
	s_movk_i32 s71, 0x240
	s_movk_i32 s72, 0x250
	s_movk_i32 s73, 0x260
	s_waitcnt lgkmcnt(0)
	s_add_u32 s6, s4, s6
	s_addc_u32 s7, s5, s7
	v_add_co_u32 v5, s4, s6, v131
	v_add_co_ci_u32_e64 v6, null, s7, 0, s4
	s_mov_b32 s4, s13
	s_ashr_i32 s5, s13, 31
	s_movk_i32 s74, 0x270
	flat_load_dwordx4 v[1:4], v[5:6]
	s_lshl_b64 s[4:5], s[4:5], 4
	s_cmpk_lg_i32 s9, 0x84
	v_add_co_u32 v59, vcc_lo, v5, s4
	v_add_co_ci_u32_e64 v60, null, s5, v6, vcc_lo
	v_add_co_u32 v57, vcc_lo, s6, v8
	v_add_co_ci_u32_e64 v58, null, s7, v9, vcc_lo
	v_ashrrev_i32_e32 v8, 31, v7
	s_movk_i32 s4, 0x50
	s_movk_i32 s5, 0x60
	;; [unrolled: 1-line block ×4, first 2 shown]
	v_lshlrev_b64 v[8:9], 4, v[7:8]
	v_add_nc_u32_e32 v7, s13, v7
	s_movk_i32 s77, 0x2a0
	s_movk_i32 s78, 0x2b0
	;; [unrolled: 1-line block ×4, first 2 shown]
	v_add_co_u32 v55, vcc_lo, s6, v8
	v_add_co_ci_u32_e64 v56, null, s7, v9, vcc_lo
	v_ashrrev_i32_e32 v8, 31, v7
	s_movk_i32 s81, 0x2e0
	s_movk_i32 s82, 0x2f0
	s_movk_i32 s83, 0x300
	s_movk_i32 s84, 0x310
	v_lshlrev_b64 v[8:9], 4, v[7:8]
	v_add_nc_u32_e32 v7, s13, v7
	s_movk_i32 s85, 0x320
	s_movk_i32 s86, 0x330
	;; [unrolled: 1-line block ×4, first 2 shown]
	v_add_co_u32 v53, vcc_lo, s6, v8
	v_add_co_ci_u32_e64 v54, null, s7, v9, vcc_lo
	v_ashrrev_i32_e32 v8, 31, v7
	s_movk_i32 s89, 0x360
	s_movk_i32 s90, 0x370
	;; [unrolled: 1-line block ×4, first 2 shown]
	v_lshlrev_b64 v[8:9], 4, v[7:8]
	v_add_nc_u32_e32 v7, s13, v7
	s_movk_i32 s93, 0x3a0
	s_movk_i32 s94, 0x3b0
	s_cselect_b32 s68, -1, 0
	s_cmpk_eq_i32 s9, 0x84
	v_add_co_u32 v49, vcc_lo, s6, v8
	v_add_co_ci_u32_e64 v50, null, s7, v9, vcc_lo
	v_ashrrev_i32_e32 v8, 31, v7
	s_waitcnt vmcnt(0) lgkmcnt(0)
	buffer_store_dword v4, off, s[0:3], 0 offset:12
	buffer_store_dword v3, off, s[0:3], 0 offset:8
	buffer_store_dword v2, off, s[0:3], 0 offset:4
	buffer_store_dword v1, off, s[0:3], 0
	flat_load_dwordx4 v[1:4], v[59:60]
	v_lshlrev_b64 v[8:9], 4, v[7:8]
	v_add_nc_u32_e32 v7, s13, v7
	s_waitcnt vmcnt(0) lgkmcnt(0)
	buffer_store_dword v4, off, s[0:3], 0 offset:28
	buffer_store_dword v3, off, s[0:3], 0 offset:24
	buffer_store_dword v2, off, s[0:3], 0 offset:20
	buffer_store_dword v1, off, s[0:3], 0 offset:16
	flat_load_dwordx4 v[1:4], v[57:58]
	v_add_co_u32 v47, vcc_lo, s6, v8
	v_add_co_ci_u32_e64 v48, null, s7, v9, vcc_lo
	v_ashrrev_i32_e32 v8, 31, v7
	s_waitcnt vmcnt(0) lgkmcnt(0)
	buffer_store_dword v4, off, s[0:3], 0 offset:44
	buffer_store_dword v3, off, s[0:3], 0 offset:40
	buffer_store_dword v2, off, s[0:3], 0 offset:36
	buffer_store_dword v1, off, s[0:3], 0 offset:32
	flat_load_dwordx4 v[1:4], v[55:56]
	v_lshlrev_b64 v[8:9], 4, v[7:8]
	v_add_nc_u32_e32 v7, s13, v7
	s_waitcnt vmcnt(0) lgkmcnt(0)
	buffer_store_dword v4, off, s[0:3], 0 offset:60
	buffer_store_dword v3, off, s[0:3], 0 offset:56
	buffer_store_dword v2, off, s[0:3], 0 offset:52
	buffer_store_dword v1, off, s[0:3], 0 offset:48
	flat_load_dwordx4 v[1:4], v[53:54]
	v_add_co_u32 v45, vcc_lo, s6, v8
	v_add_co_ci_u32_e64 v46, null, s7, v9, vcc_lo
	v_ashrrev_i32_e32 v8, 31, v7
	s_waitcnt vmcnt(0) lgkmcnt(0)
	buffer_store_dword v4, off, s[0:3], 0 offset:76
	buffer_store_dword v3, off, s[0:3], 0 offset:72
	buffer_store_dword v2, off, s[0:3], 0 offset:68
	buffer_store_dword v1, off, s[0:3], 0 offset:64
	;; [unrolled: 17-line block ×4, first 2 shown]
	flat_load_dwordx4 v[1:4], v[41:42]
	v_lshlrev_b64 v[8:9], 4, v[7:8]
	v_add_nc_u32_e32 v7, s13, v7
	s_waitcnt vmcnt(0) lgkmcnt(0)
	buffer_store_dword v4, off, s[0:3], 0 offset:156
	buffer_store_dword v3, off, s[0:3], 0 offset:152
	;; [unrolled: 1-line block ×4, first 2 shown]
	v_add_co_u32 v39, vcc_lo, s6, v8
	v_add_co_ci_u32_e64 v40, null, s7, v9, vcc_lo
	v_ashrrev_i32_e32 v8, 31, v7
	flat_load_dwordx4 v[1:4], v[39:40]
	s_waitcnt vmcnt(0) lgkmcnt(0)
	buffer_store_dword v4, off, s[0:3], 0 offset:172
	buffer_store_dword v3, off, s[0:3], 0 offset:168
	buffer_store_dword v2, off, s[0:3], 0 offset:164
	buffer_store_dword v1, off, s[0:3], 0 offset:160
	v_lshlrev_b64 v[8:9], 4, v[7:8]
	v_add_nc_u32_e32 v7, s13, v7
	v_add_co_u32 v37, vcc_lo, s6, v8
	v_add_co_ci_u32_e64 v38, null, s7, v9, vcc_lo
	v_ashrrev_i32_e32 v8, 31, v7
	flat_load_dwordx4 v[1:4], v[37:38]
	s_waitcnt vmcnt(0) lgkmcnt(0)
	buffer_store_dword v4, off, s[0:3], 0 offset:188
	buffer_store_dword v3, off, s[0:3], 0 offset:184
	buffer_store_dword v2, off, s[0:3], 0 offset:180
	buffer_store_dword v1, off, s[0:3], 0 offset:176
	v_lshlrev_b64 v[8:9], 4, v[7:8]
	v_add_nc_u32_e32 v7, s13, v7
	;; [unrolled: 11-line block ×13, first 2 shown]
	v_add_co_u32 v11, vcc_lo, s6, v8
	v_add_co_ci_u32_e64 v12, null, s7, v9, vcc_lo
	v_ashrrev_i32_e32 v8, 31, v7
	v_add_nc_u32_e32 v33, s13, v7
	flat_load_dwordx4 v[1:4], v[11:12]
	s_waitcnt vmcnt(0) lgkmcnt(0)
	buffer_store_dword v4, off, s[0:3], 0 offset:380
	buffer_store_dword v3, off, s[0:3], 0 offset:376
	;; [unrolled: 1-line block ×4, first 2 shown]
	v_lshlrev_b64 v[9:10], 4, v[7:8]
	v_ashrrev_i32_e32 v34, 31, v33
	v_add_nc_u32_e32 v51, s13, v33
	v_add_co_u32 v9, vcc_lo, s6, v9
	v_add_co_ci_u32_e64 v10, null, s7, v10, vcc_lo
	v_lshlrev_b64 v[7:8], 4, v[33:34]
	v_ashrrev_i32_e32 v52, 31, v51
	v_add_nc_u32_e32 v61, s13, v51
	flat_load_dwordx4 v[1:4], v[9:10]
	s_waitcnt vmcnt(0) lgkmcnt(0)
	buffer_store_dword v4, off, s[0:3], 0 offset:396
	buffer_store_dword v3, off, s[0:3], 0 offset:392
	buffer_store_dword v2, off, s[0:3], 0 offset:388
	buffer_store_dword v1, off, s[0:3], 0 offset:384
	v_add_co_u32 v7, vcc_lo, s6, v7
	v_add_co_ci_u32_e64 v8, null, s7, v8, vcc_lo
	v_lshlrev_b64 v[33:34], 4, v[51:52]
	v_ashrrev_i32_e32 v62, 31, v61
	v_add_nc_u32_e32 v63, s13, v61
	flat_load_dwordx4 v[1:4], v[7:8]
	s_waitcnt vmcnt(0) lgkmcnt(0)
	buffer_store_dword v4, off, s[0:3], 0 offset:412
	buffer_store_dword v3, off, s[0:3], 0 offset:408
	buffer_store_dword v2, off, s[0:3], 0 offset:404
	buffer_store_dword v1, off, s[0:3], 0 offset:400
	;; [unrolled: 11-line block ×32, first 2 shown]
	v_add_co_u32 v117, vcc_lo, s6, v117
	v_add_co_ci_u32_e64 v118, null, s7, v118, vcc_lo
	v_lshlrev_b64 v[119:120], 4, v[121:122]
	v_ashrrev_i32_e32 v124, 31, v123
	flat_load_dwordx4 v[1:4], v[117:118]
	s_waitcnt vmcnt(0) lgkmcnt(0)
	buffer_store_dword v4, off, s[0:3], 0 offset:908
	buffer_store_dword v3, off, s[0:3], 0 offset:904
	;; [unrolled: 1-line block ×4, first 2 shown]
	v_add_co_u32 v119, vcc_lo, s6, v119
	v_add_co_ci_u32_e64 v120, null, s7, v120, vcc_lo
	v_lshlrev_b64 v[121:122], 4, v[123:124]
	v_add_nc_u32_e32 v123, s13, v123
	s_movk_i32 s13, 0xc0
	flat_load_dwordx4 v[1:4], v[119:120]
	s_waitcnt vmcnt(0) lgkmcnt(0)
	buffer_store_dword v4, off, s[0:3], 0 offset:924
	buffer_store_dword v3, off, s[0:3], 0 offset:920
	;; [unrolled: 1-line block ×4, first 2 shown]
	v_add_co_u32 v121, vcc_lo, s6, v121
	v_add_co_ci_u32_e64 v122, null, s7, v122, vcc_lo
	v_ashrrev_i32_e32 v124, 31, v123
	flat_load_dwordx4 v[1:4], v[121:122]
	s_waitcnt vmcnt(0) lgkmcnt(0)
	buffer_store_dword v4, off, s[0:3], 0 offset:940
	buffer_store_dword v3, off, s[0:3], 0 offset:936
	;; [unrolled: 1-line block ×4, first 2 shown]
	v_lshlrev_b64 v[123:124], 4, v[123:124]
	v_add_co_u32 v123, vcc_lo, s6, v123
	v_add_co_ci_u32_e64 v124, null, s7, v124, vcc_lo
	s_movk_i32 s6, 0x70
	s_movk_i32 s7, 0x80
	flat_load_dwordx4 v[1:4], v[123:124]
	s_waitcnt vmcnt(0) lgkmcnt(0)
	buffer_store_dword v4, off, s[0:3], 0 offset:956
	buffer_store_dword v3, off, s[0:3], 0 offset:952
	buffer_store_dword v2, off, s[0:3], 0 offset:948
	buffer_store_dword v1, off, s[0:3], 0 offset:944
	s_cbranch_scc1 .LBB123_7
; %bb.2:
	v_lshl_add_u32 v132, v0, 4, 0
                                        ; implicit-def: $vgpr127_vgpr128
                                        ; implicit-def: $vgpr3_vgpr4
	s_clause 0x3
	buffer_load_dword v125, v132, s[0:3], 0 offen
	buffer_load_dword v126, v132, s[0:3], 0 offen offset:4
	buffer_load_dword v129, v132, s[0:3], 0 offen offset:8
	;; [unrolled: 1-line block ×3, first 2 shown]
	s_waitcnt vmcnt(0)
	v_cmp_ngt_f64_e64 s9, |v[125:126]|, |v[129:130]|
	s_and_saveexec_b32 s36, s9
	s_xor_b32 s9, exec_lo, s36
	s_cbranch_execz .LBB123_4
; %bb.3:
	v_div_scale_f64 v[1:2], null, v[129:130], v[129:130], v[125:126]
	v_div_scale_f64 v[133:134], vcc_lo, v[125:126], v[129:130], v[125:126]
	v_rcp_f64_e32 v[3:4], v[1:2]
	v_fma_f64 v[127:128], -v[1:2], v[3:4], 1.0
	v_fma_f64 v[3:4], v[3:4], v[127:128], v[3:4]
	v_fma_f64 v[127:128], -v[1:2], v[3:4], 1.0
	v_fma_f64 v[3:4], v[3:4], v[127:128], v[3:4]
	v_mul_f64 v[127:128], v[133:134], v[3:4]
	v_fma_f64 v[1:2], -v[1:2], v[127:128], v[133:134]
	v_div_fmas_f64 v[1:2], v[1:2], v[3:4], v[127:128]
	v_div_fixup_f64 v[1:2], v[1:2], v[129:130], v[125:126]
	v_fma_f64 v[3:4], v[125:126], v[1:2], v[129:130]
	v_div_scale_f64 v[125:126], null, v[3:4], v[3:4], 1.0
	v_div_scale_f64 v[133:134], vcc_lo, 1.0, v[3:4], 1.0
	v_rcp_f64_e32 v[127:128], v[125:126]
	v_fma_f64 v[129:130], -v[125:126], v[127:128], 1.0
	v_fma_f64 v[127:128], v[127:128], v[129:130], v[127:128]
	v_fma_f64 v[129:130], -v[125:126], v[127:128], 1.0
	v_fma_f64 v[127:128], v[127:128], v[129:130], v[127:128]
	v_mul_f64 v[129:130], v[133:134], v[127:128]
	v_fma_f64 v[125:126], -v[125:126], v[129:130], v[133:134]
	v_div_fmas_f64 v[125:126], v[125:126], v[127:128], v[129:130]
                                        ; implicit-def: $vgpr129_vgpr130
	v_div_fixup_f64 v[3:4], v[125:126], v[3:4], 1.0
                                        ; implicit-def: $vgpr125_vgpr126
	v_mul_f64 v[127:128], v[1:2], v[3:4]
	v_xor_b32_e32 v4, 0x80000000, v4
	v_xor_b32_e32 v2, 0x80000000, v128
	v_mov_b32_e32 v1, v127
.LBB123_4:
	s_andn2_saveexec_b32 s9, s9
	s_cbranch_execz .LBB123_6
; %bb.5:
	v_div_scale_f64 v[1:2], null, v[125:126], v[125:126], v[129:130]
	v_div_scale_f64 v[133:134], vcc_lo, v[129:130], v[125:126], v[129:130]
	v_rcp_f64_e32 v[3:4], v[1:2]
	v_fma_f64 v[127:128], -v[1:2], v[3:4], 1.0
	v_fma_f64 v[3:4], v[3:4], v[127:128], v[3:4]
	v_fma_f64 v[127:128], -v[1:2], v[3:4], 1.0
	v_fma_f64 v[3:4], v[3:4], v[127:128], v[3:4]
	v_mul_f64 v[127:128], v[133:134], v[3:4]
	v_fma_f64 v[1:2], -v[1:2], v[127:128], v[133:134]
	v_div_fmas_f64 v[1:2], v[1:2], v[3:4], v[127:128]
	v_div_fixup_f64 v[1:2], v[1:2], v[125:126], v[129:130]
	v_fma_f64 v[3:4], v[129:130], v[1:2], v[125:126]
	v_div_scale_f64 v[125:126], null, v[3:4], v[3:4], 1.0
	v_rcp_f64_e32 v[127:128], v[125:126]
	v_fma_f64 v[129:130], -v[125:126], v[127:128], 1.0
	v_fma_f64 v[127:128], v[127:128], v[129:130], v[127:128]
	v_fma_f64 v[129:130], -v[125:126], v[127:128], 1.0
	v_fma_f64 v[127:128], v[127:128], v[129:130], v[127:128]
	v_div_scale_f64 v[129:130], vcc_lo, 1.0, v[3:4], 1.0
	v_mul_f64 v[133:134], v[129:130], v[127:128]
	v_fma_f64 v[125:126], -v[125:126], v[133:134], v[129:130]
	v_div_fmas_f64 v[125:126], v[125:126], v[127:128], v[133:134]
	v_div_fixup_f64 v[127:128], v[125:126], v[3:4], 1.0
	v_mul_f64 v[3:4], v[1:2], -v[127:128]
	v_xor_b32_e32 v2, 0x80000000, v128
	v_mov_b32_e32 v1, v127
.LBB123_6:
	s_or_b32 exec_lo, exec_lo, s9
	buffer_store_dword v4, v132, s[0:3], 0 offen offset:12
	v_xor_b32_e32 v4, 0x80000000, v4
	buffer_store_dword v128, v132, s[0:3], 0 offen offset:4
	buffer_store_dword v127, v132, s[0:3], 0 offen
	buffer_store_dword v3, v132, s[0:3], 0 offen offset:8
	s_branch .LBB123_8
.LBB123_7:
	v_mov_b32_e32 v1, 0
	v_mov_b32_e32 v3, 0
	;; [unrolled: 1-line block ×4, first 2 shown]
.LBB123_8:
	v_add_nc_u32_e32 v126, 0x3c0, v131
	v_mov_b32_e32 v125, v131
	s_mov_b32 s67, 16
	s_mov_b32 s66, 32
	;; [unrolled: 1-line block ×58, first 2 shown]
	s_cmpk_eq_i32 s8, 0x79
	ds_write_b128 v131, v[1:4]
	s_cbranch_scc1 .LBB123_476
; %bb.9:
	v_mov_b32_e32 v4, s9
	v_cmp_eq_u32_e64 s4, 59, v0
	s_clause 0x3
	buffer_load_dword v1, v4, s[0:3], 0 offen
	buffer_load_dword v2, v4, s[0:3], 0 offen offset:4
	buffer_load_dword v3, v4, s[0:3], 0 offen offset:8
	;; [unrolled: 1-line block ×3, first 2 shown]
	s_waitcnt vmcnt(0)
	ds_write_b128 v126, v[1:4]
	s_waitcnt lgkmcnt(0)
	s_waitcnt_vscnt null, 0x0
	s_barrier
	buffer_gl0_inv
	s_and_saveexec_b32 s5, s4
	s_cbranch_execz .LBB123_13
; %bb.10:
	ds_read_b128 v[1:4], v126
	s_andn2_b32 vcc_lo, exec_lo, s68
	s_cbranch_vccnz .LBB123_12
; %bb.11:
	s_clause 0x3
	buffer_load_dword v127, v125, s[0:3], 0 offen offset:8
	buffer_load_dword v128, v125, s[0:3], 0 offen offset:12
	buffer_load_dword v129, v125, s[0:3], 0 offen
	buffer_load_dword v130, v125, s[0:3], 0 offen offset:4
	s_waitcnt vmcnt(2) lgkmcnt(0)
	v_mul_f64 v[132:133], v[3:4], v[127:128]
	v_mul_f64 v[127:128], v[1:2], v[127:128]
	s_waitcnt vmcnt(0)
	v_fma_f64 v[1:2], v[1:2], v[129:130], -v[132:133]
	v_fma_f64 v[3:4], v[3:4], v[129:130], v[127:128]
.LBB123_12:
	v_mov_b32_e32 v127, 0
	ds_read_b128 v[127:130], v127 offset:928
	s_waitcnt lgkmcnt(0)
	v_mul_f64 v[132:133], v[3:4], v[129:130]
	v_mul_f64 v[129:130], v[1:2], v[129:130]
	v_fma_f64 v[1:2], v[1:2], v[127:128], -v[132:133]
	v_fma_f64 v[3:4], v[3:4], v[127:128], v[129:130]
	buffer_store_dword v2, off, s[0:3], 0 offset:932
	buffer_store_dword v1, off, s[0:3], 0 offset:928
	;; [unrolled: 1-line block ×4, first 2 shown]
.LBB123_13:
	s_or_b32 exec_lo, exec_lo, s5
	v_mov_b32_e32 v4, s10
	v_cmp_lt_u32_e64 s5, 57, v0
	s_clause 0x3
	buffer_load_dword v1, v4, s[0:3], 0 offen
	buffer_load_dword v2, v4, s[0:3], 0 offen offset:4
	buffer_load_dword v3, v4, s[0:3], 0 offen offset:8
	;; [unrolled: 1-line block ×3, first 2 shown]
	s_waitcnt vmcnt(0)
	ds_write_b128 v126, v[1:4]
	s_waitcnt lgkmcnt(0)
	s_waitcnt_vscnt null, 0x0
	s_barrier
	buffer_gl0_inv
	s_and_saveexec_b32 s6, s5
	s_cbranch_execz .LBB123_19
; %bb.14:
	ds_read_b128 v[1:4], v126
	s_andn2_b32 vcc_lo, exec_lo, s68
	s_cbranch_vccnz .LBB123_16
; %bb.15:
	s_clause 0x3
	buffer_load_dword v127, v125, s[0:3], 0 offen offset:8
	buffer_load_dword v128, v125, s[0:3], 0 offen offset:12
	buffer_load_dword v129, v125, s[0:3], 0 offen
	buffer_load_dword v130, v125, s[0:3], 0 offen offset:4
	s_waitcnt vmcnt(2) lgkmcnt(0)
	v_mul_f64 v[132:133], v[3:4], v[127:128]
	v_mul_f64 v[127:128], v[1:2], v[127:128]
	s_waitcnt vmcnt(0)
	v_fma_f64 v[1:2], v[1:2], v[129:130], -v[132:133]
	v_fma_f64 v[3:4], v[3:4], v[129:130], v[127:128]
.LBB123_16:
	s_and_saveexec_b32 s8, s4
	s_cbranch_execz .LBB123_18
; %bb.17:
	s_clause 0x3
	buffer_load_dword v132, off, s[0:3], 0 offset:936
	buffer_load_dword v133, off, s[0:3], 0 offset:940
	;; [unrolled: 1-line block ×4, first 2 shown]
	v_mov_b32_e32 v127, 0
	ds_read_b128 v[127:130], v127 offset:1888
	s_waitcnt vmcnt(2) lgkmcnt(0)
	v_mul_f64 v[136:137], v[127:128], v[132:133]
	v_mul_f64 v[132:133], v[129:130], v[132:133]
	s_waitcnt vmcnt(0)
	v_fma_f64 v[129:130], v[129:130], v[134:135], v[136:137]
	v_fma_f64 v[127:128], v[127:128], v[134:135], -v[132:133]
	v_add_f64 v[3:4], v[3:4], v[129:130]
	v_add_f64 v[1:2], v[1:2], v[127:128]
.LBB123_18:
	s_or_b32 exec_lo, exec_lo, s8
	v_mov_b32_e32 v127, 0
	ds_read_b128 v[127:130], v127 offset:912
	s_waitcnt lgkmcnt(0)
	v_mul_f64 v[132:133], v[3:4], v[129:130]
	v_mul_f64 v[129:130], v[1:2], v[129:130]
	v_fma_f64 v[1:2], v[1:2], v[127:128], -v[132:133]
	v_fma_f64 v[3:4], v[3:4], v[127:128], v[129:130]
	buffer_store_dword v2, off, s[0:3], 0 offset:916
	buffer_store_dword v1, off, s[0:3], 0 offset:912
	;; [unrolled: 1-line block ×4, first 2 shown]
.LBB123_19:
	s_or_b32 exec_lo, exec_lo, s6
	v_mov_b32_e32 v4, s11
	v_cmp_lt_u32_e64 s4, 56, v0
	s_clause 0x3
	buffer_load_dword v1, v4, s[0:3], 0 offen
	buffer_load_dword v2, v4, s[0:3], 0 offen offset:4
	buffer_load_dword v3, v4, s[0:3], 0 offen offset:8
	;; [unrolled: 1-line block ×3, first 2 shown]
	s_waitcnt vmcnt(0)
	ds_write_b128 v126, v[1:4]
	s_waitcnt lgkmcnt(0)
	s_waitcnt_vscnt null, 0x0
	s_barrier
	buffer_gl0_inv
	s_and_saveexec_b32 s6, s4
	s_cbranch_execz .LBB123_27
; %bb.20:
	ds_read_b128 v[1:4], v126
	s_andn2_b32 vcc_lo, exec_lo, s68
	s_cbranch_vccnz .LBB123_22
; %bb.21:
	s_clause 0x3
	buffer_load_dword v127, v125, s[0:3], 0 offen offset:8
	buffer_load_dword v128, v125, s[0:3], 0 offen offset:12
	buffer_load_dword v129, v125, s[0:3], 0 offen
	buffer_load_dword v130, v125, s[0:3], 0 offen offset:4
	s_waitcnt vmcnt(2) lgkmcnt(0)
	v_mul_f64 v[132:133], v[3:4], v[127:128]
	v_mul_f64 v[127:128], v[1:2], v[127:128]
	s_waitcnt vmcnt(0)
	v_fma_f64 v[1:2], v[1:2], v[129:130], -v[132:133]
	v_fma_f64 v[3:4], v[3:4], v[129:130], v[127:128]
.LBB123_22:
	s_and_saveexec_b32 s8, s5
	s_cbranch_execz .LBB123_26
; %bb.23:
	v_subrev_nc_u32_e32 v127, 57, v0
	s_movk_i32 s69, 0x750
	s_mov_b32 s5, 0
	s_mov_b32 s70, s10
	.p2align	6
.LBB123_24:                             ; =>This Inner Loop Header: Depth=1
	v_mov_b32_e32 v130, s70
	v_add_nc_u32_e32 v127, -1, v127
	s_add_i32 s70, s70, 16
	s_clause 0x3
	buffer_load_dword v128, v130, s[0:3], 0 offen offset:8
	buffer_load_dword v129, v130, s[0:3], 0 offen offset:12
	buffer_load_dword v136, v130, s[0:3], 0 offen
	buffer_load_dword v137, v130, s[0:3], 0 offen offset:4
	v_mov_b32_e32 v130, s69
	v_cmp_eq_u32_e32 vcc_lo, 0, v127
	s_add_i32 s69, s69, 16
	ds_read_b128 v[132:135], v130
	s_or_b32 s5, vcc_lo, s5
	s_waitcnt vmcnt(2) lgkmcnt(0)
	v_mul_f64 v[138:139], v[134:135], v[128:129]
	v_mul_f64 v[128:129], v[132:133], v[128:129]
	s_waitcnt vmcnt(0)
	v_fma_f64 v[132:133], v[132:133], v[136:137], -v[138:139]
	v_fma_f64 v[128:129], v[134:135], v[136:137], v[128:129]
	v_add_f64 v[1:2], v[1:2], v[132:133]
	v_add_f64 v[3:4], v[3:4], v[128:129]
	s_andn2_b32 exec_lo, exec_lo, s5
	s_cbranch_execnz .LBB123_24
; %bb.25:
	s_or_b32 exec_lo, exec_lo, s5
.LBB123_26:
	s_or_b32 exec_lo, exec_lo, s8
	v_mov_b32_e32 v127, 0
	ds_read_b128 v[127:130], v127 offset:896
	s_waitcnt lgkmcnt(0)
	v_mul_f64 v[132:133], v[3:4], v[129:130]
	v_mul_f64 v[129:130], v[1:2], v[129:130]
	v_fma_f64 v[1:2], v[1:2], v[127:128], -v[132:133]
	v_fma_f64 v[3:4], v[3:4], v[127:128], v[129:130]
	buffer_store_dword v2, off, s[0:3], 0 offset:900
	buffer_store_dword v1, off, s[0:3], 0 offset:896
	;; [unrolled: 1-line block ×4, first 2 shown]
.LBB123_27:
	s_or_b32 exec_lo, exec_lo, s6
	v_mov_b32_e32 v4, s12
	v_cmp_lt_u32_e64 s5, 55, v0
	s_clause 0x3
	buffer_load_dword v1, v4, s[0:3], 0 offen
	buffer_load_dword v2, v4, s[0:3], 0 offen offset:4
	buffer_load_dword v3, v4, s[0:3], 0 offen offset:8
	;; [unrolled: 1-line block ×3, first 2 shown]
	s_waitcnt vmcnt(0)
	ds_write_b128 v126, v[1:4]
	s_waitcnt lgkmcnt(0)
	s_waitcnt_vscnt null, 0x0
	s_barrier
	buffer_gl0_inv
	s_and_saveexec_b32 s6, s5
	s_cbranch_execz .LBB123_35
; %bb.28:
	ds_read_b128 v[1:4], v126
	s_andn2_b32 vcc_lo, exec_lo, s68
	s_cbranch_vccnz .LBB123_30
; %bb.29:
	s_clause 0x3
	buffer_load_dword v127, v125, s[0:3], 0 offen offset:8
	buffer_load_dword v128, v125, s[0:3], 0 offen offset:12
	buffer_load_dword v129, v125, s[0:3], 0 offen
	buffer_load_dword v130, v125, s[0:3], 0 offen offset:4
	s_waitcnt vmcnt(2) lgkmcnt(0)
	v_mul_f64 v[132:133], v[3:4], v[127:128]
	v_mul_f64 v[127:128], v[1:2], v[127:128]
	s_waitcnt vmcnt(0)
	v_fma_f64 v[1:2], v[1:2], v[129:130], -v[132:133]
	v_fma_f64 v[3:4], v[3:4], v[129:130], v[127:128]
.LBB123_30:
	s_and_saveexec_b32 s8, s4
	s_cbranch_execz .LBB123_34
; %bb.31:
	v_subrev_nc_u32_e32 v127, 56, v0
	s_movk_i32 s69, 0x740
	s_mov_b32 s4, 0
	s_mov_b32 s70, s11
	.p2align	6
.LBB123_32:                             ; =>This Inner Loop Header: Depth=1
	v_mov_b32_e32 v130, s70
	v_add_nc_u32_e32 v127, -1, v127
	s_add_i32 s70, s70, 16
	s_clause 0x3
	buffer_load_dword v128, v130, s[0:3], 0 offen offset:8
	buffer_load_dword v129, v130, s[0:3], 0 offen offset:12
	buffer_load_dword v136, v130, s[0:3], 0 offen
	buffer_load_dword v137, v130, s[0:3], 0 offen offset:4
	v_mov_b32_e32 v130, s69
	v_cmp_eq_u32_e32 vcc_lo, 0, v127
	s_add_i32 s69, s69, 16
	ds_read_b128 v[132:135], v130
	s_or_b32 s4, vcc_lo, s4
	s_waitcnt vmcnt(2) lgkmcnt(0)
	v_mul_f64 v[138:139], v[134:135], v[128:129]
	v_mul_f64 v[128:129], v[132:133], v[128:129]
	s_waitcnt vmcnt(0)
	v_fma_f64 v[132:133], v[132:133], v[136:137], -v[138:139]
	v_fma_f64 v[128:129], v[134:135], v[136:137], v[128:129]
	v_add_f64 v[1:2], v[1:2], v[132:133]
	v_add_f64 v[3:4], v[3:4], v[128:129]
	s_andn2_b32 exec_lo, exec_lo, s4
	s_cbranch_execnz .LBB123_32
; %bb.33:
	s_or_b32 exec_lo, exec_lo, s4
.LBB123_34:
	s_or_b32 exec_lo, exec_lo, s8
	v_mov_b32_e32 v127, 0
	ds_read_b128 v[127:130], v127 offset:880
	s_waitcnt lgkmcnt(0)
	v_mul_f64 v[132:133], v[3:4], v[129:130]
	v_mul_f64 v[129:130], v[1:2], v[129:130]
	v_fma_f64 v[1:2], v[1:2], v[127:128], -v[132:133]
	v_fma_f64 v[3:4], v[3:4], v[127:128], v[129:130]
	buffer_store_dword v2, off, s[0:3], 0 offset:884
	buffer_store_dword v1, off, s[0:3], 0 offset:880
	;; [unrolled: 1-line block ×4, first 2 shown]
.LBB123_35:
	s_or_b32 exec_lo, exec_lo, s6
	v_mov_b32_e32 v4, s13
	v_cmp_lt_u32_e64 s4, 54, v0
	s_clause 0x3
	buffer_load_dword v1, v4, s[0:3], 0 offen
	buffer_load_dword v2, v4, s[0:3], 0 offen offset:4
	buffer_load_dword v3, v4, s[0:3], 0 offen offset:8
	;; [unrolled: 1-line block ×3, first 2 shown]
	s_waitcnt vmcnt(0)
	ds_write_b128 v126, v[1:4]
	s_waitcnt lgkmcnt(0)
	s_waitcnt_vscnt null, 0x0
	s_barrier
	buffer_gl0_inv
	s_and_saveexec_b32 s6, s4
	s_cbranch_execz .LBB123_43
; %bb.36:
	ds_read_b128 v[1:4], v126
	s_andn2_b32 vcc_lo, exec_lo, s68
	s_cbranch_vccnz .LBB123_38
; %bb.37:
	s_clause 0x3
	buffer_load_dword v127, v125, s[0:3], 0 offen offset:8
	buffer_load_dword v128, v125, s[0:3], 0 offen offset:12
	buffer_load_dword v129, v125, s[0:3], 0 offen
	buffer_load_dword v130, v125, s[0:3], 0 offen offset:4
	s_waitcnt vmcnt(2) lgkmcnt(0)
	v_mul_f64 v[132:133], v[3:4], v[127:128]
	v_mul_f64 v[127:128], v[1:2], v[127:128]
	s_waitcnt vmcnt(0)
	v_fma_f64 v[1:2], v[1:2], v[129:130], -v[132:133]
	v_fma_f64 v[3:4], v[3:4], v[129:130], v[127:128]
.LBB123_38:
	s_and_saveexec_b32 s8, s5
	s_cbranch_execz .LBB123_42
; %bb.39:
	v_subrev_nc_u32_e32 v127, 55, v0
	s_movk_i32 s69, 0x730
	s_mov_b32 s5, 0
	s_mov_b32 s70, s12
	.p2align	6
.LBB123_40:                             ; =>This Inner Loop Header: Depth=1
	v_mov_b32_e32 v130, s70
	v_add_nc_u32_e32 v127, -1, v127
	s_add_i32 s70, s70, 16
	s_clause 0x3
	buffer_load_dword v128, v130, s[0:3], 0 offen offset:8
	buffer_load_dword v129, v130, s[0:3], 0 offen offset:12
	buffer_load_dword v136, v130, s[0:3], 0 offen
	buffer_load_dword v137, v130, s[0:3], 0 offen offset:4
	v_mov_b32_e32 v130, s69
	v_cmp_eq_u32_e32 vcc_lo, 0, v127
	s_add_i32 s69, s69, 16
	ds_read_b128 v[132:135], v130
	s_or_b32 s5, vcc_lo, s5
	s_waitcnt vmcnt(2) lgkmcnt(0)
	v_mul_f64 v[138:139], v[134:135], v[128:129]
	v_mul_f64 v[128:129], v[132:133], v[128:129]
	s_waitcnt vmcnt(0)
	v_fma_f64 v[132:133], v[132:133], v[136:137], -v[138:139]
	v_fma_f64 v[128:129], v[134:135], v[136:137], v[128:129]
	v_add_f64 v[1:2], v[1:2], v[132:133]
	v_add_f64 v[3:4], v[3:4], v[128:129]
	s_andn2_b32 exec_lo, exec_lo, s5
	s_cbranch_execnz .LBB123_40
; %bb.41:
	s_or_b32 exec_lo, exec_lo, s5
.LBB123_42:
	s_or_b32 exec_lo, exec_lo, s8
	v_mov_b32_e32 v127, 0
	ds_read_b128 v[127:130], v127 offset:864
	s_waitcnt lgkmcnt(0)
	v_mul_f64 v[132:133], v[3:4], v[129:130]
	v_mul_f64 v[129:130], v[1:2], v[129:130]
	v_fma_f64 v[1:2], v[1:2], v[127:128], -v[132:133]
	v_fma_f64 v[3:4], v[3:4], v[127:128], v[129:130]
	buffer_store_dword v2, off, s[0:3], 0 offset:868
	buffer_store_dword v1, off, s[0:3], 0 offset:864
	;; [unrolled: 1-line block ×4, first 2 shown]
.LBB123_43:
	s_or_b32 exec_lo, exec_lo, s6
	v_mov_b32_e32 v4, s14
	v_cmp_lt_u32_e64 s5, 53, v0
	s_clause 0x3
	buffer_load_dword v1, v4, s[0:3], 0 offen
	buffer_load_dword v2, v4, s[0:3], 0 offen offset:4
	buffer_load_dword v3, v4, s[0:3], 0 offen offset:8
	buffer_load_dword v4, v4, s[0:3], 0 offen offset:12
	s_waitcnt vmcnt(0)
	ds_write_b128 v126, v[1:4]
	s_waitcnt lgkmcnt(0)
	s_waitcnt_vscnt null, 0x0
	s_barrier
	buffer_gl0_inv
	s_and_saveexec_b32 s6, s5
	s_cbranch_execz .LBB123_51
; %bb.44:
	ds_read_b128 v[1:4], v126
	s_andn2_b32 vcc_lo, exec_lo, s68
	s_cbranch_vccnz .LBB123_46
; %bb.45:
	s_clause 0x3
	buffer_load_dword v127, v125, s[0:3], 0 offen offset:8
	buffer_load_dword v128, v125, s[0:3], 0 offen offset:12
	buffer_load_dword v129, v125, s[0:3], 0 offen
	buffer_load_dword v130, v125, s[0:3], 0 offen offset:4
	s_waitcnt vmcnt(2) lgkmcnt(0)
	v_mul_f64 v[132:133], v[3:4], v[127:128]
	v_mul_f64 v[127:128], v[1:2], v[127:128]
	s_waitcnt vmcnt(0)
	v_fma_f64 v[1:2], v[1:2], v[129:130], -v[132:133]
	v_fma_f64 v[3:4], v[3:4], v[129:130], v[127:128]
.LBB123_46:
	s_and_saveexec_b32 s8, s4
	s_cbranch_execz .LBB123_50
; %bb.47:
	v_subrev_nc_u32_e32 v127, 54, v0
	s_movk_i32 s69, 0x720
	s_mov_b32 s4, 0
	s_mov_b32 s70, s13
	.p2align	6
.LBB123_48:                             ; =>This Inner Loop Header: Depth=1
	v_mov_b32_e32 v130, s70
	v_add_nc_u32_e32 v127, -1, v127
	s_add_i32 s70, s70, 16
	s_clause 0x3
	buffer_load_dword v128, v130, s[0:3], 0 offen offset:8
	buffer_load_dword v129, v130, s[0:3], 0 offen offset:12
	buffer_load_dword v136, v130, s[0:3], 0 offen
	buffer_load_dword v137, v130, s[0:3], 0 offen offset:4
	v_mov_b32_e32 v130, s69
	v_cmp_eq_u32_e32 vcc_lo, 0, v127
	s_add_i32 s69, s69, 16
	ds_read_b128 v[132:135], v130
	s_or_b32 s4, vcc_lo, s4
	s_waitcnt vmcnt(2) lgkmcnt(0)
	v_mul_f64 v[138:139], v[134:135], v[128:129]
	v_mul_f64 v[128:129], v[132:133], v[128:129]
	s_waitcnt vmcnt(0)
	v_fma_f64 v[132:133], v[132:133], v[136:137], -v[138:139]
	v_fma_f64 v[128:129], v[134:135], v[136:137], v[128:129]
	v_add_f64 v[1:2], v[1:2], v[132:133]
	v_add_f64 v[3:4], v[3:4], v[128:129]
	s_andn2_b32 exec_lo, exec_lo, s4
	s_cbranch_execnz .LBB123_48
; %bb.49:
	s_or_b32 exec_lo, exec_lo, s4
.LBB123_50:
	s_or_b32 exec_lo, exec_lo, s8
	v_mov_b32_e32 v127, 0
	ds_read_b128 v[127:130], v127 offset:848
	s_waitcnt lgkmcnt(0)
	v_mul_f64 v[132:133], v[3:4], v[129:130]
	v_mul_f64 v[129:130], v[1:2], v[129:130]
	v_fma_f64 v[1:2], v[1:2], v[127:128], -v[132:133]
	v_fma_f64 v[3:4], v[3:4], v[127:128], v[129:130]
	buffer_store_dword v2, off, s[0:3], 0 offset:852
	buffer_store_dword v1, off, s[0:3], 0 offset:848
	;; [unrolled: 1-line block ×4, first 2 shown]
.LBB123_51:
	s_or_b32 exec_lo, exec_lo, s6
	v_mov_b32_e32 v4, s15
	v_cmp_lt_u32_e64 s4, 52, v0
	s_clause 0x3
	buffer_load_dword v1, v4, s[0:3], 0 offen
	buffer_load_dword v2, v4, s[0:3], 0 offen offset:4
	buffer_load_dword v3, v4, s[0:3], 0 offen offset:8
	;; [unrolled: 1-line block ×3, first 2 shown]
	s_waitcnt vmcnt(0)
	ds_write_b128 v126, v[1:4]
	s_waitcnt lgkmcnt(0)
	s_waitcnt_vscnt null, 0x0
	s_barrier
	buffer_gl0_inv
	s_and_saveexec_b32 s6, s4
	s_cbranch_execz .LBB123_59
; %bb.52:
	ds_read_b128 v[1:4], v126
	s_andn2_b32 vcc_lo, exec_lo, s68
	s_cbranch_vccnz .LBB123_54
; %bb.53:
	s_clause 0x3
	buffer_load_dword v127, v125, s[0:3], 0 offen offset:8
	buffer_load_dword v128, v125, s[0:3], 0 offen offset:12
	buffer_load_dword v129, v125, s[0:3], 0 offen
	buffer_load_dword v130, v125, s[0:3], 0 offen offset:4
	s_waitcnt vmcnt(2) lgkmcnt(0)
	v_mul_f64 v[132:133], v[3:4], v[127:128]
	v_mul_f64 v[127:128], v[1:2], v[127:128]
	s_waitcnt vmcnt(0)
	v_fma_f64 v[1:2], v[1:2], v[129:130], -v[132:133]
	v_fma_f64 v[3:4], v[3:4], v[129:130], v[127:128]
.LBB123_54:
	s_and_saveexec_b32 s8, s5
	s_cbranch_execz .LBB123_58
; %bb.55:
	v_subrev_nc_u32_e32 v127, 53, v0
	s_movk_i32 s69, 0x710
	s_mov_b32 s5, 0
	s_mov_b32 s70, s14
	.p2align	6
.LBB123_56:                             ; =>This Inner Loop Header: Depth=1
	v_mov_b32_e32 v130, s70
	v_add_nc_u32_e32 v127, -1, v127
	s_add_i32 s70, s70, 16
	s_clause 0x3
	buffer_load_dword v128, v130, s[0:3], 0 offen offset:8
	buffer_load_dword v129, v130, s[0:3], 0 offen offset:12
	buffer_load_dword v136, v130, s[0:3], 0 offen
	buffer_load_dword v137, v130, s[0:3], 0 offen offset:4
	v_mov_b32_e32 v130, s69
	v_cmp_eq_u32_e32 vcc_lo, 0, v127
	s_add_i32 s69, s69, 16
	ds_read_b128 v[132:135], v130
	s_or_b32 s5, vcc_lo, s5
	s_waitcnt vmcnt(2) lgkmcnt(0)
	v_mul_f64 v[138:139], v[134:135], v[128:129]
	v_mul_f64 v[128:129], v[132:133], v[128:129]
	s_waitcnt vmcnt(0)
	v_fma_f64 v[132:133], v[132:133], v[136:137], -v[138:139]
	v_fma_f64 v[128:129], v[134:135], v[136:137], v[128:129]
	v_add_f64 v[1:2], v[1:2], v[132:133]
	v_add_f64 v[3:4], v[3:4], v[128:129]
	s_andn2_b32 exec_lo, exec_lo, s5
	s_cbranch_execnz .LBB123_56
; %bb.57:
	s_or_b32 exec_lo, exec_lo, s5
.LBB123_58:
	s_or_b32 exec_lo, exec_lo, s8
	v_mov_b32_e32 v127, 0
	ds_read_b128 v[127:130], v127 offset:832
	s_waitcnt lgkmcnt(0)
	v_mul_f64 v[132:133], v[3:4], v[129:130]
	v_mul_f64 v[129:130], v[1:2], v[129:130]
	v_fma_f64 v[1:2], v[1:2], v[127:128], -v[132:133]
	v_fma_f64 v[3:4], v[3:4], v[127:128], v[129:130]
	buffer_store_dword v2, off, s[0:3], 0 offset:836
	buffer_store_dword v1, off, s[0:3], 0 offset:832
	;; [unrolled: 1-line block ×4, first 2 shown]
.LBB123_59:
	s_or_b32 exec_lo, exec_lo, s6
	v_mov_b32_e32 v4, s16
	v_cmp_lt_u32_e64 s5, 51, v0
	s_clause 0x3
	buffer_load_dword v1, v4, s[0:3], 0 offen
	buffer_load_dword v2, v4, s[0:3], 0 offen offset:4
	buffer_load_dword v3, v4, s[0:3], 0 offen offset:8
	;; [unrolled: 1-line block ×3, first 2 shown]
	s_waitcnt vmcnt(0)
	ds_write_b128 v126, v[1:4]
	s_waitcnt lgkmcnt(0)
	s_waitcnt_vscnt null, 0x0
	s_barrier
	buffer_gl0_inv
	s_and_saveexec_b32 s6, s5
	s_cbranch_execz .LBB123_67
; %bb.60:
	ds_read_b128 v[1:4], v126
	s_andn2_b32 vcc_lo, exec_lo, s68
	s_cbranch_vccnz .LBB123_62
; %bb.61:
	s_clause 0x3
	buffer_load_dword v127, v125, s[0:3], 0 offen offset:8
	buffer_load_dword v128, v125, s[0:3], 0 offen offset:12
	buffer_load_dword v129, v125, s[0:3], 0 offen
	buffer_load_dword v130, v125, s[0:3], 0 offen offset:4
	s_waitcnt vmcnt(2) lgkmcnt(0)
	v_mul_f64 v[132:133], v[3:4], v[127:128]
	v_mul_f64 v[127:128], v[1:2], v[127:128]
	s_waitcnt vmcnt(0)
	v_fma_f64 v[1:2], v[1:2], v[129:130], -v[132:133]
	v_fma_f64 v[3:4], v[3:4], v[129:130], v[127:128]
.LBB123_62:
	s_and_saveexec_b32 s8, s4
	s_cbranch_execz .LBB123_66
; %bb.63:
	v_subrev_nc_u32_e32 v127, 52, v0
	s_movk_i32 s69, 0x700
	s_mov_b32 s4, 0
	s_mov_b32 s70, s15
	.p2align	6
.LBB123_64:                             ; =>This Inner Loop Header: Depth=1
	v_mov_b32_e32 v130, s70
	v_add_nc_u32_e32 v127, -1, v127
	s_add_i32 s70, s70, 16
	s_clause 0x3
	buffer_load_dword v128, v130, s[0:3], 0 offen offset:8
	buffer_load_dword v129, v130, s[0:3], 0 offen offset:12
	buffer_load_dword v136, v130, s[0:3], 0 offen
	buffer_load_dword v137, v130, s[0:3], 0 offen offset:4
	v_mov_b32_e32 v130, s69
	v_cmp_eq_u32_e32 vcc_lo, 0, v127
	s_add_i32 s69, s69, 16
	ds_read_b128 v[132:135], v130
	s_or_b32 s4, vcc_lo, s4
	s_waitcnt vmcnt(2) lgkmcnt(0)
	v_mul_f64 v[138:139], v[134:135], v[128:129]
	v_mul_f64 v[128:129], v[132:133], v[128:129]
	s_waitcnt vmcnt(0)
	v_fma_f64 v[132:133], v[132:133], v[136:137], -v[138:139]
	v_fma_f64 v[128:129], v[134:135], v[136:137], v[128:129]
	v_add_f64 v[1:2], v[1:2], v[132:133]
	v_add_f64 v[3:4], v[3:4], v[128:129]
	s_andn2_b32 exec_lo, exec_lo, s4
	s_cbranch_execnz .LBB123_64
; %bb.65:
	s_or_b32 exec_lo, exec_lo, s4
.LBB123_66:
	s_or_b32 exec_lo, exec_lo, s8
	v_mov_b32_e32 v127, 0
	ds_read_b128 v[127:130], v127 offset:816
	s_waitcnt lgkmcnt(0)
	v_mul_f64 v[132:133], v[3:4], v[129:130]
	v_mul_f64 v[129:130], v[1:2], v[129:130]
	v_fma_f64 v[1:2], v[1:2], v[127:128], -v[132:133]
	v_fma_f64 v[3:4], v[3:4], v[127:128], v[129:130]
	buffer_store_dword v2, off, s[0:3], 0 offset:820
	buffer_store_dword v1, off, s[0:3], 0 offset:816
	;; [unrolled: 1-line block ×4, first 2 shown]
.LBB123_67:
	s_or_b32 exec_lo, exec_lo, s6
	v_mov_b32_e32 v4, s17
	v_cmp_lt_u32_e64 s4, 50, v0
	s_clause 0x3
	buffer_load_dword v1, v4, s[0:3], 0 offen
	buffer_load_dword v2, v4, s[0:3], 0 offen offset:4
	buffer_load_dword v3, v4, s[0:3], 0 offen offset:8
	;; [unrolled: 1-line block ×3, first 2 shown]
	s_waitcnt vmcnt(0)
	ds_write_b128 v126, v[1:4]
	s_waitcnt lgkmcnt(0)
	s_waitcnt_vscnt null, 0x0
	s_barrier
	buffer_gl0_inv
	s_and_saveexec_b32 s6, s4
	s_cbranch_execz .LBB123_75
; %bb.68:
	ds_read_b128 v[1:4], v126
	s_andn2_b32 vcc_lo, exec_lo, s68
	s_cbranch_vccnz .LBB123_70
; %bb.69:
	s_clause 0x3
	buffer_load_dword v127, v125, s[0:3], 0 offen offset:8
	buffer_load_dword v128, v125, s[0:3], 0 offen offset:12
	buffer_load_dword v129, v125, s[0:3], 0 offen
	buffer_load_dword v130, v125, s[0:3], 0 offen offset:4
	s_waitcnt vmcnt(2) lgkmcnt(0)
	v_mul_f64 v[132:133], v[3:4], v[127:128]
	v_mul_f64 v[127:128], v[1:2], v[127:128]
	s_waitcnt vmcnt(0)
	v_fma_f64 v[1:2], v[1:2], v[129:130], -v[132:133]
	v_fma_f64 v[3:4], v[3:4], v[129:130], v[127:128]
.LBB123_70:
	s_and_saveexec_b32 s8, s5
	s_cbranch_execz .LBB123_74
; %bb.71:
	v_subrev_nc_u32_e32 v127, 51, v0
	s_movk_i32 s69, 0x6f0
	s_mov_b32 s5, 0
	s_mov_b32 s70, s16
	.p2align	6
.LBB123_72:                             ; =>This Inner Loop Header: Depth=1
	v_mov_b32_e32 v130, s70
	v_add_nc_u32_e32 v127, -1, v127
	s_add_i32 s70, s70, 16
	s_clause 0x3
	buffer_load_dword v128, v130, s[0:3], 0 offen offset:8
	buffer_load_dword v129, v130, s[0:3], 0 offen offset:12
	buffer_load_dword v136, v130, s[0:3], 0 offen
	buffer_load_dword v137, v130, s[0:3], 0 offen offset:4
	v_mov_b32_e32 v130, s69
	v_cmp_eq_u32_e32 vcc_lo, 0, v127
	s_add_i32 s69, s69, 16
	ds_read_b128 v[132:135], v130
	s_or_b32 s5, vcc_lo, s5
	s_waitcnt vmcnt(2) lgkmcnt(0)
	v_mul_f64 v[138:139], v[134:135], v[128:129]
	v_mul_f64 v[128:129], v[132:133], v[128:129]
	s_waitcnt vmcnt(0)
	v_fma_f64 v[132:133], v[132:133], v[136:137], -v[138:139]
	v_fma_f64 v[128:129], v[134:135], v[136:137], v[128:129]
	v_add_f64 v[1:2], v[1:2], v[132:133]
	v_add_f64 v[3:4], v[3:4], v[128:129]
	s_andn2_b32 exec_lo, exec_lo, s5
	s_cbranch_execnz .LBB123_72
; %bb.73:
	s_or_b32 exec_lo, exec_lo, s5
.LBB123_74:
	s_or_b32 exec_lo, exec_lo, s8
	v_mov_b32_e32 v127, 0
	ds_read_b128 v[127:130], v127 offset:800
	s_waitcnt lgkmcnt(0)
	v_mul_f64 v[132:133], v[3:4], v[129:130]
	v_mul_f64 v[129:130], v[1:2], v[129:130]
	v_fma_f64 v[1:2], v[1:2], v[127:128], -v[132:133]
	v_fma_f64 v[3:4], v[3:4], v[127:128], v[129:130]
	buffer_store_dword v2, off, s[0:3], 0 offset:804
	buffer_store_dword v1, off, s[0:3], 0 offset:800
	;; [unrolled: 1-line block ×4, first 2 shown]
.LBB123_75:
	s_or_b32 exec_lo, exec_lo, s6
	v_mov_b32_e32 v4, s18
	v_cmp_lt_u32_e64 s5, 49, v0
	s_clause 0x3
	buffer_load_dword v1, v4, s[0:3], 0 offen
	buffer_load_dword v2, v4, s[0:3], 0 offen offset:4
	buffer_load_dword v3, v4, s[0:3], 0 offen offset:8
	;; [unrolled: 1-line block ×3, first 2 shown]
	s_waitcnt vmcnt(0)
	ds_write_b128 v126, v[1:4]
	s_waitcnt lgkmcnt(0)
	s_waitcnt_vscnt null, 0x0
	s_barrier
	buffer_gl0_inv
	s_and_saveexec_b32 s6, s5
	s_cbranch_execz .LBB123_83
; %bb.76:
	ds_read_b128 v[1:4], v126
	s_andn2_b32 vcc_lo, exec_lo, s68
	s_cbranch_vccnz .LBB123_78
; %bb.77:
	s_clause 0x3
	buffer_load_dword v127, v125, s[0:3], 0 offen offset:8
	buffer_load_dword v128, v125, s[0:3], 0 offen offset:12
	buffer_load_dword v129, v125, s[0:3], 0 offen
	buffer_load_dword v130, v125, s[0:3], 0 offen offset:4
	s_waitcnt vmcnt(2) lgkmcnt(0)
	v_mul_f64 v[132:133], v[3:4], v[127:128]
	v_mul_f64 v[127:128], v[1:2], v[127:128]
	s_waitcnt vmcnt(0)
	v_fma_f64 v[1:2], v[1:2], v[129:130], -v[132:133]
	v_fma_f64 v[3:4], v[3:4], v[129:130], v[127:128]
.LBB123_78:
	s_and_saveexec_b32 s8, s4
	s_cbranch_execz .LBB123_82
; %bb.79:
	v_subrev_nc_u32_e32 v127, 50, v0
	s_movk_i32 s69, 0x6e0
	s_mov_b32 s4, 0
	s_mov_b32 s70, s17
	.p2align	6
.LBB123_80:                             ; =>This Inner Loop Header: Depth=1
	v_mov_b32_e32 v130, s70
	v_add_nc_u32_e32 v127, -1, v127
	s_add_i32 s70, s70, 16
	s_clause 0x3
	buffer_load_dword v128, v130, s[0:3], 0 offen offset:8
	buffer_load_dword v129, v130, s[0:3], 0 offen offset:12
	buffer_load_dword v136, v130, s[0:3], 0 offen
	buffer_load_dword v137, v130, s[0:3], 0 offen offset:4
	v_mov_b32_e32 v130, s69
	v_cmp_eq_u32_e32 vcc_lo, 0, v127
	s_add_i32 s69, s69, 16
	ds_read_b128 v[132:135], v130
	s_or_b32 s4, vcc_lo, s4
	s_waitcnt vmcnt(2) lgkmcnt(0)
	v_mul_f64 v[138:139], v[134:135], v[128:129]
	v_mul_f64 v[128:129], v[132:133], v[128:129]
	s_waitcnt vmcnt(0)
	v_fma_f64 v[132:133], v[132:133], v[136:137], -v[138:139]
	v_fma_f64 v[128:129], v[134:135], v[136:137], v[128:129]
	v_add_f64 v[1:2], v[1:2], v[132:133]
	v_add_f64 v[3:4], v[3:4], v[128:129]
	s_andn2_b32 exec_lo, exec_lo, s4
	s_cbranch_execnz .LBB123_80
; %bb.81:
	s_or_b32 exec_lo, exec_lo, s4
.LBB123_82:
	s_or_b32 exec_lo, exec_lo, s8
	v_mov_b32_e32 v127, 0
	ds_read_b128 v[127:130], v127 offset:784
	s_waitcnt lgkmcnt(0)
	v_mul_f64 v[132:133], v[3:4], v[129:130]
	v_mul_f64 v[129:130], v[1:2], v[129:130]
	v_fma_f64 v[1:2], v[1:2], v[127:128], -v[132:133]
	v_fma_f64 v[3:4], v[3:4], v[127:128], v[129:130]
	buffer_store_dword v2, off, s[0:3], 0 offset:788
	buffer_store_dword v1, off, s[0:3], 0 offset:784
	;; [unrolled: 1-line block ×4, first 2 shown]
.LBB123_83:
	s_or_b32 exec_lo, exec_lo, s6
	v_mov_b32_e32 v4, s19
	v_cmp_lt_u32_e64 s4, 48, v0
	s_clause 0x3
	buffer_load_dword v1, v4, s[0:3], 0 offen
	buffer_load_dword v2, v4, s[0:3], 0 offen offset:4
	buffer_load_dword v3, v4, s[0:3], 0 offen offset:8
	;; [unrolled: 1-line block ×3, first 2 shown]
	s_waitcnt vmcnt(0)
	ds_write_b128 v126, v[1:4]
	s_waitcnt lgkmcnt(0)
	s_waitcnt_vscnt null, 0x0
	s_barrier
	buffer_gl0_inv
	s_and_saveexec_b32 s6, s4
	s_cbranch_execz .LBB123_91
; %bb.84:
	ds_read_b128 v[1:4], v126
	s_andn2_b32 vcc_lo, exec_lo, s68
	s_cbranch_vccnz .LBB123_86
; %bb.85:
	s_clause 0x3
	buffer_load_dword v127, v125, s[0:3], 0 offen offset:8
	buffer_load_dword v128, v125, s[0:3], 0 offen offset:12
	buffer_load_dword v129, v125, s[0:3], 0 offen
	buffer_load_dword v130, v125, s[0:3], 0 offen offset:4
	s_waitcnt vmcnt(2) lgkmcnt(0)
	v_mul_f64 v[132:133], v[3:4], v[127:128]
	v_mul_f64 v[127:128], v[1:2], v[127:128]
	s_waitcnt vmcnt(0)
	v_fma_f64 v[1:2], v[1:2], v[129:130], -v[132:133]
	v_fma_f64 v[3:4], v[3:4], v[129:130], v[127:128]
.LBB123_86:
	s_and_saveexec_b32 s8, s5
	s_cbranch_execz .LBB123_90
; %bb.87:
	v_subrev_nc_u32_e32 v127, 49, v0
	s_movk_i32 s69, 0x6d0
	s_mov_b32 s5, 0
	s_mov_b32 s70, s18
	.p2align	6
.LBB123_88:                             ; =>This Inner Loop Header: Depth=1
	v_mov_b32_e32 v130, s70
	v_add_nc_u32_e32 v127, -1, v127
	s_add_i32 s70, s70, 16
	s_clause 0x3
	buffer_load_dword v128, v130, s[0:3], 0 offen offset:8
	buffer_load_dword v129, v130, s[0:3], 0 offen offset:12
	buffer_load_dword v136, v130, s[0:3], 0 offen
	buffer_load_dword v137, v130, s[0:3], 0 offen offset:4
	v_mov_b32_e32 v130, s69
	v_cmp_eq_u32_e32 vcc_lo, 0, v127
	s_add_i32 s69, s69, 16
	ds_read_b128 v[132:135], v130
	s_or_b32 s5, vcc_lo, s5
	s_waitcnt vmcnt(2) lgkmcnt(0)
	v_mul_f64 v[138:139], v[134:135], v[128:129]
	v_mul_f64 v[128:129], v[132:133], v[128:129]
	s_waitcnt vmcnt(0)
	v_fma_f64 v[132:133], v[132:133], v[136:137], -v[138:139]
	v_fma_f64 v[128:129], v[134:135], v[136:137], v[128:129]
	v_add_f64 v[1:2], v[1:2], v[132:133]
	v_add_f64 v[3:4], v[3:4], v[128:129]
	s_andn2_b32 exec_lo, exec_lo, s5
	s_cbranch_execnz .LBB123_88
; %bb.89:
	s_or_b32 exec_lo, exec_lo, s5
.LBB123_90:
	s_or_b32 exec_lo, exec_lo, s8
	v_mov_b32_e32 v127, 0
	ds_read_b128 v[127:130], v127 offset:768
	s_waitcnt lgkmcnt(0)
	v_mul_f64 v[132:133], v[3:4], v[129:130]
	v_mul_f64 v[129:130], v[1:2], v[129:130]
	v_fma_f64 v[1:2], v[1:2], v[127:128], -v[132:133]
	v_fma_f64 v[3:4], v[3:4], v[127:128], v[129:130]
	buffer_store_dword v2, off, s[0:3], 0 offset:772
	buffer_store_dword v1, off, s[0:3], 0 offset:768
	;; [unrolled: 1-line block ×4, first 2 shown]
.LBB123_91:
	s_or_b32 exec_lo, exec_lo, s6
	v_mov_b32_e32 v4, s20
	v_cmp_lt_u32_e64 s5, 47, v0
	s_clause 0x3
	buffer_load_dword v1, v4, s[0:3], 0 offen
	buffer_load_dword v2, v4, s[0:3], 0 offen offset:4
	buffer_load_dword v3, v4, s[0:3], 0 offen offset:8
	;; [unrolled: 1-line block ×3, first 2 shown]
	s_waitcnt vmcnt(0)
	ds_write_b128 v126, v[1:4]
	s_waitcnt lgkmcnt(0)
	s_waitcnt_vscnt null, 0x0
	s_barrier
	buffer_gl0_inv
	s_and_saveexec_b32 s6, s5
	s_cbranch_execz .LBB123_99
; %bb.92:
	ds_read_b128 v[1:4], v126
	s_andn2_b32 vcc_lo, exec_lo, s68
	s_cbranch_vccnz .LBB123_94
; %bb.93:
	s_clause 0x3
	buffer_load_dword v127, v125, s[0:3], 0 offen offset:8
	buffer_load_dword v128, v125, s[0:3], 0 offen offset:12
	buffer_load_dword v129, v125, s[0:3], 0 offen
	buffer_load_dword v130, v125, s[0:3], 0 offen offset:4
	s_waitcnt vmcnt(2) lgkmcnt(0)
	v_mul_f64 v[132:133], v[3:4], v[127:128]
	v_mul_f64 v[127:128], v[1:2], v[127:128]
	s_waitcnt vmcnt(0)
	v_fma_f64 v[1:2], v[1:2], v[129:130], -v[132:133]
	v_fma_f64 v[3:4], v[3:4], v[129:130], v[127:128]
.LBB123_94:
	s_and_saveexec_b32 s8, s4
	s_cbranch_execz .LBB123_98
; %bb.95:
	v_subrev_nc_u32_e32 v127, 48, v0
	s_movk_i32 s69, 0x6c0
	s_mov_b32 s4, 0
	s_mov_b32 s70, s19
	.p2align	6
.LBB123_96:                             ; =>This Inner Loop Header: Depth=1
	v_mov_b32_e32 v130, s70
	v_add_nc_u32_e32 v127, -1, v127
	s_add_i32 s70, s70, 16
	s_clause 0x3
	buffer_load_dword v128, v130, s[0:3], 0 offen offset:8
	buffer_load_dword v129, v130, s[0:3], 0 offen offset:12
	buffer_load_dword v136, v130, s[0:3], 0 offen
	buffer_load_dword v137, v130, s[0:3], 0 offen offset:4
	v_mov_b32_e32 v130, s69
	v_cmp_eq_u32_e32 vcc_lo, 0, v127
	s_add_i32 s69, s69, 16
	ds_read_b128 v[132:135], v130
	s_or_b32 s4, vcc_lo, s4
	s_waitcnt vmcnt(2) lgkmcnt(0)
	v_mul_f64 v[138:139], v[134:135], v[128:129]
	v_mul_f64 v[128:129], v[132:133], v[128:129]
	s_waitcnt vmcnt(0)
	v_fma_f64 v[132:133], v[132:133], v[136:137], -v[138:139]
	v_fma_f64 v[128:129], v[134:135], v[136:137], v[128:129]
	v_add_f64 v[1:2], v[1:2], v[132:133]
	v_add_f64 v[3:4], v[3:4], v[128:129]
	s_andn2_b32 exec_lo, exec_lo, s4
	s_cbranch_execnz .LBB123_96
; %bb.97:
	s_or_b32 exec_lo, exec_lo, s4
.LBB123_98:
	s_or_b32 exec_lo, exec_lo, s8
	v_mov_b32_e32 v127, 0
	ds_read_b128 v[127:130], v127 offset:752
	s_waitcnt lgkmcnt(0)
	v_mul_f64 v[132:133], v[3:4], v[129:130]
	v_mul_f64 v[129:130], v[1:2], v[129:130]
	v_fma_f64 v[1:2], v[1:2], v[127:128], -v[132:133]
	v_fma_f64 v[3:4], v[3:4], v[127:128], v[129:130]
	buffer_store_dword v2, off, s[0:3], 0 offset:756
	buffer_store_dword v1, off, s[0:3], 0 offset:752
	;; [unrolled: 1-line block ×4, first 2 shown]
.LBB123_99:
	s_or_b32 exec_lo, exec_lo, s6
	v_mov_b32_e32 v4, s21
	v_cmp_lt_u32_e64 s4, 46, v0
	s_clause 0x3
	buffer_load_dword v1, v4, s[0:3], 0 offen
	buffer_load_dword v2, v4, s[0:3], 0 offen offset:4
	buffer_load_dword v3, v4, s[0:3], 0 offen offset:8
	buffer_load_dword v4, v4, s[0:3], 0 offen offset:12
	s_waitcnt vmcnt(0)
	ds_write_b128 v126, v[1:4]
	s_waitcnt lgkmcnt(0)
	s_waitcnt_vscnt null, 0x0
	s_barrier
	buffer_gl0_inv
	s_and_saveexec_b32 s6, s4
	s_cbranch_execz .LBB123_107
; %bb.100:
	ds_read_b128 v[1:4], v126
	s_andn2_b32 vcc_lo, exec_lo, s68
	s_cbranch_vccnz .LBB123_102
; %bb.101:
	s_clause 0x3
	buffer_load_dword v127, v125, s[0:3], 0 offen offset:8
	buffer_load_dword v128, v125, s[0:3], 0 offen offset:12
	buffer_load_dword v129, v125, s[0:3], 0 offen
	buffer_load_dword v130, v125, s[0:3], 0 offen offset:4
	s_waitcnt vmcnt(2) lgkmcnt(0)
	v_mul_f64 v[132:133], v[3:4], v[127:128]
	v_mul_f64 v[127:128], v[1:2], v[127:128]
	s_waitcnt vmcnt(0)
	v_fma_f64 v[1:2], v[1:2], v[129:130], -v[132:133]
	v_fma_f64 v[3:4], v[3:4], v[129:130], v[127:128]
.LBB123_102:
	s_and_saveexec_b32 s8, s5
	s_cbranch_execz .LBB123_106
; %bb.103:
	v_subrev_nc_u32_e32 v127, 47, v0
	s_movk_i32 s69, 0x6b0
	s_mov_b32 s5, 0
	s_mov_b32 s70, s20
	.p2align	6
.LBB123_104:                            ; =>This Inner Loop Header: Depth=1
	v_mov_b32_e32 v130, s70
	v_add_nc_u32_e32 v127, -1, v127
	s_add_i32 s70, s70, 16
	s_clause 0x3
	buffer_load_dword v128, v130, s[0:3], 0 offen offset:8
	buffer_load_dword v129, v130, s[0:3], 0 offen offset:12
	buffer_load_dword v136, v130, s[0:3], 0 offen
	buffer_load_dword v137, v130, s[0:3], 0 offen offset:4
	v_mov_b32_e32 v130, s69
	v_cmp_eq_u32_e32 vcc_lo, 0, v127
	s_add_i32 s69, s69, 16
	ds_read_b128 v[132:135], v130
	s_or_b32 s5, vcc_lo, s5
	s_waitcnt vmcnt(2) lgkmcnt(0)
	v_mul_f64 v[138:139], v[134:135], v[128:129]
	v_mul_f64 v[128:129], v[132:133], v[128:129]
	s_waitcnt vmcnt(0)
	v_fma_f64 v[132:133], v[132:133], v[136:137], -v[138:139]
	v_fma_f64 v[128:129], v[134:135], v[136:137], v[128:129]
	v_add_f64 v[1:2], v[1:2], v[132:133]
	v_add_f64 v[3:4], v[3:4], v[128:129]
	s_andn2_b32 exec_lo, exec_lo, s5
	s_cbranch_execnz .LBB123_104
; %bb.105:
	s_or_b32 exec_lo, exec_lo, s5
.LBB123_106:
	s_or_b32 exec_lo, exec_lo, s8
	v_mov_b32_e32 v127, 0
	ds_read_b128 v[127:130], v127 offset:736
	s_waitcnt lgkmcnt(0)
	v_mul_f64 v[132:133], v[3:4], v[129:130]
	v_mul_f64 v[129:130], v[1:2], v[129:130]
	v_fma_f64 v[1:2], v[1:2], v[127:128], -v[132:133]
	v_fma_f64 v[3:4], v[3:4], v[127:128], v[129:130]
	buffer_store_dword v2, off, s[0:3], 0 offset:740
	buffer_store_dword v1, off, s[0:3], 0 offset:736
	;; [unrolled: 1-line block ×4, first 2 shown]
.LBB123_107:
	s_or_b32 exec_lo, exec_lo, s6
	v_mov_b32_e32 v4, s22
	v_cmp_lt_u32_e64 s5, 45, v0
	s_clause 0x3
	buffer_load_dword v1, v4, s[0:3], 0 offen
	buffer_load_dword v2, v4, s[0:3], 0 offen offset:4
	buffer_load_dword v3, v4, s[0:3], 0 offen offset:8
	;; [unrolled: 1-line block ×3, first 2 shown]
	s_waitcnt vmcnt(0)
	ds_write_b128 v126, v[1:4]
	s_waitcnt lgkmcnt(0)
	s_waitcnt_vscnt null, 0x0
	s_barrier
	buffer_gl0_inv
	s_and_saveexec_b32 s6, s5
	s_cbranch_execz .LBB123_115
; %bb.108:
	ds_read_b128 v[1:4], v126
	s_andn2_b32 vcc_lo, exec_lo, s68
	s_cbranch_vccnz .LBB123_110
; %bb.109:
	s_clause 0x3
	buffer_load_dword v127, v125, s[0:3], 0 offen offset:8
	buffer_load_dword v128, v125, s[0:3], 0 offen offset:12
	buffer_load_dword v129, v125, s[0:3], 0 offen
	buffer_load_dword v130, v125, s[0:3], 0 offen offset:4
	s_waitcnt vmcnt(2) lgkmcnt(0)
	v_mul_f64 v[132:133], v[3:4], v[127:128]
	v_mul_f64 v[127:128], v[1:2], v[127:128]
	s_waitcnt vmcnt(0)
	v_fma_f64 v[1:2], v[1:2], v[129:130], -v[132:133]
	v_fma_f64 v[3:4], v[3:4], v[129:130], v[127:128]
.LBB123_110:
	s_and_saveexec_b32 s8, s4
	s_cbranch_execz .LBB123_114
; %bb.111:
	v_subrev_nc_u32_e32 v127, 46, v0
	s_movk_i32 s69, 0x6a0
	s_mov_b32 s4, 0
	s_mov_b32 s70, s21
	.p2align	6
.LBB123_112:                            ; =>This Inner Loop Header: Depth=1
	v_mov_b32_e32 v130, s70
	v_add_nc_u32_e32 v127, -1, v127
	s_add_i32 s70, s70, 16
	s_clause 0x3
	buffer_load_dword v128, v130, s[0:3], 0 offen offset:8
	buffer_load_dword v129, v130, s[0:3], 0 offen offset:12
	buffer_load_dword v136, v130, s[0:3], 0 offen
	buffer_load_dword v137, v130, s[0:3], 0 offen offset:4
	v_mov_b32_e32 v130, s69
	v_cmp_eq_u32_e32 vcc_lo, 0, v127
	s_add_i32 s69, s69, 16
	ds_read_b128 v[132:135], v130
	s_or_b32 s4, vcc_lo, s4
	s_waitcnt vmcnt(2) lgkmcnt(0)
	v_mul_f64 v[138:139], v[134:135], v[128:129]
	v_mul_f64 v[128:129], v[132:133], v[128:129]
	s_waitcnt vmcnt(0)
	v_fma_f64 v[132:133], v[132:133], v[136:137], -v[138:139]
	v_fma_f64 v[128:129], v[134:135], v[136:137], v[128:129]
	v_add_f64 v[1:2], v[1:2], v[132:133]
	v_add_f64 v[3:4], v[3:4], v[128:129]
	s_andn2_b32 exec_lo, exec_lo, s4
	s_cbranch_execnz .LBB123_112
; %bb.113:
	s_or_b32 exec_lo, exec_lo, s4
.LBB123_114:
	s_or_b32 exec_lo, exec_lo, s8
	v_mov_b32_e32 v127, 0
	ds_read_b128 v[127:130], v127 offset:720
	s_waitcnt lgkmcnt(0)
	v_mul_f64 v[132:133], v[3:4], v[129:130]
	v_mul_f64 v[129:130], v[1:2], v[129:130]
	v_fma_f64 v[1:2], v[1:2], v[127:128], -v[132:133]
	v_fma_f64 v[3:4], v[3:4], v[127:128], v[129:130]
	buffer_store_dword v2, off, s[0:3], 0 offset:724
	buffer_store_dword v1, off, s[0:3], 0 offset:720
	;; [unrolled: 1-line block ×4, first 2 shown]
.LBB123_115:
	s_or_b32 exec_lo, exec_lo, s6
	v_mov_b32_e32 v4, s23
	v_cmp_lt_u32_e64 s4, 44, v0
	s_clause 0x3
	buffer_load_dword v1, v4, s[0:3], 0 offen
	buffer_load_dword v2, v4, s[0:3], 0 offen offset:4
	buffer_load_dword v3, v4, s[0:3], 0 offen offset:8
	;; [unrolled: 1-line block ×3, first 2 shown]
	s_waitcnt vmcnt(0)
	ds_write_b128 v126, v[1:4]
	s_waitcnt lgkmcnt(0)
	s_waitcnt_vscnt null, 0x0
	s_barrier
	buffer_gl0_inv
	s_and_saveexec_b32 s6, s4
	s_cbranch_execz .LBB123_123
; %bb.116:
	ds_read_b128 v[1:4], v126
	s_andn2_b32 vcc_lo, exec_lo, s68
	s_cbranch_vccnz .LBB123_118
; %bb.117:
	s_clause 0x3
	buffer_load_dword v127, v125, s[0:3], 0 offen offset:8
	buffer_load_dword v128, v125, s[0:3], 0 offen offset:12
	buffer_load_dword v129, v125, s[0:3], 0 offen
	buffer_load_dword v130, v125, s[0:3], 0 offen offset:4
	s_waitcnt vmcnt(2) lgkmcnt(0)
	v_mul_f64 v[132:133], v[3:4], v[127:128]
	v_mul_f64 v[127:128], v[1:2], v[127:128]
	s_waitcnt vmcnt(0)
	v_fma_f64 v[1:2], v[1:2], v[129:130], -v[132:133]
	v_fma_f64 v[3:4], v[3:4], v[129:130], v[127:128]
.LBB123_118:
	s_and_saveexec_b32 s8, s5
	s_cbranch_execz .LBB123_122
; %bb.119:
	v_subrev_nc_u32_e32 v127, 45, v0
	s_movk_i32 s69, 0x690
	s_mov_b32 s5, 0
	s_mov_b32 s70, s22
	.p2align	6
.LBB123_120:                            ; =>This Inner Loop Header: Depth=1
	v_mov_b32_e32 v130, s70
	v_add_nc_u32_e32 v127, -1, v127
	s_add_i32 s70, s70, 16
	s_clause 0x3
	buffer_load_dword v128, v130, s[0:3], 0 offen offset:8
	buffer_load_dword v129, v130, s[0:3], 0 offen offset:12
	buffer_load_dword v136, v130, s[0:3], 0 offen
	buffer_load_dword v137, v130, s[0:3], 0 offen offset:4
	v_mov_b32_e32 v130, s69
	v_cmp_eq_u32_e32 vcc_lo, 0, v127
	s_add_i32 s69, s69, 16
	ds_read_b128 v[132:135], v130
	s_or_b32 s5, vcc_lo, s5
	s_waitcnt vmcnt(2) lgkmcnt(0)
	v_mul_f64 v[138:139], v[134:135], v[128:129]
	v_mul_f64 v[128:129], v[132:133], v[128:129]
	s_waitcnt vmcnt(0)
	v_fma_f64 v[132:133], v[132:133], v[136:137], -v[138:139]
	v_fma_f64 v[128:129], v[134:135], v[136:137], v[128:129]
	v_add_f64 v[1:2], v[1:2], v[132:133]
	v_add_f64 v[3:4], v[3:4], v[128:129]
	s_andn2_b32 exec_lo, exec_lo, s5
	s_cbranch_execnz .LBB123_120
; %bb.121:
	s_or_b32 exec_lo, exec_lo, s5
.LBB123_122:
	s_or_b32 exec_lo, exec_lo, s8
	v_mov_b32_e32 v127, 0
	ds_read_b128 v[127:130], v127 offset:704
	s_waitcnt lgkmcnt(0)
	v_mul_f64 v[132:133], v[3:4], v[129:130]
	v_mul_f64 v[129:130], v[1:2], v[129:130]
	v_fma_f64 v[1:2], v[1:2], v[127:128], -v[132:133]
	v_fma_f64 v[3:4], v[3:4], v[127:128], v[129:130]
	buffer_store_dword v2, off, s[0:3], 0 offset:708
	buffer_store_dword v1, off, s[0:3], 0 offset:704
	;; [unrolled: 1-line block ×4, first 2 shown]
.LBB123_123:
	s_or_b32 exec_lo, exec_lo, s6
	v_mov_b32_e32 v4, s24
	v_cmp_lt_u32_e64 s5, 43, v0
	s_clause 0x3
	buffer_load_dword v1, v4, s[0:3], 0 offen
	buffer_load_dword v2, v4, s[0:3], 0 offen offset:4
	buffer_load_dword v3, v4, s[0:3], 0 offen offset:8
	;; [unrolled: 1-line block ×3, first 2 shown]
	s_waitcnt vmcnt(0)
	ds_write_b128 v126, v[1:4]
	s_waitcnt lgkmcnt(0)
	s_waitcnt_vscnt null, 0x0
	s_barrier
	buffer_gl0_inv
	s_and_saveexec_b32 s6, s5
	s_cbranch_execz .LBB123_131
; %bb.124:
	ds_read_b128 v[1:4], v126
	s_andn2_b32 vcc_lo, exec_lo, s68
	s_cbranch_vccnz .LBB123_126
; %bb.125:
	s_clause 0x3
	buffer_load_dword v127, v125, s[0:3], 0 offen offset:8
	buffer_load_dword v128, v125, s[0:3], 0 offen offset:12
	buffer_load_dword v129, v125, s[0:3], 0 offen
	buffer_load_dword v130, v125, s[0:3], 0 offen offset:4
	s_waitcnt vmcnt(2) lgkmcnt(0)
	v_mul_f64 v[132:133], v[3:4], v[127:128]
	v_mul_f64 v[127:128], v[1:2], v[127:128]
	s_waitcnt vmcnt(0)
	v_fma_f64 v[1:2], v[1:2], v[129:130], -v[132:133]
	v_fma_f64 v[3:4], v[3:4], v[129:130], v[127:128]
.LBB123_126:
	s_and_saveexec_b32 s8, s4
	s_cbranch_execz .LBB123_130
; %bb.127:
	v_subrev_nc_u32_e32 v127, 44, v0
	s_movk_i32 s69, 0x680
	s_mov_b32 s4, 0
	s_mov_b32 s70, s23
	.p2align	6
.LBB123_128:                            ; =>This Inner Loop Header: Depth=1
	v_mov_b32_e32 v130, s70
	v_add_nc_u32_e32 v127, -1, v127
	s_add_i32 s70, s70, 16
	s_clause 0x3
	buffer_load_dword v128, v130, s[0:3], 0 offen offset:8
	buffer_load_dword v129, v130, s[0:3], 0 offen offset:12
	buffer_load_dword v136, v130, s[0:3], 0 offen
	buffer_load_dword v137, v130, s[0:3], 0 offen offset:4
	v_mov_b32_e32 v130, s69
	v_cmp_eq_u32_e32 vcc_lo, 0, v127
	s_add_i32 s69, s69, 16
	ds_read_b128 v[132:135], v130
	s_or_b32 s4, vcc_lo, s4
	s_waitcnt vmcnt(2) lgkmcnt(0)
	v_mul_f64 v[138:139], v[134:135], v[128:129]
	v_mul_f64 v[128:129], v[132:133], v[128:129]
	s_waitcnt vmcnt(0)
	v_fma_f64 v[132:133], v[132:133], v[136:137], -v[138:139]
	v_fma_f64 v[128:129], v[134:135], v[136:137], v[128:129]
	v_add_f64 v[1:2], v[1:2], v[132:133]
	v_add_f64 v[3:4], v[3:4], v[128:129]
	s_andn2_b32 exec_lo, exec_lo, s4
	s_cbranch_execnz .LBB123_128
; %bb.129:
	s_or_b32 exec_lo, exec_lo, s4
.LBB123_130:
	s_or_b32 exec_lo, exec_lo, s8
	v_mov_b32_e32 v127, 0
	ds_read_b128 v[127:130], v127 offset:688
	s_waitcnt lgkmcnt(0)
	v_mul_f64 v[132:133], v[3:4], v[129:130]
	v_mul_f64 v[129:130], v[1:2], v[129:130]
	v_fma_f64 v[1:2], v[1:2], v[127:128], -v[132:133]
	v_fma_f64 v[3:4], v[3:4], v[127:128], v[129:130]
	buffer_store_dword v2, off, s[0:3], 0 offset:692
	buffer_store_dword v1, off, s[0:3], 0 offset:688
	;; [unrolled: 1-line block ×4, first 2 shown]
.LBB123_131:
	s_or_b32 exec_lo, exec_lo, s6
	v_mov_b32_e32 v4, s25
	v_cmp_lt_u32_e64 s4, 42, v0
	s_clause 0x3
	buffer_load_dword v1, v4, s[0:3], 0 offen
	buffer_load_dword v2, v4, s[0:3], 0 offen offset:4
	buffer_load_dword v3, v4, s[0:3], 0 offen offset:8
	;; [unrolled: 1-line block ×3, first 2 shown]
	s_waitcnt vmcnt(0)
	ds_write_b128 v126, v[1:4]
	s_waitcnt lgkmcnt(0)
	s_waitcnt_vscnt null, 0x0
	s_barrier
	buffer_gl0_inv
	s_and_saveexec_b32 s6, s4
	s_cbranch_execz .LBB123_139
; %bb.132:
	ds_read_b128 v[1:4], v126
	s_andn2_b32 vcc_lo, exec_lo, s68
	s_cbranch_vccnz .LBB123_134
; %bb.133:
	s_clause 0x3
	buffer_load_dword v127, v125, s[0:3], 0 offen offset:8
	buffer_load_dword v128, v125, s[0:3], 0 offen offset:12
	buffer_load_dword v129, v125, s[0:3], 0 offen
	buffer_load_dword v130, v125, s[0:3], 0 offen offset:4
	s_waitcnt vmcnt(2) lgkmcnt(0)
	v_mul_f64 v[132:133], v[3:4], v[127:128]
	v_mul_f64 v[127:128], v[1:2], v[127:128]
	s_waitcnt vmcnt(0)
	v_fma_f64 v[1:2], v[1:2], v[129:130], -v[132:133]
	v_fma_f64 v[3:4], v[3:4], v[129:130], v[127:128]
.LBB123_134:
	s_and_saveexec_b32 s8, s5
	s_cbranch_execz .LBB123_138
; %bb.135:
	v_subrev_nc_u32_e32 v127, 43, v0
	s_movk_i32 s69, 0x670
	s_mov_b32 s5, 0
	s_mov_b32 s70, s24
	.p2align	6
.LBB123_136:                            ; =>This Inner Loop Header: Depth=1
	v_mov_b32_e32 v130, s70
	v_add_nc_u32_e32 v127, -1, v127
	s_add_i32 s70, s70, 16
	s_clause 0x3
	buffer_load_dword v128, v130, s[0:3], 0 offen offset:8
	buffer_load_dword v129, v130, s[0:3], 0 offen offset:12
	buffer_load_dword v136, v130, s[0:3], 0 offen
	buffer_load_dword v137, v130, s[0:3], 0 offen offset:4
	v_mov_b32_e32 v130, s69
	v_cmp_eq_u32_e32 vcc_lo, 0, v127
	s_add_i32 s69, s69, 16
	ds_read_b128 v[132:135], v130
	s_or_b32 s5, vcc_lo, s5
	s_waitcnt vmcnt(2) lgkmcnt(0)
	v_mul_f64 v[138:139], v[134:135], v[128:129]
	v_mul_f64 v[128:129], v[132:133], v[128:129]
	s_waitcnt vmcnt(0)
	v_fma_f64 v[132:133], v[132:133], v[136:137], -v[138:139]
	v_fma_f64 v[128:129], v[134:135], v[136:137], v[128:129]
	v_add_f64 v[1:2], v[1:2], v[132:133]
	v_add_f64 v[3:4], v[3:4], v[128:129]
	s_andn2_b32 exec_lo, exec_lo, s5
	s_cbranch_execnz .LBB123_136
; %bb.137:
	s_or_b32 exec_lo, exec_lo, s5
.LBB123_138:
	s_or_b32 exec_lo, exec_lo, s8
	v_mov_b32_e32 v127, 0
	ds_read_b128 v[127:130], v127 offset:672
	s_waitcnt lgkmcnt(0)
	v_mul_f64 v[132:133], v[3:4], v[129:130]
	v_mul_f64 v[129:130], v[1:2], v[129:130]
	v_fma_f64 v[1:2], v[1:2], v[127:128], -v[132:133]
	v_fma_f64 v[3:4], v[3:4], v[127:128], v[129:130]
	buffer_store_dword v2, off, s[0:3], 0 offset:676
	buffer_store_dword v1, off, s[0:3], 0 offset:672
	;; [unrolled: 1-line block ×4, first 2 shown]
.LBB123_139:
	s_or_b32 exec_lo, exec_lo, s6
	v_mov_b32_e32 v4, s26
	v_cmp_lt_u32_e64 s5, 41, v0
	s_clause 0x3
	buffer_load_dword v1, v4, s[0:3], 0 offen
	buffer_load_dword v2, v4, s[0:3], 0 offen offset:4
	buffer_load_dword v3, v4, s[0:3], 0 offen offset:8
	;; [unrolled: 1-line block ×3, first 2 shown]
	s_waitcnt vmcnt(0)
	ds_write_b128 v126, v[1:4]
	s_waitcnt lgkmcnt(0)
	s_waitcnt_vscnt null, 0x0
	s_barrier
	buffer_gl0_inv
	s_and_saveexec_b32 s6, s5
	s_cbranch_execz .LBB123_147
; %bb.140:
	ds_read_b128 v[1:4], v126
	s_andn2_b32 vcc_lo, exec_lo, s68
	s_cbranch_vccnz .LBB123_142
; %bb.141:
	s_clause 0x3
	buffer_load_dword v127, v125, s[0:3], 0 offen offset:8
	buffer_load_dword v128, v125, s[0:3], 0 offen offset:12
	buffer_load_dword v129, v125, s[0:3], 0 offen
	buffer_load_dword v130, v125, s[0:3], 0 offen offset:4
	s_waitcnt vmcnt(2) lgkmcnt(0)
	v_mul_f64 v[132:133], v[3:4], v[127:128]
	v_mul_f64 v[127:128], v[1:2], v[127:128]
	s_waitcnt vmcnt(0)
	v_fma_f64 v[1:2], v[1:2], v[129:130], -v[132:133]
	v_fma_f64 v[3:4], v[3:4], v[129:130], v[127:128]
.LBB123_142:
	s_and_saveexec_b32 s8, s4
	s_cbranch_execz .LBB123_146
; %bb.143:
	v_subrev_nc_u32_e32 v127, 42, v0
	s_movk_i32 s69, 0x660
	s_mov_b32 s4, 0
	s_mov_b32 s70, s25
	.p2align	6
.LBB123_144:                            ; =>This Inner Loop Header: Depth=1
	v_mov_b32_e32 v130, s70
	v_add_nc_u32_e32 v127, -1, v127
	s_add_i32 s70, s70, 16
	s_clause 0x3
	buffer_load_dword v128, v130, s[0:3], 0 offen offset:8
	buffer_load_dword v129, v130, s[0:3], 0 offen offset:12
	buffer_load_dword v136, v130, s[0:3], 0 offen
	buffer_load_dword v137, v130, s[0:3], 0 offen offset:4
	v_mov_b32_e32 v130, s69
	v_cmp_eq_u32_e32 vcc_lo, 0, v127
	s_add_i32 s69, s69, 16
	ds_read_b128 v[132:135], v130
	s_or_b32 s4, vcc_lo, s4
	s_waitcnt vmcnt(2) lgkmcnt(0)
	v_mul_f64 v[138:139], v[134:135], v[128:129]
	v_mul_f64 v[128:129], v[132:133], v[128:129]
	s_waitcnt vmcnt(0)
	v_fma_f64 v[132:133], v[132:133], v[136:137], -v[138:139]
	v_fma_f64 v[128:129], v[134:135], v[136:137], v[128:129]
	v_add_f64 v[1:2], v[1:2], v[132:133]
	v_add_f64 v[3:4], v[3:4], v[128:129]
	s_andn2_b32 exec_lo, exec_lo, s4
	s_cbranch_execnz .LBB123_144
; %bb.145:
	s_or_b32 exec_lo, exec_lo, s4
.LBB123_146:
	s_or_b32 exec_lo, exec_lo, s8
	v_mov_b32_e32 v127, 0
	ds_read_b128 v[127:130], v127 offset:656
	s_waitcnt lgkmcnt(0)
	v_mul_f64 v[132:133], v[3:4], v[129:130]
	v_mul_f64 v[129:130], v[1:2], v[129:130]
	v_fma_f64 v[1:2], v[1:2], v[127:128], -v[132:133]
	v_fma_f64 v[3:4], v[3:4], v[127:128], v[129:130]
	buffer_store_dword v2, off, s[0:3], 0 offset:660
	buffer_store_dword v1, off, s[0:3], 0 offset:656
	;; [unrolled: 1-line block ×4, first 2 shown]
.LBB123_147:
	s_or_b32 exec_lo, exec_lo, s6
	v_mov_b32_e32 v4, s27
	v_cmp_lt_u32_e64 s4, 40, v0
	s_clause 0x3
	buffer_load_dword v1, v4, s[0:3], 0 offen
	buffer_load_dword v2, v4, s[0:3], 0 offen offset:4
	buffer_load_dword v3, v4, s[0:3], 0 offen offset:8
	;; [unrolled: 1-line block ×3, first 2 shown]
	s_waitcnt vmcnt(0)
	ds_write_b128 v126, v[1:4]
	s_waitcnt lgkmcnt(0)
	s_waitcnt_vscnt null, 0x0
	s_barrier
	buffer_gl0_inv
	s_and_saveexec_b32 s6, s4
	s_cbranch_execz .LBB123_155
; %bb.148:
	ds_read_b128 v[1:4], v126
	s_andn2_b32 vcc_lo, exec_lo, s68
	s_cbranch_vccnz .LBB123_150
; %bb.149:
	s_clause 0x3
	buffer_load_dword v127, v125, s[0:3], 0 offen offset:8
	buffer_load_dword v128, v125, s[0:3], 0 offen offset:12
	buffer_load_dword v129, v125, s[0:3], 0 offen
	buffer_load_dword v130, v125, s[0:3], 0 offen offset:4
	s_waitcnt vmcnt(2) lgkmcnt(0)
	v_mul_f64 v[132:133], v[3:4], v[127:128]
	v_mul_f64 v[127:128], v[1:2], v[127:128]
	s_waitcnt vmcnt(0)
	v_fma_f64 v[1:2], v[1:2], v[129:130], -v[132:133]
	v_fma_f64 v[3:4], v[3:4], v[129:130], v[127:128]
.LBB123_150:
	s_and_saveexec_b32 s8, s5
	s_cbranch_execz .LBB123_154
; %bb.151:
	v_subrev_nc_u32_e32 v127, 41, v0
	s_movk_i32 s69, 0x650
	s_mov_b32 s5, 0
	s_mov_b32 s70, s26
	.p2align	6
.LBB123_152:                            ; =>This Inner Loop Header: Depth=1
	v_mov_b32_e32 v130, s70
	v_add_nc_u32_e32 v127, -1, v127
	s_add_i32 s70, s70, 16
	s_clause 0x3
	buffer_load_dword v128, v130, s[0:3], 0 offen offset:8
	buffer_load_dword v129, v130, s[0:3], 0 offen offset:12
	buffer_load_dword v136, v130, s[0:3], 0 offen
	buffer_load_dword v137, v130, s[0:3], 0 offen offset:4
	v_mov_b32_e32 v130, s69
	v_cmp_eq_u32_e32 vcc_lo, 0, v127
	s_add_i32 s69, s69, 16
	ds_read_b128 v[132:135], v130
	s_or_b32 s5, vcc_lo, s5
	s_waitcnt vmcnt(2) lgkmcnt(0)
	v_mul_f64 v[138:139], v[134:135], v[128:129]
	v_mul_f64 v[128:129], v[132:133], v[128:129]
	s_waitcnt vmcnt(0)
	v_fma_f64 v[132:133], v[132:133], v[136:137], -v[138:139]
	v_fma_f64 v[128:129], v[134:135], v[136:137], v[128:129]
	v_add_f64 v[1:2], v[1:2], v[132:133]
	v_add_f64 v[3:4], v[3:4], v[128:129]
	s_andn2_b32 exec_lo, exec_lo, s5
	s_cbranch_execnz .LBB123_152
; %bb.153:
	s_or_b32 exec_lo, exec_lo, s5
.LBB123_154:
	s_or_b32 exec_lo, exec_lo, s8
	v_mov_b32_e32 v127, 0
	ds_read_b128 v[127:130], v127 offset:640
	s_waitcnt lgkmcnt(0)
	v_mul_f64 v[132:133], v[3:4], v[129:130]
	v_mul_f64 v[129:130], v[1:2], v[129:130]
	v_fma_f64 v[1:2], v[1:2], v[127:128], -v[132:133]
	v_fma_f64 v[3:4], v[3:4], v[127:128], v[129:130]
	buffer_store_dword v2, off, s[0:3], 0 offset:644
	buffer_store_dword v1, off, s[0:3], 0 offset:640
	;; [unrolled: 1-line block ×4, first 2 shown]
.LBB123_155:
	s_or_b32 exec_lo, exec_lo, s6
	v_mov_b32_e32 v4, s28
	v_cmp_lt_u32_e64 s5, 39, v0
	s_clause 0x3
	buffer_load_dword v1, v4, s[0:3], 0 offen
	buffer_load_dword v2, v4, s[0:3], 0 offen offset:4
	buffer_load_dword v3, v4, s[0:3], 0 offen offset:8
	;; [unrolled: 1-line block ×3, first 2 shown]
	s_waitcnt vmcnt(0)
	ds_write_b128 v126, v[1:4]
	s_waitcnt lgkmcnt(0)
	s_waitcnt_vscnt null, 0x0
	s_barrier
	buffer_gl0_inv
	s_and_saveexec_b32 s6, s5
	s_cbranch_execz .LBB123_163
; %bb.156:
	ds_read_b128 v[1:4], v126
	s_andn2_b32 vcc_lo, exec_lo, s68
	s_cbranch_vccnz .LBB123_158
; %bb.157:
	s_clause 0x3
	buffer_load_dword v127, v125, s[0:3], 0 offen offset:8
	buffer_load_dword v128, v125, s[0:3], 0 offen offset:12
	buffer_load_dword v129, v125, s[0:3], 0 offen
	buffer_load_dword v130, v125, s[0:3], 0 offen offset:4
	s_waitcnt vmcnt(2) lgkmcnt(0)
	v_mul_f64 v[132:133], v[3:4], v[127:128]
	v_mul_f64 v[127:128], v[1:2], v[127:128]
	s_waitcnt vmcnt(0)
	v_fma_f64 v[1:2], v[1:2], v[129:130], -v[132:133]
	v_fma_f64 v[3:4], v[3:4], v[129:130], v[127:128]
.LBB123_158:
	s_and_saveexec_b32 s8, s4
	s_cbranch_execz .LBB123_162
; %bb.159:
	v_subrev_nc_u32_e32 v127, 40, v0
	s_movk_i32 s69, 0x640
	s_mov_b32 s4, 0
	s_mov_b32 s70, s27
	.p2align	6
.LBB123_160:                            ; =>This Inner Loop Header: Depth=1
	v_mov_b32_e32 v130, s70
	v_add_nc_u32_e32 v127, -1, v127
	s_add_i32 s70, s70, 16
	s_clause 0x3
	buffer_load_dword v128, v130, s[0:3], 0 offen offset:8
	buffer_load_dword v129, v130, s[0:3], 0 offen offset:12
	buffer_load_dword v136, v130, s[0:3], 0 offen
	buffer_load_dword v137, v130, s[0:3], 0 offen offset:4
	v_mov_b32_e32 v130, s69
	v_cmp_eq_u32_e32 vcc_lo, 0, v127
	s_add_i32 s69, s69, 16
	ds_read_b128 v[132:135], v130
	s_or_b32 s4, vcc_lo, s4
	s_waitcnt vmcnt(2) lgkmcnt(0)
	v_mul_f64 v[138:139], v[134:135], v[128:129]
	v_mul_f64 v[128:129], v[132:133], v[128:129]
	s_waitcnt vmcnt(0)
	v_fma_f64 v[132:133], v[132:133], v[136:137], -v[138:139]
	v_fma_f64 v[128:129], v[134:135], v[136:137], v[128:129]
	v_add_f64 v[1:2], v[1:2], v[132:133]
	v_add_f64 v[3:4], v[3:4], v[128:129]
	s_andn2_b32 exec_lo, exec_lo, s4
	s_cbranch_execnz .LBB123_160
; %bb.161:
	s_or_b32 exec_lo, exec_lo, s4
.LBB123_162:
	s_or_b32 exec_lo, exec_lo, s8
	v_mov_b32_e32 v127, 0
	ds_read_b128 v[127:130], v127 offset:624
	s_waitcnt lgkmcnt(0)
	v_mul_f64 v[132:133], v[3:4], v[129:130]
	v_mul_f64 v[129:130], v[1:2], v[129:130]
	v_fma_f64 v[1:2], v[1:2], v[127:128], -v[132:133]
	v_fma_f64 v[3:4], v[3:4], v[127:128], v[129:130]
	buffer_store_dword v2, off, s[0:3], 0 offset:628
	buffer_store_dword v1, off, s[0:3], 0 offset:624
	;; [unrolled: 1-line block ×4, first 2 shown]
.LBB123_163:
	s_or_b32 exec_lo, exec_lo, s6
	v_mov_b32_e32 v4, s29
	v_cmp_lt_u32_e64 s4, 38, v0
	s_clause 0x3
	buffer_load_dword v1, v4, s[0:3], 0 offen
	buffer_load_dword v2, v4, s[0:3], 0 offen offset:4
	buffer_load_dword v3, v4, s[0:3], 0 offen offset:8
	;; [unrolled: 1-line block ×3, first 2 shown]
	s_waitcnt vmcnt(0)
	ds_write_b128 v126, v[1:4]
	s_waitcnt lgkmcnt(0)
	s_waitcnt_vscnt null, 0x0
	s_barrier
	buffer_gl0_inv
	s_and_saveexec_b32 s6, s4
	s_cbranch_execz .LBB123_171
; %bb.164:
	ds_read_b128 v[1:4], v126
	s_andn2_b32 vcc_lo, exec_lo, s68
	s_cbranch_vccnz .LBB123_166
; %bb.165:
	s_clause 0x3
	buffer_load_dword v127, v125, s[0:3], 0 offen offset:8
	buffer_load_dword v128, v125, s[0:3], 0 offen offset:12
	buffer_load_dword v129, v125, s[0:3], 0 offen
	buffer_load_dword v130, v125, s[0:3], 0 offen offset:4
	s_waitcnt vmcnt(2) lgkmcnt(0)
	v_mul_f64 v[132:133], v[3:4], v[127:128]
	v_mul_f64 v[127:128], v[1:2], v[127:128]
	s_waitcnt vmcnt(0)
	v_fma_f64 v[1:2], v[1:2], v[129:130], -v[132:133]
	v_fma_f64 v[3:4], v[3:4], v[129:130], v[127:128]
.LBB123_166:
	s_and_saveexec_b32 s8, s5
	s_cbranch_execz .LBB123_170
; %bb.167:
	v_subrev_nc_u32_e32 v127, 39, v0
	s_movk_i32 s69, 0x630
	s_mov_b32 s5, 0
	s_mov_b32 s70, s28
	.p2align	6
.LBB123_168:                            ; =>This Inner Loop Header: Depth=1
	v_mov_b32_e32 v130, s70
	v_add_nc_u32_e32 v127, -1, v127
	s_add_i32 s70, s70, 16
	s_clause 0x3
	buffer_load_dword v128, v130, s[0:3], 0 offen offset:8
	buffer_load_dword v129, v130, s[0:3], 0 offen offset:12
	buffer_load_dword v136, v130, s[0:3], 0 offen
	buffer_load_dword v137, v130, s[0:3], 0 offen offset:4
	v_mov_b32_e32 v130, s69
	v_cmp_eq_u32_e32 vcc_lo, 0, v127
	s_add_i32 s69, s69, 16
	ds_read_b128 v[132:135], v130
	s_or_b32 s5, vcc_lo, s5
	s_waitcnt vmcnt(2) lgkmcnt(0)
	v_mul_f64 v[138:139], v[134:135], v[128:129]
	v_mul_f64 v[128:129], v[132:133], v[128:129]
	s_waitcnt vmcnt(0)
	v_fma_f64 v[132:133], v[132:133], v[136:137], -v[138:139]
	v_fma_f64 v[128:129], v[134:135], v[136:137], v[128:129]
	v_add_f64 v[1:2], v[1:2], v[132:133]
	v_add_f64 v[3:4], v[3:4], v[128:129]
	s_andn2_b32 exec_lo, exec_lo, s5
	s_cbranch_execnz .LBB123_168
; %bb.169:
	s_or_b32 exec_lo, exec_lo, s5
.LBB123_170:
	s_or_b32 exec_lo, exec_lo, s8
	v_mov_b32_e32 v127, 0
	ds_read_b128 v[127:130], v127 offset:608
	s_waitcnt lgkmcnt(0)
	v_mul_f64 v[132:133], v[3:4], v[129:130]
	v_mul_f64 v[129:130], v[1:2], v[129:130]
	v_fma_f64 v[1:2], v[1:2], v[127:128], -v[132:133]
	v_fma_f64 v[3:4], v[3:4], v[127:128], v[129:130]
	buffer_store_dword v2, off, s[0:3], 0 offset:612
	buffer_store_dword v1, off, s[0:3], 0 offset:608
	;; [unrolled: 1-line block ×4, first 2 shown]
.LBB123_171:
	s_or_b32 exec_lo, exec_lo, s6
	v_mov_b32_e32 v4, s30
	v_cmp_lt_u32_e64 s5, 37, v0
	s_clause 0x3
	buffer_load_dword v1, v4, s[0:3], 0 offen
	buffer_load_dword v2, v4, s[0:3], 0 offen offset:4
	buffer_load_dword v3, v4, s[0:3], 0 offen offset:8
	;; [unrolled: 1-line block ×3, first 2 shown]
	s_waitcnt vmcnt(0)
	ds_write_b128 v126, v[1:4]
	s_waitcnt lgkmcnt(0)
	s_waitcnt_vscnt null, 0x0
	s_barrier
	buffer_gl0_inv
	s_and_saveexec_b32 s6, s5
	s_cbranch_execz .LBB123_179
; %bb.172:
	ds_read_b128 v[1:4], v126
	s_andn2_b32 vcc_lo, exec_lo, s68
	s_cbranch_vccnz .LBB123_174
; %bb.173:
	s_clause 0x3
	buffer_load_dword v127, v125, s[0:3], 0 offen offset:8
	buffer_load_dword v128, v125, s[0:3], 0 offen offset:12
	buffer_load_dword v129, v125, s[0:3], 0 offen
	buffer_load_dword v130, v125, s[0:3], 0 offen offset:4
	s_waitcnt vmcnt(2) lgkmcnt(0)
	v_mul_f64 v[132:133], v[3:4], v[127:128]
	v_mul_f64 v[127:128], v[1:2], v[127:128]
	s_waitcnt vmcnt(0)
	v_fma_f64 v[1:2], v[1:2], v[129:130], -v[132:133]
	v_fma_f64 v[3:4], v[3:4], v[129:130], v[127:128]
.LBB123_174:
	s_and_saveexec_b32 s8, s4
	s_cbranch_execz .LBB123_178
; %bb.175:
	v_subrev_nc_u32_e32 v127, 38, v0
	s_movk_i32 s69, 0x620
	s_mov_b32 s4, 0
	s_mov_b32 s70, s29
	.p2align	6
.LBB123_176:                            ; =>This Inner Loop Header: Depth=1
	v_mov_b32_e32 v130, s70
	v_add_nc_u32_e32 v127, -1, v127
	s_add_i32 s70, s70, 16
	s_clause 0x3
	buffer_load_dword v128, v130, s[0:3], 0 offen offset:8
	buffer_load_dword v129, v130, s[0:3], 0 offen offset:12
	buffer_load_dword v136, v130, s[0:3], 0 offen
	buffer_load_dword v137, v130, s[0:3], 0 offen offset:4
	v_mov_b32_e32 v130, s69
	v_cmp_eq_u32_e32 vcc_lo, 0, v127
	s_add_i32 s69, s69, 16
	ds_read_b128 v[132:135], v130
	s_or_b32 s4, vcc_lo, s4
	s_waitcnt vmcnt(2) lgkmcnt(0)
	v_mul_f64 v[138:139], v[134:135], v[128:129]
	v_mul_f64 v[128:129], v[132:133], v[128:129]
	s_waitcnt vmcnt(0)
	v_fma_f64 v[132:133], v[132:133], v[136:137], -v[138:139]
	v_fma_f64 v[128:129], v[134:135], v[136:137], v[128:129]
	v_add_f64 v[1:2], v[1:2], v[132:133]
	v_add_f64 v[3:4], v[3:4], v[128:129]
	s_andn2_b32 exec_lo, exec_lo, s4
	s_cbranch_execnz .LBB123_176
; %bb.177:
	s_or_b32 exec_lo, exec_lo, s4
.LBB123_178:
	s_or_b32 exec_lo, exec_lo, s8
	v_mov_b32_e32 v127, 0
	ds_read_b128 v[127:130], v127 offset:592
	s_waitcnt lgkmcnt(0)
	v_mul_f64 v[132:133], v[3:4], v[129:130]
	v_mul_f64 v[129:130], v[1:2], v[129:130]
	v_fma_f64 v[1:2], v[1:2], v[127:128], -v[132:133]
	v_fma_f64 v[3:4], v[3:4], v[127:128], v[129:130]
	buffer_store_dword v2, off, s[0:3], 0 offset:596
	buffer_store_dword v1, off, s[0:3], 0 offset:592
	;; [unrolled: 1-line block ×4, first 2 shown]
.LBB123_179:
	s_or_b32 exec_lo, exec_lo, s6
	v_mov_b32_e32 v4, s31
	v_cmp_lt_u32_e64 s4, 36, v0
	s_clause 0x3
	buffer_load_dword v1, v4, s[0:3], 0 offen
	buffer_load_dword v2, v4, s[0:3], 0 offen offset:4
	buffer_load_dword v3, v4, s[0:3], 0 offen offset:8
	;; [unrolled: 1-line block ×3, first 2 shown]
	s_waitcnt vmcnt(0)
	ds_write_b128 v126, v[1:4]
	s_waitcnt lgkmcnt(0)
	s_waitcnt_vscnt null, 0x0
	s_barrier
	buffer_gl0_inv
	s_and_saveexec_b32 s6, s4
	s_cbranch_execz .LBB123_187
; %bb.180:
	ds_read_b128 v[1:4], v126
	s_andn2_b32 vcc_lo, exec_lo, s68
	s_cbranch_vccnz .LBB123_182
; %bb.181:
	s_clause 0x3
	buffer_load_dword v127, v125, s[0:3], 0 offen offset:8
	buffer_load_dword v128, v125, s[0:3], 0 offen offset:12
	buffer_load_dword v129, v125, s[0:3], 0 offen
	buffer_load_dword v130, v125, s[0:3], 0 offen offset:4
	s_waitcnt vmcnt(2) lgkmcnt(0)
	v_mul_f64 v[132:133], v[3:4], v[127:128]
	v_mul_f64 v[127:128], v[1:2], v[127:128]
	s_waitcnt vmcnt(0)
	v_fma_f64 v[1:2], v[1:2], v[129:130], -v[132:133]
	v_fma_f64 v[3:4], v[3:4], v[129:130], v[127:128]
.LBB123_182:
	s_and_saveexec_b32 s8, s5
	s_cbranch_execz .LBB123_186
; %bb.183:
	v_subrev_nc_u32_e32 v127, 37, v0
	s_movk_i32 s69, 0x610
	s_mov_b32 s5, 0
	s_mov_b32 s70, s30
	.p2align	6
.LBB123_184:                            ; =>This Inner Loop Header: Depth=1
	v_mov_b32_e32 v130, s70
	v_add_nc_u32_e32 v127, -1, v127
	s_add_i32 s70, s70, 16
	s_clause 0x3
	buffer_load_dword v128, v130, s[0:3], 0 offen offset:8
	buffer_load_dword v129, v130, s[0:3], 0 offen offset:12
	buffer_load_dword v136, v130, s[0:3], 0 offen
	buffer_load_dword v137, v130, s[0:3], 0 offen offset:4
	v_mov_b32_e32 v130, s69
	v_cmp_eq_u32_e32 vcc_lo, 0, v127
	s_add_i32 s69, s69, 16
	ds_read_b128 v[132:135], v130
	s_or_b32 s5, vcc_lo, s5
	s_waitcnt vmcnt(2) lgkmcnt(0)
	v_mul_f64 v[138:139], v[134:135], v[128:129]
	v_mul_f64 v[128:129], v[132:133], v[128:129]
	s_waitcnt vmcnt(0)
	v_fma_f64 v[132:133], v[132:133], v[136:137], -v[138:139]
	v_fma_f64 v[128:129], v[134:135], v[136:137], v[128:129]
	v_add_f64 v[1:2], v[1:2], v[132:133]
	v_add_f64 v[3:4], v[3:4], v[128:129]
	s_andn2_b32 exec_lo, exec_lo, s5
	s_cbranch_execnz .LBB123_184
; %bb.185:
	s_or_b32 exec_lo, exec_lo, s5
.LBB123_186:
	s_or_b32 exec_lo, exec_lo, s8
	v_mov_b32_e32 v127, 0
	ds_read_b128 v[127:130], v127 offset:576
	s_waitcnt lgkmcnt(0)
	v_mul_f64 v[132:133], v[3:4], v[129:130]
	v_mul_f64 v[129:130], v[1:2], v[129:130]
	v_fma_f64 v[1:2], v[1:2], v[127:128], -v[132:133]
	v_fma_f64 v[3:4], v[3:4], v[127:128], v[129:130]
	buffer_store_dword v2, off, s[0:3], 0 offset:580
	buffer_store_dword v1, off, s[0:3], 0 offset:576
	;; [unrolled: 1-line block ×4, first 2 shown]
.LBB123_187:
	s_or_b32 exec_lo, exec_lo, s6
	v_mov_b32_e32 v4, s33
	v_cmp_lt_u32_e64 s5, 35, v0
	s_clause 0x3
	buffer_load_dword v1, v4, s[0:3], 0 offen
	buffer_load_dword v2, v4, s[0:3], 0 offen offset:4
	buffer_load_dword v3, v4, s[0:3], 0 offen offset:8
	;; [unrolled: 1-line block ×3, first 2 shown]
	s_waitcnt vmcnt(0)
	ds_write_b128 v126, v[1:4]
	s_waitcnt lgkmcnt(0)
	s_waitcnt_vscnt null, 0x0
	s_barrier
	buffer_gl0_inv
	s_and_saveexec_b32 s6, s5
	s_cbranch_execz .LBB123_195
; %bb.188:
	ds_read_b128 v[1:4], v126
	s_andn2_b32 vcc_lo, exec_lo, s68
	s_cbranch_vccnz .LBB123_190
; %bb.189:
	s_clause 0x3
	buffer_load_dword v127, v125, s[0:3], 0 offen offset:8
	buffer_load_dword v128, v125, s[0:3], 0 offen offset:12
	buffer_load_dword v129, v125, s[0:3], 0 offen
	buffer_load_dword v130, v125, s[0:3], 0 offen offset:4
	s_waitcnt vmcnt(2) lgkmcnt(0)
	v_mul_f64 v[132:133], v[3:4], v[127:128]
	v_mul_f64 v[127:128], v[1:2], v[127:128]
	s_waitcnt vmcnt(0)
	v_fma_f64 v[1:2], v[1:2], v[129:130], -v[132:133]
	v_fma_f64 v[3:4], v[3:4], v[129:130], v[127:128]
.LBB123_190:
	s_and_saveexec_b32 s8, s4
	s_cbranch_execz .LBB123_194
; %bb.191:
	v_subrev_nc_u32_e32 v127, 36, v0
	s_movk_i32 s69, 0x600
	s_mov_b32 s4, 0
	s_mov_b32 s70, s31
	.p2align	6
.LBB123_192:                            ; =>This Inner Loop Header: Depth=1
	v_mov_b32_e32 v130, s70
	v_add_nc_u32_e32 v127, -1, v127
	s_add_i32 s70, s70, 16
	s_clause 0x3
	buffer_load_dword v128, v130, s[0:3], 0 offen offset:8
	buffer_load_dword v129, v130, s[0:3], 0 offen offset:12
	buffer_load_dword v136, v130, s[0:3], 0 offen
	buffer_load_dword v137, v130, s[0:3], 0 offen offset:4
	v_mov_b32_e32 v130, s69
	v_cmp_eq_u32_e32 vcc_lo, 0, v127
	s_add_i32 s69, s69, 16
	ds_read_b128 v[132:135], v130
	s_or_b32 s4, vcc_lo, s4
	s_waitcnt vmcnt(2) lgkmcnt(0)
	v_mul_f64 v[138:139], v[134:135], v[128:129]
	v_mul_f64 v[128:129], v[132:133], v[128:129]
	s_waitcnt vmcnt(0)
	v_fma_f64 v[132:133], v[132:133], v[136:137], -v[138:139]
	v_fma_f64 v[128:129], v[134:135], v[136:137], v[128:129]
	v_add_f64 v[1:2], v[1:2], v[132:133]
	v_add_f64 v[3:4], v[3:4], v[128:129]
	s_andn2_b32 exec_lo, exec_lo, s4
	s_cbranch_execnz .LBB123_192
; %bb.193:
	s_or_b32 exec_lo, exec_lo, s4
.LBB123_194:
	s_or_b32 exec_lo, exec_lo, s8
	v_mov_b32_e32 v127, 0
	ds_read_b128 v[127:130], v127 offset:560
	s_waitcnt lgkmcnt(0)
	v_mul_f64 v[132:133], v[3:4], v[129:130]
	v_mul_f64 v[129:130], v[1:2], v[129:130]
	v_fma_f64 v[1:2], v[1:2], v[127:128], -v[132:133]
	v_fma_f64 v[3:4], v[3:4], v[127:128], v[129:130]
	buffer_store_dword v2, off, s[0:3], 0 offset:564
	buffer_store_dword v1, off, s[0:3], 0 offset:560
	;; [unrolled: 1-line block ×4, first 2 shown]
.LBB123_195:
	s_or_b32 exec_lo, exec_lo, s6
	v_mov_b32_e32 v4, s34
	v_cmp_lt_u32_e64 s4, 34, v0
	s_clause 0x3
	buffer_load_dword v1, v4, s[0:3], 0 offen
	buffer_load_dword v2, v4, s[0:3], 0 offen offset:4
	buffer_load_dword v3, v4, s[0:3], 0 offen offset:8
	;; [unrolled: 1-line block ×3, first 2 shown]
	s_waitcnt vmcnt(0)
	ds_write_b128 v126, v[1:4]
	s_waitcnt lgkmcnt(0)
	s_waitcnt_vscnt null, 0x0
	s_barrier
	buffer_gl0_inv
	s_and_saveexec_b32 s6, s4
	s_cbranch_execz .LBB123_203
; %bb.196:
	ds_read_b128 v[1:4], v126
	s_andn2_b32 vcc_lo, exec_lo, s68
	s_cbranch_vccnz .LBB123_198
; %bb.197:
	s_clause 0x3
	buffer_load_dword v127, v125, s[0:3], 0 offen offset:8
	buffer_load_dword v128, v125, s[0:3], 0 offen offset:12
	buffer_load_dword v129, v125, s[0:3], 0 offen
	buffer_load_dword v130, v125, s[0:3], 0 offen offset:4
	s_waitcnt vmcnt(2) lgkmcnt(0)
	v_mul_f64 v[132:133], v[3:4], v[127:128]
	v_mul_f64 v[127:128], v[1:2], v[127:128]
	s_waitcnt vmcnt(0)
	v_fma_f64 v[1:2], v[1:2], v[129:130], -v[132:133]
	v_fma_f64 v[3:4], v[3:4], v[129:130], v[127:128]
.LBB123_198:
	s_and_saveexec_b32 s8, s5
	s_cbranch_execz .LBB123_202
; %bb.199:
	v_subrev_nc_u32_e32 v127, 35, v0
	s_movk_i32 s69, 0x5f0
	s_mov_b32 s5, 0
	s_mov_b32 s70, s33
	.p2align	6
.LBB123_200:                            ; =>This Inner Loop Header: Depth=1
	v_mov_b32_e32 v130, s70
	v_add_nc_u32_e32 v127, -1, v127
	s_add_i32 s70, s70, 16
	s_clause 0x3
	buffer_load_dword v128, v130, s[0:3], 0 offen offset:8
	buffer_load_dword v129, v130, s[0:3], 0 offen offset:12
	buffer_load_dword v136, v130, s[0:3], 0 offen
	buffer_load_dword v137, v130, s[0:3], 0 offen offset:4
	v_mov_b32_e32 v130, s69
	v_cmp_eq_u32_e32 vcc_lo, 0, v127
	s_add_i32 s69, s69, 16
	ds_read_b128 v[132:135], v130
	s_or_b32 s5, vcc_lo, s5
	s_waitcnt vmcnt(2) lgkmcnt(0)
	v_mul_f64 v[138:139], v[134:135], v[128:129]
	v_mul_f64 v[128:129], v[132:133], v[128:129]
	s_waitcnt vmcnt(0)
	v_fma_f64 v[132:133], v[132:133], v[136:137], -v[138:139]
	v_fma_f64 v[128:129], v[134:135], v[136:137], v[128:129]
	v_add_f64 v[1:2], v[1:2], v[132:133]
	v_add_f64 v[3:4], v[3:4], v[128:129]
	s_andn2_b32 exec_lo, exec_lo, s5
	s_cbranch_execnz .LBB123_200
; %bb.201:
	s_or_b32 exec_lo, exec_lo, s5
.LBB123_202:
	s_or_b32 exec_lo, exec_lo, s8
	v_mov_b32_e32 v127, 0
	ds_read_b128 v[127:130], v127 offset:544
	s_waitcnt lgkmcnt(0)
	v_mul_f64 v[132:133], v[3:4], v[129:130]
	v_mul_f64 v[129:130], v[1:2], v[129:130]
	v_fma_f64 v[1:2], v[1:2], v[127:128], -v[132:133]
	v_fma_f64 v[3:4], v[3:4], v[127:128], v[129:130]
	buffer_store_dword v2, off, s[0:3], 0 offset:548
	buffer_store_dword v1, off, s[0:3], 0 offset:544
	;; [unrolled: 1-line block ×4, first 2 shown]
.LBB123_203:
	s_or_b32 exec_lo, exec_lo, s6
	v_mov_b32_e32 v4, s35
	v_cmp_lt_u32_e64 s5, 33, v0
	s_clause 0x3
	buffer_load_dword v1, v4, s[0:3], 0 offen
	buffer_load_dword v2, v4, s[0:3], 0 offen offset:4
	buffer_load_dword v3, v4, s[0:3], 0 offen offset:8
	buffer_load_dword v4, v4, s[0:3], 0 offen offset:12
	s_waitcnt vmcnt(0)
	ds_write_b128 v126, v[1:4]
	s_waitcnt lgkmcnt(0)
	s_waitcnt_vscnt null, 0x0
	s_barrier
	buffer_gl0_inv
	s_and_saveexec_b32 s6, s5
	s_cbranch_execz .LBB123_211
; %bb.204:
	ds_read_b128 v[1:4], v126
	s_andn2_b32 vcc_lo, exec_lo, s68
	s_cbranch_vccnz .LBB123_206
; %bb.205:
	s_clause 0x3
	buffer_load_dword v127, v125, s[0:3], 0 offen offset:8
	buffer_load_dword v128, v125, s[0:3], 0 offen offset:12
	buffer_load_dword v129, v125, s[0:3], 0 offen
	buffer_load_dword v130, v125, s[0:3], 0 offen offset:4
	s_waitcnt vmcnt(2) lgkmcnt(0)
	v_mul_f64 v[132:133], v[3:4], v[127:128]
	v_mul_f64 v[127:128], v[1:2], v[127:128]
	s_waitcnt vmcnt(0)
	v_fma_f64 v[1:2], v[1:2], v[129:130], -v[132:133]
	v_fma_f64 v[3:4], v[3:4], v[129:130], v[127:128]
.LBB123_206:
	s_and_saveexec_b32 s8, s4
	s_cbranch_execz .LBB123_210
; %bb.207:
	v_subrev_nc_u32_e32 v127, 34, v0
	s_movk_i32 s69, 0x5e0
	s_mov_b32 s4, 0
	s_mov_b32 s70, s34
	.p2align	6
.LBB123_208:                            ; =>This Inner Loop Header: Depth=1
	v_mov_b32_e32 v130, s70
	v_add_nc_u32_e32 v127, -1, v127
	s_add_i32 s70, s70, 16
	s_clause 0x3
	buffer_load_dword v128, v130, s[0:3], 0 offen offset:8
	buffer_load_dword v129, v130, s[0:3], 0 offen offset:12
	buffer_load_dword v136, v130, s[0:3], 0 offen
	buffer_load_dword v137, v130, s[0:3], 0 offen offset:4
	v_mov_b32_e32 v130, s69
	v_cmp_eq_u32_e32 vcc_lo, 0, v127
	s_add_i32 s69, s69, 16
	ds_read_b128 v[132:135], v130
	s_or_b32 s4, vcc_lo, s4
	s_waitcnt vmcnt(2) lgkmcnt(0)
	v_mul_f64 v[138:139], v[134:135], v[128:129]
	v_mul_f64 v[128:129], v[132:133], v[128:129]
	s_waitcnt vmcnt(0)
	v_fma_f64 v[132:133], v[132:133], v[136:137], -v[138:139]
	v_fma_f64 v[128:129], v[134:135], v[136:137], v[128:129]
	v_add_f64 v[1:2], v[1:2], v[132:133]
	v_add_f64 v[3:4], v[3:4], v[128:129]
	s_andn2_b32 exec_lo, exec_lo, s4
	s_cbranch_execnz .LBB123_208
; %bb.209:
	s_or_b32 exec_lo, exec_lo, s4
.LBB123_210:
	s_or_b32 exec_lo, exec_lo, s8
	v_mov_b32_e32 v127, 0
	ds_read_b128 v[127:130], v127 offset:528
	s_waitcnt lgkmcnt(0)
	v_mul_f64 v[132:133], v[3:4], v[129:130]
	v_mul_f64 v[129:130], v[1:2], v[129:130]
	v_fma_f64 v[1:2], v[1:2], v[127:128], -v[132:133]
	v_fma_f64 v[3:4], v[3:4], v[127:128], v[129:130]
	buffer_store_dword v2, off, s[0:3], 0 offset:532
	buffer_store_dword v1, off, s[0:3], 0 offset:528
	;; [unrolled: 1-line block ×4, first 2 shown]
.LBB123_211:
	s_or_b32 exec_lo, exec_lo, s6
	v_mov_b32_e32 v4, s36
	v_cmp_lt_u32_e64 s4, 32, v0
	s_clause 0x3
	buffer_load_dword v1, v4, s[0:3], 0 offen
	buffer_load_dword v2, v4, s[0:3], 0 offen offset:4
	buffer_load_dword v3, v4, s[0:3], 0 offen offset:8
	buffer_load_dword v4, v4, s[0:3], 0 offen offset:12
	s_waitcnt vmcnt(0)
	ds_write_b128 v126, v[1:4]
	s_waitcnt lgkmcnt(0)
	s_waitcnt_vscnt null, 0x0
	s_barrier
	buffer_gl0_inv
	s_and_saveexec_b32 s6, s4
	s_cbranch_execz .LBB123_219
; %bb.212:
	ds_read_b128 v[1:4], v126
	s_andn2_b32 vcc_lo, exec_lo, s68
	s_cbranch_vccnz .LBB123_214
; %bb.213:
	s_clause 0x3
	buffer_load_dword v127, v125, s[0:3], 0 offen offset:8
	buffer_load_dword v128, v125, s[0:3], 0 offen offset:12
	buffer_load_dword v129, v125, s[0:3], 0 offen
	buffer_load_dword v130, v125, s[0:3], 0 offen offset:4
	s_waitcnt vmcnt(2) lgkmcnt(0)
	v_mul_f64 v[132:133], v[3:4], v[127:128]
	v_mul_f64 v[127:128], v[1:2], v[127:128]
	s_waitcnt vmcnt(0)
	v_fma_f64 v[1:2], v[1:2], v[129:130], -v[132:133]
	v_fma_f64 v[3:4], v[3:4], v[129:130], v[127:128]
.LBB123_214:
	s_and_saveexec_b32 s8, s5
	s_cbranch_execz .LBB123_218
; %bb.215:
	v_subrev_nc_u32_e32 v127, 33, v0
	s_movk_i32 s69, 0x5d0
	s_mov_b32 s5, 0
	s_mov_b32 s70, s35
	.p2align	6
.LBB123_216:                            ; =>This Inner Loop Header: Depth=1
	v_mov_b32_e32 v130, s70
	v_add_nc_u32_e32 v127, -1, v127
	s_add_i32 s70, s70, 16
	s_clause 0x3
	buffer_load_dword v128, v130, s[0:3], 0 offen offset:8
	buffer_load_dword v129, v130, s[0:3], 0 offen offset:12
	buffer_load_dword v136, v130, s[0:3], 0 offen
	buffer_load_dword v137, v130, s[0:3], 0 offen offset:4
	v_mov_b32_e32 v130, s69
	v_cmp_eq_u32_e32 vcc_lo, 0, v127
	s_add_i32 s69, s69, 16
	ds_read_b128 v[132:135], v130
	s_or_b32 s5, vcc_lo, s5
	s_waitcnt vmcnt(2) lgkmcnt(0)
	v_mul_f64 v[138:139], v[134:135], v[128:129]
	v_mul_f64 v[128:129], v[132:133], v[128:129]
	s_waitcnt vmcnt(0)
	v_fma_f64 v[132:133], v[132:133], v[136:137], -v[138:139]
	v_fma_f64 v[128:129], v[134:135], v[136:137], v[128:129]
	v_add_f64 v[1:2], v[1:2], v[132:133]
	v_add_f64 v[3:4], v[3:4], v[128:129]
	s_andn2_b32 exec_lo, exec_lo, s5
	s_cbranch_execnz .LBB123_216
; %bb.217:
	s_or_b32 exec_lo, exec_lo, s5
.LBB123_218:
	s_or_b32 exec_lo, exec_lo, s8
	v_mov_b32_e32 v127, 0
	ds_read_b128 v[127:130], v127 offset:512
	s_waitcnt lgkmcnt(0)
	v_mul_f64 v[132:133], v[3:4], v[129:130]
	v_mul_f64 v[129:130], v[1:2], v[129:130]
	v_fma_f64 v[1:2], v[1:2], v[127:128], -v[132:133]
	v_fma_f64 v[3:4], v[3:4], v[127:128], v[129:130]
	buffer_store_dword v2, off, s[0:3], 0 offset:516
	buffer_store_dword v1, off, s[0:3], 0 offset:512
	;; [unrolled: 1-line block ×4, first 2 shown]
.LBB123_219:
	s_or_b32 exec_lo, exec_lo, s6
	v_mov_b32_e32 v4, s37
	v_cmp_lt_u32_e64 s5, 31, v0
	s_clause 0x3
	buffer_load_dword v1, v4, s[0:3], 0 offen
	buffer_load_dword v2, v4, s[0:3], 0 offen offset:4
	buffer_load_dword v3, v4, s[0:3], 0 offen offset:8
	;; [unrolled: 1-line block ×3, first 2 shown]
	s_waitcnt vmcnt(0)
	ds_write_b128 v126, v[1:4]
	s_waitcnt lgkmcnt(0)
	s_waitcnt_vscnt null, 0x0
	s_barrier
	buffer_gl0_inv
	s_and_saveexec_b32 s6, s5
	s_cbranch_execz .LBB123_227
; %bb.220:
	ds_read_b128 v[1:4], v126
	s_andn2_b32 vcc_lo, exec_lo, s68
	s_cbranch_vccnz .LBB123_222
; %bb.221:
	s_clause 0x3
	buffer_load_dword v127, v125, s[0:3], 0 offen offset:8
	buffer_load_dword v128, v125, s[0:3], 0 offen offset:12
	buffer_load_dword v129, v125, s[0:3], 0 offen
	buffer_load_dword v130, v125, s[0:3], 0 offen offset:4
	s_waitcnt vmcnt(2) lgkmcnt(0)
	v_mul_f64 v[132:133], v[3:4], v[127:128]
	v_mul_f64 v[127:128], v[1:2], v[127:128]
	s_waitcnt vmcnt(0)
	v_fma_f64 v[1:2], v[1:2], v[129:130], -v[132:133]
	v_fma_f64 v[3:4], v[3:4], v[129:130], v[127:128]
.LBB123_222:
	s_and_saveexec_b32 s8, s4
	s_cbranch_execz .LBB123_226
; %bb.223:
	v_subrev_nc_u32_e32 v127, 32, v0
	s_movk_i32 s69, 0x5c0
	s_mov_b32 s4, 0
	s_mov_b32 s70, s36
	.p2align	6
.LBB123_224:                            ; =>This Inner Loop Header: Depth=1
	v_mov_b32_e32 v130, s70
	v_add_nc_u32_e32 v127, -1, v127
	s_add_i32 s70, s70, 16
	s_clause 0x3
	buffer_load_dword v128, v130, s[0:3], 0 offen offset:8
	buffer_load_dword v129, v130, s[0:3], 0 offen offset:12
	buffer_load_dword v136, v130, s[0:3], 0 offen
	buffer_load_dword v137, v130, s[0:3], 0 offen offset:4
	v_mov_b32_e32 v130, s69
	v_cmp_eq_u32_e32 vcc_lo, 0, v127
	s_add_i32 s69, s69, 16
	ds_read_b128 v[132:135], v130
	s_or_b32 s4, vcc_lo, s4
	s_waitcnt vmcnt(2) lgkmcnt(0)
	v_mul_f64 v[138:139], v[134:135], v[128:129]
	v_mul_f64 v[128:129], v[132:133], v[128:129]
	s_waitcnt vmcnt(0)
	v_fma_f64 v[132:133], v[132:133], v[136:137], -v[138:139]
	v_fma_f64 v[128:129], v[134:135], v[136:137], v[128:129]
	v_add_f64 v[1:2], v[1:2], v[132:133]
	v_add_f64 v[3:4], v[3:4], v[128:129]
	s_andn2_b32 exec_lo, exec_lo, s4
	s_cbranch_execnz .LBB123_224
; %bb.225:
	s_or_b32 exec_lo, exec_lo, s4
.LBB123_226:
	s_or_b32 exec_lo, exec_lo, s8
	v_mov_b32_e32 v127, 0
	ds_read_b128 v[127:130], v127 offset:496
	s_waitcnt lgkmcnt(0)
	v_mul_f64 v[132:133], v[3:4], v[129:130]
	v_mul_f64 v[129:130], v[1:2], v[129:130]
	v_fma_f64 v[1:2], v[1:2], v[127:128], -v[132:133]
	v_fma_f64 v[3:4], v[3:4], v[127:128], v[129:130]
	buffer_store_dword v2, off, s[0:3], 0 offset:500
	buffer_store_dword v1, off, s[0:3], 0 offset:496
	;; [unrolled: 1-line block ×4, first 2 shown]
.LBB123_227:
	s_or_b32 exec_lo, exec_lo, s6
	v_mov_b32_e32 v4, s38
	v_cmp_lt_u32_e64 s4, 30, v0
	s_clause 0x3
	buffer_load_dword v1, v4, s[0:3], 0 offen
	buffer_load_dword v2, v4, s[0:3], 0 offen offset:4
	buffer_load_dword v3, v4, s[0:3], 0 offen offset:8
	;; [unrolled: 1-line block ×3, first 2 shown]
	s_waitcnt vmcnt(0)
	ds_write_b128 v126, v[1:4]
	s_waitcnt lgkmcnt(0)
	s_waitcnt_vscnt null, 0x0
	s_barrier
	buffer_gl0_inv
	s_and_saveexec_b32 s6, s4
	s_cbranch_execz .LBB123_235
; %bb.228:
	ds_read_b128 v[1:4], v126
	s_andn2_b32 vcc_lo, exec_lo, s68
	s_cbranch_vccnz .LBB123_230
; %bb.229:
	s_clause 0x3
	buffer_load_dword v127, v125, s[0:3], 0 offen offset:8
	buffer_load_dword v128, v125, s[0:3], 0 offen offset:12
	buffer_load_dword v129, v125, s[0:3], 0 offen
	buffer_load_dword v130, v125, s[0:3], 0 offen offset:4
	s_waitcnt vmcnt(2) lgkmcnt(0)
	v_mul_f64 v[132:133], v[3:4], v[127:128]
	v_mul_f64 v[127:128], v[1:2], v[127:128]
	s_waitcnt vmcnt(0)
	v_fma_f64 v[1:2], v[1:2], v[129:130], -v[132:133]
	v_fma_f64 v[3:4], v[3:4], v[129:130], v[127:128]
.LBB123_230:
	s_and_saveexec_b32 s8, s5
	s_cbranch_execz .LBB123_234
; %bb.231:
	v_subrev_nc_u32_e32 v127, 31, v0
	s_movk_i32 s69, 0x5b0
	s_mov_b32 s5, 0
	s_mov_b32 s70, s37
	.p2align	6
.LBB123_232:                            ; =>This Inner Loop Header: Depth=1
	v_mov_b32_e32 v130, s70
	v_add_nc_u32_e32 v127, -1, v127
	s_add_i32 s70, s70, 16
	s_clause 0x3
	buffer_load_dword v128, v130, s[0:3], 0 offen offset:8
	buffer_load_dword v129, v130, s[0:3], 0 offen offset:12
	buffer_load_dword v136, v130, s[0:3], 0 offen
	buffer_load_dword v137, v130, s[0:3], 0 offen offset:4
	v_mov_b32_e32 v130, s69
	v_cmp_eq_u32_e32 vcc_lo, 0, v127
	s_add_i32 s69, s69, 16
	ds_read_b128 v[132:135], v130
	s_or_b32 s5, vcc_lo, s5
	s_waitcnt vmcnt(2) lgkmcnt(0)
	v_mul_f64 v[138:139], v[134:135], v[128:129]
	v_mul_f64 v[128:129], v[132:133], v[128:129]
	s_waitcnt vmcnt(0)
	v_fma_f64 v[132:133], v[132:133], v[136:137], -v[138:139]
	v_fma_f64 v[128:129], v[134:135], v[136:137], v[128:129]
	v_add_f64 v[1:2], v[1:2], v[132:133]
	v_add_f64 v[3:4], v[3:4], v[128:129]
	s_andn2_b32 exec_lo, exec_lo, s5
	s_cbranch_execnz .LBB123_232
; %bb.233:
	s_or_b32 exec_lo, exec_lo, s5
.LBB123_234:
	s_or_b32 exec_lo, exec_lo, s8
	v_mov_b32_e32 v127, 0
	ds_read_b128 v[127:130], v127 offset:480
	s_waitcnt lgkmcnt(0)
	v_mul_f64 v[132:133], v[3:4], v[129:130]
	v_mul_f64 v[129:130], v[1:2], v[129:130]
	v_fma_f64 v[1:2], v[1:2], v[127:128], -v[132:133]
	v_fma_f64 v[3:4], v[3:4], v[127:128], v[129:130]
	buffer_store_dword v2, off, s[0:3], 0 offset:484
	buffer_store_dword v1, off, s[0:3], 0 offset:480
	buffer_store_dword v4, off, s[0:3], 0 offset:492
	buffer_store_dword v3, off, s[0:3], 0 offset:488
.LBB123_235:
	s_or_b32 exec_lo, exec_lo, s6
	v_mov_b32_e32 v4, s39
	v_cmp_lt_u32_e64 s5, 29, v0
	s_clause 0x3
	buffer_load_dword v1, v4, s[0:3], 0 offen
	buffer_load_dword v2, v4, s[0:3], 0 offen offset:4
	buffer_load_dword v3, v4, s[0:3], 0 offen offset:8
	;; [unrolled: 1-line block ×3, first 2 shown]
	s_waitcnt vmcnt(0)
	ds_write_b128 v126, v[1:4]
	s_waitcnt lgkmcnt(0)
	s_waitcnt_vscnt null, 0x0
	s_barrier
	buffer_gl0_inv
	s_and_saveexec_b32 s6, s5
	s_cbranch_execz .LBB123_243
; %bb.236:
	ds_read_b128 v[1:4], v126
	s_andn2_b32 vcc_lo, exec_lo, s68
	s_cbranch_vccnz .LBB123_238
; %bb.237:
	s_clause 0x3
	buffer_load_dword v127, v125, s[0:3], 0 offen offset:8
	buffer_load_dword v128, v125, s[0:3], 0 offen offset:12
	buffer_load_dword v129, v125, s[0:3], 0 offen
	buffer_load_dword v130, v125, s[0:3], 0 offen offset:4
	s_waitcnt vmcnt(2) lgkmcnt(0)
	v_mul_f64 v[132:133], v[3:4], v[127:128]
	v_mul_f64 v[127:128], v[1:2], v[127:128]
	s_waitcnt vmcnt(0)
	v_fma_f64 v[1:2], v[1:2], v[129:130], -v[132:133]
	v_fma_f64 v[3:4], v[3:4], v[129:130], v[127:128]
.LBB123_238:
	s_and_saveexec_b32 s8, s4
	s_cbranch_execz .LBB123_242
; %bb.239:
	v_subrev_nc_u32_e32 v127, 30, v0
	s_movk_i32 s69, 0x5a0
	s_mov_b32 s4, 0
	s_mov_b32 s70, s38
	.p2align	6
.LBB123_240:                            ; =>This Inner Loop Header: Depth=1
	v_mov_b32_e32 v130, s70
	v_add_nc_u32_e32 v127, -1, v127
	s_add_i32 s70, s70, 16
	s_clause 0x3
	buffer_load_dword v128, v130, s[0:3], 0 offen offset:8
	buffer_load_dword v129, v130, s[0:3], 0 offen offset:12
	buffer_load_dword v136, v130, s[0:3], 0 offen
	buffer_load_dword v137, v130, s[0:3], 0 offen offset:4
	v_mov_b32_e32 v130, s69
	v_cmp_eq_u32_e32 vcc_lo, 0, v127
	s_add_i32 s69, s69, 16
	ds_read_b128 v[132:135], v130
	s_or_b32 s4, vcc_lo, s4
	s_waitcnt vmcnt(2) lgkmcnt(0)
	v_mul_f64 v[138:139], v[134:135], v[128:129]
	v_mul_f64 v[128:129], v[132:133], v[128:129]
	s_waitcnt vmcnt(0)
	v_fma_f64 v[132:133], v[132:133], v[136:137], -v[138:139]
	v_fma_f64 v[128:129], v[134:135], v[136:137], v[128:129]
	v_add_f64 v[1:2], v[1:2], v[132:133]
	v_add_f64 v[3:4], v[3:4], v[128:129]
	s_andn2_b32 exec_lo, exec_lo, s4
	s_cbranch_execnz .LBB123_240
; %bb.241:
	s_or_b32 exec_lo, exec_lo, s4
.LBB123_242:
	s_or_b32 exec_lo, exec_lo, s8
	v_mov_b32_e32 v127, 0
	ds_read_b128 v[127:130], v127 offset:464
	s_waitcnt lgkmcnt(0)
	v_mul_f64 v[132:133], v[3:4], v[129:130]
	v_mul_f64 v[129:130], v[1:2], v[129:130]
	v_fma_f64 v[1:2], v[1:2], v[127:128], -v[132:133]
	v_fma_f64 v[3:4], v[3:4], v[127:128], v[129:130]
	buffer_store_dword v2, off, s[0:3], 0 offset:468
	buffer_store_dword v1, off, s[0:3], 0 offset:464
	;; [unrolled: 1-line block ×4, first 2 shown]
.LBB123_243:
	s_or_b32 exec_lo, exec_lo, s6
	v_mov_b32_e32 v4, s40
	v_cmp_lt_u32_e64 s4, 28, v0
	s_clause 0x3
	buffer_load_dword v1, v4, s[0:3], 0 offen
	buffer_load_dword v2, v4, s[0:3], 0 offen offset:4
	buffer_load_dword v3, v4, s[0:3], 0 offen offset:8
	;; [unrolled: 1-line block ×3, first 2 shown]
	s_waitcnt vmcnt(0)
	ds_write_b128 v126, v[1:4]
	s_waitcnt lgkmcnt(0)
	s_waitcnt_vscnt null, 0x0
	s_barrier
	buffer_gl0_inv
	s_and_saveexec_b32 s6, s4
	s_cbranch_execz .LBB123_251
; %bb.244:
	ds_read_b128 v[1:4], v126
	s_andn2_b32 vcc_lo, exec_lo, s68
	s_cbranch_vccnz .LBB123_246
; %bb.245:
	s_clause 0x3
	buffer_load_dword v127, v125, s[0:3], 0 offen offset:8
	buffer_load_dword v128, v125, s[0:3], 0 offen offset:12
	buffer_load_dword v129, v125, s[0:3], 0 offen
	buffer_load_dword v130, v125, s[0:3], 0 offen offset:4
	s_waitcnt vmcnt(2) lgkmcnt(0)
	v_mul_f64 v[132:133], v[3:4], v[127:128]
	v_mul_f64 v[127:128], v[1:2], v[127:128]
	s_waitcnt vmcnt(0)
	v_fma_f64 v[1:2], v[1:2], v[129:130], -v[132:133]
	v_fma_f64 v[3:4], v[3:4], v[129:130], v[127:128]
.LBB123_246:
	s_and_saveexec_b32 s8, s5
	s_cbranch_execz .LBB123_250
; %bb.247:
	v_subrev_nc_u32_e32 v127, 29, v0
	s_movk_i32 s69, 0x590
	s_mov_b32 s5, 0
	s_mov_b32 s70, s39
	.p2align	6
.LBB123_248:                            ; =>This Inner Loop Header: Depth=1
	v_mov_b32_e32 v130, s70
	v_add_nc_u32_e32 v127, -1, v127
	s_add_i32 s70, s70, 16
	s_clause 0x3
	buffer_load_dword v128, v130, s[0:3], 0 offen offset:8
	buffer_load_dword v129, v130, s[0:3], 0 offen offset:12
	buffer_load_dword v136, v130, s[0:3], 0 offen
	buffer_load_dword v137, v130, s[0:3], 0 offen offset:4
	v_mov_b32_e32 v130, s69
	v_cmp_eq_u32_e32 vcc_lo, 0, v127
	s_add_i32 s69, s69, 16
	ds_read_b128 v[132:135], v130
	s_or_b32 s5, vcc_lo, s5
	s_waitcnt vmcnt(2) lgkmcnt(0)
	v_mul_f64 v[138:139], v[134:135], v[128:129]
	v_mul_f64 v[128:129], v[132:133], v[128:129]
	s_waitcnt vmcnt(0)
	v_fma_f64 v[132:133], v[132:133], v[136:137], -v[138:139]
	v_fma_f64 v[128:129], v[134:135], v[136:137], v[128:129]
	v_add_f64 v[1:2], v[1:2], v[132:133]
	v_add_f64 v[3:4], v[3:4], v[128:129]
	s_andn2_b32 exec_lo, exec_lo, s5
	s_cbranch_execnz .LBB123_248
; %bb.249:
	s_or_b32 exec_lo, exec_lo, s5
.LBB123_250:
	s_or_b32 exec_lo, exec_lo, s8
	v_mov_b32_e32 v127, 0
	ds_read_b128 v[127:130], v127 offset:448
	s_waitcnt lgkmcnt(0)
	v_mul_f64 v[132:133], v[3:4], v[129:130]
	v_mul_f64 v[129:130], v[1:2], v[129:130]
	v_fma_f64 v[1:2], v[1:2], v[127:128], -v[132:133]
	v_fma_f64 v[3:4], v[3:4], v[127:128], v[129:130]
	buffer_store_dword v2, off, s[0:3], 0 offset:452
	buffer_store_dword v1, off, s[0:3], 0 offset:448
	;; [unrolled: 1-line block ×4, first 2 shown]
.LBB123_251:
	s_or_b32 exec_lo, exec_lo, s6
	v_mov_b32_e32 v4, s41
	v_cmp_lt_u32_e64 s5, 27, v0
	s_clause 0x3
	buffer_load_dword v1, v4, s[0:3], 0 offen
	buffer_load_dword v2, v4, s[0:3], 0 offen offset:4
	buffer_load_dword v3, v4, s[0:3], 0 offen offset:8
	;; [unrolled: 1-line block ×3, first 2 shown]
	s_waitcnt vmcnt(0)
	ds_write_b128 v126, v[1:4]
	s_waitcnt lgkmcnt(0)
	s_waitcnt_vscnt null, 0x0
	s_barrier
	buffer_gl0_inv
	s_and_saveexec_b32 s6, s5
	s_cbranch_execz .LBB123_259
; %bb.252:
	ds_read_b128 v[1:4], v126
	s_andn2_b32 vcc_lo, exec_lo, s68
	s_cbranch_vccnz .LBB123_254
; %bb.253:
	s_clause 0x3
	buffer_load_dword v127, v125, s[0:3], 0 offen offset:8
	buffer_load_dword v128, v125, s[0:3], 0 offen offset:12
	buffer_load_dword v129, v125, s[0:3], 0 offen
	buffer_load_dword v130, v125, s[0:3], 0 offen offset:4
	s_waitcnt vmcnt(2) lgkmcnt(0)
	v_mul_f64 v[132:133], v[3:4], v[127:128]
	v_mul_f64 v[127:128], v[1:2], v[127:128]
	s_waitcnt vmcnt(0)
	v_fma_f64 v[1:2], v[1:2], v[129:130], -v[132:133]
	v_fma_f64 v[3:4], v[3:4], v[129:130], v[127:128]
.LBB123_254:
	s_and_saveexec_b32 s8, s4
	s_cbranch_execz .LBB123_258
; %bb.255:
	v_subrev_nc_u32_e32 v127, 28, v0
	s_movk_i32 s69, 0x580
	s_mov_b32 s4, 0
	s_mov_b32 s70, s40
	.p2align	6
.LBB123_256:                            ; =>This Inner Loop Header: Depth=1
	v_mov_b32_e32 v130, s70
	v_add_nc_u32_e32 v127, -1, v127
	s_add_i32 s70, s70, 16
	s_clause 0x3
	buffer_load_dword v128, v130, s[0:3], 0 offen offset:8
	buffer_load_dword v129, v130, s[0:3], 0 offen offset:12
	buffer_load_dword v136, v130, s[0:3], 0 offen
	buffer_load_dword v137, v130, s[0:3], 0 offen offset:4
	v_mov_b32_e32 v130, s69
	v_cmp_eq_u32_e32 vcc_lo, 0, v127
	s_add_i32 s69, s69, 16
	ds_read_b128 v[132:135], v130
	s_or_b32 s4, vcc_lo, s4
	s_waitcnt vmcnt(2) lgkmcnt(0)
	v_mul_f64 v[138:139], v[134:135], v[128:129]
	v_mul_f64 v[128:129], v[132:133], v[128:129]
	s_waitcnt vmcnt(0)
	v_fma_f64 v[132:133], v[132:133], v[136:137], -v[138:139]
	v_fma_f64 v[128:129], v[134:135], v[136:137], v[128:129]
	v_add_f64 v[1:2], v[1:2], v[132:133]
	v_add_f64 v[3:4], v[3:4], v[128:129]
	s_andn2_b32 exec_lo, exec_lo, s4
	s_cbranch_execnz .LBB123_256
; %bb.257:
	s_or_b32 exec_lo, exec_lo, s4
.LBB123_258:
	s_or_b32 exec_lo, exec_lo, s8
	v_mov_b32_e32 v127, 0
	ds_read_b128 v[127:130], v127 offset:432
	s_waitcnt lgkmcnt(0)
	v_mul_f64 v[132:133], v[3:4], v[129:130]
	v_mul_f64 v[129:130], v[1:2], v[129:130]
	v_fma_f64 v[1:2], v[1:2], v[127:128], -v[132:133]
	v_fma_f64 v[3:4], v[3:4], v[127:128], v[129:130]
	buffer_store_dword v2, off, s[0:3], 0 offset:436
	buffer_store_dword v1, off, s[0:3], 0 offset:432
	buffer_store_dword v4, off, s[0:3], 0 offset:444
	buffer_store_dword v3, off, s[0:3], 0 offset:440
.LBB123_259:
	s_or_b32 exec_lo, exec_lo, s6
	v_mov_b32_e32 v4, s42
	v_cmp_lt_u32_e64 s4, 26, v0
	s_clause 0x3
	buffer_load_dword v1, v4, s[0:3], 0 offen
	buffer_load_dword v2, v4, s[0:3], 0 offen offset:4
	buffer_load_dword v3, v4, s[0:3], 0 offen offset:8
	;; [unrolled: 1-line block ×3, first 2 shown]
	s_waitcnt vmcnt(0)
	ds_write_b128 v126, v[1:4]
	s_waitcnt lgkmcnt(0)
	s_waitcnt_vscnt null, 0x0
	s_barrier
	buffer_gl0_inv
	s_and_saveexec_b32 s6, s4
	s_cbranch_execz .LBB123_267
; %bb.260:
	ds_read_b128 v[1:4], v126
	s_andn2_b32 vcc_lo, exec_lo, s68
	s_cbranch_vccnz .LBB123_262
; %bb.261:
	s_clause 0x3
	buffer_load_dword v127, v125, s[0:3], 0 offen offset:8
	buffer_load_dword v128, v125, s[0:3], 0 offen offset:12
	buffer_load_dword v129, v125, s[0:3], 0 offen
	buffer_load_dword v130, v125, s[0:3], 0 offen offset:4
	s_waitcnt vmcnt(2) lgkmcnt(0)
	v_mul_f64 v[132:133], v[3:4], v[127:128]
	v_mul_f64 v[127:128], v[1:2], v[127:128]
	s_waitcnt vmcnt(0)
	v_fma_f64 v[1:2], v[1:2], v[129:130], -v[132:133]
	v_fma_f64 v[3:4], v[3:4], v[129:130], v[127:128]
.LBB123_262:
	s_and_saveexec_b32 s8, s5
	s_cbranch_execz .LBB123_266
; %bb.263:
	v_subrev_nc_u32_e32 v127, 27, v0
	s_movk_i32 s69, 0x570
	s_mov_b32 s5, 0
	s_mov_b32 s70, s41
	.p2align	6
.LBB123_264:                            ; =>This Inner Loop Header: Depth=1
	v_mov_b32_e32 v130, s70
	v_add_nc_u32_e32 v127, -1, v127
	s_add_i32 s70, s70, 16
	s_clause 0x3
	buffer_load_dword v128, v130, s[0:3], 0 offen offset:8
	buffer_load_dword v129, v130, s[0:3], 0 offen offset:12
	buffer_load_dword v136, v130, s[0:3], 0 offen
	buffer_load_dword v137, v130, s[0:3], 0 offen offset:4
	v_mov_b32_e32 v130, s69
	v_cmp_eq_u32_e32 vcc_lo, 0, v127
	s_add_i32 s69, s69, 16
	ds_read_b128 v[132:135], v130
	s_or_b32 s5, vcc_lo, s5
	s_waitcnt vmcnt(2) lgkmcnt(0)
	v_mul_f64 v[138:139], v[134:135], v[128:129]
	v_mul_f64 v[128:129], v[132:133], v[128:129]
	s_waitcnt vmcnt(0)
	v_fma_f64 v[132:133], v[132:133], v[136:137], -v[138:139]
	v_fma_f64 v[128:129], v[134:135], v[136:137], v[128:129]
	v_add_f64 v[1:2], v[1:2], v[132:133]
	v_add_f64 v[3:4], v[3:4], v[128:129]
	s_andn2_b32 exec_lo, exec_lo, s5
	s_cbranch_execnz .LBB123_264
; %bb.265:
	s_or_b32 exec_lo, exec_lo, s5
.LBB123_266:
	s_or_b32 exec_lo, exec_lo, s8
	v_mov_b32_e32 v127, 0
	ds_read_b128 v[127:130], v127 offset:416
	s_waitcnt lgkmcnt(0)
	v_mul_f64 v[132:133], v[3:4], v[129:130]
	v_mul_f64 v[129:130], v[1:2], v[129:130]
	v_fma_f64 v[1:2], v[1:2], v[127:128], -v[132:133]
	v_fma_f64 v[3:4], v[3:4], v[127:128], v[129:130]
	buffer_store_dword v2, off, s[0:3], 0 offset:420
	buffer_store_dword v1, off, s[0:3], 0 offset:416
	;; [unrolled: 1-line block ×4, first 2 shown]
.LBB123_267:
	s_or_b32 exec_lo, exec_lo, s6
	v_mov_b32_e32 v4, s43
	v_cmp_lt_u32_e64 s5, 25, v0
	s_clause 0x3
	buffer_load_dword v1, v4, s[0:3], 0 offen
	buffer_load_dword v2, v4, s[0:3], 0 offen offset:4
	buffer_load_dword v3, v4, s[0:3], 0 offen offset:8
	;; [unrolled: 1-line block ×3, first 2 shown]
	s_waitcnt vmcnt(0)
	ds_write_b128 v126, v[1:4]
	s_waitcnt lgkmcnt(0)
	s_waitcnt_vscnt null, 0x0
	s_barrier
	buffer_gl0_inv
	s_and_saveexec_b32 s6, s5
	s_cbranch_execz .LBB123_275
; %bb.268:
	ds_read_b128 v[1:4], v126
	s_andn2_b32 vcc_lo, exec_lo, s68
	s_cbranch_vccnz .LBB123_270
; %bb.269:
	s_clause 0x3
	buffer_load_dword v127, v125, s[0:3], 0 offen offset:8
	buffer_load_dword v128, v125, s[0:3], 0 offen offset:12
	buffer_load_dword v129, v125, s[0:3], 0 offen
	buffer_load_dword v130, v125, s[0:3], 0 offen offset:4
	s_waitcnt vmcnt(2) lgkmcnt(0)
	v_mul_f64 v[132:133], v[3:4], v[127:128]
	v_mul_f64 v[127:128], v[1:2], v[127:128]
	s_waitcnt vmcnt(0)
	v_fma_f64 v[1:2], v[1:2], v[129:130], -v[132:133]
	v_fma_f64 v[3:4], v[3:4], v[129:130], v[127:128]
.LBB123_270:
	s_and_saveexec_b32 s8, s4
	s_cbranch_execz .LBB123_274
; %bb.271:
	v_subrev_nc_u32_e32 v127, 26, v0
	s_movk_i32 s69, 0x560
	s_mov_b32 s4, 0
	s_mov_b32 s70, s42
	.p2align	6
.LBB123_272:                            ; =>This Inner Loop Header: Depth=1
	v_mov_b32_e32 v130, s70
	v_add_nc_u32_e32 v127, -1, v127
	s_add_i32 s70, s70, 16
	s_clause 0x3
	buffer_load_dword v128, v130, s[0:3], 0 offen offset:8
	buffer_load_dword v129, v130, s[0:3], 0 offen offset:12
	buffer_load_dword v136, v130, s[0:3], 0 offen
	buffer_load_dword v137, v130, s[0:3], 0 offen offset:4
	v_mov_b32_e32 v130, s69
	v_cmp_eq_u32_e32 vcc_lo, 0, v127
	s_add_i32 s69, s69, 16
	ds_read_b128 v[132:135], v130
	s_or_b32 s4, vcc_lo, s4
	s_waitcnt vmcnt(2) lgkmcnt(0)
	v_mul_f64 v[138:139], v[134:135], v[128:129]
	v_mul_f64 v[128:129], v[132:133], v[128:129]
	s_waitcnt vmcnt(0)
	v_fma_f64 v[132:133], v[132:133], v[136:137], -v[138:139]
	v_fma_f64 v[128:129], v[134:135], v[136:137], v[128:129]
	v_add_f64 v[1:2], v[1:2], v[132:133]
	v_add_f64 v[3:4], v[3:4], v[128:129]
	s_andn2_b32 exec_lo, exec_lo, s4
	s_cbranch_execnz .LBB123_272
; %bb.273:
	s_or_b32 exec_lo, exec_lo, s4
.LBB123_274:
	s_or_b32 exec_lo, exec_lo, s8
	v_mov_b32_e32 v127, 0
	ds_read_b128 v[127:130], v127 offset:400
	s_waitcnt lgkmcnt(0)
	v_mul_f64 v[132:133], v[3:4], v[129:130]
	v_mul_f64 v[129:130], v[1:2], v[129:130]
	v_fma_f64 v[1:2], v[1:2], v[127:128], -v[132:133]
	v_fma_f64 v[3:4], v[3:4], v[127:128], v[129:130]
	buffer_store_dword v2, off, s[0:3], 0 offset:404
	buffer_store_dword v1, off, s[0:3], 0 offset:400
	;; [unrolled: 1-line block ×4, first 2 shown]
.LBB123_275:
	s_or_b32 exec_lo, exec_lo, s6
	v_mov_b32_e32 v4, s44
	v_cmp_lt_u32_e64 s4, 24, v0
	s_clause 0x3
	buffer_load_dword v1, v4, s[0:3], 0 offen
	buffer_load_dword v2, v4, s[0:3], 0 offen offset:4
	buffer_load_dword v3, v4, s[0:3], 0 offen offset:8
	;; [unrolled: 1-line block ×3, first 2 shown]
	s_waitcnt vmcnt(0)
	ds_write_b128 v126, v[1:4]
	s_waitcnt lgkmcnt(0)
	s_waitcnt_vscnt null, 0x0
	s_barrier
	buffer_gl0_inv
	s_and_saveexec_b32 s6, s4
	s_cbranch_execz .LBB123_283
; %bb.276:
	ds_read_b128 v[1:4], v126
	s_andn2_b32 vcc_lo, exec_lo, s68
	s_cbranch_vccnz .LBB123_278
; %bb.277:
	s_clause 0x3
	buffer_load_dword v127, v125, s[0:3], 0 offen offset:8
	buffer_load_dword v128, v125, s[0:3], 0 offen offset:12
	buffer_load_dword v129, v125, s[0:3], 0 offen
	buffer_load_dword v130, v125, s[0:3], 0 offen offset:4
	s_waitcnt vmcnt(2) lgkmcnt(0)
	v_mul_f64 v[132:133], v[3:4], v[127:128]
	v_mul_f64 v[127:128], v[1:2], v[127:128]
	s_waitcnt vmcnt(0)
	v_fma_f64 v[1:2], v[1:2], v[129:130], -v[132:133]
	v_fma_f64 v[3:4], v[3:4], v[129:130], v[127:128]
.LBB123_278:
	s_and_saveexec_b32 s8, s5
	s_cbranch_execz .LBB123_282
; %bb.279:
	v_subrev_nc_u32_e32 v127, 25, v0
	s_movk_i32 s69, 0x550
	s_mov_b32 s5, 0
	s_mov_b32 s70, s43
	.p2align	6
.LBB123_280:                            ; =>This Inner Loop Header: Depth=1
	v_mov_b32_e32 v130, s70
	v_add_nc_u32_e32 v127, -1, v127
	s_add_i32 s70, s70, 16
	s_clause 0x3
	buffer_load_dword v128, v130, s[0:3], 0 offen offset:8
	buffer_load_dword v129, v130, s[0:3], 0 offen offset:12
	buffer_load_dword v136, v130, s[0:3], 0 offen
	buffer_load_dword v137, v130, s[0:3], 0 offen offset:4
	v_mov_b32_e32 v130, s69
	v_cmp_eq_u32_e32 vcc_lo, 0, v127
	s_add_i32 s69, s69, 16
	ds_read_b128 v[132:135], v130
	s_or_b32 s5, vcc_lo, s5
	s_waitcnt vmcnt(2) lgkmcnt(0)
	v_mul_f64 v[138:139], v[134:135], v[128:129]
	v_mul_f64 v[128:129], v[132:133], v[128:129]
	s_waitcnt vmcnt(0)
	v_fma_f64 v[132:133], v[132:133], v[136:137], -v[138:139]
	v_fma_f64 v[128:129], v[134:135], v[136:137], v[128:129]
	v_add_f64 v[1:2], v[1:2], v[132:133]
	v_add_f64 v[3:4], v[3:4], v[128:129]
	s_andn2_b32 exec_lo, exec_lo, s5
	s_cbranch_execnz .LBB123_280
; %bb.281:
	s_or_b32 exec_lo, exec_lo, s5
.LBB123_282:
	s_or_b32 exec_lo, exec_lo, s8
	v_mov_b32_e32 v127, 0
	ds_read_b128 v[127:130], v127 offset:384
	s_waitcnt lgkmcnt(0)
	v_mul_f64 v[132:133], v[3:4], v[129:130]
	v_mul_f64 v[129:130], v[1:2], v[129:130]
	v_fma_f64 v[1:2], v[1:2], v[127:128], -v[132:133]
	v_fma_f64 v[3:4], v[3:4], v[127:128], v[129:130]
	buffer_store_dword v2, off, s[0:3], 0 offset:388
	buffer_store_dword v1, off, s[0:3], 0 offset:384
	;; [unrolled: 1-line block ×4, first 2 shown]
.LBB123_283:
	s_or_b32 exec_lo, exec_lo, s6
	v_mov_b32_e32 v4, s45
	v_cmp_lt_u32_e64 s5, 23, v0
	s_clause 0x3
	buffer_load_dword v1, v4, s[0:3], 0 offen
	buffer_load_dword v2, v4, s[0:3], 0 offen offset:4
	buffer_load_dword v3, v4, s[0:3], 0 offen offset:8
	;; [unrolled: 1-line block ×3, first 2 shown]
	s_waitcnt vmcnt(0)
	ds_write_b128 v126, v[1:4]
	s_waitcnt lgkmcnt(0)
	s_waitcnt_vscnt null, 0x0
	s_barrier
	buffer_gl0_inv
	s_and_saveexec_b32 s6, s5
	s_cbranch_execz .LBB123_291
; %bb.284:
	ds_read_b128 v[1:4], v126
	s_andn2_b32 vcc_lo, exec_lo, s68
	s_cbranch_vccnz .LBB123_286
; %bb.285:
	s_clause 0x3
	buffer_load_dword v127, v125, s[0:3], 0 offen offset:8
	buffer_load_dword v128, v125, s[0:3], 0 offen offset:12
	buffer_load_dword v129, v125, s[0:3], 0 offen
	buffer_load_dword v130, v125, s[0:3], 0 offen offset:4
	s_waitcnt vmcnt(2) lgkmcnt(0)
	v_mul_f64 v[132:133], v[3:4], v[127:128]
	v_mul_f64 v[127:128], v[1:2], v[127:128]
	s_waitcnt vmcnt(0)
	v_fma_f64 v[1:2], v[1:2], v[129:130], -v[132:133]
	v_fma_f64 v[3:4], v[3:4], v[129:130], v[127:128]
.LBB123_286:
	s_and_saveexec_b32 s8, s4
	s_cbranch_execz .LBB123_290
; %bb.287:
	v_subrev_nc_u32_e32 v127, 24, v0
	s_movk_i32 s69, 0x540
	s_mov_b32 s4, 0
	s_mov_b32 s70, s44
	.p2align	6
.LBB123_288:                            ; =>This Inner Loop Header: Depth=1
	v_mov_b32_e32 v130, s70
	v_add_nc_u32_e32 v127, -1, v127
	s_add_i32 s70, s70, 16
	s_clause 0x3
	buffer_load_dword v128, v130, s[0:3], 0 offen offset:8
	buffer_load_dword v129, v130, s[0:3], 0 offen offset:12
	buffer_load_dword v136, v130, s[0:3], 0 offen
	buffer_load_dword v137, v130, s[0:3], 0 offen offset:4
	v_mov_b32_e32 v130, s69
	v_cmp_eq_u32_e32 vcc_lo, 0, v127
	s_add_i32 s69, s69, 16
	ds_read_b128 v[132:135], v130
	s_or_b32 s4, vcc_lo, s4
	s_waitcnt vmcnt(2) lgkmcnt(0)
	v_mul_f64 v[138:139], v[134:135], v[128:129]
	v_mul_f64 v[128:129], v[132:133], v[128:129]
	s_waitcnt vmcnt(0)
	v_fma_f64 v[132:133], v[132:133], v[136:137], -v[138:139]
	v_fma_f64 v[128:129], v[134:135], v[136:137], v[128:129]
	v_add_f64 v[1:2], v[1:2], v[132:133]
	v_add_f64 v[3:4], v[3:4], v[128:129]
	s_andn2_b32 exec_lo, exec_lo, s4
	s_cbranch_execnz .LBB123_288
; %bb.289:
	s_or_b32 exec_lo, exec_lo, s4
.LBB123_290:
	s_or_b32 exec_lo, exec_lo, s8
	v_mov_b32_e32 v127, 0
	ds_read_b128 v[127:130], v127 offset:368
	s_waitcnt lgkmcnt(0)
	v_mul_f64 v[132:133], v[3:4], v[129:130]
	v_mul_f64 v[129:130], v[1:2], v[129:130]
	v_fma_f64 v[1:2], v[1:2], v[127:128], -v[132:133]
	v_fma_f64 v[3:4], v[3:4], v[127:128], v[129:130]
	buffer_store_dword v2, off, s[0:3], 0 offset:372
	buffer_store_dword v1, off, s[0:3], 0 offset:368
	;; [unrolled: 1-line block ×4, first 2 shown]
.LBB123_291:
	s_or_b32 exec_lo, exec_lo, s6
	v_mov_b32_e32 v4, s46
	v_cmp_lt_u32_e64 s4, 22, v0
	s_clause 0x3
	buffer_load_dword v1, v4, s[0:3], 0 offen
	buffer_load_dword v2, v4, s[0:3], 0 offen offset:4
	buffer_load_dword v3, v4, s[0:3], 0 offen offset:8
	;; [unrolled: 1-line block ×3, first 2 shown]
	s_waitcnt vmcnt(0)
	ds_write_b128 v126, v[1:4]
	s_waitcnt lgkmcnt(0)
	s_waitcnt_vscnt null, 0x0
	s_barrier
	buffer_gl0_inv
	s_and_saveexec_b32 s6, s4
	s_cbranch_execz .LBB123_299
; %bb.292:
	ds_read_b128 v[1:4], v126
	s_andn2_b32 vcc_lo, exec_lo, s68
	s_cbranch_vccnz .LBB123_294
; %bb.293:
	s_clause 0x3
	buffer_load_dword v127, v125, s[0:3], 0 offen offset:8
	buffer_load_dword v128, v125, s[0:3], 0 offen offset:12
	buffer_load_dword v129, v125, s[0:3], 0 offen
	buffer_load_dword v130, v125, s[0:3], 0 offen offset:4
	s_waitcnt vmcnt(2) lgkmcnt(0)
	v_mul_f64 v[132:133], v[3:4], v[127:128]
	v_mul_f64 v[127:128], v[1:2], v[127:128]
	s_waitcnt vmcnt(0)
	v_fma_f64 v[1:2], v[1:2], v[129:130], -v[132:133]
	v_fma_f64 v[3:4], v[3:4], v[129:130], v[127:128]
.LBB123_294:
	s_and_saveexec_b32 s8, s5
	s_cbranch_execz .LBB123_298
; %bb.295:
	v_subrev_nc_u32_e32 v127, 23, v0
	s_movk_i32 s69, 0x530
	s_mov_b32 s5, 0
	s_mov_b32 s70, s45
	.p2align	6
.LBB123_296:                            ; =>This Inner Loop Header: Depth=1
	v_mov_b32_e32 v130, s70
	v_add_nc_u32_e32 v127, -1, v127
	s_add_i32 s70, s70, 16
	s_clause 0x3
	buffer_load_dword v128, v130, s[0:3], 0 offen offset:8
	buffer_load_dword v129, v130, s[0:3], 0 offen offset:12
	buffer_load_dword v136, v130, s[0:3], 0 offen
	buffer_load_dword v137, v130, s[0:3], 0 offen offset:4
	v_mov_b32_e32 v130, s69
	v_cmp_eq_u32_e32 vcc_lo, 0, v127
	s_add_i32 s69, s69, 16
	ds_read_b128 v[132:135], v130
	s_or_b32 s5, vcc_lo, s5
	s_waitcnt vmcnt(2) lgkmcnt(0)
	v_mul_f64 v[138:139], v[134:135], v[128:129]
	v_mul_f64 v[128:129], v[132:133], v[128:129]
	s_waitcnt vmcnt(0)
	v_fma_f64 v[132:133], v[132:133], v[136:137], -v[138:139]
	v_fma_f64 v[128:129], v[134:135], v[136:137], v[128:129]
	v_add_f64 v[1:2], v[1:2], v[132:133]
	v_add_f64 v[3:4], v[3:4], v[128:129]
	s_andn2_b32 exec_lo, exec_lo, s5
	s_cbranch_execnz .LBB123_296
; %bb.297:
	s_or_b32 exec_lo, exec_lo, s5
.LBB123_298:
	s_or_b32 exec_lo, exec_lo, s8
	v_mov_b32_e32 v127, 0
	ds_read_b128 v[127:130], v127 offset:352
	s_waitcnt lgkmcnt(0)
	v_mul_f64 v[132:133], v[3:4], v[129:130]
	v_mul_f64 v[129:130], v[1:2], v[129:130]
	v_fma_f64 v[1:2], v[1:2], v[127:128], -v[132:133]
	v_fma_f64 v[3:4], v[3:4], v[127:128], v[129:130]
	buffer_store_dword v2, off, s[0:3], 0 offset:356
	buffer_store_dword v1, off, s[0:3], 0 offset:352
	;; [unrolled: 1-line block ×4, first 2 shown]
.LBB123_299:
	s_or_b32 exec_lo, exec_lo, s6
	v_mov_b32_e32 v4, s47
	v_cmp_lt_u32_e64 s5, 21, v0
	s_clause 0x3
	buffer_load_dword v1, v4, s[0:3], 0 offen
	buffer_load_dword v2, v4, s[0:3], 0 offen offset:4
	buffer_load_dword v3, v4, s[0:3], 0 offen offset:8
	;; [unrolled: 1-line block ×3, first 2 shown]
	s_waitcnt vmcnt(0)
	ds_write_b128 v126, v[1:4]
	s_waitcnt lgkmcnt(0)
	s_waitcnt_vscnt null, 0x0
	s_barrier
	buffer_gl0_inv
	s_and_saveexec_b32 s6, s5
	s_cbranch_execz .LBB123_307
; %bb.300:
	ds_read_b128 v[1:4], v126
	s_andn2_b32 vcc_lo, exec_lo, s68
	s_cbranch_vccnz .LBB123_302
; %bb.301:
	s_clause 0x3
	buffer_load_dword v127, v125, s[0:3], 0 offen offset:8
	buffer_load_dword v128, v125, s[0:3], 0 offen offset:12
	buffer_load_dword v129, v125, s[0:3], 0 offen
	buffer_load_dword v130, v125, s[0:3], 0 offen offset:4
	s_waitcnt vmcnt(2) lgkmcnt(0)
	v_mul_f64 v[132:133], v[3:4], v[127:128]
	v_mul_f64 v[127:128], v[1:2], v[127:128]
	s_waitcnt vmcnt(0)
	v_fma_f64 v[1:2], v[1:2], v[129:130], -v[132:133]
	v_fma_f64 v[3:4], v[3:4], v[129:130], v[127:128]
.LBB123_302:
	s_and_saveexec_b32 s8, s4
	s_cbranch_execz .LBB123_306
; %bb.303:
	v_subrev_nc_u32_e32 v127, 22, v0
	s_movk_i32 s69, 0x520
	s_mov_b32 s4, 0
	s_mov_b32 s70, s46
	.p2align	6
.LBB123_304:                            ; =>This Inner Loop Header: Depth=1
	v_mov_b32_e32 v130, s70
	v_add_nc_u32_e32 v127, -1, v127
	s_add_i32 s70, s70, 16
	s_clause 0x3
	buffer_load_dword v128, v130, s[0:3], 0 offen offset:8
	buffer_load_dword v129, v130, s[0:3], 0 offen offset:12
	buffer_load_dword v136, v130, s[0:3], 0 offen
	buffer_load_dword v137, v130, s[0:3], 0 offen offset:4
	v_mov_b32_e32 v130, s69
	v_cmp_eq_u32_e32 vcc_lo, 0, v127
	s_add_i32 s69, s69, 16
	ds_read_b128 v[132:135], v130
	s_or_b32 s4, vcc_lo, s4
	s_waitcnt vmcnt(2) lgkmcnt(0)
	v_mul_f64 v[138:139], v[134:135], v[128:129]
	v_mul_f64 v[128:129], v[132:133], v[128:129]
	s_waitcnt vmcnt(0)
	v_fma_f64 v[132:133], v[132:133], v[136:137], -v[138:139]
	v_fma_f64 v[128:129], v[134:135], v[136:137], v[128:129]
	v_add_f64 v[1:2], v[1:2], v[132:133]
	v_add_f64 v[3:4], v[3:4], v[128:129]
	s_andn2_b32 exec_lo, exec_lo, s4
	s_cbranch_execnz .LBB123_304
; %bb.305:
	s_or_b32 exec_lo, exec_lo, s4
.LBB123_306:
	s_or_b32 exec_lo, exec_lo, s8
	v_mov_b32_e32 v127, 0
	ds_read_b128 v[127:130], v127 offset:336
	s_waitcnt lgkmcnt(0)
	v_mul_f64 v[132:133], v[3:4], v[129:130]
	v_mul_f64 v[129:130], v[1:2], v[129:130]
	v_fma_f64 v[1:2], v[1:2], v[127:128], -v[132:133]
	v_fma_f64 v[3:4], v[3:4], v[127:128], v[129:130]
	buffer_store_dword v2, off, s[0:3], 0 offset:340
	buffer_store_dword v1, off, s[0:3], 0 offset:336
	buffer_store_dword v4, off, s[0:3], 0 offset:348
	buffer_store_dword v3, off, s[0:3], 0 offset:344
.LBB123_307:
	s_or_b32 exec_lo, exec_lo, s6
	v_mov_b32_e32 v4, s48
	v_cmp_lt_u32_e64 s4, 20, v0
	s_clause 0x3
	buffer_load_dword v1, v4, s[0:3], 0 offen
	buffer_load_dword v2, v4, s[0:3], 0 offen offset:4
	buffer_load_dword v3, v4, s[0:3], 0 offen offset:8
	;; [unrolled: 1-line block ×3, first 2 shown]
	s_waitcnt vmcnt(0)
	ds_write_b128 v126, v[1:4]
	s_waitcnt lgkmcnt(0)
	s_waitcnt_vscnt null, 0x0
	s_barrier
	buffer_gl0_inv
	s_and_saveexec_b32 s6, s4
	s_cbranch_execz .LBB123_315
; %bb.308:
	ds_read_b128 v[1:4], v126
	s_andn2_b32 vcc_lo, exec_lo, s68
	s_cbranch_vccnz .LBB123_310
; %bb.309:
	s_clause 0x3
	buffer_load_dword v127, v125, s[0:3], 0 offen offset:8
	buffer_load_dword v128, v125, s[0:3], 0 offen offset:12
	buffer_load_dword v129, v125, s[0:3], 0 offen
	buffer_load_dword v130, v125, s[0:3], 0 offen offset:4
	s_waitcnt vmcnt(2) lgkmcnt(0)
	v_mul_f64 v[132:133], v[3:4], v[127:128]
	v_mul_f64 v[127:128], v[1:2], v[127:128]
	s_waitcnt vmcnt(0)
	v_fma_f64 v[1:2], v[1:2], v[129:130], -v[132:133]
	v_fma_f64 v[3:4], v[3:4], v[129:130], v[127:128]
.LBB123_310:
	s_and_saveexec_b32 s8, s5
	s_cbranch_execz .LBB123_314
; %bb.311:
	v_subrev_nc_u32_e32 v127, 21, v0
	s_movk_i32 s69, 0x510
	s_mov_b32 s5, 0
	s_mov_b32 s70, s47
	.p2align	6
.LBB123_312:                            ; =>This Inner Loop Header: Depth=1
	v_mov_b32_e32 v130, s70
	v_add_nc_u32_e32 v127, -1, v127
	s_add_i32 s70, s70, 16
	s_clause 0x3
	buffer_load_dword v128, v130, s[0:3], 0 offen offset:8
	buffer_load_dword v129, v130, s[0:3], 0 offen offset:12
	buffer_load_dword v136, v130, s[0:3], 0 offen
	buffer_load_dword v137, v130, s[0:3], 0 offen offset:4
	v_mov_b32_e32 v130, s69
	v_cmp_eq_u32_e32 vcc_lo, 0, v127
	s_add_i32 s69, s69, 16
	ds_read_b128 v[132:135], v130
	s_or_b32 s5, vcc_lo, s5
	s_waitcnt vmcnt(2) lgkmcnt(0)
	v_mul_f64 v[138:139], v[134:135], v[128:129]
	v_mul_f64 v[128:129], v[132:133], v[128:129]
	s_waitcnt vmcnt(0)
	v_fma_f64 v[132:133], v[132:133], v[136:137], -v[138:139]
	v_fma_f64 v[128:129], v[134:135], v[136:137], v[128:129]
	v_add_f64 v[1:2], v[1:2], v[132:133]
	v_add_f64 v[3:4], v[3:4], v[128:129]
	s_andn2_b32 exec_lo, exec_lo, s5
	s_cbranch_execnz .LBB123_312
; %bb.313:
	s_or_b32 exec_lo, exec_lo, s5
.LBB123_314:
	s_or_b32 exec_lo, exec_lo, s8
	v_mov_b32_e32 v127, 0
	ds_read_b128 v[127:130], v127 offset:320
	s_waitcnt lgkmcnt(0)
	v_mul_f64 v[132:133], v[3:4], v[129:130]
	v_mul_f64 v[129:130], v[1:2], v[129:130]
	v_fma_f64 v[1:2], v[1:2], v[127:128], -v[132:133]
	v_fma_f64 v[3:4], v[3:4], v[127:128], v[129:130]
	buffer_store_dword v2, off, s[0:3], 0 offset:324
	buffer_store_dword v1, off, s[0:3], 0 offset:320
	;; [unrolled: 1-line block ×4, first 2 shown]
.LBB123_315:
	s_or_b32 exec_lo, exec_lo, s6
	v_mov_b32_e32 v4, s49
	v_cmp_lt_u32_e64 s5, 19, v0
	s_clause 0x3
	buffer_load_dword v1, v4, s[0:3], 0 offen
	buffer_load_dword v2, v4, s[0:3], 0 offen offset:4
	buffer_load_dword v3, v4, s[0:3], 0 offen offset:8
	;; [unrolled: 1-line block ×3, first 2 shown]
	s_waitcnt vmcnt(0)
	ds_write_b128 v126, v[1:4]
	s_waitcnt lgkmcnt(0)
	s_waitcnt_vscnt null, 0x0
	s_barrier
	buffer_gl0_inv
	s_and_saveexec_b32 s6, s5
	s_cbranch_execz .LBB123_323
; %bb.316:
	ds_read_b128 v[1:4], v126
	s_andn2_b32 vcc_lo, exec_lo, s68
	s_cbranch_vccnz .LBB123_318
; %bb.317:
	s_clause 0x3
	buffer_load_dword v127, v125, s[0:3], 0 offen offset:8
	buffer_load_dword v128, v125, s[0:3], 0 offen offset:12
	buffer_load_dword v129, v125, s[0:3], 0 offen
	buffer_load_dword v130, v125, s[0:3], 0 offen offset:4
	s_waitcnt vmcnt(2) lgkmcnt(0)
	v_mul_f64 v[132:133], v[3:4], v[127:128]
	v_mul_f64 v[127:128], v[1:2], v[127:128]
	s_waitcnt vmcnt(0)
	v_fma_f64 v[1:2], v[1:2], v[129:130], -v[132:133]
	v_fma_f64 v[3:4], v[3:4], v[129:130], v[127:128]
.LBB123_318:
	s_and_saveexec_b32 s8, s4
	s_cbranch_execz .LBB123_322
; %bb.319:
	v_subrev_nc_u32_e32 v127, 20, v0
	s_movk_i32 s69, 0x500
	s_mov_b32 s4, 0
	s_mov_b32 s70, s48
	.p2align	6
.LBB123_320:                            ; =>This Inner Loop Header: Depth=1
	v_mov_b32_e32 v130, s70
	v_add_nc_u32_e32 v127, -1, v127
	s_add_i32 s70, s70, 16
	s_clause 0x3
	buffer_load_dword v128, v130, s[0:3], 0 offen offset:8
	buffer_load_dword v129, v130, s[0:3], 0 offen offset:12
	buffer_load_dword v136, v130, s[0:3], 0 offen
	buffer_load_dword v137, v130, s[0:3], 0 offen offset:4
	v_mov_b32_e32 v130, s69
	v_cmp_eq_u32_e32 vcc_lo, 0, v127
	s_add_i32 s69, s69, 16
	ds_read_b128 v[132:135], v130
	s_or_b32 s4, vcc_lo, s4
	s_waitcnt vmcnt(2) lgkmcnt(0)
	v_mul_f64 v[138:139], v[134:135], v[128:129]
	v_mul_f64 v[128:129], v[132:133], v[128:129]
	s_waitcnt vmcnt(0)
	v_fma_f64 v[132:133], v[132:133], v[136:137], -v[138:139]
	v_fma_f64 v[128:129], v[134:135], v[136:137], v[128:129]
	v_add_f64 v[1:2], v[1:2], v[132:133]
	v_add_f64 v[3:4], v[3:4], v[128:129]
	s_andn2_b32 exec_lo, exec_lo, s4
	s_cbranch_execnz .LBB123_320
; %bb.321:
	s_or_b32 exec_lo, exec_lo, s4
.LBB123_322:
	s_or_b32 exec_lo, exec_lo, s8
	v_mov_b32_e32 v127, 0
	ds_read_b128 v[127:130], v127 offset:304
	s_waitcnt lgkmcnt(0)
	v_mul_f64 v[132:133], v[3:4], v[129:130]
	v_mul_f64 v[129:130], v[1:2], v[129:130]
	v_fma_f64 v[1:2], v[1:2], v[127:128], -v[132:133]
	v_fma_f64 v[3:4], v[3:4], v[127:128], v[129:130]
	buffer_store_dword v2, off, s[0:3], 0 offset:308
	buffer_store_dword v1, off, s[0:3], 0 offset:304
	;; [unrolled: 1-line block ×4, first 2 shown]
.LBB123_323:
	s_or_b32 exec_lo, exec_lo, s6
	v_mov_b32_e32 v4, s50
	v_cmp_lt_u32_e64 s4, 18, v0
	s_clause 0x3
	buffer_load_dword v1, v4, s[0:3], 0 offen
	buffer_load_dword v2, v4, s[0:3], 0 offen offset:4
	buffer_load_dword v3, v4, s[0:3], 0 offen offset:8
	;; [unrolled: 1-line block ×3, first 2 shown]
	s_waitcnt vmcnt(0)
	ds_write_b128 v126, v[1:4]
	s_waitcnt lgkmcnt(0)
	s_waitcnt_vscnt null, 0x0
	s_barrier
	buffer_gl0_inv
	s_and_saveexec_b32 s6, s4
	s_cbranch_execz .LBB123_331
; %bb.324:
	ds_read_b128 v[1:4], v126
	s_andn2_b32 vcc_lo, exec_lo, s68
	s_cbranch_vccnz .LBB123_326
; %bb.325:
	s_clause 0x3
	buffer_load_dword v127, v125, s[0:3], 0 offen offset:8
	buffer_load_dword v128, v125, s[0:3], 0 offen offset:12
	buffer_load_dword v129, v125, s[0:3], 0 offen
	buffer_load_dword v130, v125, s[0:3], 0 offen offset:4
	s_waitcnt vmcnt(2) lgkmcnt(0)
	v_mul_f64 v[132:133], v[3:4], v[127:128]
	v_mul_f64 v[127:128], v[1:2], v[127:128]
	s_waitcnt vmcnt(0)
	v_fma_f64 v[1:2], v[1:2], v[129:130], -v[132:133]
	v_fma_f64 v[3:4], v[3:4], v[129:130], v[127:128]
.LBB123_326:
	s_and_saveexec_b32 s8, s5
	s_cbranch_execz .LBB123_330
; %bb.327:
	v_subrev_nc_u32_e32 v127, 19, v0
	s_movk_i32 s69, 0x4f0
	s_mov_b32 s5, 0
	s_mov_b32 s70, s49
	.p2align	6
.LBB123_328:                            ; =>This Inner Loop Header: Depth=1
	v_mov_b32_e32 v130, s70
	v_add_nc_u32_e32 v127, -1, v127
	s_add_i32 s70, s70, 16
	s_clause 0x3
	buffer_load_dword v128, v130, s[0:3], 0 offen offset:8
	buffer_load_dword v129, v130, s[0:3], 0 offen offset:12
	buffer_load_dword v136, v130, s[0:3], 0 offen
	buffer_load_dword v137, v130, s[0:3], 0 offen offset:4
	v_mov_b32_e32 v130, s69
	v_cmp_eq_u32_e32 vcc_lo, 0, v127
	s_add_i32 s69, s69, 16
	ds_read_b128 v[132:135], v130
	s_or_b32 s5, vcc_lo, s5
	s_waitcnt vmcnt(2) lgkmcnt(0)
	v_mul_f64 v[138:139], v[134:135], v[128:129]
	v_mul_f64 v[128:129], v[132:133], v[128:129]
	s_waitcnt vmcnt(0)
	v_fma_f64 v[132:133], v[132:133], v[136:137], -v[138:139]
	v_fma_f64 v[128:129], v[134:135], v[136:137], v[128:129]
	v_add_f64 v[1:2], v[1:2], v[132:133]
	v_add_f64 v[3:4], v[3:4], v[128:129]
	s_andn2_b32 exec_lo, exec_lo, s5
	s_cbranch_execnz .LBB123_328
; %bb.329:
	s_or_b32 exec_lo, exec_lo, s5
.LBB123_330:
	s_or_b32 exec_lo, exec_lo, s8
	v_mov_b32_e32 v127, 0
	ds_read_b128 v[127:130], v127 offset:288
	s_waitcnt lgkmcnt(0)
	v_mul_f64 v[132:133], v[3:4], v[129:130]
	v_mul_f64 v[129:130], v[1:2], v[129:130]
	v_fma_f64 v[1:2], v[1:2], v[127:128], -v[132:133]
	v_fma_f64 v[3:4], v[3:4], v[127:128], v[129:130]
	buffer_store_dword v2, off, s[0:3], 0 offset:292
	buffer_store_dword v1, off, s[0:3], 0 offset:288
	;; [unrolled: 1-line block ×4, first 2 shown]
.LBB123_331:
	s_or_b32 exec_lo, exec_lo, s6
	v_mov_b32_e32 v4, s51
	v_cmp_lt_u32_e64 s5, 17, v0
	s_clause 0x3
	buffer_load_dword v1, v4, s[0:3], 0 offen
	buffer_load_dword v2, v4, s[0:3], 0 offen offset:4
	buffer_load_dword v3, v4, s[0:3], 0 offen offset:8
	buffer_load_dword v4, v4, s[0:3], 0 offen offset:12
	s_waitcnt vmcnt(0)
	ds_write_b128 v126, v[1:4]
	s_waitcnt lgkmcnt(0)
	s_waitcnt_vscnt null, 0x0
	s_barrier
	buffer_gl0_inv
	s_and_saveexec_b32 s6, s5
	s_cbranch_execz .LBB123_339
; %bb.332:
	ds_read_b128 v[1:4], v126
	s_andn2_b32 vcc_lo, exec_lo, s68
	s_cbranch_vccnz .LBB123_334
; %bb.333:
	s_clause 0x3
	buffer_load_dword v127, v125, s[0:3], 0 offen offset:8
	buffer_load_dword v128, v125, s[0:3], 0 offen offset:12
	buffer_load_dword v129, v125, s[0:3], 0 offen
	buffer_load_dword v130, v125, s[0:3], 0 offen offset:4
	s_waitcnt vmcnt(2) lgkmcnt(0)
	v_mul_f64 v[132:133], v[3:4], v[127:128]
	v_mul_f64 v[127:128], v[1:2], v[127:128]
	s_waitcnt vmcnt(0)
	v_fma_f64 v[1:2], v[1:2], v[129:130], -v[132:133]
	v_fma_f64 v[3:4], v[3:4], v[129:130], v[127:128]
.LBB123_334:
	s_and_saveexec_b32 s8, s4
	s_cbranch_execz .LBB123_338
; %bb.335:
	v_subrev_nc_u32_e32 v127, 18, v0
	s_movk_i32 s69, 0x4e0
	s_mov_b32 s4, 0
	s_mov_b32 s70, s50
	.p2align	6
.LBB123_336:                            ; =>This Inner Loop Header: Depth=1
	v_mov_b32_e32 v130, s70
	v_add_nc_u32_e32 v127, -1, v127
	s_add_i32 s70, s70, 16
	s_clause 0x3
	buffer_load_dword v128, v130, s[0:3], 0 offen offset:8
	buffer_load_dword v129, v130, s[0:3], 0 offen offset:12
	buffer_load_dword v136, v130, s[0:3], 0 offen
	buffer_load_dword v137, v130, s[0:3], 0 offen offset:4
	v_mov_b32_e32 v130, s69
	v_cmp_eq_u32_e32 vcc_lo, 0, v127
	s_add_i32 s69, s69, 16
	ds_read_b128 v[132:135], v130
	s_or_b32 s4, vcc_lo, s4
	s_waitcnt vmcnt(2) lgkmcnt(0)
	v_mul_f64 v[138:139], v[134:135], v[128:129]
	v_mul_f64 v[128:129], v[132:133], v[128:129]
	s_waitcnt vmcnt(0)
	v_fma_f64 v[132:133], v[132:133], v[136:137], -v[138:139]
	v_fma_f64 v[128:129], v[134:135], v[136:137], v[128:129]
	v_add_f64 v[1:2], v[1:2], v[132:133]
	v_add_f64 v[3:4], v[3:4], v[128:129]
	s_andn2_b32 exec_lo, exec_lo, s4
	s_cbranch_execnz .LBB123_336
; %bb.337:
	s_or_b32 exec_lo, exec_lo, s4
.LBB123_338:
	s_or_b32 exec_lo, exec_lo, s8
	v_mov_b32_e32 v127, 0
	ds_read_b128 v[127:130], v127 offset:272
	s_waitcnt lgkmcnt(0)
	v_mul_f64 v[132:133], v[3:4], v[129:130]
	v_mul_f64 v[129:130], v[1:2], v[129:130]
	v_fma_f64 v[1:2], v[1:2], v[127:128], -v[132:133]
	v_fma_f64 v[3:4], v[3:4], v[127:128], v[129:130]
	buffer_store_dword v2, off, s[0:3], 0 offset:276
	buffer_store_dword v1, off, s[0:3], 0 offset:272
	;; [unrolled: 1-line block ×4, first 2 shown]
.LBB123_339:
	s_or_b32 exec_lo, exec_lo, s6
	v_mov_b32_e32 v4, s52
	v_cmp_lt_u32_e64 s4, 16, v0
	s_clause 0x3
	buffer_load_dword v1, v4, s[0:3], 0 offen
	buffer_load_dword v2, v4, s[0:3], 0 offen offset:4
	buffer_load_dword v3, v4, s[0:3], 0 offen offset:8
	;; [unrolled: 1-line block ×3, first 2 shown]
	s_waitcnt vmcnt(0)
	ds_write_b128 v126, v[1:4]
	s_waitcnt lgkmcnt(0)
	s_waitcnt_vscnt null, 0x0
	s_barrier
	buffer_gl0_inv
	s_and_saveexec_b32 s6, s4
	s_cbranch_execz .LBB123_347
; %bb.340:
	ds_read_b128 v[1:4], v126
	s_andn2_b32 vcc_lo, exec_lo, s68
	s_cbranch_vccnz .LBB123_342
; %bb.341:
	s_clause 0x3
	buffer_load_dword v127, v125, s[0:3], 0 offen offset:8
	buffer_load_dword v128, v125, s[0:3], 0 offen offset:12
	buffer_load_dword v129, v125, s[0:3], 0 offen
	buffer_load_dword v130, v125, s[0:3], 0 offen offset:4
	s_waitcnt vmcnt(2) lgkmcnt(0)
	v_mul_f64 v[132:133], v[3:4], v[127:128]
	v_mul_f64 v[127:128], v[1:2], v[127:128]
	s_waitcnt vmcnt(0)
	v_fma_f64 v[1:2], v[1:2], v[129:130], -v[132:133]
	v_fma_f64 v[3:4], v[3:4], v[129:130], v[127:128]
.LBB123_342:
	s_and_saveexec_b32 s8, s5
	s_cbranch_execz .LBB123_346
; %bb.343:
	v_subrev_nc_u32_e32 v127, 17, v0
	s_movk_i32 s69, 0x4d0
	s_mov_b32 s5, 0
	s_mov_b32 s70, s51
	.p2align	6
.LBB123_344:                            ; =>This Inner Loop Header: Depth=1
	v_mov_b32_e32 v130, s70
	v_add_nc_u32_e32 v127, -1, v127
	s_add_i32 s70, s70, 16
	s_clause 0x3
	buffer_load_dword v128, v130, s[0:3], 0 offen offset:8
	buffer_load_dword v129, v130, s[0:3], 0 offen offset:12
	buffer_load_dword v136, v130, s[0:3], 0 offen
	buffer_load_dword v137, v130, s[0:3], 0 offen offset:4
	v_mov_b32_e32 v130, s69
	v_cmp_eq_u32_e32 vcc_lo, 0, v127
	s_add_i32 s69, s69, 16
	ds_read_b128 v[132:135], v130
	s_or_b32 s5, vcc_lo, s5
	s_waitcnt vmcnt(2) lgkmcnt(0)
	v_mul_f64 v[138:139], v[134:135], v[128:129]
	v_mul_f64 v[128:129], v[132:133], v[128:129]
	s_waitcnt vmcnt(0)
	v_fma_f64 v[132:133], v[132:133], v[136:137], -v[138:139]
	v_fma_f64 v[128:129], v[134:135], v[136:137], v[128:129]
	v_add_f64 v[1:2], v[1:2], v[132:133]
	v_add_f64 v[3:4], v[3:4], v[128:129]
	s_andn2_b32 exec_lo, exec_lo, s5
	s_cbranch_execnz .LBB123_344
; %bb.345:
	s_or_b32 exec_lo, exec_lo, s5
.LBB123_346:
	s_or_b32 exec_lo, exec_lo, s8
	v_mov_b32_e32 v127, 0
	ds_read_b128 v[127:130], v127 offset:256
	s_waitcnt lgkmcnt(0)
	v_mul_f64 v[132:133], v[3:4], v[129:130]
	v_mul_f64 v[129:130], v[1:2], v[129:130]
	v_fma_f64 v[1:2], v[1:2], v[127:128], -v[132:133]
	v_fma_f64 v[3:4], v[3:4], v[127:128], v[129:130]
	buffer_store_dword v2, off, s[0:3], 0 offset:260
	buffer_store_dword v1, off, s[0:3], 0 offset:256
	;; [unrolled: 1-line block ×4, first 2 shown]
.LBB123_347:
	s_or_b32 exec_lo, exec_lo, s6
	v_mov_b32_e32 v4, s53
	v_cmp_lt_u32_e64 s5, 15, v0
	s_clause 0x3
	buffer_load_dword v1, v4, s[0:3], 0 offen
	buffer_load_dword v2, v4, s[0:3], 0 offen offset:4
	buffer_load_dword v3, v4, s[0:3], 0 offen offset:8
	;; [unrolled: 1-line block ×3, first 2 shown]
	s_waitcnt vmcnt(0)
	ds_write_b128 v126, v[1:4]
	s_waitcnt lgkmcnt(0)
	s_waitcnt_vscnt null, 0x0
	s_barrier
	buffer_gl0_inv
	s_and_saveexec_b32 s6, s5
	s_cbranch_execz .LBB123_355
; %bb.348:
	ds_read_b128 v[1:4], v126
	s_andn2_b32 vcc_lo, exec_lo, s68
	s_cbranch_vccnz .LBB123_350
; %bb.349:
	s_clause 0x3
	buffer_load_dword v127, v125, s[0:3], 0 offen offset:8
	buffer_load_dword v128, v125, s[0:3], 0 offen offset:12
	buffer_load_dword v129, v125, s[0:3], 0 offen
	buffer_load_dword v130, v125, s[0:3], 0 offen offset:4
	s_waitcnt vmcnt(2) lgkmcnt(0)
	v_mul_f64 v[132:133], v[3:4], v[127:128]
	v_mul_f64 v[127:128], v[1:2], v[127:128]
	s_waitcnt vmcnt(0)
	v_fma_f64 v[1:2], v[1:2], v[129:130], -v[132:133]
	v_fma_f64 v[3:4], v[3:4], v[129:130], v[127:128]
.LBB123_350:
	s_and_saveexec_b32 s8, s4
	s_cbranch_execz .LBB123_354
; %bb.351:
	v_add_nc_u32_e32 v127, -16, v0
	s_movk_i32 s69, 0x4c0
	s_mov_b32 s4, 0
	s_mov_b32 s70, s52
	.p2align	6
.LBB123_352:                            ; =>This Inner Loop Header: Depth=1
	v_mov_b32_e32 v130, s70
	v_add_nc_u32_e32 v127, -1, v127
	s_add_i32 s70, s70, 16
	s_clause 0x3
	buffer_load_dword v128, v130, s[0:3], 0 offen offset:8
	buffer_load_dword v129, v130, s[0:3], 0 offen offset:12
	buffer_load_dword v136, v130, s[0:3], 0 offen
	buffer_load_dword v137, v130, s[0:3], 0 offen offset:4
	v_mov_b32_e32 v130, s69
	v_cmp_eq_u32_e32 vcc_lo, 0, v127
	s_add_i32 s69, s69, 16
	ds_read_b128 v[132:135], v130
	s_or_b32 s4, vcc_lo, s4
	s_waitcnt vmcnt(2) lgkmcnt(0)
	v_mul_f64 v[138:139], v[134:135], v[128:129]
	v_mul_f64 v[128:129], v[132:133], v[128:129]
	s_waitcnt vmcnt(0)
	v_fma_f64 v[132:133], v[132:133], v[136:137], -v[138:139]
	v_fma_f64 v[128:129], v[134:135], v[136:137], v[128:129]
	v_add_f64 v[1:2], v[1:2], v[132:133]
	v_add_f64 v[3:4], v[3:4], v[128:129]
	s_andn2_b32 exec_lo, exec_lo, s4
	s_cbranch_execnz .LBB123_352
; %bb.353:
	s_or_b32 exec_lo, exec_lo, s4
.LBB123_354:
	s_or_b32 exec_lo, exec_lo, s8
	v_mov_b32_e32 v127, 0
	ds_read_b128 v[127:130], v127 offset:240
	s_waitcnt lgkmcnt(0)
	v_mul_f64 v[132:133], v[3:4], v[129:130]
	v_mul_f64 v[129:130], v[1:2], v[129:130]
	v_fma_f64 v[1:2], v[1:2], v[127:128], -v[132:133]
	v_fma_f64 v[3:4], v[3:4], v[127:128], v[129:130]
	buffer_store_dword v2, off, s[0:3], 0 offset:244
	buffer_store_dword v1, off, s[0:3], 0 offset:240
	;; [unrolled: 1-line block ×4, first 2 shown]
.LBB123_355:
	s_or_b32 exec_lo, exec_lo, s6
	v_mov_b32_e32 v4, s54
	v_cmp_lt_u32_e64 s4, 14, v0
	s_clause 0x3
	buffer_load_dword v1, v4, s[0:3], 0 offen
	buffer_load_dword v2, v4, s[0:3], 0 offen offset:4
	buffer_load_dword v3, v4, s[0:3], 0 offen offset:8
	;; [unrolled: 1-line block ×3, first 2 shown]
	s_waitcnt vmcnt(0)
	ds_write_b128 v126, v[1:4]
	s_waitcnt lgkmcnt(0)
	s_waitcnt_vscnt null, 0x0
	s_barrier
	buffer_gl0_inv
	s_and_saveexec_b32 s6, s4
	s_cbranch_execz .LBB123_363
; %bb.356:
	ds_read_b128 v[1:4], v126
	s_andn2_b32 vcc_lo, exec_lo, s68
	s_cbranch_vccnz .LBB123_358
; %bb.357:
	s_clause 0x3
	buffer_load_dword v127, v125, s[0:3], 0 offen offset:8
	buffer_load_dword v128, v125, s[0:3], 0 offen offset:12
	buffer_load_dword v129, v125, s[0:3], 0 offen
	buffer_load_dword v130, v125, s[0:3], 0 offen offset:4
	s_waitcnt vmcnt(2) lgkmcnt(0)
	v_mul_f64 v[132:133], v[3:4], v[127:128]
	v_mul_f64 v[127:128], v[1:2], v[127:128]
	s_waitcnt vmcnt(0)
	v_fma_f64 v[1:2], v[1:2], v[129:130], -v[132:133]
	v_fma_f64 v[3:4], v[3:4], v[129:130], v[127:128]
.LBB123_358:
	s_and_saveexec_b32 s8, s5
	s_cbranch_execz .LBB123_362
; %bb.359:
	v_add_nc_u32_e32 v127, -15, v0
	s_movk_i32 s69, 0x4b0
	s_mov_b32 s5, 0
	s_mov_b32 s70, s53
	.p2align	6
.LBB123_360:                            ; =>This Inner Loop Header: Depth=1
	v_mov_b32_e32 v130, s70
	v_add_nc_u32_e32 v127, -1, v127
	s_add_i32 s70, s70, 16
	s_clause 0x3
	buffer_load_dword v128, v130, s[0:3], 0 offen offset:8
	buffer_load_dword v129, v130, s[0:3], 0 offen offset:12
	buffer_load_dword v136, v130, s[0:3], 0 offen
	buffer_load_dword v137, v130, s[0:3], 0 offen offset:4
	v_mov_b32_e32 v130, s69
	v_cmp_eq_u32_e32 vcc_lo, 0, v127
	s_add_i32 s69, s69, 16
	ds_read_b128 v[132:135], v130
	s_or_b32 s5, vcc_lo, s5
	s_waitcnt vmcnt(2) lgkmcnt(0)
	v_mul_f64 v[138:139], v[134:135], v[128:129]
	v_mul_f64 v[128:129], v[132:133], v[128:129]
	s_waitcnt vmcnt(0)
	v_fma_f64 v[132:133], v[132:133], v[136:137], -v[138:139]
	v_fma_f64 v[128:129], v[134:135], v[136:137], v[128:129]
	v_add_f64 v[1:2], v[1:2], v[132:133]
	v_add_f64 v[3:4], v[3:4], v[128:129]
	s_andn2_b32 exec_lo, exec_lo, s5
	s_cbranch_execnz .LBB123_360
; %bb.361:
	s_or_b32 exec_lo, exec_lo, s5
.LBB123_362:
	s_or_b32 exec_lo, exec_lo, s8
	v_mov_b32_e32 v127, 0
	ds_read_b128 v[127:130], v127 offset:224
	s_waitcnt lgkmcnt(0)
	v_mul_f64 v[132:133], v[3:4], v[129:130]
	v_mul_f64 v[129:130], v[1:2], v[129:130]
	v_fma_f64 v[1:2], v[1:2], v[127:128], -v[132:133]
	v_fma_f64 v[3:4], v[3:4], v[127:128], v[129:130]
	buffer_store_dword v2, off, s[0:3], 0 offset:228
	buffer_store_dword v1, off, s[0:3], 0 offset:224
	;; [unrolled: 1-line block ×4, first 2 shown]
.LBB123_363:
	s_or_b32 exec_lo, exec_lo, s6
	v_mov_b32_e32 v4, s55
	v_cmp_lt_u32_e64 s5, 13, v0
	s_clause 0x3
	buffer_load_dword v1, v4, s[0:3], 0 offen
	buffer_load_dword v2, v4, s[0:3], 0 offen offset:4
	buffer_load_dword v3, v4, s[0:3], 0 offen offset:8
	;; [unrolled: 1-line block ×3, first 2 shown]
	s_waitcnt vmcnt(0)
	ds_write_b128 v126, v[1:4]
	s_waitcnt lgkmcnt(0)
	s_waitcnt_vscnt null, 0x0
	s_barrier
	buffer_gl0_inv
	s_and_saveexec_b32 s6, s5
	s_cbranch_execz .LBB123_371
; %bb.364:
	ds_read_b128 v[1:4], v126
	s_andn2_b32 vcc_lo, exec_lo, s68
	s_cbranch_vccnz .LBB123_366
; %bb.365:
	s_clause 0x3
	buffer_load_dword v127, v125, s[0:3], 0 offen offset:8
	buffer_load_dword v128, v125, s[0:3], 0 offen offset:12
	buffer_load_dword v129, v125, s[0:3], 0 offen
	buffer_load_dword v130, v125, s[0:3], 0 offen offset:4
	s_waitcnt vmcnt(2) lgkmcnt(0)
	v_mul_f64 v[132:133], v[3:4], v[127:128]
	v_mul_f64 v[127:128], v[1:2], v[127:128]
	s_waitcnt vmcnt(0)
	v_fma_f64 v[1:2], v[1:2], v[129:130], -v[132:133]
	v_fma_f64 v[3:4], v[3:4], v[129:130], v[127:128]
.LBB123_366:
	s_and_saveexec_b32 s8, s4
	s_cbranch_execz .LBB123_370
; %bb.367:
	v_add_nc_u32_e32 v127, -14, v0
	s_movk_i32 s69, 0x4a0
	s_mov_b32 s4, 0
	s_mov_b32 s70, s54
	.p2align	6
.LBB123_368:                            ; =>This Inner Loop Header: Depth=1
	v_mov_b32_e32 v130, s70
	v_add_nc_u32_e32 v127, -1, v127
	s_add_i32 s70, s70, 16
	s_clause 0x3
	buffer_load_dword v128, v130, s[0:3], 0 offen offset:8
	buffer_load_dword v129, v130, s[0:3], 0 offen offset:12
	buffer_load_dword v136, v130, s[0:3], 0 offen
	buffer_load_dword v137, v130, s[0:3], 0 offen offset:4
	v_mov_b32_e32 v130, s69
	v_cmp_eq_u32_e32 vcc_lo, 0, v127
	s_add_i32 s69, s69, 16
	ds_read_b128 v[132:135], v130
	s_or_b32 s4, vcc_lo, s4
	s_waitcnt vmcnt(2) lgkmcnt(0)
	v_mul_f64 v[138:139], v[134:135], v[128:129]
	v_mul_f64 v[128:129], v[132:133], v[128:129]
	s_waitcnt vmcnt(0)
	v_fma_f64 v[132:133], v[132:133], v[136:137], -v[138:139]
	v_fma_f64 v[128:129], v[134:135], v[136:137], v[128:129]
	v_add_f64 v[1:2], v[1:2], v[132:133]
	v_add_f64 v[3:4], v[3:4], v[128:129]
	s_andn2_b32 exec_lo, exec_lo, s4
	s_cbranch_execnz .LBB123_368
; %bb.369:
	s_or_b32 exec_lo, exec_lo, s4
.LBB123_370:
	s_or_b32 exec_lo, exec_lo, s8
	v_mov_b32_e32 v127, 0
	ds_read_b128 v[127:130], v127 offset:208
	s_waitcnt lgkmcnt(0)
	v_mul_f64 v[132:133], v[3:4], v[129:130]
	v_mul_f64 v[129:130], v[1:2], v[129:130]
	v_fma_f64 v[1:2], v[1:2], v[127:128], -v[132:133]
	v_fma_f64 v[3:4], v[3:4], v[127:128], v[129:130]
	buffer_store_dword v2, off, s[0:3], 0 offset:212
	buffer_store_dword v1, off, s[0:3], 0 offset:208
	;; [unrolled: 1-line block ×4, first 2 shown]
.LBB123_371:
	s_or_b32 exec_lo, exec_lo, s6
	v_mov_b32_e32 v4, s56
	v_cmp_lt_u32_e64 s4, 12, v0
	s_clause 0x3
	buffer_load_dword v1, v4, s[0:3], 0 offen
	buffer_load_dword v2, v4, s[0:3], 0 offen offset:4
	buffer_load_dword v3, v4, s[0:3], 0 offen offset:8
	;; [unrolled: 1-line block ×3, first 2 shown]
	s_waitcnt vmcnt(0)
	ds_write_b128 v126, v[1:4]
	s_waitcnt lgkmcnt(0)
	s_waitcnt_vscnt null, 0x0
	s_barrier
	buffer_gl0_inv
	s_and_saveexec_b32 s6, s4
	s_cbranch_execz .LBB123_379
; %bb.372:
	ds_read_b128 v[1:4], v126
	s_andn2_b32 vcc_lo, exec_lo, s68
	s_cbranch_vccnz .LBB123_374
; %bb.373:
	s_clause 0x3
	buffer_load_dword v127, v125, s[0:3], 0 offen offset:8
	buffer_load_dword v128, v125, s[0:3], 0 offen offset:12
	buffer_load_dword v129, v125, s[0:3], 0 offen
	buffer_load_dword v130, v125, s[0:3], 0 offen offset:4
	s_waitcnt vmcnt(2) lgkmcnt(0)
	v_mul_f64 v[132:133], v[3:4], v[127:128]
	v_mul_f64 v[127:128], v[1:2], v[127:128]
	s_waitcnt vmcnt(0)
	v_fma_f64 v[1:2], v[1:2], v[129:130], -v[132:133]
	v_fma_f64 v[3:4], v[3:4], v[129:130], v[127:128]
.LBB123_374:
	s_and_saveexec_b32 s8, s5
	s_cbranch_execz .LBB123_378
; %bb.375:
	v_add_nc_u32_e32 v127, -13, v0
	s_movk_i32 s69, 0x490
	s_mov_b32 s5, 0
	s_mov_b32 s70, s55
	.p2align	6
.LBB123_376:                            ; =>This Inner Loop Header: Depth=1
	v_mov_b32_e32 v130, s70
	v_add_nc_u32_e32 v127, -1, v127
	s_add_i32 s70, s70, 16
	s_clause 0x3
	buffer_load_dword v128, v130, s[0:3], 0 offen offset:8
	buffer_load_dword v129, v130, s[0:3], 0 offen offset:12
	buffer_load_dword v136, v130, s[0:3], 0 offen
	buffer_load_dword v137, v130, s[0:3], 0 offen offset:4
	v_mov_b32_e32 v130, s69
	v_cmp_eq_u32_e32 vcc_lo, 0, v127
	s_add_i32 s69, s69, 16
	ds_read_b128 v[132:135], v130
	s_or_b32 s5, vcc_lo, s5
	s_waitcnt vmcnt(2) lgkmcnt(0)
	v_mul_f64 v[138:139], v[134:135], v[128:129]
	v_mul_f64 v[128:129], v[132:133], v[128:129]
	s_waitcnt vmcnt(0)
	v_fma_f64 v[132:133], v[132:133], v[136:137], -v[138:139]
	v_fma_f64 v[128:129], v[134:135], v[136:137], v[128:129]
	v_add_f64 v[1:2], v[1:2], v[132:133]
	v_add_f64 v[3:4], v[3:4], v[128:129]
	s_andn2_b32 exec_lo, exec_lo, s5
	s_cbranch_execnz .LBB123_376
; %bb.377:
	s_or_b32 exec_lo, exec_lo, s5
.LBB123_378:
	s_or_b32 exec_lo, exec_lo, s8
	v_mov_b32_e32 v127, 0
	ds_read_b128 v[127:130], v127 offset:192
	s_waitcnt lgkmcnt(0)
	v_mul_f64 v[132:133], v[3:4], v[129:130]
	v_mul_f64 v[129:130], v[1:2], v[129:130]
	v_fma_f64 v[1:2], v[1:2], v[127:128], -v[132:133]
	v_fma_f64 v[3:4], v[3:4], v[127:128], v[129:130]
	buffer_store_dword v2, off, s[0:3], 0 offset:196
	buffer_store_dword v1, off, s[0:3], 0 offset:192
	;; [unrolled: 1-line block ×4, first 2 shown]
.LBB123_379:
	s_or_b32 exec_lo, exec_lo, s6
	v_mov_b32_e32 v4, s57
	v_cmp_lt_u32_e64 s5, 11, v0
	s_clause 0x3
	buffer_load_dword v1, v4, s[0:3], 0 offen
	buffer_load_dword v2, v4, s[0:3], 0 offen offset:4
	buffer_load_dword v3, v4, s[0:3], 0 offen offset:8
	;; [unrolled: 1-line block ×3, first 2 shown]
	s_waitcnt vmcnt(0)
	ds_write_b128 v126, v[1:4]
	s_waitcnt lgkmcnt(0)
	s_waitcnt_vscnt null, 0x0
	s_barrier
	buffer_gl0_inv
	s_and_saveexec_b32 s6, s5
	s_cbranch_execz .LBB123_387
; %bb.380:
	ds_read_b128 v[1:4], v126
	s_andn2_b32 vcc_lo, exec_lo, s68
	s_cbranch_vccnz .LBB123_382
; %bb.381:
	s_clause 0x3
	buffer_load_dword v127, v125, s[0:3], 0 offen offset:8
	buffer_load_dword v128, v125, s[0:3], 0 offen offset:12
	buffer_load_dword v129, v125, s[0:3], 0 offen
	buffer_load_dword v130, v125, s[0:3], 0 offen offset:4
	s_waitcnt vmcnt(2) lgkmcnt(0)
	v_mul_f64 v[132:133], v[3:4], v[127:128]
	v_mul_f64 v[127:128], v[1:2], v[127:128]
	s_waitcnt vmcnt(0)
	v_fma_f64 v[1:2], v[1:2], v[129:130], -v[132:133]
	v_fma_f64 v[3:4], v[3:4], v[129:130], v[127:128]
.LBB123_382:
	s_and_saveexec_b32 s8, s4
	s_cbranch_execz .LBB123_386
; %bb.383:
	v_add_nc_u32_e32 v127, -12, v0
	s_movk_i32 s69, 0x480
	s_mov_b32 s4, 0
	s_mov_b32 s70, s56
	.p2align	6
.LBB123_384:                            ; =>This Inner Loop Header: Depth=1
	v_mov_b32_e32 v130, s70
	v_add_nc_u32_e32 v127, -1, v127
	s_add_i32 s70, s70, 16
	s_clause 0x3
	buffer_load_dword v128, v130, s[0:3], 0 offen offset:8
	buffer_load_dword v129, v130, s[0:3], 0 offen offset:12
	buffer_load_dword v136, v130, s[0:3], 0 offen
	buffer_load_dword v137, v130, s[0:3], 0 offen offset:4
	v_mov_b32_e32 v130, s69
	v_cmp_eq_u32_e32 vcc_lo, 0, v127
	s_add_i32 s69, s69, 16
	ds_read_b128 v[132:135], v130
	s_or_b32 s4, vcc_lo, s4
	s_waitcnt vmcnt(2) lgkmcnt(0)
	v_mul_f64 v[138:139], v[134:135], v[128:129]
	v_mul_f64 v[128:129], v[132:133], v[128:129]
	s_waitcnt vmcnt(0)
	v_fma_f64 v[132:133], v[132:133], v[136:137], -v[138:139]
	v_fma_f64 v[128:129], v[134:135], v[136:137], v[128:129]
	v_add_f64 v[1:2], v[1:2], v[132:133]
	v_add_f64 v[3:4], v[3:4], v[128:129]
	s_andn2_b32 exec_lo, exec_lo, s4
	s_cbranch_execnz .LBB123_384
; %bb.385:
	s_or_b32 exec_lo, exec_lo, s4
.LBB123_386:
	s_or_b32 exec_lo, exec_lo, s8
	v_mov_b32_e32 v127, 0
	ds_read_b128 v[127:130], v127 offset:176
	s_waitcnt lgkmcnt(0)
	v_mul_f64 v[132:133], v[3:4], v[129:130]
	v_mul_f64 v[129:130], v[1:2], v[129:130]
	v_fma_f64 v[1:2], v[1:2], v[127:128], -v[132:133]
	v_fma_f64 v[3:4], v[3:4], v[127:128], v[129:130]
	buffer_store_dword v2, off, s[0:3], 0 offset:180
	buffer_store_dword v1, off, s[0:3], 0 offset:176
	buffer_store_dword v4, off, s[0:3], 0 offset:188
	buffer_store_dword v3, off, s[0:3], 0 offset:184
.LBB123_387:
	s_or_b32 exec_lo, exec_lo, s6
	v_mov_b32_e32 v4, s58
	v_cmp_lt_u32_e64 s4, 10, v0
	s_clause 0x3
	buffer_load_dword v1, v4, s[0:3], 0 offen
	buffer_load_dword v2, v4, s[0:3], 0 offen offset:4
	buffer_load_dword v3, v4, s[0:3], 0 offen offset:8
	;; [unrolled: 1-line block ×3, first 2 shown]
	s_waitcnt vmcnt(0)
	ds_write_b128 v126, v[1:4]
	s_waitcnt lgkmcnt(0)
	s_waitcnt_vscnt null, 0x0
	s_barrier
	buffer_gl0_inv
	s_and_saveexec_b32 s6, s4
	s_cbranch_execz .LBB123_395
; %bb.388:
	ds_read_b128 v[1:4], v126
	s_andn2_b32 vcc_lo, exec_lo, s68
	s_cbranch_vccnz .LBB123_390
; %bb.389:
	s_clause 0x3
	buffer_load_dword v127, v125, s[0:3], 0 offen offset:8
	buffer_load_dword v128, v125, s[0:3], 0 offen offset:12
	buffer_load_dword v129, v125, s[0:3], 0 offen
	buffer_load_dword v130, v125, s[0:3], 0 offen offset:4
	s_waitcnt vmcnt(2) lgkmcnt(0)
	v_mul_f64 v[132:133], v[3:4], v[127:128]
	v_mul_f64 v[127:128], v[1:2], v[127:128]
	s_waitcnt vmcnt(0)
	v_fma_f64 v[1:2], v[1:2], v[129:130], -v[132:133]
	v_fma_f64 v[3:4], v[3:4], v[129:130], v[127:128]
.LBB123_390:
	s_and_saveexec_b32 s8, s5
	s_cbranch_execz .LBB123_394
; %bb.391:
	v_add_nc_u32_e32 v127, -11, v0
	s_movk_i32 s69, 0x470
	s_mov_b32 s5, 0
	s_mov_b32 s70, s57
	.p2align	6
.LBB123_392:                            ; =>This Inner Loop Header: Depth=1
	v_mov_b32_e32 v130, s70
	v_add_nc_u32_e32 v127, -1, v127
	s_add_i32 s70, s70, 16
	s_clause 0x3
	buffer_load_dword v128, v130, s[0:3], 0 offen offset:8
	buffer_load_dword v129, v130, s[0:3], 0 offen offset:12
	buffer_load_dword v136, v130, s[0:3], 0 offen
	buffer_load_dword v137, v130, s[0:3], 0 offen offset:4
	v_mov_b32_e32 v130, s69
	v_cmp_eq_u32_e32 vcc_lo, 0, v127
	s_add_i32 s69, s69, 16
	ds_read_b128 v[132:135], v130
	s_or_b32 s5, vcc_lo, s5
	s_waitcnt vmcnt(2) lgkmcnt(0)
	v_mul_f64 v[138:139], v[134:135], v[128:129]
	v_mul_f64 v[128:129], v[132:133], v[128:129]
	s_waitcnt vmcnt(0)
	v_fma_f64 v[132:133], v[132:133], v[136:137], -v[138:139]
	v_fma_f64 v[128:129], v[134:135], v[136:137], v[128:129]
	v_add_f64 v[1:2], v[1:2], v[132:133]
	v_add_f64 v[3:4], v[3:4], v[128:129]
	s_andn2_b32 exec_lo, exec_lo, s5
	s_cbranch_execnz .LBB123_392
; %bb.393:
	s_or_b32 exec_lo, exec_lo, s5
.LBB123_394:
	s_or_b32 exec_lo, exec_lo, s8
	v_mov_b32_e32 v127, 0
	ds_read_b128 v[127:130], v127 offset:160
	s_waitcnt lgkmcnt(0)
	v_mul_f64 v[132:133], v[3:4], v[129:130]
	v_mul_f64 v[129:130], v[1:2], v[129:130]
	v_fma_f64 v[1:2], v[1:2], v[127:128], -v[132:133]
	v_fma_f64 v[3:4], v[3:4], v[127:128], v[129:130]
	buffer_store_dword v2, off, s[0:3], 0 offset:164
	buffer_store_dword v1, off, s[0:3], 0 offset:160
	buffer_store_dword v4, off, s[0:3], 0 offset:172
	buffer_store_dword v3, off, s[0:3], 0 offset:168
.LBB123_395:
	s_or_b32 exec_lo, exec_lo, s6
	v_mov_b32_e32 v4, s59
	v_cmp_lt_u32_e64 s5, 9, v0
	s_clause 0x3
	buffer_load_dword v1, v4, s[0:3], 0 offen
	buffer_load_dword v2, v4, s[0:3], 0 offen offset:4
	buffer_load_dword v3, v4, s[0:3], 0 offen offset:8
	;; [unrolled: 1-line block ×3, first 2 shown]
	s_waitcnt vmcnt(0)
	ds_write_b128 v126, v[1:4]
	s_waitcnt lgkmcnt(0)
	s_waitcnt_vscnt null, 0x0
	s_barrier
	buffer_gl0_inv
	s_and_saveexec_b32 s6, s5
	s_cbranch_execz .LBB123_403
; %bb.396:
	ds_read_b128 v[1:4], v126
	s_andn2_b32 vcc_lo, exec_lo, s68
	s_cbranch_vccnz .LBB123_398
; %bb.397:
	s_clause 0x3
	buffer_load_dword v127, v125, s[0:3], 0 offen offset:8
	buffer_load_dword v128, v125, s[0:3], 0 offen offset:12
	buffer_load_dword v129, v125, s[0:3], 0 offen
	buffer_load_dword v130, v125, s[0:3], 0 offen offset:4
	s_waitcnt vmcnt(2) lgkmcnt(0)
	v_mul_f64 v[132:133], v[3:4], v[127:128]
	v_mul_f64 v[127:128], v[1:2], v[127:128]
	s_waitcnt vmcnt(0)
	v_fma_f64 v[1:2], v[1:2], v[129:130], -v[132:133]
	v_fma_f64 v[3:4], v[3:4], v[129:130], v[127:128]
.LBB123_398:
	s_and_saveexec_b32 s8, s4
	s_cbranch_execz .LBB123_402
; %bb.399:
	v_add_nc_u32_e32 v127, -10, v0
	s_movk_i32 s69, 0x460
	s_mov_b32 s4, 0
	s_mov_b32 s70, s58
	.p2align	6
.LBB123_400:                            ; =>This Inner Loop Header: Depth=1
	v_mov_b32_e32 v130, s70
	v_add_nc_u32_e32 v127, -1, v127
	s_add_i32 s70, s70, 16
	s_clause 0x3
	buffer_load_dword v128, v130, s[0:3], 0 offen offset:8
	buffer_load_dword v129, v130, s[0:3], 0 offen offset:12
	buffer_load_dword v136, v130, s[0:3], 0 offen
	buffer_load_dword v137, v130, s[0:3], 0 offen offset:4
	v_mov_b32_e32 v130, s69
	v_cmp_eq_u32_e32 vcc_lo, 0, v127
	s_add_i32 s69, s69, 16
	ds_read_b128 v[132:135], v130
	s_or_b32 s4, vcc_lo, s4
	s_waitcnt vmcnt(2) lgkmcnt(0)
	v_mul_f64 v[138:139], v[134:135], v[128:129]
	v_mul_f64 v[128:129], v[132:133], v[128:129]
	s_waitcnt vmcnt(0)
	v_fma_f64 v[132:133], v[132:133], v[136:137], -v[138:139]
	v_fma_f64 v[128:129], v[134:135], v[136:137], v[128:129]
	v_add_f64 v[1:2], v[1:2], v[132:133]
	v_add_f64 v[3:4], v[3:4], v[128:129]
	s_andn2_b32 exec_lo, exec_lo, s4
	s_cbranch_execnz .LBB123_400
; %bb.401:
	s_or_b32 exec_lo, exec_lo, s4
.LBB123_402:
	s_or_b32 exec_lo, exec_lo, s8
	v_mov_b32_e32 v127, 0
	ds_read_b128 v[127:130], v127 offset:144
	s_waitcnt lgkmcnt(0)
	v_mul_f64 v[132:133], v[3:4], v[129:130]
	v_mul_f64 v[129:130], v[1:2], v[129:130]
	v_fma_f64 v[1:2], v[1:2], v[127:128], -v[132:133]
	v_fma_f64 v[3:4], v[3:4], v[127:128], v[129:130]
	buffer_store_dword v2, off, s[0:3], 0 offset:148
	buffer_store_dword v1, off, s[0:3], 0 offset:144
	;; [unrolled: 1-line block ×4, first 2 shown]
.LBB123_403:
	s_or_b32 exec_lo, exec_lo, s6
	v_mov_b32_e32 v4, s60
	v_cmp_lt_u32_e64 s4, 8, v0
	s_clause 0x3
	buffer_load_dword v1, v4, s[0:3], 0 offen
	buffer_load_dword v2, v4, s[0:3], 0 offen offset:4
	buffer_load_dword v3, v4, s[0:3], 0 offen offset:8
	;; [unrolled: 1-line block ×3, first 2 shown]
	s_waitcnt vmcnt(0)
	ds_write_b128 v126, v[1:4]
	s_waitcnt lgkmcnt(0)
	s_waitcnt_vscnt null, 0x0
	s_barrier
	buffer_gl0_inv
	s_and_saveexec_b32 s6, s4
	s_cbranch_execz .LBB123_411
; %bb.404:
	ds_read_b128 v[1:4], v126
	s_andn2_b32 vcc_lo, exec_lo, s68
	s_cbranch_vccnz .LBB123_406
; %bb.405:
	s_clause 0x3
	buffer_load_dword v127, v125, s[0:3], 0 offen offset:8
	buffer_load_dword v128, v125, s[0:3], 0 offen offset:12
	buffer_load_dword v129, v125, s[0:3], 0 offen
	buffer_load_dword v130, v125, s[0:3], 0 offen offset:4
	s_waitcnt vmcnt(2) lgkmcnt(0)
	v_mul_f64 v[132:133], v[3:4], v[127:128]
	v_mul_f64 v[127:128], v[1:2], v[127:128]
	s_waitcnt vmcnt(0)
	v_fma_f64 v[1:2], v[1:2], v[129:130], -v[132:133]
	v_fma_f64 v[3:4], v[3:4], v[129:130], v[127:128]
.LBB123_406:
	s_and_saveexec_b32 s8, s5
	s_cbranch_execz .LBB123_410
; %bb.407:
	v_add_nc_u32_e32 v127, -9, v0
	s_movk_i32 s69, 0x450
	s_mov_b32 s5, 0
	s_mov_b32 s70, s59
	.p2align	6
.LBB123_408:                            ; =>This Inner Loop Header: Depth=1
	v_mov_b32_e32 v130, s70
	v_add_nc_u32_e32 v127, -1, v127
	s_add_i32 s70, s70, 16
	s_clause 0x3
	buffer_load_dword v128, v130, s[0:3], 0 offen offset:8
	buffer_load_dword v129, v130, s[0:3], 0 offen offset:12
	buffer_load_dword v136, v130, s[0:3], 0 offen
	buffer_load_dword v137, v130, s[0:3], 0 offen offset:4
	v_mov_b32_e32 v130, s69
	v_cmp_eq_u32_e32 vcc_lo, 0, v127
	s_add_i32 s69, s69, 16
	ds_read_b128 v[132:135], v130
	s_or_b32 s5, vcc_lo, s5
	s_waitcnt vmcnt(2) lgkmcnt(0)
	v_mul_f64 v[138:139], v[134:135], v[128:129]
	v_mul_f64 v[128:129], v[132:133], v[128:129]
	s_waitcnt vmcnt(0)
	v_fma_f64 v[132:133], v[132:133], v[136:137], -v[138:139]
	v_fma_f64 v[128:129], v[134:135], v[136:137], v[128:129]
	v_add_f64 v[1:2], v[1:2], v[132:133]
	v_add_f64 v[3:4], v[3:4], v[128:129]
	s_andn2_b32 exec_lo, exec_lo, s5
	s_cbranch_execnz .LBB123_408
; %bb.409:
	s_or_b32 exec_lo, exec_lo, s5
.LBB123_410:
	s_or_b32 exec_lo, exec_lo, s8
	v_mov_b32_e32 v127, 0
	ds_read_b128 v[127:130], v127 offset:128
	s_waitcnt lgkmcnt(0)
	v_mul_f64 v[132:133], v[3:4], v[129:130]
	v_mul_f64 v[129:130], v[1:2], v[129:130]
	v_fma_f64 v[1:2], v[1:2], v[127:128], -v[132:133]
	v_fma_f64 v[3:4], v[3:4], v[127:128], v[129:130]
	buffer_store_dword v2, off, s[0:3], 0 offset:132
	buffer_store_dword v1, off, s[0:3], 0 offset:128
	;; [unrolled: 1-line block ×4, first 2 shown]
.LBB123_411:
	s_or_b32 exec_lo, exec_lo, s6
	v_mov_b32_e32 v4, s61
	v_cmp_lt_u32_e64 s5, 7, v0
	s_clause 0x3
	buffer_load_dword v1, v4, s[0:3], 0 offen
	buffer_load_dword v2, v4, s[0:3], 0 offen offset:4
	buffer_load_dword v3, v4, s[0:3], 0 offen offset:8
	;; [unrolled: 1-line block ×3, first 2 shown]
	s_waitcnt vmcnt(0)
	ds_write_b128 v126, v[1:4]
	s_waitcnt lgkmcnt(0)
	s_waitcnt_vscnt null, 0x0
	s_barrier
	buffer_gl0_inv
	s_and_saveexec_b32 s6, s5
	s_cbranch_execz .LBB123_419
; %bb.412:
	ds_read_b128 v[1:4], v126
	s_andn2_b32 vcc_lo, exec_lo, s68
	s_cbranch_vccnz .LBB123_414
; %bb.413:
	s_clause 0x3
	buffer_load_dword v127, v125, s[0:3], 0 offen offset:8
	buffer_load_dword v128, v125, s[0:3], 0 offen offset:12
	buffer_load_dword v129, v125, s[0:3], 0 offen
	buffer_load_dword v130, v125, s[0:3], 0 offen offset:4
	s_waitcnt vmcnt(2) lgkmcnt(0)
	v_mul_f64 v[132:133], v[3:4], v[127:128]
	v_mul_f64 v[127:128], v[1:2], v[127:128]
	s_waitcnt vmcnt(0)
	v_fma_f64 v[1:2], v[1:2], v[129:130], -v[132:133]
	v_fma_f64 v[3:4], v[3:4], v[129:130], v[127:128]
.LBB123_414:
	s_and_saveexec_b32 s8, s4
	s_cbranch_execz .LBB123_418
; %bb.415:
	v_add_nc_u32_e32 v127, -8, v0
	s_movk_i32 s69, 0x440
	s_mov_b32 s4, 0
	s_mov_b32 s70, s60
	.p2align	6
.LBB123_416:                            ; =>This Inner Loop Header: Depth=1
	v_mov_b32_e32 v130, s70
	v_add_nc_u32_e32 v127, -1, v127
	s_add_i32 s70, s70, 16
	s_clause 0x3
	buffer_load_dword v128, v130, s[0:3], 0 offen offset:8
	buffer_load_dword v129, v130, s[0:3], 0 offen offset:12
	buffer_load_dword v136, v130, s[0:3], 0 offen
	buffer_load_dword v137, v130, s[0:3], 0 offen offset:4
	v_mov_b32_e32 v130, s69
	v_cmp_eq_u32_e32 vcc_lo, 0, v127
	s_add_i32 s69, s69, 16
	ds_read_b128 v[132:135], v130
	s_or_b32 s4, vcc_lo, s4
	s_waitcnt vmcnt(2) lgkmcnt(0)
	v_mul_f64 v[138:139], v[134:135], v[128:129]
	v_mul_f64 v[128:129], v[132:133], v[128:129]
	s_waitcnt vmcnt(0)
	v_fma_f64 v[132:133], v[132:133], v[136:137], -v[138:139]
	v_fma_f64 v[128:129], v[134:135], v[136:137], v[128:129]
	v_add_f64 v[1:2], v[1:2], v[132:133]
	v_add_f64 v[3:4], v[3:4], v[128:129]
	s_andn2_b32 exec_lo, exec_lo, s4
	s_cbranch_execnz .LBB123_416
; %bb.417:
	s_or_b32 exec_lo, exec_lo, s4
.LBB123_418:
	s_or_b32 exec_lo, exec_lo, s8
	v_mov_b32_e32 v127, 0
	ds_read_b128 v[127:130], v127 offset:112
	s_waitcnt lgkmcnt(0)
	v_mul_f64 v[132:133], v[3:4], v[129:130]
	v_mul_f64 v[129:130], v[1:2], v[129:130]
	v_fma_f64 v[1:2], v[1:2], v[127:128], -v[132:133]
	v_fma_f64 v[3:4], v[3:4], v[127:128], v[129:130]
	buffer_store_dword v2, off, s[0:3], 0 offset:116
	buffer_store_dword v1, off, s[0:3], 0 offset:112
	;; [unrolled: 1-line block ×4, first 2 shown]
.LBB123_419:
	s_or_b32 exec_lo, exec_lo, s6
	v_mov_b32_e32 v4, s62
	v_cmp_lt_u32_e64 s4, 6, v0
	s_clause 0x3
	buffer_load_dword v1, v4, s[0:3], 0 offen
	buffer_load_dword v2, v4, s[0:3], 0 offen offset:4
	buffer_load_dword v3, v4, s[0:3], 0 offen offset:8
	;; [unrolled: 1-line block ×3, first 2 shown]
	s_waitcnt vmcnt(0)
	ds_write_b128 v126, v[1:4]
	s_waitcnt lgkmcnt(0)
	s_waitcnt_vscnt null, 0x0
	s_barrier
	buffer_gl0_inv
	s_and_saveexec_b32 s6, s4
	s_cbranch_execz .LBB123_427
; %bb.420:
	ds_read_b128 v[1:4], v126
	s_andn2_b32 vcc_lo, exec_lo, s68
	s_cbranch_vccnz .LBB123_422
; %bb.421:
	s_clause 0x3
	buffer_load_dword v127, v125, s[0:3], 0 offen offset:8
	buffer_load_dword v128, v125, s[0:3], 0 offen offset:12
	buffer_load_dword v129, v125, s[0:3], 0 offen
	buffer_load_dword v130, v125, s[0:3], 0 offen offset:4
	s_waitcnt vmcnt(2) lgkmcnt(0)
	v_mul_f64 v[132:133], v[3:4], v[127:128]
	v_mul_f64 v[127:128], v[1:2], v[127:128]
	s_waitcnt vmcnt(0)
	v_fma_f64 v[1:2], v[1:2], v[129:130], -v[132:133]
	v_fma_f64 v[3:4], v[3:4], v[129:130], v[127:128]
.LBB123_422:
	s_and_saveexec_b32 s8, s5
	s_cbranch_execz .LBB123_426
; %bb.423:
	v_add_nc_u32_e32 v127, -7, v0
	s_movk_i32 s69, 0x430
	s_mov_b32 s5, 0
	s_mov_b32 s70, s61
	.p2align	6
.LBB123_424:                            ; =>This Inner Loop Header: Depth=1
	v_mov_b32_e32 v130, s70
	v_add_nc_u32_e32 v127, -1, v127
	s_add_i32 s70, s70, 16
	s_clause 0x3
	buffer_load_dword v128, v130, s[0:3], 0 offen offset:8
	buffer_load_dword v129, v130, s[0:3], 0 offen offset:12
	buffer_load_dword v136, v130, s[0:3], 0 offen
	buffer_load_dword v137, v130, s[0:3], 0 offen offset:4
	v_mov_b32_e32 v130, s69
	v_cmp_eq_u32_e32 vcc_lo, 0, v127
	s_add_i32 s69, s69, 16
	ds_read_b128 v[132:135], v130
	s_or_b32 s5, vcc_lo, s5
	s_waitcnt vmcnt(2) lgkmcnt(0)
	v_mul_f64 v[138:139], v[134:135], v[128:129]
	v_mul_f64 v[128:129], v[132:133], v[128:129]
	s_waitcnt vmcnt(0)
	v_fma_f64 v[132:133], v[132:133], v[136:137], -v[138:139]
	v_fma_f64 v[128:129], v[134:135], v[136:137], v[128:129]
	v_add_f64 v[1:2], v[1:2], v[132:133]
	v_add_f64 v[3:4], v[3:4], v[128:129]
	s_andn2_b32 exec_lo, exec_lo, s5
	s_cbranch_execnz .LBB123_424
; %bb.425:
	s_or_b32 exec_lo, exec_lo, s5
.LBB123_426:
	s_or_b32 exec_lo, exec_lo, s8
	v_mov_b32_e32 v127, 0
	ds_read_b128 v[127:130], v127 offset:96
	s_waitcnt lgkmcnt(0)
	v_mul_f64 v[132:133], v[3:4], v[129:130]
	v_mul_f64 v[129:130], v[1:2], v[129:130]
	v_fma_f64 v[1:2], v[1:2], v[127:128], -v[132:133]
	v_fma_f64 v[3:4], v[3:4], v[127:128], v[129:130]
	buffer_store_dword v2, off, s[0:3], 0 offset:100
	buffer_store_dword v1, off, s[0:3], 0 offset:96
	;; [unrolled: 1-line block ×4, first 2 shown]
.LBB123_427:
	s_or_b32 exec_lo, exec_lo, s6
	v_mov_b32_e32 v4, s63
	v_cmp_lt_u32_e64 s5, 5, v0
	s_clause 0x3
	buffer_load_dword v1, v4, s[0:3], 0 offen
	buffer_load_dword v2, v4, s[0:3], 0 offen offset:4
	buffer_load_dword v3, v4, s[0:3], 0 offen offset:8
	;; [unrolled: 1-line block ×3, first 2 shown]
	s_waitcnt vmcnt(0)
	ds_write_b128 v126, v[1:4]
	s_waitcnt lgkmcnt(0)
	s_waitcnt_vscnt null, 0x0
	s_barrier
	buffer_gl0_inv
	s_and_saveexec_b32 s6, s5
	s_cbranch_execz .LBB123_435
; %bb.428:
	ds_read_b128 v[1:4], v126
	s_andn2_b32 vcc_lo, exec_lo, s68
	s_cbranch_vccnz .LBB123_430
; %bb.429:
	s_clause 0x3
	buffer_load_dword v127, v125, s[0:3], 0 offen offset:8
	buffer_load_dword v128, v125, s[0:3], 0 offen offset:12
	buffer_load_dword v129, v125, s[0:3], 0 offen
	buffer_load_dword v130, v125, s[0:3], 0 offen offset:4
	s_waitcnt vmcnt(2) lgkmcnt(0)
	v_mul_f64 v[132:133], v[3:4], v[127:128]
	v_mul_f64 v[127:128], v[1:2], v[127:128]
	s_waitcnt vmcnt(0)
	v_fma_f64 v[1:2], v[1:2], v[129:130], -v[132:133]
	v_fma_f64 v[3:4], v[3:4], v[129:130], v[127:128]
.LBB123_430:
	s_and_saveexec_b32 s8, s4
	s_cbranch_execz .LBB123_434
; %bb.431:
	v_add_nc_u32_e32 v127, -6, v0
	s_movk_i32 s69, 0x420
	s_mov_b32 s4, 0
	s_mov_b32 s70, s62
	.p2align	6
.LBB123_432:                            ; =>This Inner Loop Header: Depth=1
	v_mov_b32_e32 v130, s70
	v_add_nc_u32_e32 v127, -1, v127
	s_add_i32 s70, s70, 16
	s_clause 0x3
	buffer_load_dword v128, v130, s[0:3], 0 offen offset:8
	buffer_load_dword v129, v130, s[0:3], 0 offen offset:12
	buffer_load_dword v136, v130, s[0:3], 0 offen
	buffer_load_dword v137, v130, s[0:3], 0 offen offset:4
	v_mov_b32_e32 v130, s69
	v_cmp_eq_u32_e32 vcc_lo, 0, v127
	s_add_i32 s69, s69, 16
	ds_read_b128 v[132:135], v130
	s_or_b32 s4, vcc_lo, s4
	s_waitcnt vmcnt(2) lgkmcnt(0)
	v_mul_f64 v[138:139], v[134:135], v[128:129]
	v_mul_f64 v[128:129], v[132:133], v[128:129]
	s_waitcnt vmcnt(0)
	v_fma_f64 v[132:133], v[132:133], v[136:137], -v[138:139]
	v_fma_f64 v[128:129], v[134:135], v[136:137], v[128:129]
	v_add_f64 v[1:2], v[1:2], v[132:133]
	v_add_f64 v[3:4], v[3:4], v[128:129]
	s_andn2_b32 exec_lo, exec_lo, s4
	s_cbranch_execnz .LBB123_432
; %bb.433:
	s_or_b32 exec_lo, exec_lo, s4
.LBB123_434:
	s_or_b32 exec_lo, exec_lo, s8
	v_mov_b32_e32 v127, 0
	ds_read_b128 v[127:130], v127 offset:80
	s_waitcnt lgkmcnt(0)
	v_mul_f64 v[132:133], v[3:4], v[129:130]
	v_mul_f64 v[129:130], v[1:2], v[129:130]
	v_fma_f64 v[1:2], v[1:2], v[127:128], -v[132:133]
	v_fma_f64 v[3:4], v[3:4], v[127:128], v[129:130]
	buffer_store_dword v2, off, s[0:3], 0 offset:84
	buffer_store_dword v1, off, s[0:3], 0 offset:80
	;; [unrolled: 1-line block ×4, first 2 shown]
.LBB123_435:
	s_or_b32 exec_lo, exec_lo, s6
	v_mov_b32_e32 v4, s64
	v_cmp_lt_u32_e64 s4, 4, v0
	s_clause 0x3
	buffer_load_dword v1, v4, s[0:3], 0 offen
	buffer_load_dword v2, v4, s[0:3], 0 offen offset:4
	buffer_load_dword v3, v4, s[0:3], 0 offen offset:8
	;; [unrolled: 1-line block ×3, first 2 shown]
	s_waitcnt vmcnt(0)
	ds_write_b128 v126, v[1:4]
	s_waitcnt lgkmcnt(0)
	s_waitcnt_vscnt null, 0x0
	s_barrier
	buffer_gl0_inv
	s_and_saveexec_b32 s6, s4
	s_cbranch_execz .LBB123_443
; %bb.436:
	ds_read_b128 v[1:4], v126
	s_andn2_b32 vcc_lo, exec_lo, s68
	s_cbranch_vccnz .LBB123_438
; %bb.437:
	s_clause 0x3
	buffer_load_dword v127, v125, s[0:3], 0 offen offset:8
	buffer_load_dword v128, v125, s[0:3], 0 offen offset:12
	buffer_load_dword v129, v125, s[0:3], 0 offen
	buffer_load_dword v130, v125, s[0:3], 0 offen offset:4
	s_waitcnt vmcnt(2) lgkmcnt(0)
	v_mul_f64 v[132:133], v[3:4], v[127:128]
	v_mul_f64 v[127:128], v[1:2], v[127:128]
	s_waitcnt vmcnt(0)
	v_fma_f64 v[1:2], v[1:2], v[129:130], -v[132:133]
	v_fma_f64 v[3:4], v[3:4], v[129:130], v[127:128]
.LBB123_438:
	s_and_saveexec_b32 s8, s5
	s_cbranch_execz .LBB123_442
; %bb.439:
	v_add_nc_u32_e32 v127, -5, v0
	s_movk_i32 s69, 0x410
	s_mov_b32 s5, 0
	s_mov_b32 s70, s63
	.p2align	6
.LBB123_440:                            ; =>This Inner Loop Header: Depth=1
	v_mov_b32_e32 v130, s70
	v_add_nc_u32_e32 v127, -1, v127
	s_add_i32 s70, s70, 16
	s_clause 0x3
	buffer_load_dword v128, v130, s[0:3], 0 offen offset:8
	buffer_load_dword v129, v130, s[0:3], 0 offen offset:12
	buffer_load_dword v136, v130, s[0:3], 0 offen
	buffer_load_dword v137, v130, s[0:3], 0 offen offset:4
	v_mov_b32_e32 v130, s69
	v_cmp_eq_u32_e32 vcc_lo, 0, v127
	s_add_i32 s69, s69, 16
	ds_read_b128 v[132:135], v130
	s_or_b32 s5, vcc_lo, s5
	s_waitcnt vmcnt(2) lgkmcnt(0)
	v_mul_f64 v[138:139], v[134:135], v[128:129]
	v_mul_f64 v[128:129], v[132:133], v[128:129]
	s_waitcnt vmcnt(0)
	v_fma_f64 v[132:133], v[132:133], v[136:137], -v[138:139]
	v_fma_f64 v[128:129], v[134:135], v[136:137], v[128:129]
	v_add_f64 v[1:2], v[1:2], v[132:133]
	v_add_f64 v[3:4], v[3:4], v[128:129]
	s_andn2_b32 exec_lo, exec_lo, s5
	s_cbranch_execnz .LBB123_440
; %bb.441:
	s_or_b32 exec_lo, exec_lo, s5
.LBB123_442:
	s_or_b32 exec_lo, exec_lo, s8
	v_mov_b32_e32 v127, 0
	ds_read_b128 v[127:130], v127 offset:64
	s_waitcnt lgkmcnt(0)
	v_mul_f64 v[132:133], v[3:4], v[129:130]
	v_mul_f64 v[129:130], v[1:2], v[129:130]
	v_fma_f64 v[1:2], v[1:2], v[127:128], -v[132:133]
	v_fma_f64 v[3:4], v[3:4], v[127:128], v[129:130]
	buffer_store_dword v2, off, s[0:3], 0 offset:68
	buffer_store_dword v1, off, s[0:3], 0 offset:64
	;; [unrolled: 1-line block ×4, first 2 shown]
.LBB123_443:
	s_or_b32 exec_lo, exec_lo, s6
	v_mov_b32_e32 v4, s65
	v_cmp_lt_u32_e64 s5, 3, v0
	s_clause 0x3
	buffer_load_dword v1, v4, s[0:3], 0 offen
	buffer_load_dword v2, v4, s[0:3], 0 offen offset:4
	buffer_load_dword v3, v4, s[0:3], 0 offen offset:8
	;; [unrolled: 1-line block ×3, first 2 shown]
	s_waitcnt vmcnt(0)
	ds_write_b128 v126, v[1:4]
	s_waitcnt lgkmcnt(0)
	s_waitcnt_vscnt null, 0x0
	s_barrier
	buffer_gl0_inv
	s_and_saveexec_b32 s6, s5
	s_cbranch_execz .LBB123_451
; %bb.444:
	ds_read_b128 v[1:4], v126
	s_andn2_b32 vcc_lo, exec_lo, s68
	s_cbranch_vccnz .LBB123_446
; %bb.445:
	s_clause 0x3
	buffer_load_dword v127, v125, s[0:3], 0 offen offset:8
	buffer_load_dword v128, v125, s[0:3], 0 offen offset:12
	buffer_load_dword v129, v125, s[0:3], 0 offen
	buffer_load_dword v130, v125, s[0:3], 0 offen offset:4
	s_waitcnt vmcnt(2) lgkmcnt(0)
	v_mul_f64 v[132:133], v[3:4], v[127:128]
	v_mul_f64 v[127:128], v[1:2], v[127:128]
	s_waitcnt vmcnt(0)
	v_fma_f64 v[1:2], v[1:2], v[129:130], -v[132:133]
	v_fma_f64 v[3:4], v[3:4], v[129:130], v[127:128]
.LBB123_446:
	s_and_saveexec_b32 s8, s4
	s_cbranch_execz .LBB123_450
; %bb.447:
	v_add_nc_u32_e32 v127, -4, v0
	s_movk_i32 s69, 0x400
	s_mov_b32 s4, 0
	s_mov_b32 s70, s64
	.p2align	6
.LBB123_448:                            ; =>This Inner Loop Header: Depth=1
	v_mov_b32_e32 v130, s70
	v_add_nc_u32_e32 v127, -1, v127
	s_add_i32 s70, s70, 16
	s_clause 0x3
	buffer_load_dword v128, v130, s[0:3], 0 offen offset:8
	buffer_load_dword v129, v130, s[0:3], 0 offen offset:12
	buffer_load_dword v136, v130, s[0:3], 0 offen
	buffer_load_dword v137, v130, s[0:3], 0 offen offset:4
	v_mov_b32_e32 v130, s69
	v_cmp_eq_u32_e32 vcc_lo, 0, v127
	s_add_i32 s69, s69, 16
	ds_read_b128 v[132:135], v130
	s_or_b32 s4, vcc_lo, s4
	s_waitcnt vmcnt(2) lgkmcnt(0)
	v_mul_f64 v[138:139], v[134:135], v[128:129]
	v_mul_f64 v[128:129], v[132:133], v[128:129]
	s_waitcnt vmcnt(0)
	v_fma_f64 v[132:133], v[132:133], v[136:137], -v[138:139]
	v_fma_f64 v[128:129], v[134:135], v[136:137], v[128:129]
	v_add_f64 v[1:2], v[1:2], v[132:133]
	v_add_f64 v[3:4], v[3:4], v[128:129]
	s_andn2_b32 exec_lo, exec_lo, s4
	s_cbranch_execnz .LBB123_448
; %bb.449:
	s_or_b32 exec_lo, exec_lo, s4
.LBB123_450:
	s_or_b32 exec_lo, exec_lo, s8
	v_mov_b32_e32 v127, 0
	ds_read_b128 v[127:130], v127 offset:48
	s_waitcnt lgkmcnt(0)
	v_mul_f64 v[132:133], v[3:4], v[129:130]
	v_mul_f64 v[129:130], v[1:2], v[129:130]
	v_fma_f64 v[1:2], v[1:2], v[127:128], -v[132:133]
	v_fma_f64 v[3:4], v[3:4], v[127:128], v[129:130]
	buffer_store_dword v2, off, s[0:3], 0 offset:52
	buffer_store_dword v1, off, s[0:3], 0 offset:48
	;; [unrolled: 1-line block ×4, first 2 shown]
.LBB123_451:
	s_or_b32 exec_lo, exec_lo, s6
	v_mov_b32_e32 v4, s66
	v_cmp_lt_u32_e64 s6, 2, v0
	s_clause 0x3
	buffer_load_dword v1, v4, s[0:3], 0 offen
	buffer_load_dword v2, v4, s[0:3], 0 offen offset:4
	buffer_load_dword v3, v4, s[0:3], 0 offen offset:8
	;; [unrolled: 1-line block ×3, first 2 shown]
	s_waitcnt vmcnt(0)
	ds_write_b128 v126, v[1:4]
	s_waitcnt lgkmcnt(0)
	s_waitcnt_vscnt null, 0x0
	s_barrier
	buffer_gl0_inv
	s_and_saveexec_b32 s4, s6
	s_cbranch_execz .LBB123_459
; %bb.452:
	ds_read_b128 v[1:4], v126
	s_andn2_b32 vcc_lo, exec_lo, s68
	s_cbranch_vccnz .LBB123_454
; %bb.453:
	s_clause 0x3
	buffer_load_dword v127, v125, s[0:3], 0 offen offset:8
	buffer_load_dword v128, v125, s[0:3], 0 offen offset:12
	buffer_load_dword v129, v125, s[0:3], 0 offen
	buffer_load_dword v130, v125, s[0:3], 0 offen offset:4
	s_waitcnt vmcnt(2) lgkmcnt(0)
	v_mul_f64 v[132:133], v[3:4], v[127:128]
	v_mul_f64 v[127:128], v[1:2], v[127:128]
	s_waitcnt vmcnt(0)
	v_fma_f64 v[1:2], v[1:2], v[129:130], -v[132:133]
	v_fma_f64 v[3:4], v[3:4], v[129:130], v[127:128]
.LBB123_454:
	s_and_saveexec_b32 s8, s5
	s_cbranch_execz .LBB123_458
; %bb.455:
	v_add_nc_u32_e32 v127, -3, v0
	s_movk_i32 s69, 0x3f0
	s_mov_b32 s5, 0
	s_mov_b32 s70, s65
	.p2align	6
.LBB123_456:                            ; =>This Inner Loop Header: Depth=1
	v_mov_b32_e32 v130, s70
	v_add_nc_u32_e32 v127, -1, v127
	s_add_i32 s70, s70, 16
	s_clause 0x3
	buffer_load_dword v128, v130, s[0:3], 0 offen offset:8
	buffer_load_dword v129, v130, s[0:3], 0 offen offset:12
	buffer_load_dword v136, v130, s[0:3], 0 offen
	buffer_load_dword v137, v130, s[0:3], 0 offen offset:4
	v_mov_b32_e32 v130, s69
	v_cmp_eq_u32_e32 vcc_lo, 0, v127
	s_add_i32 s69, s69, 16
	ds_read_b128 v[132:135], v130
	s_or_b32 s5, vcc_lo, s5
	s_waitcnt vmcnt(2) lgkmcnt(0)
	v_mul_f64 v[138:139], v[134:135], v[128:129]
	v_mul_f64 v[128:129], v[132:133], v[128:129]
	s_waitcnt vmcnt(0)
	v_fma_f64 v[132:133], v[132:133], v[136:137], -v[138:139]
	v_fma_f64 v[128:129], v[134:135], v[136:137], v[128:129]
	v_add_f64 v[1:2], v[1:2], v[132:133]
	v_add_f64 v[3:4], v[3:4], v[128:129]
	s_andn2_b32 exec_lo, exec_lo, s5
	s_cbranch_execnz .LBB123_456
; %bb.457:
	s_or_b32 exec_lo, exec_lo, s5
.LBB123_458:
	s_or_b32 exec_lo, exec_lo, s8
	v_mov_b32_e32 v127, 0
	ds_read_b128 v[127:130], v127 offset:32
	s_waitcnt lgkmcnt(0)
	v_mul_f64 v[132:133], v[3:4], v[129:130]
	v_mul_f64 v[129:130], v[1:2], v[129:130]
	v_fma_f64 v[1:2], v[1:2], v[127:128], -v[132:133]
	v_fma_f64 v[3:4], v[3:4], v[127:128], v[129:130]
	buffer_store_dword v2, off, s[0:3], 0 offset:36
	buffer_store_dword v1, off, s[0:3], 0 offset:32
	;; [unrolled: 1-line block ×4, first 2 shown]
.LBB123_459:
	s_or_b32 exec_lo, exec_lo, s4
	v_mov_b32_e32 v4, s67
	v_cmp_lt_u32_e64 s4, 1, v0
	s_clause 0x3
	buffer_load_dword v1, v4, s[0:3], 0 offen
	buffer_load_dword v2, v4, s[0:3], 0 offen offset:4
	buffer_load_dword v3, v4, s[0:3], 0 offen offset:8
	buffer_load_dword v4, v4, s[0:3], 0 offen offset:12
	s_waitcnt vmcnt(0)
	ds_write_b128 v126, v[1:4]
	s_waitcnt lgkmcnt(0)
	s_waitcnt_vscnt null, 0x0
	s_barrier
	buffer_gl0_inv
	s_and_saveexec_b32 s5, s4
	s_cbranch_execz .LBB123_467
; %bb.460:
	ds_read_b128 v[1:4], v126
	s_andn2_b32 vcc_lo, exec_lo, s68
	s_cbranch_vccnz .LBB123_462
; %bb.461:
	s_clause 0x3
	buffer_load_dword v127, v125, s[0:3], 0 offen offset:8
	buffer_load_dword v128, v125, s[0:3], 0 offen offset:12
	buffer_load_dword v129, v125, s[0:3], 0 offen
	buffer_load_dword v130, v125, s[0:3], 0 offen offset:4
	s_waitcnt vmcnt(2) lgkmcnt(0)
	v_mul_f64 v[132:133], v[3:4], v[127:128]
	v_mul_f64 v[127:128], v[1:2], v[127:128]
	s_waitcnt vmcnt(0)
	v_fma_f64 v[1:2], v[1:2], v[129:130], -v[132:133]
	v_fma_f64 v[3:4], v[3:4], v[129:130], v[127:128]
.LBB123_462:
	s_and_saveexec_b32 s8, s6
	s_cbranch_execz .LBB123_466
; %bb.463:
	v_add_nc_u32_e32 v127, -2, v0
	s_movk_i32 s69, 0x3e0
	s_mov_b32 s6, 0
	s_mov_b32 s70, s66
	.p2align	6
.LBB123_464:                            ; =>This Inner Loop Header: Depth=1
	v_mov_b32_e32 v130, s70
	v_add_nc_u32_e32 v127, -1, v127
	s_add_i32 s70, s70, 16
	s_clause 0x3
	buffer_load_dword v128, v130, s[0:3], 0 offen offset:8
	buffer_load_dword v129, v130, s[0:3], 0 offen offset:12
	buffer_load_dword v136, v130, s[0:3], 0 offen
	buffer_load_dword v137, v130, s[0:3], 0 offen offset:4
	v_mov_b32_e32 v130, s69
	v_cmp_eq_u32_e32 vcc_lo, 0, v127
	s_add_i32 s69, s69, 16
	ds_read_b128 v[132:135], v130
	s_or_b32 s6, vcc_lo, s6
	s_waitcnt vmcnt(2) lgkmcnt(0)
	v_mul_f64 v[138:139], v[134:135], v[128:129]
	v_mul_f64 v[128:129], v[132:133], v[128:129]
	s_waitcnt vmcnt(0)
	v_fma_f64 v[132:133], v[132:133], v[136:137], -v[138:139]
	v_fma_f64 v[128:129], v[134:135], v[136:137], v[128:129]
	v_add_f64 v[1:2], v[1:2], v[132:133]
	v_add_f64 v[3:4], v[3:4], v[128:129]
	s_andn2_b32 exec_lo, exec_lo, s6
	s_cbranch_execnz .LBB123_464
; %bb.465:
	s_or_b32 exec_lo, exec_lo, s6
.LBB123_466:
	s_or_b32 exec_lo, exec_lo, s8
	v_mov_b32_e32 v127, 0
	ds_read_b128 v[127:130], v127 offset:16
	s_waitcnt lgkmcnt(0)
	v_mul_f64 v[132:133], v[3:4], v[129:130]
	v_mul_f64 v[129:130], v[1:2], v[129:130]
	v_fma_f64 v[1:2], v[1:2], v[127:128], -v[132:133]
	v_fma_f64 v[3:4], v[3:4], v[127:128], v[129:130]
	buffer_store_dword v2, off, s[0:3], 0 offset:20
	buffer_store_dword v1, off, s[0:3], 0 offset:16
	;; [unrolled: 1-line block ×4, first 2 shown]
.LBB123_467:
	s_or_b32 exec_lo, exec_lo, s5
	s_clause 0x3
	buffer_load_dword v1, off, s[0:3], 0
	buffer_load_dword v2, off, s[0:3], 0 offset:4
	buffer_load_dword v3, off, s[0:3], 0 offset:8
	;; [unrolled: 1-line block ×3, first 2 shown]
	s_mov_b32 s6, 0
	s_mov_b32 s5, 0
	s_mov_b32 s8, exec_lo
                                        ; implicit-def: $sgpr69
	s_waitcnt vmcnt(0)
	ds_write_b128 v126, v[1:4]
	s_waitcnt lgkmcnt(0)
	s_waitcnt_vscnt null, 0x0
	s_barrier
	buffer_gl0_inv
                                        ; implicit-def: $vgpr1_vgpr2
	v_cmpx_ne_u32_e32 0, v0
	s_cbranch_execz .LBB123_475
; %bb.468:
	ds_read_b128 v[1:4], v126
	s_andn2_b32 vcc_lo, exec_lo, s68
	s_cbranch_vccnz .LBB123_470
; %bb.469:
	s_clause 0x3
	buffer_load_dword v127, v125, s[0:3], 0 offen offset:8
	buffer_load_dword v128, v125, s[0:3], 0 offen offset:12
	buffer_load_dword v129, v125, s[0:3], 0 offen
	buffer_load_dword v130, v125, s[0:3], 0 offen offset:4
	s_waitcnt vmcnt(2) lgkmcnt(0)
	v_mul_f64 v[132:133], v[3:4], v[127:128]
	v_mul_f64 v[127:128], v[1:2], v[127:128]
	s_waitcnt vmcnt(0)
	v_fma_f64 v[1:2], v[1:2], v[129:130], -v[132:133]
	v_fma_f64 v[3:4], v[3:4], v[129:130], v[127:128]
.LBB123_470:
	s_and_saveexec_b32 s5, s4
	s_cbranch_execz .LBB123_474
; %bb.471:
	v_add_nc_u32_e32 v127, -1, v0
	s_movk_i32 s69, 0x3d0
	s_mov_b32 s4, 0
	s_mov_b32 s70, s67
	.p2align	6
.LBB123_472:                            ; =>This Inner Loop Header: Depth=1
	v_mov_b32_e32 v130, s70
	v_add_nc_u32_e32 v127, -1, v127
	s_add_i32 s70, s70, 16
	s_clause 0x3
	buffer_load_dword v128, v130, s[0:3], 0 offen offset:8
	buffer_load_dword v129, v130, s[0:3], 0 offen offset:12
	buffer_load_dword v136, v130, s[0:3], 0 offen
	buffer_load_dword v137, v130, s[0:3], 0 offen offset:4
	v_mov_b32_e32 v130, s69
	v_cmp_eq_u32_e32 vcc_lo, 0, v127
	s_add_i32 s69, s69, 16
	ds_read_b128 v[132:135], v130
	s_or_b32 s4, vcc_lo, s4
	s_waitcnt vmcnt(2) lgkmcnt(0)
	v_mul_f64 v[138:139], v[134:135], v[128:129]
	v_mul_f64 v[128:129], v[132:133], v[128:129]
	s_waitcnt vmcnt(0)
	v_fma_f64 v[132:133], v[132:133], v[136:137], -v[138:139]
	v_fma_f64 v[128:129], v[134:135], v[136:137], v[128:129]
	v_add_f64 v[1:2], v[1:2], v[132:133]
	v_add_f64 v[3:4], v[3:4], v[128:129]
	s_andn2_b32 exec_lo, exec_lo, s4
	s_cbranch_execnz .LBB123_472
; %bb.473:
	s_or_b32 exec_lo, exec_lo, s4
.LBB123_474:
	s_or_b32 exec_lo, exec_lo, s5
	v_mov_b32_e32 v127, 0
	s_mov_b32 s5, exec_lo
	s_or_b32 s69, 0, 8
	ds_read_b128 v[127:130], v127
	s_waitcnt lgkmcnt(0)
	v_mul_f64 v[132:133], v[3:4], v[129:130]
	v_mul_f64 v[129:130], v[1:2], v[129:130]
	v_fma_f64 v[132:133], v[1:2], v[127:128], -v[132:133]
	v_fma_f64 v[1:2], v[3:4], v[127:128], v[129:130]
	buffer_store_dword v133, off, s[0:3], 0 offset:4
	buffer_store_dword v132, off, s[0:3], 0
.LBB123_475:
	s_or_b32 exec_lo, exec_lo, s8
	s_and_b32 vcc_lo, exec_lo, s6
	s_cbranch_vccnz .LBB123_477
	s_branch .LBB123_944
.LBB123_476:
	s_mov_b32 s5, 0
                                        ; implicit-def: $vgpr1_vgpr2
                                        ; implicit-def: $sgpr69
	s_cbranch_execz .LBB123_944
.LBB123_477:
	v_mov_b32_e32 v4, s67
	v_cmp_eq_u32_e64 s4, 0, v0
	v_cndmask_b32_e64 v127, 0, 1, s68
	s_clause 0x3
	buffer_load_dword v1, v4, s[0:3], 0 offen
	buffer_load_dword v2, v4, s[0:3], 0 offen offset:4
	buffer_load_dword v3, v4, s[0:3], 0 offen offset:8
	;; [unrolled: 1-line block ×3, first 2 shown]
	s_waitcnt vmcnt(0)
	ds_write_b128 v126, v[1:4]
	s_waitcnt lgkmcnt(0)
	s_waitcnt_vscnt null, 0x0
	s_barrier
	buffer_gl0_inv
	s_and_saveexec_b32 s6, s4
	s_cbranch_execz .LBB123_481
; %bb.478:
	ds_read_b128 v[1:4], v126
	s_andn2_b32 vcc_lo, exec_lo, s68
	s_cbranch_vccnz .LBB123_480
; %bb.479:
	s_clause 0x3
	buffer_load_dword v128, v125, s[0:3], 0 offen offset:8
	buffer_load_dword v129, v125, s[0:3], 0 offen offset:12
	buffer_load_dword v132, v125, s[0:3], 0 offen
	buffer_load_dword v133, v125, s[0:3], 0 offen offset:4
	s_waitcnt vmcnt(2) lgkmcnt(0)
	v_mul_f64 v[134:135], v[3:4], v[128:129]
	v_mul_f64 v[128:129], v[1:2], v[128:129]
	s_waitcnt vmcnt(0)
	v_fma_f64 v[1:2], v[1:2], v[132:133], -v[134:135]
	v_fma_f64 v[3:4], v[3:4], v[132:133], v[128:129]
.LBB123_480:
	v_mov_b32_e32 v128, 0
	ds_read_b128 v[132:135], v128 offset:16
	s_waitcnt lgkmcnt(0)
	v_mul_f64 v[128:129], v[3:4], v[134:135]
	v_mul_f64 v[134:135], v[1:2], v[134:135]
	v_fma_f64 v[1:2], v[1:2], v[132:133], -v[128:129]
	v_fma_f64 v[3:4], v[3:4], v[132:133], v[134:135]
	buffer_store_dword v2, off, s[0:3], 0 offset:20
	buffer_store_dword v1, off, s[0:3], 0 offset:16
	;; [unrolled: 1-line block ×4, first 2 shown]
.LBB123_481:
	s_or_b32 exec_lo, exec_lo, s6
	v_mov_b32_e32 v4, s66
	s_mov_b32 s6, exec_lo
	s_clause 0x3
	buffer_load_dword v1, v4, s[0:3], 0 offen
	buffer_load_dword v2, v4, s[0:3], 0 offen offset:4
	buffer_load_dword v3, v4, s[0:3], 0 offen offset:8
	buffer_load_dword v4, v4, s[0:3], 0 offen offset:12
	s_waitcnt vmcnt(0)
	ds_write_b128 v126, v[1:4]
	s_waitcnt lgkmcnt(0)
	s_waitcnt_vscnt null, 0x0
	s_barrier
	buffer_gl0_inv
	v_cmpx_gt_u32_e32 2, v0
	s_cbranch_execz .LBB123_487
; %bb.482:
	ds_read_b128 v[1:4], v126
	v_cmp_ne_u32_e32 vcc_lo, 1, v127
	s_cbranch_vccnz .LBB123_484
; %bb.483:
	s_clause 0x3
	buffer_load_dword v128, v125, s[0:3], 0 offen offset:8
	buffer_load_dword v129, v125, s[0:3], 0 offen offset:12
	buffer_load_dword v132, v125, s[0:3], 0 offen
	buffer_load_dword v133, v125, s[0:3], 0 offen offset:4
	s_waitcnt vmcnt(2) lgkmcnt(0)
	v_mul_f64 v[134:135], v[3:4], v[128:129]
	v_mul_f64 v[128:129], v[1:2], v[128:129]
	s_waitcnt vmcnt(0)
	v_fma_f64 v[1:2], v[1:2], v[132:133], -v[134:135]
	v_fma_f64 v[3:4], v[3:4], v[132:133], v[128:129]
.LBB123_484:
	s_and_saveexec_b32 s8, s4
	s_cbranch_execz .LBB123_486
; %bb.485:
	s_clause 0x3
	buffer_load_dword v128, off, s[0:3], 0 offset:24
	buffer_load_dword v129, off, s[0:3], 0 offset:28
	buffer_load_dword v136, off, s[0:3], 0 offset:16
	buffer_load_dword v137, off, s[0:3], 0 offset:20
	v_mov_b32_e32 v130, 0
	ds_read_b128 v[132:135], v130 offset:976
	s_waitcnt vmcnt(2) lgkmcnt(0)
	v_mul_f64 v[138:139], v[134:135], v[128:129]
	v_mul_f64 v[128:129], v[132:133], v[128:129]
	s_waitcnt vmcnt(0)
	v_fma_f64 v[132:133], v[132:133], v[136:137], -v[138:139]
	v_fma_f64 v[128:129], v[134:135], v[136:137], v[128:129]
	v_add_f64 v[1:2], v[1:2], v[132:133]
	v_add_f64 v[3:4], v[3:4], v[128:129]
.LBB123_486:
	s_or_b32 exec_lo, exec_lo, s8
	v_mov_b32_e32 v128, 0
	ds_read_b128 v[132:135], v128 offset:32
	s_waitcnt lgkmcnt(0)
	v_mul_f64 v[128:129], v[3:4], v[134:135]
	v_mul_f64 v[134:135], v[1:2], v[134:135]
	v_fma_f64 v[1:2], v[1:2], v[132:133], -v[128:129]
	v_fma_f64 v[3:4], v[3:4], v[132:133], v[134:135]
	buffer_store_dword v2, off, s[0:3], 0 offset:36
	buffer_store_dword v1, off, s[0:3], 0 offset:32
	;; [unrolled: 1-line block ×4, first 2 shown]
.LBB123_487:
	s_or_b32 exec_lo, exec_lo, s6
	v_mov_b32_e32 v4, s65
	s_mov_b32 s6, exec_lo
	s_clause 0x3
	buffer_load_dword v1, v4, s[0:3], 0 offen
	buffer_load_dword v2, v4, s[0:3], 0 offen offset:4
	buffer_load_dword v3, v4, s[0:3], 0 offen offset:8
	;; [unrolled: 1-line block ×3, first 2 shown]
	s_waitcnt vmcnt(0)
	ds_write_b128 v126, v[1:4]
	s_waitcnt lgkmcnt(0)
	s_waitcnt_vscnt null, 0x0
	s_barrier
	buffer_gl0_inv
	v_cmpx_gt_u32_e32 3, v0
	s_cbranch_execz .LBB123_495
; %bb.488:
	ds_read_b128 v[1:4], v126
	v_cmp_ne_u32_e32 vcc_lo, 1, v127
	s_cbranch_vccnz .LBB123_490
; %bb.489:
	s_clause 0x3
	buffer_load_dword v128, v125, s[0:3], 0 offen offset:8
	buffer_load_dword v129, v125, s[0:3], 0 offen offset:12
	buffer_load_dword v132, v125, s[0:3], 0 offen
	buffer_load_dword v133, v125, s[0:3], 0 offen offset:4
	s_waitcnt vmcnt(2) lgkmcnt(0)
	v_mul_f64 v[134:135], v[3:4], v[128:129]
	v_mul_f64 v[128:129], v[1:2], v[128:129]
	s_waitcnt vmcnt(0)
	v_fma_f64 v[1:2], v[1:2], v[132:133], -v[134:135]
	v_fma_f64 v[3:4], v[3:4], v[132:133], v[128:129]
.LBB123_490:
	s_mov_b32 s8, exec_lo
	v_cmpx_ne_u32_e32 2, v0
	s_cbranch_execz .LBB123_494
; %bb.491:
	s_clause 0x3
	buffer_load_dword v128, v125, s[0:3], 0 offen offset:24
	buffer_load_dword v129, v125, s[0:3], 0 offen offset:28
	;; [unrolled: 1-line block ×4, first 2 shown]
	ds_read_b128 v[132:135], v126 offset:16
	s_waitcnt vmcnt(2) lgkmcnt(0)
	v_mul_f64 v[138:139], v[134:135], v[128:129]
	v_mul_f64 v[128:129], v[132:133], v[128:129]
	s_waitcnt vmcnt(0)
	v_fma_f64 v[132:133], v[132:133], v[136:137], -v[138:139]
	v_fma_f64 v[128:129], v[134:135], v[136:137], v[128:129]
	v_add_f64 v[1:2], v[1:2], v[132:133]
	v_add_f64 v[3:4], v[3:4], v[128:129]
	s_and_saveexec_b32 s68, s4
	s_cbranch_execz .LBB123_493
; %bb.492:
	s_clause 0x3
	buffer_load_dword v128, off, s[0:3], 0 offset:40
	buffer_load_dword v129, off, s[0:3], 0 offset:44
	buffer_load_dword v136, off, s[0:3], 0 offset:32
	buffer_load_dword v137, off, s[0:3], 0 offset:36
	v_mov_b32_e32 v130, 0
	ds_read_b128 v[132:135], v130 offset:992
	s_waitcnt vmcnt(2) lgkmcnt(0)
	v_mul_f64 v[138:139], v[132:133], v[128:129]
	v_mul_f64 v[128:129], v[134:135], v[128:129]
	s_waitcnt vmcnt(0)
	v_fma_f64 v[134:135], v[134:135], v[136:137], v[138:139]
	v_fma_f64 v[128:129], v[132:133], v[136:137], -v[128:129]
	v_add_f64 v[3:4], v[3:4], v[134:135]
	v_add_f64 v[1:2], v[1:2], v[128:129]
.LBB123_493:
	s_or_b32 exec_lo, exec_lo, s68
.LBB123_494:
	s_or_b32 exec_lo, exec_lo, s8
	v_mov_b32_e32 v128, 0
	ds_read_b128 v[132:135], v128 offset:48
	s_waitcnt lgkmcnt(0)
	v_mul_f64 v[128:129], v[3:4], v[134:135]
	v_mul_f64 v[134:135], v[1:2], v[134:135]
	v_fma_f64 v[1:2], v[1:2], v[132:133], -v[128:129]
	v_fma_f64 v[3:4], v[3:4], v[132:133], v[134:135]
	buffer_store_dword v2, off, s[0:3], 0 offset:52
	buffer_store_dword v1, off, s[0:3], 0 offset:48
	buffer_store_dword v4, off, s[0:3], 0 offset:60
	buffer_store_dword v3, off, s[0:3], 0 offset:56
.LBB123_495:
	s_or_b32 exec_lo, exec_lo, s6
	v_mov_b32_e32 v4, s64
	s_mov_b32 s4, exec_lo
	s_clause 0x3
	buffer_load_dword v1, v4, s[0:3], 0 offen
	buffer_load_dword v2, v4, s[0:3], 0 offen offset:4
	buffer_load_dword v3, v4, s[0:3], 0 offen offset:8
	;; [unrolled: 1-line block ×3, first 2 shown]
	s_waitcnt vmcnt(0)
	ds_write_b128 v126, v[1:4]
	s_waitcnt lgkmcnt(0)
	s_waitcnt_vscnt null, 0x0
	s_barrier
	buffer_gl0_inv
	v_cmpx_gt_u32_e32 4, v0
	s_cbranch_execz .LBB123_503
; %bb.496:
	ds_read_b128 v[1:4], v126
	v_cmp_ne_u32_e32 vcc_lo, 1, v127
	s_cbranch_vccnz .LBB123_498
; %bb.497:
	s_clause 0x3
	buffer_load_dword v128, v125, s[0:3], 0 offen offset:8
	buffer_load_dword v129, v125, s[0:3], 0 offen offset:12
	buffer_load_dword v132, v125, s[0:3], 0 offen
	buffer_load_dword v133, v125, s[0:3], 0 offen offset:4
	s_waitcnt vmcnt(2) lgkmcnt(0)
	v_mul_f64 v[134:135], v[3:4], v[128:129]
	v_mul_f64 v[128:129], v[1:2], v[128:129]
	s_waitcnt vmcnt(0)
	v_fma_f64 v[1:2], v[1:2], v[132:133], -v[134:135]
	v_fma_f64 v[3:4], v[3:4], v[132:133], v[128:129]
.LBB123_498:
	s_mov_b32 s6, exec_lo
	v_cmpx_ne_u32_e32 3, v0
	s_cbranch_execz .LBB123_502
; %bb.499:
	v_add_nc_u32_e32 v128, 0x3d0, v131
	v_add3_u32 v129, 0, v131, 16
	v_mov_b32_e32 v130, v0
	s_mov_b32 s8, 0
	.p2align	6
.LBB123_500:                            ; =>This Inner Loop Header: Depth=1
	s_clause 0x3
	buffer_load_dword v136, v129, s[0:3], 0 offen offset:8
	buffer_load_dword v137, v129, s[0:3], 0 offen offset:12
	buffer_load_dword v138, v129, s[0:3], 0 offen
	buffer_load_dword v139, v129, s[0:3], 0 offen offset:4
	ds_read_b128 v[132:135], v128
	v_add_nc_u32_e32 v130, 1, v130
	v_add_nc_u32_e32 v128, 16, v128
	;; [unrolled: 1-line block ×3, first 2 shown]
	v_cmp_lt_u32_e32 vcc_lo, 2, v130
	s_or_b32 s8, vcc_lo, s8
	s_waitcnt vmcnt(2) lgkmcnt(0)
	v_mul_f64 v[140:141], v[134:135], v[136:137]
	v_mul_f64 v[136:137], v[132:133], v[136:137]
	s_waitcnt vmcnt(0)
	v_fma_f64 v[132:133], v[132:133], v[138:139], -v[140:141]
	v_fma_f64 v[134:135], v[134:135], v[138:139], v[136:137]
	v_add_f64 v[1:2], v[1:2], v[132:133]
	v_add_f64 v[3:4], v[3:4], v[134:135]
	s_andn2_b32 exec_lo, exec_lo, s8
	s_cbranch_execnz .LBB123_500
; %bb.501:
	s_or_b32 exec_lo, exec_lo, s8
.LBB123_502:
	s_or_b32 exec_lo, exec_lo, s6
	v_mov_b32_e32 v128, 0
	ds_read_b128 v[132:135], v128 offset:64
	s_waitcnt lgkmcnt(0)
	v_mul_f64 v[128:129], v[3:4], v[134:135]
	v_mul_f64 v[134:135], v[1:2], v[134:135]
	v_fma_f64 v[1:2], v[1:2], v[132:133], -v[128:129]
	v_fma_f64 v[3:4], v[3:4], v[132:133], v[134:135]
	buffer_store_dword v2, off, s[0:3], 0 offset:68
	buffer_store_dword v1, off, s[0:3], 0 offset:64
	;; [unrolled: 1-line block ×4, first 2 shown]
.LBB123_503:
	s_or_b32 exec_lo, exec_lo, s4
	v_mov_b32_e32 v4, s63
	s_mov_b32 s4, exec_lo
	s_clause 0x3
	buffer_load_dword v1, v4, s[0:3], 0 offen
	buffer_load_dword v2, v4, s[0:3], 0 offen offset:4
	buffer_load_dword v3, v4, s[0:3], 0 offen offset:8
	;; [unrolled: 1-line block ×3, first 2 shown]
	s_waitcnt vmcnt(0)
	ds_write_b128 v126, v[1:4]
	s_waitcnt lgkmcnt(0)
	s_waitcnt_vscnt null, 0x0
	s_barrier
	buffer_gl0_inv
	v_cmpx_gt_u32_e32 5, v0
	s_cbranch_execz .LBB123_511
; %bb.504:
	ds_read_b128 v[1:4], v126
	v_cmp_ne_u32_e32 vcc_lo, 1, v127
	s_cbranch_vccnz .LBB123_506
; %bb.505:
	s_clause 0x3
	buffer_load_dword v128, v125, s[0:3], 0 offen offset:8
	buffer_load_dword v129, v125, s[0:3], 0 offen offset:12
	buffer_load_dword v132, v125, s[0:3], 0 offen
	buffer_load_dword v133, v125, s[0:3], 0 offen offset:4
	s_waitcnt vmcnt(2) lgkmcnt(0)
	v_mul_f64 v[134:135], v[3:4], v[128:129]
	v_mul_f64 v[128:129], v[1:2], v[128:129]
	s_waitcnt vmcnt(0)
	v_fma_f64 v[1:2], v[1:2], v[132:133], -v[134:135]
	v_fma_f64 v[3:4], v[3:4], v[132:133], v[128:129]
.LBB123_506:
	s_mov_b32 s6, exec_lo
	v_cmpx_ne_u32_e32 4, v0
	s_cbranch_execz .LBB123_510
; %bb.507:
	v_add_nc_u32_e32 v128, 0x3d0, v131
	v_add3_u32 v129, 0, v131, 16
	v_mov_b32_e32 v130, v0
	s_mov_b32 s8, 0
	.p2align	6
.LBB123_508:                            ; =>This Inner Loop Header: Depth=1
	s_clause 0x3
	buffer_load_dword v136, v129, s[0:3], 0 offen offset:8
	buffer_load_dword v137, v129, s[0:3], 0 offen offset:12
	buffer_load_dword v138, v129, s[0:3], 0 offen
	buffer_load_dword v139, v129, s[0:3], 0 offen offset:4
	ds_read_b128 v[132:135], v128
	v_add_nc_u32_e32 v130, 1, v130
	v_add_nc_u32_e32 v128, 16, v128
	;; [unrolled: 1-line block ×3, first 2 shown]
	v_cmp_lt_u32_e32 vcc_lo, 3, v130
	s_or_b32 s8, vcc_lo, s8
	s_waitcnt vmcnt(2) lgkmcnt(0)
	v_mul_f64 v[140:141], v[134:135], v[136:137]
	v_mul_f64 v[136:137], v[132:133], v[136:137]
	s_waitcnt vmcnt(0)
	v_fma_f64 v[132:133], v[132:133], v[138:139], -v[140:141]
	v_fma_f64 v[134:135], v[134:135], v[138:139], v[136:137]
	v_add_f64 v[1:2], v[1:2], v[132:133]
	v_add_f64 v[3:4], v[3:4], v[134:135]
	s_andn2_b32 exec_lo, exec_lo, s8
	s_cbranch_execnz .LBB123_508
; %bb.509:
	s_or_b32 exec_lo, exec_lo, s8
.LBB123_510:
	s_or_b32 exec_lo, exec_lo, s6
	v_mov_b32_e32 v128, 0
	ds_read_b128 v[132:135], v128 offset:80
	s_waitcnt lgkmcnt(0)
	v_mul_f64 v[128:129], v[3:4], v[134:135]
	v_mul_f64 v[134:135], v[1:2], v[134:135]
	v_fma_f64 v[1:2], v[1:2], v[132:133], -v[128:129]
	v_fma_f64 v[3:4], v[3:4], v[132:133], v[134:135]
	buffer_store_dword v2, off, s[0:3], 0 offset:84
	buffer_store_dword v1, off, s[0:3], 0 offset:80
	;; [unrolled: 1-line block ×4, first 2 shown]
.LBB123_511:
	s_or_b32 exec_lo, exec_lo, s4
	v_mov_b32_e32 v4, s62
	s_mov_b32 s4, exec_lo
	s_clause 0x3
	buffer_load_dword v1, v4, s[0:3], 0 offen
	buffer_load_dword v2, v4, s[0:3], 0 offen offset:4
	buffer_load_dword v3, v4, s[0:3], 0 offen offset:8
	buffer_load_dword v4, v4, s[0:3], 0 offen offset:12
	s_waitcnt vmcnt(0)
	ds_write_b128 v126, v[1:4]
	s_waitcnt lgkmcnt(0)
	s_waitcnt_vscnt null, 0x0
	s_barrier
	buffer_gl0_inv
	v_cmpx_gt_u32_e32 6, v0
	s_cbranch_execz .LBB123_519
; %bb.512:
	ds_read_b128 v[1:4], v126
	v_cmp_ne_u32_e32 vcc_lo, 1, v127
	s_cbranch_vccnz .LBB123_514
; %bb.513:
	s_clause 0x3
	buffer_load_dword v128, v125, s[0:3], 0 offen offset:8
	buffer_load_dword v129, v125, s[0:3], 0 offen offset:12
	buffer_load_dword v132, v125, s[0:3], 0 offen
	buffer_load_dword v133, v125, s[0:3], 0 offen offset:4
	s_waitcnt vmcnt(2) lgkmcnt(0)
	v_mul_f64 v[134:135], v[3:4], v[128:129]
	v_mul_f64 v[128:129], v[1:2], v[128:129]
	s_waitcnt vmcnt(0)
	v_fma_f64 v[1:2], v[1:2], v[132:133], -v[134:135]
	v_fma_f64 v[3:4], v[3:4], v[132:133], v[128:129]
.LBB123_514:
	s_mov_b32 s6, exec_lo
	v_cmpx_ne_u32_e32 5, v0
	s_cbranch_execz .LBB123_518
; %bb.515:
	v_add_nc_u32_e32 v128, 0x3d0, v131
	v_add3_u32 v129, 0, v131, 16
	v_mov_b32_e32 v130, v0
	s_mov_b32 s8, 0
	.p2align	6
.LBB123_516:                            ; =>This Inner Loop Header: Depth=1
	s_clause 0x3
	buffer_load_dword v136, v129, s[0:3], 0 offen offset:8
	buffer_load_dword v137, v129, s[0:3], 0 offen offset:12
	buffer_load_dword v138, v129, s[0:3], 0 offen
	buffer_load_dword v139, v129, s[0:3], 0 offen offset:4
	ds_read_b128 v[132:135], v128
	v_add_nc_u32_e32 v130, 1, v130
	v_add_nc_u32_e32 v128, 16, v128
	;; [unrolled: 1-line block ×3, first 2 shown]
	v_cmp_lt_u32_e32 vcc_lo, 4, v130
	s_or_b32 s8, vcc_lo, s8
	s_waitcnt vmcnt(2) lgkmcnt(0)
	v_mul_f64 v[140:141], v[134:135], v[136:137]
	v_mul_f64 v[136:137], v[132:133], v[136:137]
	s_waitcnt vmcnt(0)
	v_fma_f64 v[132:133], v[132:133], v[138:139], -v[140:141]
	v_fma_f64 v[134:135], v[134:135], v[138:139], v[136:137]
	v_add_f64 v[1:2], v[1:2], v[132:133]
	v_add_f64 v[3:4], v[3:4], v[134:135]
	s_andn2_b32 exec_lo, exec_lo, s8
	s_cbranch_execnz .LBB123_516
; %bb.517:
	s_or_b32 exec_lo, exec_lo, s8
.LBB123_518:
	s_or_b32 exec_lo, exec_lo, s6
	v_mov_b32_e32 v128, 0
	ds_read_b128 v[132:135], v128 offset:96
	s_waitcnt lgkmcnt(0)
	v_mul_f64 v[128:129], v[3:4], v[134:135]
	v_mul_f64 v[134:135], v[1:2], v[134:135]
	v_fma_f64 v[1:2], v[1:2], v[132:133], -v[128:129]
	v_fma_f64 v[3:4], v[3:4], v[132:133], v[134:135]
	buffer_store_dword v2, off, s[0:3], 0 offset:100
	buffer_store_dword v1, off, s[0:3], 0 offset:96
	;; [unrolled: 1-line block ×4, first 2 shown]
.LBB123_519:
	s_or_b32 exec_lo, exec_lo, s4
	v_mov_b32_e32 v4, s61
	s_mov_b32 s4, exec_lo
	s_clause 0x3
	buffer_load_dword v1, v4, s[0:3], 0 offen
	buffer_load_dword v2, v4, s[0:3], 0 offen offset:4
	buffer_load_dword v3, v4, s[0:3], 0 offen offset:8
	;; [unrolled: 1-line block ×3, first 2 shown]
	s_waitcnt vmcnt(0)
	ds_write_b128 v126, v[1:4]
	s_waitcnt lgkmcnt(0)
	s_waitcnt_vscnt null, 0x0
	s_barrier
	buffer_gl0_inv
	v_cmpx_gt_u32_e32 7, v0
	s_cbranch_execz .LBB123_527
; %bb.520:
	ds_read_b128 v[1:4], v126
	v_cmp_ne_u32_e32 vcc_lo, 1, v127
	s_cbranch_vccnz .LBB123_522
; %bb.521:
	s_clause 0x3
	buffer_load_dword v128, v125, s[0:3], 0 offen offset:8
	buffer_load_dword v129, v125, s[0:3], 0 offen offset:12
	buffer_load_dword v132, v125, s[0:3], 0 offen
	buffer_load_dword v133, v125, s[0:3], 0 offen offset:4
	s_waitcnt vmcnt(2) lgkmcnt(0)
	v_mul_f64 v[134:135], v[3:4], v[128:129]
	v_mul_f64 v[128:129], v[1:2], v[128:129]
	s_waitcnt vmcnt(0)
	v_fma_f64 v[1:2], v[1:2], v[132:133], -v[134:135]
	v_fma_f64 v[3:4], v[3:4], v[132:133], v[128:129]
.LBB123_522:
	s_mov_b32 s6, exec_lo
	v_cmpx_ne_u32_e32 6, v0
	s_cbranch_execz .LBB123_526
; %bb.523:
	v_add_nc_u32_e32 v128, 0x3d0, v131
	v_add3_u32 v129, 0, v131, 16
	v_mov_b32_e32 v130, v0
	s_mov_b32 s8, 0
	.p2align	6
.LBB123_524:                            ; =>This Inner Loop Header: Depth=1
	s_clause 0x3
	buffer_load_dword v136, v129, s[0:3], 0 offen offset:8
	buffer_load_dword v137, v129, s[0:3], 0 offen offset:12
	buffer_load_dword v138, v129, s[0:3], 0 offen
	buffer_load_dword v139, v129, s[0:3], 0 offen offset:4
	ds_read_b128 v[132:135], v128
	v_add_nc_u32_e32 v130, 1, v130
	v_add_nc_u32_e32 v128, 16, v128
	;; [unrolled: 1-line block ×3, first 2 shown]
	v_cmp_lt_u32_e32 vcc_lo, 5, v130
	s_or_b32 s8, vcc_lo, s8
	s_waitcnt vmcnt(2) lgkmcnt(0)
	v_mul_f64 v[140:141], v[134:135], v[136:137]
	v_mul_f64 v[136:137], v[132:133], v[136:137]
	s_waitcnt vmcnt(0)
	v_fma_f64 v[132:133], v[132:133], v[138:139], -v[140:141]
	v_fma_f64 v[134:135], v[134:135], v[138:139], v[136:137]
	v_add_f64 v[1:2], v[1:2], v[132:133]
	v_add_f64 v[3:4], v[3:4], v[134:135]
	s_andn2_b32 exec_lo, exec_lo, s8
	s_cbranch_execnz .LBB123_524
; %bb.525:
	s_or_b32 exec_lo, exec_lo, s8
.LBB123_526:
	s_or_b32 exec_lo, exec_lo, s6
	v_mov_b32_e32 v128, 0
	ds_read_b128 v[132:135], v128 offset:112
	s_waitcnt lgkmcnt(0)
	v_mul_f64 v[128:129], v[3:4], v[134:135]
	v_mul_f64 v[134:135], v[1:2], v[134:135]
	v_fma_f64 v[1:2], v[1:2], v[132:133], -v[128:129]
	v_fma_f64 v[3:4], v[3:4], v[132:133], v[134:135]
	buffer_store_dword v2, off, s[0:3], 0 offset:116
	buffer_store_dword v1, off, s[0:3], 0 offset:112
	;; [unrolled: 1-line block ×4, first 2 shown]
.LBB123_527:
	s_or_b32 exec_lo, exec_lo, s4
	v_mov_b32_e32 v4, s60
	s_mov_b32 s4, exec_lo
	s_clause 0x3
	buffer_load_dword v1, v4, s[0:3], 0 offen
	buffer_load_dword v2, v4, s[0:3], 0 offen offset:4
	buffer_load_dword v3, v4, s[0:3], 0 offen offset:8
	;; [unrolled: 1-line block ×3, first 2 shown]
	s_waitcnt vmcnt(0)
	ds_write_b128 v126, v[1:4]
	s_waitcnt lgkmcnt(0)
	s_waitcnt_vscnt null, 0x0
	s_barrier
	buffer_gl0_inv
	v_cmpx_gt_u32_e32 8, v0
	s_cbranch_execz .LBB123_535
; %bb.528:
	ds_read_b128 v[1:4], v126
	v_cmp_ne_u32_e32 vcc_lo, 1, v127
	s_cbranch_vccnz .LBB123_530
; %bb.529:
	s_clause 0x3
	buffer_load_dword v128, v125, s[0:3], 0 offen offset:8
	buffer_load_dword v129, v125, s[0:3], 0 offen offset:12
	buffer_load_dword v132, v125, s[0:3], 0 offen
	buffer_load_dword v133, v125, s[0:3], 0 offen offset:4
	s_waitcnt vmcnt(2) lgkmcnt(0)
	v_mul_f64 v[134:135], v[3:4], v[128:129]
	v_mul_f64 v[128:129], v[1:2], v[128:129]
	s_waitcnt vmcnt(0)
	v_fma_f64 v[1:2], v[1:2], v[132:133], -v[134:135]
	v_fma_f64 v[3:4], v[3:4], v[132:133], v[128:129]
.LBB123_530:
	s_mov_b32 s6, exec_lo
	v_cmpx_ne_u32_e32 7, v0
	s_cbranch_execz .LBB123_534
; %bb.531:
	v_add_nc_u32_e32 v128, 0x3d0, v131
	v_add3_u32 v129, 0, v131, 16
	v_mov_b32_e32 v130, v0
	s_mov_b32 s8, 0
	.p2align	6
.LBB123_532:                            ; =>This Inner Loop Header: Depth=1
	s_clause 0x3
	buffer_load_dword v136, v129, s[0:3], 0 offen offset:8
	buffer_load_dword v137, v129, s[0:3], 0 offen offset:12
	buffer_load_dword v138, v129, s[0:3], 0 offen
	buffer_load_dword v139, v129, s[0:3], 0 offen offset:4
	ds_read_b128 v[132:135], v128
	v_add_nc_u32_e32 v130, 1, v130
	v_add_nc_u32_e32 v128, 16, v128
	;; [unrolled: 1-line block ×3, first 2 shown]
	v_cmp_lt_u32_e32 vcc_lo, 6, v130
	s_or_b32 s8, vcc_lo, s8
	s_waitcnt vmcnt(2) lgkmcnt(0)
	v_mul_f64 v[140:141], v[134:135], v[136:137]
	v_mul_f64 v[136:137], v[132:133], v[136:137]
	s_waitcnt vmcnt(0)
	v_fma_f64 v[132:133], v[132:133], v[138:139], -v[140:141]
	v_fma_f64 v[134:135], v[134:135], v[138:139], v[136:137]
	v_add_f64 v[1:2], v[1:2], v[132:133]
	v_add_f64 v[3:4], v[3:4], v[134:135]
	s_andn2_b32 exec_lo, exec_lo, s8
	s_cbranch_execnz .LBB123_532
; %bb.533:
	s_or_b32 exec_lo, exec_lo, s8
.LBB123_534:
	s_or_b32 exec_lo, exec_lo, s6
	v_mov_b32_e32 v128, 0
	ds_read_b128 v[132:135], v128 offset:128
	s_waitcnt lgkmcnt(0)
	v_mul_f64 v[128:129], v[3:4], v[134:135]
	v_mul_f64 v[134:135], v[1:2], v[134:135]
	v_fma_f64 v[1:2], v[1:2], v[132:133], -v[128:129]
	v_fma_f64 v[3:4], v[3:4], v[132:133], v[134:135]
	buffer_store_dword v2, off, s[0:3], 0 offset:132
	buffer_store_dword v1, off, s[0:3], 0 offset:128
	;; [unrolled: 1-line block ×4, first 2 shown]
.LBB123_535:
	s_or_b32 exec_lo, exec_lo, s4
	v_mov_b32_e32 v4, s59
	s_mov_b32 s4, exec_lo
	s_clause 0x3
	buffer_load_dword v1, v4, s[0:3], 0 offen
	buffer_load_dword v2, v4, s[0:3], 0 offen offset:4
	buffer_load_dword v3, v4, s[0:3], 0 offen offset:8
	;; [unrolled: 1-line block ×3, first 2 shown]
	s_waitcnt vmcnt(0)
	ds_write_b128 v126, v[1:4]
	s_waitcnt lgkmcnt(0)
	s_waitcnt_vscnt null, 0x0
	s_barrier
	buffer_gl0_inv
	v_cmpx_gt_u32_e32 9, v0
	s_cbranch_execz .LBB123_543
; %bb.536:
	ds_read_b128 v[1:4], v126
	v_cmp_ne_u32_e32 vcc_lo, 1, v127
	s_cbranch_vccnz .LBB123_538
; %bb.537:
	s_clause 0x3
	buffer_load_dword v128, v125, s[0:3], 0 offen offset:8
	buffer_load_dword v129, v125, s[0:3], 0 offen offset:12
	buffer_load_dword v132, v125, s[0:3], 0 offen
	buffer_load_dword v133, v125, s[0:3], 0 offen offset:4
	s_waitcnt vmcnt(2) lgkmcnt(0)
	v_mul_f64 v[134:135], v[3:4], v[128:129]
	v_mul_f64 v[128:129], v[1:2], v[128:129]
	s_waitcnt vmcnt(0)
	v_fma_f64 v[1:2], v[1:2], v[132:133], -v[134:135]
	v_fma_f64 v[3:4], v[3:4], v[132:133], v[128:129]
.LBB123_538:
	s_mov_b32 s6, exec_lo
	v_cmpx_ne_u32_e32 8, v0
	s_cbranch_execz .LBB123_542
; %bb.539:
	v_add_nc_u32_e32 v128, 0x3d0, v131
	v_add3_u32 v129, 0, v131, 16
	v_mov_b32_e32 v130, v0
	s_mov_b32 s8, 0
	.p2align	6
.LBB123_540:                            ; =>This Inner Loop Header: Depth=1
	s_clause 0x3
	buffer_load_dword v136, v129, s[0:3], 0 offen offset:8
	buffer_load_dword v137, v129, s[0:3], 0 offen offset:12
	buffer_load_dword v138, v129, s[0:3], 0 offen
	buffer_load_dword v139, v129, s[0:3], 0 offen offset:4
	ds_read_b128 v[132:135], v128
	v_add_nc_u32_e32 v130, 1, v130
	v_add_nc_u32_e32 v128, 16, v128
	v_add_nc_u32_e32 v129, 16, v129
	v_cmp_lt_u32_e32 vcc_lo, 7, v130
	s_or_b32 s8, vcc_lo, s8
	s_waitcnt vmcnt(2) lgkmcnt(0)
	v_mul_f64 v[140:141], v[134:135], v[136:137]
	v_mul_f64 v[136:137], v[132:133], v[136:137]
	s_waitcnt vmcnt(0)
	v_fma_f64 v[132:133], v[132:133], v[138:139], -v[140:141]
	v_fma_f64 v[134:135], v[134:135], v[138:139], v[136:137]
	v_add_f64 v[1:2], v[1:2], v[132:133]
	v_add_f64 v[3:4], v[3:4], v[134:135]
	s_andn2_b32 exec_lo, exec_lo, s8
	s_cbranch_execnz .LBB123_540
; %bb.541:
	s_or_b32 exec_lo, exec_lo, s8
.LBB123_542:
	s_or_b32 exec_lo, exec_lo, s6
	v_mov_b32_e32 v128, 0
	ds_read_b128 v[132:135], v128 offset:144
	s_waitcnt lgkmcnt(0)
	v_mul_f64 v[128:129], v[3:4], v[134:135]
	v_mul_f64 v[134:135], v[1:2], v[134:135]
	v_fma_f64 v[1:2], v[1:2], v[132:133], -v[128:129]
	v_fma_f64 v[3:4], v[3:4], v[132:133], v[134:135]
	buffer_store_dword v2, off, s[0:3], 0 offset:148
	buffer_store_dword v1, off, s[0:3], 0 offset:144
	buffer_store_dword v4, off, s[0:3], 0 offset:156
	buffer_store_dword v3, off, s[0:3], 0 offset:152
.LBB123_543:
	s_or_b32 exec_lo, exec_lo, s4
	v_mov_b32_e32 v4, s58
	s_mov_b32 s4, exec_lo
	s_clause 0x3
	buffer_load_dword v1, v4, s[0:3], 0 offen
	buffer_load_dword v2, v4, s[0:3], 0 offen offset:4
	buffer_load_dword v3, v4, s[0:3], 0 offen offset:8
	;; [unrolled: 1-line block ×3, first 2 shown]
	s_waitcnt vmcnt(0)
	ds_write_b128 v126, v[1:4]
	s_waitcnt lgkmcnt(0)
	s_waitcnt_vscnt null, 0x0
	s_barrier
	buffer_gl0_inv
	v_cmpx_gt_u32_e32 10, v0
	s_cbranch_execz .LBB123_551
; %bb.544:
	ds_read_b128 v[1:4], v126
	v_cmp_ne_u32_e32 vcc_lo, 1, v127
	s_cbranch_vccnz .LBB123_546
; %bb.545:
	s_clause 0x3
	buffer_load_dword v128, v125, s[0:3], 0 offen offset:8
	buffer_load_dword v129, v125, s[0:3], 0 offen offset:12
	buffer_load_dword v132, v125, s[0:3], 0 offen
	buffer_load_dword v133, v125, s[0:3], 0 offen offset:4
	s_waitcnt vmcnt(2) lgkmcnt(0)
	v_mul_f64 v[134:135], v[3:4], v[128:129]
	v_mul_f64 v[128:129], v[1:2], v[128:129]
	s_waitcnt vmcnt(0)
	v_fma_f64 v[1:2], v[1:2], v[132:133], -v[134:135]
	v_fma_f64 v[3:4], v[3:4], v[132:133], v[128:129]
.LBB123_546:
	s_mov_b32 s6, exec_lo
	v_cmpx_ne_u32_e32 9, v0
	s_cbranch_execz .LBB123_550
; %bb.547:
	v_add_nc_u32_e32 v128, 0x3d0, v131
	v_add3_u32 v129, 0, v131, 16
	v_mov_b32_e32 v130, v0
	s_mov_b32 s8, 0
	.p2align	6
.LBB123_548:                            ; =>This Inner Loop Header: Depth=1
	s_clause 0x3
	buffer_load_dword v136, v129, s[0:3], 0 offen offset:8
	buffer_load_dword v137, v129, s[0:3], 0 offen offset:12
	buffer_load_dword v138, v129, s[0:3], 0 offen
	buffer_load_dword v139, v129, s[0:3], 0 offen offset:4
	ds_read_b128 v[132:135], v128
	v_add_nc_u32_e32 v130, 1, v130
	v_add_nc_u32_e32 v128, 16, v128
	;; [unrolled: 1-line block ×3, first 2 shown]
	v_cmp_lt_u32_e32 vcc_lo, 8, v130
	s_or_b32 s8, vcc_lo, s8
	s_waitcnt vmcnt(2) lgkmcnt(0)
	v_mul_f64 v[140:141], v[134:135], v[136:137]
	v_mul_f64 v[136:137], v[132:133], v[136:137]
	s_waitcnt vmcnt(0)
	v_fma_f64 v[132:133], v[132:133], v[138:139], -v[140:141]
	v_fma_f64 v[134:135], v[134:135], v[138:139], v[136:137]
	v_add_f64 v[1:2], v[1:2], v[132:133]
	v_add_f64 v[3:4], v[3:4], v[134:135]
	s_andn2_b32 exec_lo, exec_lo, s8
	s_cbranch_execnz .LBB123_548
; %bb.549:
	s_or_b32 exec_lo, exec_lo, s8
.LBB123_550:
	s_or_b32 exec_lo, exec_lo, s6
	v_mov_b32_e32 v128, 0
	ds_read_b128 v[132:135], v128 offset:160
	s_waitcnt lgkmcnt(0)
	v_mul_f64 v[128:129], v[3:4], v[134:135]
	v_mul_f64 v[134:135], v[1:2], v[134:135]
	v_fma_f64 v[1:2], v[1:2], v[132:133], -v[128:129]
	v_fma_f64 v[3:4], v[3:4], v[132:133], v[134:135]
	buffer_store_dword v2, off, s[0:3], 0 offset:164
	buffer_store_dword v1, off, s[0:3], 0 offset:160
	;; [unrolled: 1-line block ×4, first 2 shown]
.LBB123_551:
	s_or_b32 exec_lo, exec_lo, s4
	v_mov_b32_e32 v4, s57
	s_mov_b32 s4, exec_lo
	s_clause 0x3
	buffer_load_dword v1, v4, s[0:3], 0 offen
	buffer_load_dword v2, v4, s[0:3], 0 offen offset:4
	buffer_load_dword v3, v4, s[0:3], 0 offen offset:8
	;; [unrolled: 1-line block ×3, first 2 shown]
	s_waitcnt vmcnt(0)
	ds_write_b128 v126, v[1:4]
	s_waitcnt lgkmcnt(0)
	s_waitcnt_vscnt null, 0x0
	s_barrier
	buffer_gl0_inv
	v_cmpx_gt_u32_e32 11, v0
	s_cbranch_execz .LBB123_559
; %bb.552:
	ds_read_b128 v[1:4], v126
	v_cmp_ne_u32_e32 vcc_lo, 1, v127
	s_cbranch_vccnz .LBB123_554
; %bb.553:
	s_clause 0x3
	buffer_load_dword v128, v125, s[0:3], 0 offen offset:8
	buffer_load_dword v129, v125, s[0:3], 0 offen offset:12
	buffer_load_dword v132, v125, s[0:3], 0 offen
	buffer_load_dword v133, v125, s[0:3], 0 offen offset:4
	s_waitcnt vmcnt(2) lgkmcnt(0)
	v_mul_f64 v[134:135], v[3:4], v[128:129]
	v_mul_f64 v[128:129], v[1:2], v[128:129]
	s_waitcnt vmcnt(0)
	v_fma_f64 v[1:2], v[1:2], v[132:133], -v[134:135]
	v_fma_f64 v[3:4], v[3:4], v[132:133], v[128:129]
.LBB123_554:
	s_mov_b32 s6, exec_lo
	v_cmpx_ne_u32_e32 10, v0
	s_cbranch_execz .LBB123_558
; %bb.555:
	v_add_nc_u32_e32 v128, 0x3d0, v131
	v_add3_u32 v129, 0, v131, 16
	v_mov_b32_e32 v130, v0
	s_mov_b32 s8, 0
	.p2align	6
.LBB123_556:                            ; =>This Inner Loop Header: Depth=1
	s_clause 0x3
	buffer_load_dword v136, v129, s[0:3], 0 offen offset:8
	buffer_load_dword v137, v129, s[0:3], 0 offen offset:12
	buffer_load_dword v138, v129, s[0:3], 0 offen
	buffer_load_dword v139, v129, s[0:3], 0 offen offset:4
	ds_read_b128 v[132:135], v128
	v_add_nc_u32_e32 v130, 1, v130
	v_add_nc_u32_e32 v128, 16, v128
	;; [unrolled: 1-line block ×3, first 2 shown]
	v_cmp_lt_u32_e32 vcc_lo, 9, v130
	s_or_b32 s8, vcc_lo, s8
	s_waitcnt vmcnt(2) lgkmcnt(0)
	v_mul_f64 v[140:141], v[134:135], v[136:137]
	v_mul_f64 v[136:137], v[132:133], v[136:137]
	s_waitcnt vmcnt(0)
	v_fma_f64 v[132:133], v[132:133], v[138:139], -v[140:141]
	v_fma_f64 v[134:135], v[134:135], v[138:139], v[136:137]
	v_add_f64 v[1:2], v[1:2], v[132:133]
	v_add_f64 v[3:4], v[3:4], v[134:135]
	s_andn2_b32 exec_lo, exec_lo, s8
	s_cbranch_execnz .LBB123_556
; %bb.557:
	s_or_b32 exec_lo, exec_lo, s8
.LBB123_558:
	s_or_b32 exec_lo, exec_lo, s6
	v_mov_b32_e32 v128, 0
	ds_read_b128 v[132:135], v128 offset:176
	s_waitcnt lgkmcnt(0)
	v_mul_f64 v[128:129], v[3:4], v[134:135]
	v_mul_f64 v[134:135], v[1:2], v[134:135]
	v_fma_f64 v[1:2], v[1:2], v[132:133], -v[128:129]
	v_fma_f64 v[3:4], v[3:4], v[132:133], v[134:135]
	buffer_store_dword v2, off, s[0:3], 0 offset:180
	buffer_store_dword v1, off, s[0:3], 0 offset:176
	;; [unrolled: 1-line block ×4, first 2 shown]
.LBB123_559:
	s_or_b32 exec_lo, exec_lo, s4
	v_mov_b32_e32 v4, s56
	s_mov_b32 s4, exec_lo
	s_clause 0x3
	buffer_load_dword v1, v4, s[0:3], 0 offen
	buffer_load_dword v2, v4, s[0:3], 0 offen offset:4
	buffer_load_dword v3, v4, s[0:3], 0 offen offset:8
	;; [unrolled: 1-line block ×3, first 2 shown]
	s_waitcnt vmcnt(0)
	ds_write_b128 v126, v[1:4]
	s_waitcnt lgkmcnt(0)
	s_waitcnt_vscnt null, 0x0
	s_barrier
	buffer_gl0_inv
	v_cmpx_gt_u32_e32 12, v0
	s_cbranch_execz .LBB123_567
; %bb.560:
	ds_read_b128 v[1:4], v126
	v_cmp_ne_u32_e32 vcc_lo, 1, v127
	s_cbranch_vccnz .LBB123_562
; %bb.561:
	s_clause 0x3
	buffer_load_dword v128, v125, s[0:3], 0 offen offset:8
	buffer_load_dword v129, v125, s[0:3], 0 offen offset:12
	buffer_load_dword v132, v125, s[0:3], 0 offen
	buffer_load_dword v133, v125, s[0:3], 0 offen offset:4
	s_waitcnt vmcnt(2) lgkmcnt(0)
	v_mul_f64 v[134:135], v[3:4], v[128:129]
	v_mul_f64 v[128:129], v[1:2], v[128:129]
	s_waitcnt vmcnt(0)
	v_fma_f64 v[1:2], v[1:2], v[132:133], -v[134:135]
	v_fma_f64 v[3:4], v[3:4], v[132:133], v[128:129]
.LBB123_562:
	s_mov_b32 s6, exec_lo
	v_cmpx_ne_u32_e32 11, v0
	s_cbranch_execz .LBB123_566
; %bb.563:
	v_add_nc_u32_e32 v128, 0x3d0, v131
	v_add3_u32 v129, 0, v131, 16
	v_mov_b32_e32 v130, v0
	s_mov_b32 s8, 0
	.p2align	6
.LBB123_564:                            ; =>This Inner Loop Header: Depth=1
	s_clause 0x3
	buffer_load_dword v136, v129, s[0:3], 0 offen offset:8
	buffer_load_dword v137, v129, s[0:3], 0 offen offset:12
	buffer_load_dword v138, v129, s[0:3], 0 offen
	buffer_load_dword v139, v129, s[0:3], 0 offen offset:4
	ds_read_b128 v[132:135], v128
	v_add_nc_u32_e32 v130, 1, v130
	v_add_nc_u32_e32 v128, 16, v128
	;; [unrolled: 1-line block ×3, first 2 shown]
	v_cmp_lt_u32_e32 vcc_lo, 10, v130
	s_or_b32 s8, vcc_lo, s8
	s_waitcnt vmcnt(2) lgkmcnt(0)
	v_mul_f64 v[140:141], v[134:135], v[136:137]
	v_mul_f64 v[136:137], v[132:133], v[136:137]
	s_waitcnt vmcnt(0)
	v_fma_f64 v[132:133], v[132:133], v[138:139], -v[140:141]
	v_fma_f64 v[134:135], v[134:135], v[138:139], v[136:137]
	v_add_f64 v[1:2], v[1:2], v[132:133]
	v_add_f64 v[3:4], v[3:4], v[134:135]
	s_andn2_b32 exec_lo, exec_lo, s8
	s_cbranch_execnz .LBB123_564
; %bb.565:
	s_or_b32 exec_lo, exec_lo, s8
.LBB123_566:
	s_or_b32 exec_lo, exec_lo, s6
	v_mov_b32_e32 v128, 0
	ds_read_b128 v[132:135], v128 offset:192
	s_waitcnt lgkmcnt(0)
	v_mul_f64 v[128:129], v[3:4], v[134:135]
	v_mul_f64 v[134:135], v[1:2], v[134:135]
	v_fma_f64 v[1:2], v[1:2], v[132:133], -v[128:129]
	v_fma_f64 v[3:4], v[3:4], v[132:133], v[134:135]
	buffer_store_dword v2, off, s[0:3], 0 offset:196
	buffer_store_dword v1, off, s[0:3], 0 offset:192
	;; [unrolled: 1-line block ×4, first 2 shown]
.LBB123_567:
	s_or_b32 exec_lo, exec_lo, s4
	v_mov_b32_e32 v4, s55
	s_mov_b32 s4, exec_lo
	s_clause 0x3
	buffer_load_dword v1, v4, s[0:3], 0 offen
	buffer_load_dword v2, v4, s[0:3], 0 offen offset:4
	buffer_load_dword v3, v4, s[0:3], 0 offen offset:8
	;; [unrolled: 1-line block ×3, first 2 shown]
	s_waitcnt vmcnt(0)
	ds_write_b128 v126, v[1:4]
	s_waitcnt lgkmcnt(0)
	s_waitcnt_vscnt null, 0x0
	s_barrier
	buffer_gl0_inv
	v_cmpx_gt_u32_e32 13, v0
	s_cbranch_execz .LBB123_575
; %bb.568:
	ds_read_b128 v[1:4], v126
	v_cmp_ne_u32_e32 vcc_lo, 1, v127
	s_cbranch_vccnz .LBB123_570
; %bb.569:
	s_clause 0x3
	buffer_load_dword v128, v125, s[0:3], 0 offen offset:8
	buffer_load_dword v129, v125, s[0:3], 0 offen offset:12
	buffer_load_dword v132, v125, s[0:3], 0 offen
	buffer_load_dword v133, v125, s[0:3], 0 offen offset:4
	s_waitcnt vmcnt(2) lgkmcnt(0)
	v_mul_f64 v[134:135], v[3:4], v[128:129]
	v_mul_f64 v[128:129], v[1:2], v[128:129]
	s_waitcnt vmcnt(0)
	v_fma_f64 v[1:2], v[1:2], v[132:133], -v[134:135]
	v_fma_f64 v[3:4], v[3:4], v[132:133], v[128:129]
.LBB123_570:
	s_mov_b32 s6, exec_lo
	v_cmpx_ne_u32_e32 12, v0
	s_cbranch_execz .LBB123_574
; %bb.571:
	v_add_nc_u32_e32 v128, 0x3d0, v131
	v_add3_u32 v129, 0, v131, 16
	v_mov_b32_e32 v130, v0
	s_mov_b32 s8, 0
	.p2align	6
.LBB123_572:                            ; =>This Inner Loop Header: Depth=1
	s_clause 0x3
	buffer_load_dword v136, v129, s[0:3], 0 offen offset:8
	buffer_load_dword v137, v129, s[0:3], 0 offen offset:12
	buffer_load_dword v138, v129, s[0:3], 0 offen
	buffer_load_dword v139, v129, s[0:3], 0 offen offset:4
	ds_read_b128 v[132:135], v128
	v_add_nc_u32_e32 v130, 1, v130
	v_add_nc_u32_e32 v128, 16, v128
	;; [unrolled: 1-line block ×3, first 2 shown]
	v_cmp_lt_u32_e32 vcc_lo, 11, v130
	s_or_b32 s8, vcc_lo, s8
	s_waitcnt vmcnt(2) lgkmcnt(0)
	v_mul_f64 v[140:141], v[134:135], v[136:137]
	v_mul_f64 v[136:137], v[132:133], v[136:137]
	s_waitcnt vmcnt(0)
	v_fma_f64 v[132:133], v[132:133], v[138:139], -v[140:141]
	v_fma_f64 v[134:135], v[134:135], v[138:139], v[136:137]
	v_add_f64 v[1:2], v[1:2], v[132:133]
	v_add_f64 v[3:4], v[3:4], v[134:135]
	s_andn2_b32 exec_lo, exec_lo, s8
	s_cbranch_execnz .LBB123_572
; %bb.573:
	s_or_b32 exec_lo, exec_lo, s8
.LBB123_574:
	s_or_b32 exec_lo, exec_lo, s6
	v_mov_b32_e32 v128, 0
	ds_read_b128 v[132:135], v128 offset:208
	s_waitcnt lgkmcnt(0)
	v_mul_f64 v[128:129], v[3:4], v[134:135]
	v_mul_f64 v[134:135], v[1:2], v[134:135]
	v_fma_f64 v[1:2], v[1:2], v[132:133], -v[128:129]
	v_fma_f64 v[3:4], v[3:4], v[132:133], v[134:135]
	buffer_store_dword v2, off, s[0:3], 0 offset:212
	buffer_store_dword v1, off, s[0:3], 0 offset:208
	;; [unrolled: 1-line block ×4, first 2 shown]
.LBB123_575:
	s_or_b32 exec_lo, exec_lo, s4
	v_mov_b32_e32 v4, s54
	s_mov_b32 s4, exec_lo
	s_clause 0x3
	buffer_load_dword v1, v4, s[0:3], 0 offen
	buffer_load_dword v2, v4, s[0:3], 0 offen offset:4
	buffer_load_dword v3, v4, s[0:3], 0 offen offset:8
	;; [unrolled: 1-line block ×3, first 2 shown]
	s_waitcnt vmcnt(0)
	ds_write_b128 v126, v[1:4]
	s_waitcnt lgkmcnt(0)
	s_waitcnt_vscnt null, 0x0
	s_barrier
	buffer_gl0_inv
	v_cmpx_gt_u32_e32 14, v0
	s_cbranch_execz .LBB123_583
; %bb.576:
	ds_read_b128 v[1:4], v126
	v_cmp_ne_u32_e32 vcc_lo, 1, v127
	s_cbranch_vccnz .LBB123_578
; %bb.577:
	s_clause 0x3
	buffer_load_dword v128, v125, s[0:3], 0 offen offset:8
	buffer_load_dword v129, v125, s[0:3], 0 offen offset:12
	buffer_load_dword v132, v125, s[0:3], 0 offen
	buffer_load_dword v133, v125, s[0:3], 0 offen offset:4
	s_waitcnt vmcnt(2) lgkmcnt(0)
	v_mul_f64 v[134:135], v[3:4], v[128:129]
	v_mul_f64 v[128:129], v[1:2], v[128:129]
	s_waitcnt vmcnt(0)
	v_fma_f64 v[1:2], v[1:2], v[132:133], -v[134:135]
	v_fma_f64 v[3:4], v[3:4], v[132:133], v[128:129]
.LBB123_578:
	s_mov_b32 s6, exec_lo
	v_cmpx_ne_u32_e32 13, v0
	s_cbranch_execz .LBB123_582
; %bb.579:
	v_add_nc_u32_e32 v128, 0x3d0, v131
	v_add3_u32 v129, 0, v131, 16
	v_mov_b32_e32 v130, v0
	s_mov_b32 s8, 0
	.p2align	6
.LBB123_580:                            ; =>This Inner Loop Header: Depth=1
	s_clause 0x3
	buffer_load_dword v136, v129, s[0:3], 0 offen offset:8
	buffer_load_dword v137, v129, s[0:3], 0 offen offset:12
	buffer_load_dword v138, v129, s[0:3], 0 offen
	buffer_load_dword v139, v129, s[0:3], 0 offen offset:4
	ds_read_b128 v[132:135], v128
	v_add_nc_u32_e32 v130, 1, v130
	v_add_nc_u32_e32 v128, 16, v128
	;; [unrolled: 1-line block ×3, first 2 shown]
	v_cmp_lt_u32_e32 vcc_lo, 12, v130
	s_or_b32 s8, vcc_lo, s8
	s_waitcnt vmcnt(2) lgkmcnt(0)
	v_mul_f64 v[140:141], v[134:135], v[136:137]
	v_mul_f64 v[136:137], v[132:133], v[136:137]
	s_waitcnt vmcnt(0)
	v_fma_f64 v[132:133], v[132:133], v[138:139], -v[140:141]
	v_fma_f64 v[134:135], v[134:135], v[138:139], v[136:137]
	v_add_f64 v[1:2], v[1:2], v[132:133]
	v_add_f64 v[3:4], v[3:4], v[134:135]
	s_andn2_b32 exec_lo, exec_lo, s8
	s_cbranch_execnz .LBB123_580
; %bb.581:
	s_or_b32 exec_lo, exec_lo, s8
.LBB123_582:
	s_or_b32 exec_lo, exec_lo, s6
	v_mov_b32_e32 v128, 0
	ds_read_b128 v[132:135], v128 offset:224
	s_waitcnt lgkmcnt(0)
	v_mul_f64 v[128:129], v[3:4], v[134:135]
	v_mul_f64 v[134:135], v[1:2], v[134:135]
	v_fma_f64 v[1:2], v[1:2], v[132:133], -v[128:129]
	v_fma_f64 v[3:4], v[3:4], v[132:133], v[134:135]
	buffer_store_dword v2, off, s[0:3], 0 offset:228
	buffer_store_dword v1, off, s[0:3], 0 offset:224
	;; [unrolled: 1-line block ×4, first 2 shown]
.LBB123_583:
	s_or_b32 exec_lo, exec_lo, s4
	v_mov_b32_e32 v4, s53
	s_mov_b32 s4, exec_lo
	s_clause 0x3
	buffer_load_dword v1, v4, s[0:3], 0 offen
	buffer_load_dword v2, v4, s[0:3], 0 offen offset:4
	buffer_load_dword v3, v4, s[0:3], 0 offen offset:8
	;; [unrolled: 1-line block ×3, first 2 shown]
	s_waitcnt vmcnt(0)
	ds_write_b128 v126, v[1:4]
	s_waitcnt lgkmcnt(0)
	s_waitcnt_vscnt null, 0x0
	s_barrier
	buffer_gl0_inv
	v_cmpx_gt_u32_e32 15, v0
	s_cbranch_execz .LBB123_591
; %bb.584:
	ds_read_b128 v[1:4], v126
	v_cmp_ne_u32_e32 vcc_lo, 1, v127
	s_cbranch_vccnz .LBB123_586
; %bb.585:
	s_clause 0x3
	buffer_load_dword v128, v125, s[0:3], 0 offen offset:8
	buffer_load_dword v129, v125, s[0:3], 0 offen offset:12
	buffer_load_dword v132, v125, s[0:3], 0 offen
	buffer_load_dword v133, v125, s[0:3], 0 offen offset:4
	s_waitcnt vmcnt(2) lgkmcnt(0)
	v_mul_f64 v[134:135], v[3:4], v[128:129]
	v_mul_f64 v[128:129], v[1:2], v[128:129]
	s_waitcnt vmcnt(0)
	v_fma_f64 v[1:2], v[1:2], v[132:133], -v[134:135]
	v_fma_f64 v[3:4], v[3:4], v[132:133], v[128:129]
.LBB123_586:
	s_mov_b32 s6, exec_lo
	v_cmpx_ne_u32_e32 14, v0
	s_cbranch_execz .LBB123_590
; %bb.587:
	v_add_nc_u32_e32 v128, 0x3d0, v131
	v_add3_u32 v129, 0, v131, 16
	v_mov_b32_e32 v130, v0
	s_mov_b32 s8, 0
	.p2align	6
.LBB123_588:                            ; =>This Inner Loop Header: Depth=1
	s_clause 0x3
	buffer_load_dword v136, v129, s[0:3], 0 offen offset:8
	buffer_load_dword v137, v129, s[0:3], 0 offen offset:12
	buffer_load_dword v138, v129, s[0:3], 0 offen
	buffer_load_dword v139, v129, s[0:3], 0 offen offset:4
	ds_read_b128 v[132:135], v128
	v_add_nc_u32_e32 v130, 1, v130
	v_add_nc_u32_e32 v128, 16, v128
	;; [unrolled: 1-line block ×3, first 2 shown]
	v_cmp_lt_u32_e32 vcc_lo, 13, v130
	s_or_b32 s8, vcc_lo, s8
	s_waitcnt vmcnt(2) lgkmcnt(0)
	v_mul_f64 v[140:141], v[134:135], v[136:137]
	v_mul_f64 v[136:137], v[132:133], v[136:137]
	s_waitcnt vmcnt(0)
	v_fma_f64 v[132:133], v[132:133], v[138:139], -v[140:141]
	v_fma_f64 v[134:135], v[134:135], v[138:139], v[136:137]
	v_add_f64 v[1:2], v[1:2], v[132:133]
	v_add_f64 v[3:4], v[3:4], v[134:135]
	s_andn2_b32 exec_lo, exec_lo, s8
	s_cbranch_execnz .LBB123_588
; %bb.589:
	s_or_b32 exec_lo, exec_lo, s8
.LBB123_590:
	s_or_b32 exec_lo, exec_lo, s6
	v_mov_b32_e32 v128, 0
	ds_read_b128 v[132:135], v128 offset:240
	s_waitcnt lgkmcnt(0)
	v_mul_f64 v[128:129], v[3:4], v[134:135]
	v_mul_f64 v[134:135], v[1:2], v[134:135]
	v_fma_f64 v[1:2], v[1:2], v[132:133], -v[128:129]
	v_fma_f64 v[3:4], v[3:4], v[132:133], v[134:135]
	buffer_store_dword v2, off, s[0:3], 0 offset:244
	buffer_store_dword v1, off, s[0:3], 0 offset:240
	;; [unrolled: 1-line block ×4, first 2 shown]
.LBB123_591:
	s_or_b32 exec_lo, exec_lo, s4
	v_mov_b32_e32 v4, s52
	s_mov_b32 s4, exec_lo
	s_clause 0x3
	buffer_load_dword v1, v4, s[0:3], 0 offen
	buffer_load_dword v2, v4, s[0:3], 0 offen offset:4
	buffer_load_dword v3, v4, s[0:3], 0 offen offset:8
	;; [unrolled: 1-line block ×3, first 2 shown]
	s_waitcnt vmcnt(0)
	ds_write_b128 v126, v[1:4]
	s_waitcnt lgkmcnt(0)
	s_waitcnt_vscnt null, 0x0
	s_barrier
	buffer_gl0_inv
	v_cmpx_gt_u32_e32 16, v0
	s_cbranch_execz .LBB123_599
; %bb.592:
	ds_read_b128 v[1:4], v126
	v_cmp_ne_u32_e32 vcc_lo, 1, v127
	s_cbranch_vccnz .LBB123_594
; %bb.593:
	s_clause 0x3
	buffer_load_dword v128, v125, s[0:3], 0 offen offset:8
	buffer_load_dword v129, v125, s[0:3], 0 offen offset:12
	buffer_load_dword v132, v125, s[0:3], 0 offen
	buffer_load_dword v133, v125, s[0:3], 0 offen offset:4
	s_waitcnt vmcnt(2) lgkmcnt(0)
	v_mul_f64 v[134:135], v[3:4], v[128:129]
	v_mul_f64 v[128:129], v[1:2], v[128:129]
	s_waitcnt vmcnt(0)
	v_fma_f64 v[1:2], v[1:2], v[132:133], -v[134:135]
	v_fma_f64 v[3:4], v[3:4], v[132:133], v[128:129]
.LBB123_594:
	s_mov_b32 s6, exec_lo
	v_cmpx_ne_u32_e32 15, v0
	s_cbranch_execz .LBB123_598
; %bb.595:
	v_add_nc_u32_e32 v128, 0x3d0, v131
	v_add3_u32 v129, 0, v131, 16
	v_mov_b32_e32 v130, v0
	s_mov_b32 s8, 0
	.p2align	6
.LBB123_596:                            ; =>This Inner Loop Header: Depth=1
	s_clause 0x3
	buffer_load_dword v136, v129, s[0:3], 0 offen offset:8
	buffer_load_dword v137, v129, s[0:3], 0 offen offset:12
	buffer_load_dword v138, v129, s[0:3], 0 offen
	buffer_load_dword v139, v129, s[0:3], 0 offen offset:4
	ds_read_b128 v[132:135], v128
	v_add_nc_u32_e32 v130, 1, v130
	v_add_nc_u32_e32 v128, 16, v128
	;; [unrolled: 1-line block ×3, first 2 shown]
	v_cmp_lt_u32_e32 vcc_lo, 14, v130
	s_or_b32 s8, vcc_lo, s8
	s_waitcnt vmcnt(2) lgkmcnt(0)
	v_mul_f64 v[140:141], v[134:135], v[136:137]
	v_mul_f64 v[136:137], v[132:133], v[136:137]
	s_waitcnt vmcnt(0)
	v_fma_f64 v[132:133], v[132:133], v[138:139], -v[140:141]
	v_fma_f64 v[134:135], v[134:135], v[138:139], v[136:137]
	v_add_f64 v[1:2], v[1:2], v[132:133]
	v_add_f64 v[3:4], v[3:4], v[134:135]
	s_andn2_b32 exec_lo, exec_lo, s8
	s_cbranch_execnz .LBB123_596
; %bb.597:
	s_or_b32 exec_lo, exec_lo, s8
.LBB123_598:
	s_or_b32 exec_lo, exec_lo, s6
	v_mov_b32_e32 v128, 0
	ds_read_b128 v[132:135], v128 offset:256
	s_waitcnt lgkmcnt(0)
	v_mul_f64 v[128:129], v[3:4], v[134:135]
	v_mul_f64 v[134:135], v[1:2], v[134:135]
	v_fma_f64 v[1:2], v[1:2], v[132:133], -v[128:129]
	v_fma_f64 v[3:4], v[3:4], v[132:133], v[134:135]
	buffer_store_dword v2, off, s[0:3], 0 offset:260
	buffer_store_dword v1, off, s[0:3], 0 offset:256
	buffer_store_dword v4, off, s[0:3], 0 offset:268
	buffer_store_dword v3, off, s[0:3], 0 offset:264
.LBB123_599:
	s_or_b32 exec_lo, exec_lo, s4
	v_mov_b32_e32 v4, s51
	s_mov_b32 s4, exec_lo
	s_clause 0x3
	buffer_load_dword v1, v4, s[0:3], 0 offen
	buffer_load_dword v2, v4, s[0:3], 0 offen offset:4
	buffer_load_dword v3, v4, s[0:3], 0 offen offset:8
	;; [unrolled: 1-line block ×3, first 2 shown]
	s_waitcnt vmcnt(0)
	ds_write_b128 v126, v[1:4]
	s_waitcnt lgkmcnt(0)
	s_waitcnt_vscnt null, 0x0
	s_barrier
	buffer_gl0_inv
	v_cmpx_gt_u32_e32 17, v0
	s_cbranch_execz .LBB123_607
; %bb.600:
	ds_read_b128 v[1:4], v126
	v_cmp_ne_u32_e32 vcc_lo, 1, v127
	s_cbranch_vccnz .LBB123_602
; %bb.601:
	s_clause 0x3
	buffer_load_dword v128, v125, s[0:3], 0 offen offset:8
	buffer_load_dword v129, v125, s[0:3], 0 offen offset:12
	buffer_load_dword v132, v125, s[0:3], 0 offen
	buffer_load_dword v133, v125, s[0:3], 0 offen offset:4
	s_waitcnt vmcnt(2) lgkmcnt(0)
	v_mul_f64 v[134:135], v[3:4], v[128:129]
	v_mul_f64 v[128:129], v[1:2], v[128:129]
	s_waitcnt vmcnt(0)
	v_fma_f64 v[1:2], v[1:2], v[132:133], -v[134:135]
	v_fma_f64 v[3:4], v[3:4], v[132:133], v[128:129]
.LBB123_602:
	s_mov_b32 s6, exec_lo
	v_cmpx_ne_u32_e32 16, v0
	s_cbranch_execz .LBB123_606
; %bb.603:
	v_add_nc_u32_e32 v128, 0x3d0, v131
	v_add3_u32 v129, 0, v131, 16
	v_mov_b32_e32 v130, v0
	s_mov_b32 s8, 0
	.p2align	6
.LBB123_604:                            ; =>This Inner Loop Header: Depth=1
	s_clause 0x3
	buffer_load_dword v136, v129, s[0:3], 0 offen offset:8
	buffer_load_dword v137, v129, s[0:3], 0 offen offset:12
	buffer_load_dword v138, v129, s[0:3], 0 offen
	buffer_load_dword v139, v129, s[0:3], 0 offen offset:4
	ds_read_b128 v[132:135], v128
	v_add_nc_u32_e32 v130, 1, v130
	v_add_nc_u32_e32 v128, 16, v128
	;; [unrolled: 1-line block ×3, first 2 shown]
	v_cmp_lt_u32_e32 vcc_lo, 15, v130
	s_or_b32 s8, vcc_lo, s8
	s_waitcnt vmcnt(2) lgkmcnt(0)
	v_mul_f64 v[140:141], v[134:135], v[136:137]
	v_mul_f64 v[136:137], v[132:133], v[136:137]
	s_waitcnt vmcnt(0)
	v_fma_f64 v[132:133], v[132:133], v[138:139], -v[140:141]
	v_fma_f64 v[134:135], v[134:135], v[138:139], v[136:137]
	v_add_f64 v[1:2], v[1:2], v[132:133]
	v_add_f64 v[3:4], v[3:4], v[134:135]
	s_andn2_b32 exec_lo, exec_lo, s8
	s_cbranch_execnz .LBB123_604
; %bb.605:
	s_or_b32 exec_lo, exec_lo, s8
.LBB123_606:
	s_or_b32 exec_lo, exec_lo, s6
	v_mov_b32_e32 v128, 0
	ds_read_b128 v[132:135], v128 offset:272
	s_waitcnt lgkmcnt(0)
	v_mul_f64 v[128:129], v[3:4], v[134:135]
	v_mul_f64 v[134:135], v[1:2], v[134:135]
	v_fma_f64 v[1:2], v[1:2], v[132:133], -v[128:129]
	v_fma_f64 v[3:4], v[3:4], v[132:133], v[134:135]
	buffer_store_dword v2, off, s[0:3], 0 offset:276
	buffer_store_dword v1, off, s[0:3], 0 offset:272
	;; [unrolled: 1-line block ×4, first 2 shown]
.LBB123_607:
	s_or_b32 exec_lo, exec_lo, s4
	v_mov_b32_e32 v4, s50
	s_mov_b32 s4, exec_lo
	s_clause 0x3
	buffer_load_dword v1, v4, s[0:3], 0 offen
	buffer_load_dword v2, v4, s[0:3], 0 offen offset:4
	buffer_load_dword v3, v4, s[0:3], 0 offen offset:8
	;; [unrolled: 1-line block ×3, first 2 shown]
	s_waitcnt vmcnt(0)
	ds_write_b128 v126, v[1:4]
	s_waitcnt lgkmcnt(0)
	s_waitcnt_vscnt null, 0x0
	s_barrier
	buffer_gl0_inv
	v_cmpx_gt_u32_e32 18, v0
	s_cbranch_execz .LBB123_615
; %bb.608:
	ds_read_b128 v[1:4], v126
	v_cmp_ne_u32_e32 vcc_lo, 1, v127
	s_cbranch_vccnz .LBB123_610
; %bb.609:
	s_clause 0x3
	buffer_load_dword v128, v125, s[0:3], 0 offen offset:8
	buffer_load_dword v129, v125, s[0:3], 0 offen offset:12
	buffer_load_dword v132, v125, s[0:3], 0 offen
	buffer_load_dword v133, v125, s[0:3], 0 offen offset:4
	s_waitcnt vmcnt(2) lgkmcnt(0)
	v_mul_f64 v[134:135], v[3:4], v[128:129]
	v_mul_f64 v[128:129], v[1:2], v[128:129]
	s_waitcnt vmcnt(0)
	v_fma_f64 v[1:2], v[1:2], v[132:133], -v[134:135]
	v_fma_f64 v[3:4], v[3:4], v[132:133], v[128:129]
.LBB123_610:
	s_mov_b32 s6, exec_lo
	v_cmpx_ne_u32_e32 17, v0
	s_cbranch_execz .LBB123_614
; %bb.611:
	v_add_nc_u32_e32 v128, 0x3d0, v131
	v_add3_u32 v129, 0, v131, 16
	v_mov_b32_e32 v130, v0
	s_mov_b32 s8, 0
	.p2align	6
.LBB123_612:                            ; =>This Inner Loop Header: Depth=1
	s_clause 0x3
	buffer_load_dword v136, v129, s[0:3], 0 offen offset:8
	buffer_load_dword v137, v129, s[0:3], 0 offen offset:12
	buffer_load_dword v138, v129, s[0:3], 0 offen
	buffer_load_dword v139, v129, s[0:3], 0 offen offset:4
	ds_read_b128 v[132:135], v128
	v_add_nc_u32_e32 v130, 1, v130
	v_add_nc_u32_e32 v128, 16, v128
	;; [unrolled: 1-line block ×3, first 2 shown]
	v_cmp_lt_u32_e32 vcc_lo, 16, v130
	s_or_b32 s8, vcc_lo, s8
	s_waitcnt vmcnt(2) lgkmcnt(0)
	v_mul_f64 v[140:141], v[134:135], v[136:137]
	v_mul_f64 v[136:137], v[132:133], v[136:137]
	s_waitcnt vmcnt(0)
	v_fma_f64 v[132:133], v[132:133], v[138:139], -v[140:141]
	v_fma_f64 v[134:135], v[134:135], v[138:139], v[136:137]
	v_add_f64 v[1:2], v[1:2], v[132:133]
	v_add_f64 v[3:4], v[3:4], v[134:135]
	s_andn2_b32 exec_lo, exec_lo, s8
	s_cbranch_execnz .LBB123_612
; %bb.613:
	s_or_b32 exec_lo, exec_lo, s8
.LBB123_614:
	s_or_b32 exec_lo, exec_lo, s6
	v_mov_b32_e32 v128, 0
	ds_read_b128 v[132:135], v128 offset:288
	s_waitcnt lgkmcnt(0)
	v_mul_f64 v[128:129], v[3:4], v[134:135]
	v_mul_f64 v[134:135], v[1:2], v[134:135]
	v_fma_f64 v[1:2], v[1:2], v[132:133], -v[128:129]
	v_fma_f64 v[3:4], v[3:4], v[132:133], v[134:135]
	buffer_store_dword v2, off, s[0:3], 0 offset:292
	buffer_store_dword v1, off, s[0:3], 0 offset:288
	;; [unrolled: 1-line block ×4, first 2 shown]
.LBB123_615:
	s_or_b32 exec_lo, exec_lo, s4
	v_mov_b32_e32 v4, s49
	s_mov_b32 s4, exec_lo
	s_clause 0x3
	buffer_load_dword v1, v4, s[0:3], 0 offen
	buffer_load_dword v2, v4, s[0:3], 0 offen offset:4
	buffer_load_dword v3, v4, s[0:3], 0 offen offset:8
	;; [unrolled: 1-line block ×3, first 2 shown]
	s_waitcnt vmcnt(0)
	ds_write_b128 v126, v[1:4]
	s_waitcnt lgkmcnt(0)
	s_waitcnt_vscnt null, 0x0
	s_barrier
	buffer_gl0_inv
	v_cmpx_gt_u32_e32 19, v0
	s_cbranch_execz .LBB123_623
; %bb.616:
	ds_read_b128 v[1:4], v126
	v_cmp_ne_u32_e32 vcc_lo, 1, v127
	s_cbranch_vccnz .LBB123_618
; %bb.617:
	s_clause 0x3
	buffer_load_dword v128, v125, s[0:3], 0 offen offset:8
	buffer_load_dword v129, v125, s[0:3], 0 offen offset:12
	buffer_load_dword v132, v125, s[0:3], 0 offen
	buffer_load_dword v133, v125, s[0:3], 0 offen offset:4
	s_waitcnt vmcnt(2) lgkmcnt(0)
	v_mul_f64 v[134:135], v[3:4], v[128:129]
	v_mul_f64 v[128:129], v[1:2], v[128:129]
	s_waitcnt vmcnt(0)
	v_fma_f64 v[1:2], v[1:2], v[132:133], -v[134:135]
	v_fma_f64 v[3:4], v[3:4], v[132:133], v[128:129]
.LBB123_618:
	s_mov_b32 s6, exec_lo
	v_cmpx_ne_u32_e32 18, v0
	s_cbranch_execz .LBB123_622
; %bb.619:
	v_add_nc_u32_e32 v128, 0x3d0, v131
	v_add3_u32 v129, 0, v131, 16
	v_mov_b32_e32 v130, v0
	s_mov_b32 s8, 0
	.p2align	6
.LBB123_620:                            ; =>This Inner Loop Header: Depth=1
	s_clause 0x3
	buffer_load_dword v136, v129, s[0:3], 0 offen offset:8
	buffer_load_dword v137, v129, s[0:3], 0 offen offset:12
	buffer_load_dword v138, v129, s[0:3], 0 offen
	buffer_load_dword v139, v129, s[0:3], 0 offen offset:4
	ds_read_b128 v[132:135], v128
	v_add_nc_u32_e32 v130, 1, v130
	v_add_nc_u32_e32 v128, 16, v128
	;; [unrolled: 1-line block ×3, first 2 shown]
	v_cmp_lt_u32_e32 vcc_lo, 17, v130
	s_or_b32 s8, vcc_lo, s8
	s_waitcnt vmcnt(2) lgkmcnt(0)
	v_mul_f64 v[140:141], v[134:135], v[136:137]
	v_mul_f64 v[136:137], v[132:133], v[136:137]
	s_waitcnt vmcnt(0)
	v_fma_f64 v[132:133], v[132:133], v[138:139], -v[140:141]
	v_fma_f64 v[134:135], v[134:135], v[138:139], v[136:137]
	v_add_f64 v[1:2], v[1:2], v[132:133]
	v_add_f64 v[3:4], v[3:4], v[134:135]
	s_andn2_b32 exec_lo, exec_lo, s8
	s_cbranch_execnz .LBB123_620
; %bb.621:
	s_or_b32 exec_lo, exec_lo, s8
.LBB123_622:
	s_or_b32 exec_lo, exec_lo, s6
	v_mov_b32_e32 v128, 0
	ds_read_b128 v[132:135], v128 offset:304
	s_waitcnt lgkmcnt(0)
	v_mul_f64 v[128:129], v[3:4], v[134:135]
	v_mul_f64 v[134:135], v[1:2], v[134:135]
	v_fma_f64 v[1:2], v[1:2], v[132:133], -v[128:129]
	v_fma_f64 v[3:4], v[3:4], v[132:133], v[134:135]
	buffer_store_dword v2, off, s[0:3], 0 offset:308
	buffer_store_dword v1, off, s[0:3], 0 offset:304
	;; [unrolled: 1-line block ×4, first 2 shown]
.LBB123_623:
	s_or_b32 exec_lo, exec_lo, s4
	v_mov_b32_e32 v4, s48
	s_mov_b32 s4, exec_lo
	s_clause 0x3
	buffer_load_dword v1, v4, s[0:3], 0 offen
	buffer_load_dword v2, v4, s[0:3], 0 offen offset:4
	buffer_load_dword v3, v4, s[0:3], 0 offen offset:8
	;; [unrolled: 1-line block ×3, first 2 shown]
	s_waitcnt vmcnt(0)
	ds_write_b128 v126, v[1:4]
	s_waitcnt lgkmcnt(0)
	s_waitcnt_vscnt null, 0x0
	s_barrier
	buffer_gl0_inv
	v_cmpx_gt_u32_e32 20, v0
	s_cbranch_execz .LBB123_631
; %bb.624:
	ds_read_b128 v[1:4], v126
	v_cmp_ne_u32_e32 vcc_lo, 1, v127
	s_cbranch_vccnz .LBB123_626
; %bb.625:
	s_clause 0x3
	buffer_load_dword v128, v125, s[0:3], 0 offen offset:8
	buffer_load_dword v129, v125, s[0:3], 0 offen offset:12
	buffer_load_dword v132, v125, s[0:3], 0 offen
	buffer_load_dword v133, v125, s[0:3], 0 offen offset:4
	s_waitcnt vmcnt(2) lgkmcnt(0)
	v_mul_f64 v[134:135], v[3:4], v[128:129]
	v_mul_f64 v[128:129], v[1:2], v[128:129]
	s_waitcnt vmcnt(0)
	v_fma_f64 v[1:2], v[1:2], v[132:133], -v[134:135]
	v_fma_f64 v[3:4], v[3:4], v[132:133], v[128:129]
.LBB123_626:
	s_mov_b32 s6, exec_lo
	v_cmpx_ne_u32_e32 19, v0
	s_cbranch_execz .LBB123_630
; %bb.627:
	v_add_nc_u32_e32 v128, 0x3d0, v131
	v_add3_u32 v129, 0, v131, 16
	v_mov_b32_e32 v130, v0
	s_mov_b32 s8, 0
	.p2align	6
.LBB123_628:                            ; =>This Inner Loop Header: Depth=1
	s_clause 0x3
	buffer_load_dword v136, v129, s[0:3], 0 offen offset:8
	buffer_load_dword v137, v129, s[0:3], 0 offen offset:12
	buffer_load_dword v138, v129, s[0:3], 0 offen
	buffer_load_dword v139, v129, s[0:3], 0 offen offset:4
	ds_read_b128 v[132:135], v128
	v_add_nc_u32_e32 v130, 1, v130
	v_add_nc_u32_e32 v128, 16, v128
	;; [unrolled: 1-line block ×3, first 2 shown]
	v_cmp_lt_u32_e32 vcc_lo, 18, v130
	s_or_b32 s8, vcc_lo, s8
	s_waitcnt vmcnt(2) lgkmcnt(0)
	v_mul_f64 v[140:141], v[134:135], v[136:137]
	v_mul_f64 v[136:137], v[132:133], v[136:137]
	s_waitcnt vmcnt(0)
	v_fma_f64 v[132:133], v[132:133], v[138:139], -v[140:141]
	v_fma_f64 v[134:135], v[134:135], v[138:139], v[136:137]
	v_add_f64 v[1:2], v[1:2], v[132:133]
	v_add_f64 v[3:4], v[3:4], v[134:135]
	s_andn2_b32 exec_lo, exec_lo, s8
	s_cbranch_execnz .LBB123_628
; %bb.629:
	s_or_b32 exec_lo, exec_lo, s8
.LBB123_630:
	s_or_b32 exec_lo, exec_lo, s6
	v_mov_b32_e32 v128, 0
	ds_read_b128 v[132:135], v128 offset:320
	s_waitcnt lgkmcnt(0)
	v_mul_f64 v[128:129], v[3:4], v[134:135]
	v_mul_f64 v[134:135], v[1:2], v[134:135]
	v_fma_f64 v[1:2], v[1:2], v[132:133], -v[128:129]
	v_fma_f64 v[3:4], v[3:4], v[132:133], v[134:135]
	buffer_store_dword v2, off, s[0:3], 0 offset:324
	buffer_store_dword v1, off, s[0:3], 0 offset:320
	;; [unrolled: 1-line block ×4, first 2 shown]
.LBB123_631:
	s_or_b32 exec_lo, exec_lo, s4
	v_mov_b32_e32 v4, s47
	s_mov_b32 s4, exec_lo
	s_clause 0x3
	buffer_load_dword v1, v4, s[0:3], 0 offen
	buffer_load_dword v2, v4, s[0:3], 0 offen offset:4
	buffer_load_dword v3, v4, s[0:3], 0 offen offset:8
	;; [unrolled: 1-line block ×3, first 2 shown]
	s_waitcnt vmcnt(0)
	ds_write_b128 v126, v[1:4]
	s_waitcnt lgkmcnt(0)
	s_waitcnt_vscnt null, 0x0
	s_barrier
	buffer_gl0_inv
	v_cmpx_gt_u32_e32 21, v0
	s_cbranch_execz .LBB123_639
; %bb.632:
	ds_read_b128 v[1:4], v126
	v_cmp_ne_u32_e32 vcc_lo, 1, v127
	s_cbranch_vccnz .LBB123_634
; %bb.633:
	s_clause 0x3
	buffer_load_dword v128, v125, s[0:3], 0 offen offset:8
	buffer_load_dword v129, v125, s[0:3], 0 offen offset:12
	buffer_load_dword v132, v125, s[0:3], 0 offen
	buffer_load_dword v133, v125, s[0:3], 0 offen offset:4
	s_waitcnt vmcnt(2) lgkmcnt(0)
	v_mul_f64 v[134:135], v[3:4], v[128:129]
	v_mul_f64 v[128:129], v[1:2], v[128:129]
	s_waitcnt vmcnt(0)
	v_fma_f64 v[1:2], v[1:2], v[132:133], -v[134:135]
	v_fma_f64 v[3:4], v[3:4], v[132:133], v[128:129]
.LBB123_634:
	s_mov_b32 s6, exec_lo
	v_cmpx_ne_u32_e32 20, v0
	s_cbranch_execz .LBB123_638
; %bb.635:
	v_add_nc_u32_e32 v128, 0x3d0, v131
	v_add3_u32 v129, 0, v131, 16
	v_mov_b32_e32 v130, v0
	s_mov_b32 s8, 0
	.p2align	6
.LBB123_636:                            ; =>This Inner Loop Header: Depth=1
	s_clause 0x3
	buffer_load_dword v136, v129, s[0:3], 0 offen offset:8
	buffer_load_dword v137, v129, s[0:3], 0 offen offset:12
	buffer_load_dword v138, v129, s[0:3], 0 offen
	buffer_load_dword v139, v129, s[0:3], 0 offen offset:4
	ds_read_b128 v[132:135], v128
	v_add_nc_u32_e32 v130, 1, v130
	v_add_nc_u32_e32 v128, 16, v128
	;; [unrolled: 1-line block ×3, first 2 shown]
	v_cmp_lt_u32_e32 vcc_lo, 19, v130
	s_or_b32 s8, vcc_lo, s8
	s_waitcnt vmcnt(2) lgkmcnt(0)
	v_mul_f64 v[140:141], v[134:135], v[136:137]
	v_mul_f64 v[136:137], v[132:133], v[136:137]
	s_waitcnt vmcnt(0)
	v_fma_f64 v[132:133], v[132:133], v[138:139], -v[140:141]
	v_fma_f64 v[134:135], v[134:135], v[138:139], v[136:137]
	v_add_f64 v[1:2], v[1:2], v[132:133]
	v_add_f64 v[3:4], v[3:4], v[134:135]
	s_andn2_b32 exec_lo, exec_lo, s8
	s_cbranch_execnz .LBB123_636
; %bb.637:
	s_or_b32 exec_lo, exec_lo, s8
.LBB123_638:
	s_or_b32 exec_lo, exec_lo, s6
	v_mov_b32_e32 v128, 0
	ds_read_b128 v[132:135], v128 offset:336
	s_waitcnt lgkmcnt(0)
	v_mul_f64 v[128:129], v[3:4], v[134:135]
	v_mul_f64 v[134:135], v[1:2], v[134:135]
	v_fma_f64 v[1:2], v[1:2], v[132:133], -v[128:129]
	v_fma_f64 v[3:4], v[3:4], v[132:133], v[134:135]
	buffer_store_dword v2, off, s[0:3], 0 offset:340
	buffer_store_dword v1, off, s[0:3], 0 offset:336
	;; [unrolled: 1-line block ×4, first 2 shown]
.LBB123_639:
	s_or_b32 exec_lo, exec_lo, s4
	v_mov_b32_e32 v4, s46
	s_mov_b32 s4, exec_lo
	s_clause 0x3
	buffer_load_dword v1, v4, s[0:3], 0 offen
	buffer_load_dword v2, v4, s[0:3], 0 offen offset:4
	buffer_load_dword v3, v4, s[0:3], 0 offen offset:8
	;; [unrolled: 1-line block ×3, first 2 shown]
	s_waitcnt vmcnt(0)
	ds_write_b128 v126, v[1:4]
	s_waitcnt lgkmcnt(0)
	s_waitcnt_vscnt null, 0x0
	s_barrier
	buffer_gl0_inv
	v_cmpx_gt_u32_e32 22, v0
	s_cbranch_execz .LBB123_647
; %bb.640:
	ds_read_b128 v[1:4], v126
	v_cmp_ne_u32_e32 vcc_lo, 1, v127
	s_cbranch_vccnz .LBB123_642
; %bb.641:
	s_clause 0x3
	buffer_load_dword v128, v125, s[0:3], 0 offen offset:8
	buffer_load_dword v129, v125, s[0:3], 0 offen offset:12
	buffer_load_dword v132, v125, s[0:3], 0 offen
	buffer_load_dword v133, v125, s[0:3], 0 offen offset:4
	s_waitcnt vmcnt(2) lgkmcnt(0)
	v_mul_f64 v[134:135], v[3:4], v[128:129]
	v_mul_f64 v[128:129], v[1:2], v[128:129]
	s_waitcnt vmcnt(0)
	v_fma_f64 v[1:2], v[1:2], v[132:133], -v[134:135]
	v_fma_f64 v[3:4], v[3:4], v[132:133], v[128:129]
.LBB123_642:
	s_mov_b32 s6, exec_lo
	v_cmpx_ne_u32_e32 21, v0
	s_cbranch_execz .LBB123_646
; %bb.643:
	v_add_nc_u32_e32 v128, 0x3d0, v131
	v_add3_u32 v129, 0, v131, 16
	v_mov_b32_e32 v130, v0
	s_mov_b32 s8, 0
	.p2align	6
.LBB123_644:                            ; =>This Inner Loop Header: Depth=1
	s_clause 0x3
	buffer_load_dword v136, v129, s[0:3], 0 offen offset:8
	buffer_load_dword v137, v129, s[0:3], 0 offen offset:12
	buffer_load_dword v138, v129, s[0:3], 0 offen
	buffer_load_dword v139, v129, s[0:3], 0 offen offset:4
	ds_read_b128 v[132:135], v128
	v_add_nc_u32_e32 v130, 1, v130
	v_add_nc_u32_e32 v128, 16, v128
	;; [unrolled: 1-line block ×3, first 2 shown]
	v_cmp_lt_u32_e32 vcc_lo, 20, v130
	s_or_b32 s8, vcc_lo, s8
	s_waitcnt vmcnt(2) lgkmcnt(0)
	v_mul_f64 v[140:141], v[134:135], v[136:137]
	v_mul_f64 v[136:137], v[132:133], v[136:137]
	s_waitcnt vmcnt(0)
	v_fma_f64 v[132:133], v[132:133], v[138:139], -v[140:141]
	v_fma_f64 v[134:135], v[134:135], v[138:139], v[136:137]
	v_add_f64 v[1:2], v[1:2], v[132:133]
	v_add_f64 v[3:4], v[3:4], v[134:135]
	s_andn2_b32 exec_lo, exec_lo, s8
	s_cbranch_execnz .LBB123_644
; %bb.645:
	s_or_b32 exec_lo, exec_lo, s8
.LBB123_646:
	s_or_b32 exec_lo, exec_lo, s6
	v_mov_b32_e32 v128, 0
	ds_read_b128 v[132:135], v128 offset:352
	s_waitcnt lgkmcnt(0)
	v_mul_f64 v[128:129], v[3:4], v[134:135]
	v_mul_f64 v[134:135], v[1:2], v[134:135]
	v_fma_f64 v[1:2], v[1:2], v[132:133], -v[128:129]
	v_fma_f64 v[3:4], v[3:4], v[132:133], v[134:135]
	buffer_store_dword v2, off, s[0:3], 0 offset:356
	buffer_store_dword v1, off, s[0:3], 0 offset:352
	;; [unrolled: 1-line block ×4, first 2 shown]
.LBB123_647:
	s_or_b32 exec_lo, exec_lo, s4
	v_mov_b32_e32 v4, s45
	s_mov_b32 s4, exec_lo
	s_clause 0x3
	buffer_load_dword v1, v4, s[0:3], 0 offen
	buffer_load_dword v2, v4, s[0:3], 0 offen offset:4
	buffer_load_dword v3, v4, s[0:3], 0 offen offset:8
	;; [unrolled: 1-line block ×3, first 2 shown]
	s_waitcnt vmcnt(0)
	ds_write_b128 v126, v[1:4]
	s_waitcnt lgkmcnt(0)
	s_waitcnt_vscnt null, 0x0
	s_barrier
	buffer_gl0_inv
	v_cmpx_gt_u32_e32 23, v0
	s_cbranch_execz .LBB123_655
; %bb.648:
	ds_read_b128 v[1:4], v126
	v_cmp_ne_u32_e32 vcc_lo, 1, v127
	s_cbranch_vccnz .LBB123_650
; %bb.649:
	s_clause 0x3
	buffer_load_dword v128, v125, s[0:3], 0 offen offset:8
	buffer_load_dword v129, v125, s[0:3], 0 offen offset:12
	buffer_load_dword v132, v125, s[0:3], 0 offen
	buffer_load_dword v133, v125, s[0:3], 0 offen offset:4
	s_waitcnt vmcnt(2) lgkmcnt(0)
	v_mul_f64 v[134:135], v[3:4], v[128:129]
	v_mul_f64 v[128:129], v[1:2], v[128:129]
	s_waitcnt vmcnt(0)
	v_fma_f64 v[1:2], v[1:2], v[132:133], -v[134:135]
	v_fma_f64 v[3:4], v[3:4], v[132:133], v[128:129]
.LBB123_650:
	s_mov_b32 s6, exec_lo
	v_cmpx_ne_u32_e32 22, v0
	s_cbranch_execz .LBB123_654
; %bb.651:
	v_add_nc_u32_e32 v128, 0x3d0, v131
	v_add3_u32 v129, 0, v131, 16
	v_mov_b32_e32 v130, v0
	s_mov_b32 s8, 0
	.p2align	6
.LBB123_652:                            ; =>This Inner Loop Header: Depth=1
	s_clause 0x3
	buffer_load_dword v136, v129, s[0:3], 0 offen offset:8
	buffer_load_dword v137, v129, s[0:3], 0 offen offset:12
	buffer_load_dword v138, v129, s[0:3], 0 offen
	buffer_load_dword v139, v129, s[0:3], 0 offen offset:4
	ds_read_b128 v[132:135], v128
	v_add_nc_u32_e32 v130, 1, v130
	v_add_nc_u32_e32 v128, 16, v128
	;; [unrolled: 1-line block ×3, first 2 shown]
	v_cmp_lt_u32_e32 vcc_lo, 21, v130
	s_or_b32 s8, vcc_lo, s8
	s_waitcnt vmcnt(2) lgkmcnt(0)
	v_mul_f64 v[140:141], v[134:135], v[136:137]
	v_mul_f64 v[136:137], v[132:133], v[136:137]
	s_waitcnt vmcnt(0)
	v_fma_f64 v[132:133], v[132:133], v[138:139], -v[140:141]
	v_fma_f64 v[134:135], v[134:135], v[138:139], v[136:137]
	v_add_f64 v[1:2], v[1:2], v[132:133]
	v_add_f64 v[3:4], v[3:4], v[134:135]
	s_andn2_b32 exec_lo, exec_lo, s8
	s_cbranch_execnz .LBB123_652
; %bb.653:
	s_or_b32 exec_lo, exec_lo, s8
.LBB123_654:
	s_or_b32 exec_lo, exec_lo, s6
	v_mov_b32_e32 v128, 0
	ds_read_b128 v[132:135], v128 offset:368
	s_waitcnt lgkmcnt(0)
	v_mul_f64 v[128:129], v[3:4], v[134:135]
	v_mul_f64 v[134:135], v[1:2], v[134:135]
	v_fma_f64 v[1:2], v[1:2], v[132:133], -v[128:129]
	v_fma_f64 v[3:4], v[3:4], v[132:133], v[134:135]
	buffer_store_dword v2, off, s[0:3], 0 offset:372
	buffer_store_dword v1, off, s[0:3], 0 offset:368
	;; [unrolled: 1-line block ×4, first 2 shown]
.LBB123_655:
	s_or_b32 exec_lo, exec_lo, s4
	v_mov_b32_e32 v4, s44
	s_mov_b32 s4, exec_lo
	s_clause 0x3
	buffer_load_dword v1, v4, s[0:3], 0 offen
	buffer_load_dword v2, v4, s[0:3], 0 offen offset:4
	buffer_load_dword v3, v4, s[0:3], 0 offen offset:8
	;; [unrolled: 1-line block ×3, first 2 shown]
	s_waitcnt vmcnt(0)
	ds_write_b128 v126, v[1:4]
	s_waitcnt lgkmcnt(0)
	s_waitcnt_vscnt null, 0x0
	s_barrier
	buffer_gl0_inv
	v_cmpx_gt_u32_e32 24, v0
	s_cbranch_execz .LBB123_663
; %bb.656:
	ds_read_b128 v[1:4], v126
	v_cmp_ne_u32_e32 vcc_lo, 1, v127
	s_cbranch_vccnz .LBB123_658
; %bb.657:
	s_clause 0x3
	buffer_load_dword v128, v125, s[0:3], 0 offen offset:8
	buffer_load_dword v129, v125, s[0:3], 0 offen offset:12
	buffer_load_dword v132, v125, s[0:3], 0 offen
	buffer_load_dword v133, v125, s[0:3], 0 offen offset:4
	s_waitcnt vmcnt(2) lgkmcnt(0)
	v_mul_f64 v[134:135], v[3:4], v[128:129]
	v_mul_f64 v[128:129], v[1:2], v[128:129]
	s_waitcnt vmcnt(0)
	v_fma_f64 v[1:2], v[1:2], v[132:133], -v[134:135]
	v_fma_f64 v[3:4], v[3:4], v[132:133], v[128:129]
.LBB123_658:
	s_mov_b32 s6, exec_lo
	v_cmpx_ne_u32_e32 23, v0
	s_cbranch_execz .LBB123_662
; %bb.659:
	v_add_nc_u32_e32 v128, 0x3d0, v131
	v_add3_u32 v129, 0, v131, 16
	v_mov_b32_e32 v130, v0
	s_mov_b32 s8, 0
	.p2align	6
.LBB123_660:                            ; =>This Inner Loop Header: Depth=1
	s_clause 0x3
	buffer_load_dword v136, v129, s[0:3], 0 offen offset:8
	buffer_load_dword v137, v129, s[0:3], 0 offen offset:12
	buffer_load_dword v138, v129, s[0:3], 0 offen
	buffer_load_dword v139, v129, s[0:3], 0 offen offset:4
	ds_read_b128 v[132:135], v128
	v_add_nc_u32_e32 v130, 1, v130
	v_add_nc_u32_e32 v128, 16, v128
	;; [unrolled: 1-line block ×3, first 2 shown]
	v_cmp_lt_u32_e32 vcc_lo, 22, v130
	s_or_b32 s8, vcc_lo, s8
	s_waitcnt vmcnt(2) lgkmcnt(0)
	v_mul_f64 v[140:141], v[134:135], v[136:137]
	v_mul_f64 v[136:137], v[132:133], v[136:137]
	s_waitcnt vmcnt(0)
	v_fma_f64 v[132:133], v[132:133], v[138:139], -v[140:141]
	v_fma_f64 v[134:135], v[134:135], v[138:139], v[136:137]
	v_add_f64 v[1:2], v[1:2], v[132:133]
	v_add_f64 v[3:4], v[3:4], v[134:135]
	s_andn2_b32 exec_lo, exec_lo, s8
	s_cbranch_execnz .LBB123_660
; %bb.661:
	s_or_b32 exec_lo, exec_lo, s8
.LBB123_662:
	s_or_b32 exec_lo, exec_lo, s6
	v_mov_b32_e32 v128, 0
	ds_read_b128 v[132:135], v128 offset:384
	s_waitcnt lgkmcnt(0)
	v_mul_f64 v[128:129], v[3:4], v[134:135]
	v_mul_f64 v[134:135], v[1:2], v[134:135]
	v_fma_f64 v[1:2], v[1:2], v[132:133], -v[128:129]
	v_fma_f64 v[3:4], v[3:4], v[132:133], v[134:135]
	buffer_store_dword v2, off, s[0:3], 0 offset:388
	buffer_store_dword v1, off, s[0:3], 0 offset:384
	;; [unrolled: 1-line block ×4, first 2 shown]
.LBB123_663:
	s_or_b32 exec_lo, exec_lo, s4
	v_mov_b32_e32 v4, s43
	s_mov_b32 s4, exec_lo
	s_clause 0x3
	buffer_load_dword v1, v4, s[0:3], 0 offen
	buffer_load_dword v2, v4, s[0:3], 0 offen offset:4
	buffer_load_dword v3, v4, s[0:3], 0 offen offset:8
	;; [unrolled: 1-line block ×3, first 2 shown]
	s_waitcnt vmcnt(0)
	ds_write_b128 v126, v[1:4]
	s_waitcnt lgkmcnt(0)
	s_waitcnt_vscnt null, 0x0
	s_barrier
	buffer_gl0_inv
	v_cmpx_gt_u32_e32 25, v0
	s_cbranch_execz .LBB123_671
; %bb.664:
	ds_read_b128 v[1:4], v126
	v_cmp_ne_u32_e32 vcc_lo, 1, v127
	s_cbranch_vccnz .LBB123_666
; %bb.665:
	s_clause 0x3
	buffer_load_dword v128, v125, s[0:3], 0 offen offset:8
	buffer_load_dword v129, v125, s[0:3], 0 offen offset:12
	buffer_load_dword v132, v125, s[0:3], 0 offen
	buffer_load_dword v133, v125, s[0:3], 0 offen offset:4
	s_waitcnt vmcnt(2) lgkmcnt(0)
	v_mul_f64 v[134:135], v[3:4], v[128:129]
	v_mul_f64 v[128:129], v[1:2], v[128:129]
	s_waitcnt vmcnt(0)
	v_fma_f64 v[1:2], v[1:2], v[132:133], -v[134:135]
	v_fma_f64 v[3:4], v[3:4], v[132:133], v[128:129]
.LBB123_666:
	s_mov_b32 s6, exec_lo
	v_cmpx_ne_u32_e32 24, v0
	s_cbranch_execz .LBB123_670
; %bb.667:
	v_add_nc_u32_e32 v128, 0x3d0, v131
	v_add3_u32 v129, 0, v131, 16
	v_mov_b32_e32 v130, v0
	s_mov_b32 s8, 0
	.p2align	6
.LBB123_668:                            ; =>This Inner Loop Header: Depth=1
	s_clause 0x3
	buffer_load_dword v136, v129, s[0:3], 0 offen offset:8
	buffer_load_dword v137, v129, s[0:3], 0 offen offset:12
	buffer_load_dword v138, v129, s[0:3], 0 offen
	buffer_load_dword v139, v129, s[0:3], 0 offen offset:4
	ds_read_b128 v[132:135], v128
	v_add_nc_u32_e32 v130, 1, v130
	v_add_nc_u32_e32 v128, 16, v128
	v_add_nc_u32_e32 v129, 16, v129
	v_cmp_lt_u32_e32 vcc_lo, 23, v130
	s_or_b32 s8, vcc_lo, s8
	s_waitcnt vmcnt(2) lgkmcnt(0)
	v_mul_f64 v[140:141], v[134:135], v[136:137]
	v_mul_f64 v[136:137], v[132:133], v[136:137]
	s_waitcnt vmcnt(0)
	v_fma_f64 v[132:133], v[132:133], v[138:139], -v[140:141]
	v_fma_f64 v[134:135], v[134:135], v[138:139], v[136:137]
	v_add_f64 v[1:2], v[1:2], v[132:133]
	v_add_f64 v[3:4], v[3:4], v[134:135]
	s_andn2_b32 exec_lo, exec_lo, s8
	s_cbranch_execnz .LBB123_668
; %bb.669:
	s_or_b32 exec_lo, exec_lo, s8
.LBB123_670:
	s_or_b32 exec_lo, exec_lo, s6
	v_mov_b32_e32 v128, 0
	ds_read_b128 v[132:135], v128 offset:400
	s_waitcnt lgkmcnt(0)
	v_mul_f64 v[128:129], v[3:4], v[134:135]
	v_mul_f64 v[134:135], v[1:2], v[134:135]
	v_fma_f64 v[1:2], v[1:2], v[132:133], -v[128:129]
	v_fma_f64 v[3:4], v[3:4], v[132:133], v[134:135]
	buffer_store_dword v2, off, s[0:3], 0 offset:404
	buffer_store_dword v1, off, s[0:3], 0 offset:400
	;; [unrolled: 1-line block ×4, first 2 shown]
.LBB123_671:
	s_or_b32 exec_lo, exec_lo, s4
	v_mov_b32_e32 v4, s42
	s_mov_b32 s4, exec_lo
	s_clause 0x3
	buffer_load_dword v1, v4, s[0:3], 0 offen
	buffer_load_dword v2, v4, s[0:3], 0 offen offset:4
	buffer_load_dword v3, v4, s[0:3], 0 offen offset:8
	;; [unrolled: 1-line block ×3, first 2 shown]
	s_waitcnt vmcnt(0)
	ds_write_b128 v126, v[1:4]
	s_waitcnt lgkmcnt(0)
	s_waitcnt_vscnt null, 0x0
	s_barrier
	buffer_gl0_inv
	v_cmpx_gt_u32_e32 26, v0
	s_cbranch_execz .LBB123_679
; %bb.672:
	ds_read_b128 v[1:4], v126
	v_cmp_ne_u32_e32 vcc_lo, 1, v127
	s_cbranch_vccnz .LBB123_674
; %bb.673:
	s_clause 0x3
	buffer_load_dword v128, v125, s[0:3], 0 offen offset:8
	buffer_load_dword v129, v125, s[0:3], 0 offen offset:12
	buffer_load_dword v132, v125, s[0:3], 0 offen
	buffer_load_dword v133, v125, s[0:3], 0 offen offset:4
	s_waitcnt vmcnt(2) lgkmcnt(0)
	v_mul_f64 v[134:135], v[3:4], v[128:129]
	v_mul_f64 v[128:129], v[1:2], v[128:129]
	s_waitcnt vmcnt(0)
	v_fma_f64 v[1:2], v[1:2], v[132:133], -v[134:135]
	v_fma_f64 v[3:4], v[3:4], v[132:133], v[128:129]
.LBB123_674:
	s_mov_b32 s6, exec_lo
	v_cmpx_ne_u32_e32 25, v0
	s_cbranch_execz .LBB123_678
; %bb.675:
	v_add_nc_u32_e32 v128, 0x3d0, v131
	v_add3_u32 v129, 0, v131, 16
	v_mov_b32_e32 v130, v0
	s_mov_b32 s8, 0
	.p2align	6
.LBB123_676:                            ; =>This Inner Loop Header: Depth=1
	s_clause 0x3
	buffer_load_dword v136, v129, s[0:3], 0 offen offset:8
	buffer_load_dword v137, v129, s[0:3], 0 offen offset:12
	buffer_load_dword v138, v129, s[0:3], 0 offen
	buffer_load_dword v139, v129, s[0:3], 0 offen offset:4
	ds_read_b128 v[132:135], v128
	v_add_nc_u32_e32 v130, 1, v130
	v_add_nc_u32_e32 v128, 16, v128
	;; [unrolled: 1-line block ×3, first 2 shown]
	v_cmp_lt_u32_e32 vcc_lo, 24, v130
	s_or_b32 s8, vcc_lo, s8
	s_waitcnt vmcnt(2) lgkmcnt(0)
	v_mul_f64 v[140:141], v[134:135], v[136:137]
	v_mul_f64 v[136:137], v[132:133], v[136:137]
	s_waitcnt vmcnt(0)
	v_fma_f64 v[132:133], v[132:133], v[138:139], -v[140:141]
	v_fma_f64 v[134:135], v[134:135], v[138:139], v[136:137]
	v_add_f64 v[1:2], v[1:2], v[132:133]
	v_add_f64 v[3:4], v[3:4], v[134:135]
	s_andn2_b32 exec_lo, exec_lo, s8
	s_cbranch_execnz .LBB123_676
; %bb.677:
	s_or_b32 exec_lo, exec_lo, s8
.LBB123_678:
	s_or_b32 exec_lo, exec_lo, s6
	v_mov_b32_e32 v128, 0
	ds_read_b128 v[132:135], v128 offset:416
	s_waitcnt lgkmcnt(0)
	v_mul_f64 v[128:129], v[3:4], v[134:135]
	v_mul_f64 v[134:135], v[1:2], v[134:135]
	v_fma_f64 v[1:2], v[1:2], v[132:133], -v[128:129]
	v_fma_f64 v[3:4], v[3:4], v[132:133], v[134:135]
	buffer_store_dword v2, off, s[0:3], 0 offset:420
	buffer_store_dword v1, off, s[0:3], 0 offset:416
	;; [unrolled: 1-line block ×4, first 2 shown]
.LBB123_679:
	s_or_b32 exec_lo, exec_lo, s4
	v_mov_b32_e32 v4, s41
	s_mov_b32 s4, exec_lo
	s_clause 0x3
	buffer_load_dword v1, v4, s[0:3], 0 offen
	buffer_load_dword v2, v4, s[0:3], 0 offen offset:4
	buffer_load_dword v3, v4, s[0:3], 0 offen offset:8
	;; [unrolled: 1-line block ×3, first 2 shown]
	s_waitcnt vmcnt(0)
	ds_write_b128 v126, v[1:4]
	s_waitcnt lgkmcnt(0)
	s_waitcnt_vscnt null, 0x0
	s_barrier
	buffer_gl0_inv
	v_cmpx_gt_u32_e32 27, v0
	s_cbranch_execz .LBB123_687
; %bb.680:
	ds_read_b128 v[1:4], v126
	v_cmp_ne_u32_e32 vcc_lo, 1, v127
	s_cbranch_vccnz .LBB123_682
; %bb.681:
	s_clause 0x3
	buffer_load_dword v128, v125, s[0:3], 0 offen offset:8
	buffer_load_dword v129, v125, s[0:3], 0 offen offset:12
	buffer_load_dword v132, v125, s[0:3], 0 offen
	buffer_load_dword v133, v125, s[0:3], 0 offen offset:4
	s_waitcnt vmcnt(2) lgkmcnt(0)
	v_mul_f64 v[134:135], v[3:4], v[128:129]
	v_mul_f64 v[128:129], v[1:2], v[128:129]
	s_waitcnt vmcnt(0)
	v_fma_f64 v[1:2], v[1:2], v[132:133], -v[134:135]
	v_fma_f64 v[3:4], v[3:4], v[132:133], v[128:129]
.LBB123_682:
	s_mov_b32 s6, exec_lo
	v_cmpx_ne_u32_e32 26, v0
	s_cbranch_execz .LBB123_686
; %bb.683:
	v_add_nc_u32_e32 v128, 0x3d0, v131
	v_add3_u32 v129, 0, v131, 16
	v_mov_b32_e32 v130, v0
	s_mov_b32 s8, 0
	.p2align	6
.LBB123_684:                            ; =>This Inner Loop Header: Depth=1
	s_clause 0x3
	buffer_load_dword v136, v129, s[0:3], 0 offen offset:8
	buffer_load_dword v137, v129, s[0:3], 0 offen offset:12
	buffer_load_dword v138, v129, s[0:3], 0 offen
	buffer_load_dword v139, v129, s[0:3], 0 offen offset:4
	ds_read_b128 v[132:135], v128
	v_add_nc_u32_e32 v130, 1, v130
	v_add_nc_u32_e32 v128, 16, v128
	;; [unrolled: 1-line block ×3, first 2 shown]
	v_cmp_lt_u32_e32 vcc_lo, 25, v130
	s_or_b32 s8, vcc_lo, s8
	s_waitcnt vmcnt(2) lgkmcnt(0)
	v_mul_f64 v[140:141], v[134:135], v[136:137]
	v_mul_f64 v[136:137], v[132:133], v[136:137]
	s_waitcnt vmcnt(0)
	v_fma_f64 v[132:133], v[132:133], v[138:139], -v[140:141]
	v_fma_f64 v[134:135], v[134:135], v[138:139], v[136:137]
	v_add_f64 v[1:2], v[1:2], v[132:133]
	v_add_f64 v[3:4], v[3:4], v[134:135]
	s_andn2_b32 exec_lo, exec_lo, s8
	s_cbranch_execnz .LBB123_684
; %bb.685:
	s_or_b32 exec_lo, exec_lo, s8
.LBB123_686:
	s_or_b32 exec_lo, exec_lo, s6
	v_mov_b32_e32 v128, 0
	ds_read_b128 v[132:135], v128 offset:432
	s_waitcnt lgkmcnt(0)
	v_mul_f64 v[128:129], v[3:4], v[134:135]
	v_mul_f64 v[134:135], v[1:2], v[134:135]
	v_fma_f64 v[1:2], v[1:2], v[132:133], -v[128:129]
	v_fma_f64 v[3:4], v[3:4], v[132:133], v[134:135]
	buffer_store_dword v2, off, s[0:3], 0 offset:436
	buffer_store_dword v1, off, s[0:3], 0 offset:432
	;; [unrolled: 1-line block ×4, first 2 shown]
.LBB123_687:
	s_or_b32 exec_lo, exec_lo, s4
	v_mov_b32_e32 v4, s40
	s_mov_b32 s4, exec_lo
	s_clause 0x3
	buffer_load_dword v1, v4, s[0:3], 0 offen
	buffer_load_dword v2, v4, s[0:3], 0 offen offset:4
	buffer_load_dword v3, v4, s[0:3], 0 offen offset:8
	;; [unrolled: 1-line block ×3, first 2 shown]
	s_waitcnt vmcnt(0)
	ds_write_b128 v126, v[1:4]
	s_waitcnt lgkmcnt(0)
	s_waitcnt_vscnt null, 0x0
	s_barrier
	buffer_gl0_inv
	v_cmpx_gt_u32_e32 28, v0
	s_cbranch_execz .LBB123_695
; %bb.688:
	ds_read_b128 v[1:4], v126
	v_cmp_ne_u32_e32 vcc_lo, 1, v127
	s_cbranch_vccnz .LBB123_690
; %bb.689:
	s_clause 0x3
	buffer_load_dword v128, v125, s[0:3], 0 offen offset:8
	buffer_load_dword v129, v125, s[0:3], 0 offen offset:12
	buffer_load_dword v132, v125, s[0:3], 0 offen
	buffer_load_dword v133, v125, s[0:3], 0 offen offset:4
	s_waitcnt vmcnt(2) lgkmcnt(0)
	v_mul_f64 v[134:135], v[3:4], v[128:129]
	v_mul_f64 v[128:129], v[1:2], v[128:129]
	s_waitcnt vmcnt(0)
	v_fma_f64 v[1:2], v[1:2], v[132:133], -v[134:135]
	v_fma_f64 v[3:4], v[3:4], v[132:133], v[128:129]
.LBB123_690:
	s_mov_b32 s6, exec_lo
	v_cmpx_ne_u32_e32 27, v0
	s_cbranch_execz .LBB123_694
; %bb.691:
	v_add_nc_u32_e32 v128, 0x3d0, v131
	v_add3_u32 v129, 0, v131, 16
	v_mov_b32_e32 v130, v0
	s_mov_b32 s8, 0
	.p2align	6
.LBB123_692:                            ; =>This Inner Loop Header: Depth=1
	s_clause 0x3
	buffer_load_dword v136, v129, s[0:3], 0 offen offset:8
	buffer_load_dword v137, v129, s[0:3], 0 offen offset:12
	buffer_load_dword v138, v129, s[0:3], 0 offen
	buffer_load_dword v139, v129, s[0:3], 0 offen offset:4
	ds_read_b128 v[132:135], v128
	v_add_nc_u32_e32 v130, 1, v130
	v_add_nc_u32_e32 v128, 16, v128
	;; [unrolled: 1-line block ×3, first 2 shown]
	v_cmp_lt_u32_e32 vcc_lo, 26, v130
	s_or_b32 s8, vcc_lo, s8
	s_waitcnt vmcnt(2) lgkmcnt(0)
	v_mul_f64 v[140:141], v[134:135], v[136:137]
	v_mul_f64 v[136:137], v[132:133], v[136:137]
	s_waitcnt vmcnt(0)
	v_fma_f64 v[132:133], v[132:133], v[138:139], -v[140:141]
	v_fma_f64 v[134:135], v[134:135], v[138:139], v[136:137]
	v_add_f64 v[1:2], v[1:2], v[132:133]
	v_add_f64 v[3:4], v[3:4], v[134:135]
	s_andn2_b32 exec_lo, exec_lo, s8
	s_cbranch_execnz .LBB123_692
; %bb.693:
	s_or_b32 exec_lo, exec_lo, s8
.LBB123_694:
	s_or_b32 exec_lo, exec_lo, s6
	v_mov_b32_e32 v128, 0
	ds_read_b128 v[132:135], v128 offset:448
	s_waitcnt lgkmcnt(0)
	v_mul_f64 v[128:129], v[3:4], v[134:135]
	v_mul_f64 v[134:135], v[1:2], v[134:135]
	v_fma_f64 v[1:2], v[1:2], v[132:133], -v[128:129]
	v_fma_f64 v[3:4], v[3:4], v[132:133], v[134:135]
	buffer_store_dword v2, off, s[0:3], 0 offset:452
	buffer_store_dword v1, off, s[0:3], 0 offset:448
	;; [unrolled: 1-line block ×4, first 2 shown]
.LBB123_695:
	s_or_b32 exec_lo, exec_lo, s4
	v_mov_b32_e32 v4, s39
	s_mov_b32 s4, exec_lo
	s_clause 0x3
	buffer_load_dword v1, v4, s[0:3], 0 offen
	buffer_load_dword v2, v4, s[0:3], 0 offen offset:4
	buffer_load_dword v3, v4, s[0:3], 0 offen offset:8
	;; [unrolled: 1-line block ×3, first 2 shown]
	s_waitcnt vmcnt(0)
	ds_write_b128 v126, v[1:4]
	s_waitcnt lgkmcnt(0)
	s_waitcnt_vscnt null, 0x0
	s_barrier
	buffer_gl0_inv
	v_cmpx_gt_u32_e32 29, v0
	s_cbranch_execz .LBB123_703
; %bb.696:
	ds_read_b128 v[1:4], v126
	v_cmp_ne_u32_e32 vcc_lo, 1, v127
	s_cbranch_vccnz .LBB123_698
; %bb.697:
	s_clause 0x3
	buffer_load_dword v128, v125, s[0:3], 0 offen offset:8
	buffer_load_dword v129, v125, s[0:3], 0 offen offset:12
	buffer_load_dword v132, v125, s[0:3], 0 offen
	buffer_load_dword v133, v125, s[0:3], 0 offen offset:4
	s_waitcnt vmcnt(2) lgkmcnt(0)
	v_mul_f64 v[134:135], v[3:4], v[128:129]
	v_mul_f64 v[128:129], v[1:2], v[128:129]
	s_waitcnt vmcnt(0)
	v_fma_f64 v[1:2], v[1:2], v[132:133], -v[134:135]
	v_fma_f64 v[3:4], v[3:4], v[132:133], v[128:129]
.LBB123_698:
	s_mov_b32 s6, exec_lo
	v_cmpx_ne_u32_e32 28, v0
	s_cbranch_execz .LBB123_702
; %bb.699:
	v_add_nc_u32_e32 v128, 0x3d0, v131
	v_add3_u32 v129, 0, v131, 16
	v_mov_b32_e32 v130, v0
	s_mov_b32 s8, 0
	.p2align	6
.LBB123_700:                            ; =>This Inner Loop Header: Depth=1
	s_clause 0x3
	buffer_load_dword v136, v129, s[0:3], 0 offen offset:8
	buffer_load_dword v137, v129, s[0:3], 0 offen offset:12
	buffer_load_dword v138, v129, s[0:3], 0 offen
	buffer_load_dword v139, v129, s[0:3], 0 offen offset:4
	ds_read_b128 v[132:135], v128
	v_add_nc_u32_e32 v130, 1, v130
	v_add_nc_u32_e32 v128, 16, v128
	;; [unrolled: 1-line block ×3, first 2 shown]
	v_cmp_lt_u32_e32 vcc_lo, 27, v130
	s_or_b32 s8, vcc_lo, s8
	s_waitcnt vmcnt(2) lgkmcnt(0)
	v_mul_f64 v[140:141], v[134:135], v[136:137]
	v_mul_f64 v[136:137], v[132:133], v[136:137]
	s_waitcnt vmcnt(0)
	v_fma_f64 v[132:133], v[132:133], v[138:139], -v[140:141]
	v_fma_f64 v[134:135], v[134:135], v[138:139], v[136:137]
	v_add_f64 v[1:2], v[1:2], v[132:133]
	v_add_f64 v[3:4], v[3:4], v[134:135]
	s_andn2_b32 exec_lo, exec_lo, s8
	s_cbranch_execnz .LBB123_700
; %bb.701:
	s_or_b32 exec_lo, exec_lo, s8
.LBB123_702:
	s_or_b32 exec_lo, exec_lo, s6
	v_mov_b32_e32 v128, 0
	ds_read_b128 v[132:135], v128 offset:464
	s_waitcnt lgkmcnt(0)
	v_mul_f64 v[128:129], v[3:4], v[134:135]
	v_mul_f64 v[134:135], v[1:2], v[134:135]
	v_fma_f64 v[1:2], v[1:2], v[132:133], -v[128:129]
	v_fma_f64 v[3:4], v[3:4], v[132:133], v[134:135]
	buffer_store_dword v2, off, s[0:3], 0 offset:468
	buffer_store_dword v1, off, s[0:3], 0 offset:464
	;; [unrolled: 1-line block ×4, first 2 shown]
.LBB123_703:
	s_or_b32 exec_lo, exec_lo, s4
	v_mov_b32_e32 v4, s38
	s_mov_b32 s4, exec_lo
	s_clause 0x3
	buffer_load_dword v1, v4, s[0:3], 0 offen
	buffer_load_dword v2, v4, s[0:3], 0 offen offset:4
	buffer_load_dword v3, v4, s[0:3], 0 offen offset:8
	;; [unrolled: 1-line block ×3, first 2 shown]
	s_waitcnt vmcnt(0)
	ds_write_b128 v126, v[1:4]
	s_waitcnt lgkmcnt(0)
	s_waitcnt_vscnt null, 0x0
	s_barrier
	buffer_gl0_inv
	v_cmpx_gt_u32_e32 30, v0
	s_cbranch_execz .LBB123_711
; %bb.704:
	ds_read_b128 v[1:4], v126
	v_cmp_ne_u32_e32 vcc_lo, 1, v127
	s_cbranch_vccnz .LBB123_706
; %bb.705:
	s_clause 0x3
	buffer_load_dword v128, v125, s[0:3], 0 offen offset:8
	buffer_load_dword v129, v125, s[0:3], 0 offen offset:12
	buffer_load_dword v132, v125, s[0:3], 0 offen
	buffer_load_dword v133, v125, s[0:3], 0 offen offset:4
	s_waitcnt vmcnt(2) lgkmcnt(0)
	v_mul_f64 v[134:135], v[3:4], v[128:129]
	v_mul_f64 v[128:129], v[1:2], v[128:129]
	s_waitcnt vmcnt(0)
	v_fma_f64 v[1:2], v[1:2], v[132:133], -v[134:135]
	v_fma_f64 v[3:4], v[3:4], v[132:133], v[128:129]
.LBB123_706:
	s_mov_b32 s6, exec_lo
	v_cmpx_ne_u32_e32 29, v0
	s_cbranch_execz .LBB123_710
; %bb.707:
	v_add_nc_u32_e32 v128, 0x3d0, v131
	v_add3_u32 v129, 0, v131, 16
	v_mov_b32_e32 v130, v0
	s_mov_b32 s8, 0
	.p2align	6
.LBB123_708:                            ; =>This Inner Loop Header: Depth=1
	s_clause 0x3
	buffer_load_dword v136, v129, s[0:3], 0 offen offset:8
	buffer_load_dword v137, v129, s[0:3], 0 offen offset:12
	buffer_load_dword v138, v129, s[0:3], 0 offen
	buffer_load_dword v139, v129, s[0:3], 0 offen offset:4
	ds_read_b128 v[132:135], v128
	v_add_nc_u32_e32 v130, 1, v130
	v_add_nc_u32_e32 v128, 16, v128
	;; [unrolled: 1-line block ×3, first 2 shown]
	v_cmp_lt_u32_e32 vcc_lo, 28, v130
	s_or_b32 s8, vcc_lo, s8
	s_waitcnt vmcnt(2) lgkmcnt(0)
	v_mul_f64 v[140:141], v[134:135], v[136:137]
	v_mul_f64 v[136:137], v[132:133], v[136:137]
	s_waitcnt vmcnt(0)
	v_fma_f64 v[132:133], v[132:133], v[138:139], -v[140:141]
	v_fma_f64 v[134:135], v[134:135], v[138:139], v[136:137]
	v_add_f64 v[1:2], v[1:2], v[132:133]
	v_add_f64 v[3:4], v[3:4], v[134:135]
	s_andn2_b32 exec_lo, exec_lo, s8
	s_cbranch_execnz .LBB123_708
; %bb.709:
	s_or_b32 exec_lo, exec_lo, s8
.LBB123_710:
	s_or_b32 exec_lo, exec_lo, s6
	v_mov_b32_e32 v128, 0
	ds_read_b128 v[132:135], v128 offset:480
	s_waitcnt lgkmcnt(0)
	v_mul_f64 v[128:129], v[3:4], v[134:135]
	v_mul_f64 v[134:135], v[1:2], v[134:135]
	v_fma_f64 v[1:2], v[1:2], v[132:133], -v[128:129]
	v_fma_f64 v[3:4], v[3:4], v[132:133], v[134:135]
	buffer_store_dword v2, off, s[0:3], 0 offset:484
	buffer_store_dword v1, off, s[0:3], 0 offset:480
	;; [unrolled: 1-line block ×4, first 2 shown]
.LBB123_711:
	s_or_b32 exec_lo, exec_lo, s4
	v_mov_b32_e32 v4, s37
	s_mov_b32 s4, exec_lo
	s_clause 0x3
	buffer_load_dword v1, v4, s[0:3], 0 offen
	buffer_load_dword v2, v4, s[0:3], 0 offen offset:4
	buffer_load_dword v3, v4, s[0:3], 0 offen offset:8
	;; [unrolled: 1-line block ×3, first 2 shown]
	s_waitcnt vmcnt(0)
	ds_write_b128 v126, v[1:4]
	s_waitcnt lgkmcnt(0)
	s_waitcnt_vscnt null, 0x0
	s_barrier
	buffer_gl0_inv
	v_cmpx_gt_u32_e32 31, v0
	s_cbranch_execz .LBB123_719
; %bb.712:
	ds_read_b128 v[1:4], v126
	v_cmp_ne_u32_e32 vcc_lo, 1, v127
	s_cbranch_vccnz .LBB123_714
; %bb.713:
	s_clause 0x3
	buffer_load_dword v128, v125, s[0:3], 0 offen offset:8
	buffer_load_dword v129, v125, s[0:3], 0 offen offset:12
	buffer_load_dword v132, v125, s[0:3], 0 offen
	buffer_load_dword v133, v125, s[0:3], 0 offen offset:4
	s_waitcnt vmcnt(2) lgkmcnt(0)
	v_mul_f64 v[134:135], v[3:4], v[128:129]
	v_mul_f64 v[128:129], v[1:2], v[128:129]
	s_waitcnt vmcnt(0)
	v_fma_f64 v[1:2], v[1:2], v[132:133], -v[134:135]
	v_fma_f64 v[3:4], v[3:4], v[132:133], v[128:129]
.LBB123_714:
	s_mov_b32 s6, exec_lo
	v_cmpx_ne_u32_e32 30, v0
	s_cbranch_execz .LBB123_718
; %bb.715:
	v_add_nc_u32_e32 v128, 0x3d0, v131
	v_add3_u32 v129, 0, v131, 16
	v_mov_b32_e32 v130, v0
	s_mov_b32 s8, 0
	.p2align	6
.LBB123_716:                            ; =>This Inner Loop Header: Depth=1
	s_clause 0x3
	buffer_load_dword v136, v129, s[0:3], 0 offen offset:8
	buffer_load_dword v137, v129, s[0:3], 0 offen offset:12
	buffer_load_dword v138, v129, s[0:3], 0 offen
	buffer_load_dword v139, v129, s[0:3], 0 offen offset:4
	ds_read_b128 v[132:135], v128
	v_add_nc_u32_e32 v130, 1, v130
	v_add_nc_u32_e32 v128, 16, v128
	;; [unrolled: 1-line block ×3, first 2 shown]
	v_cmp_lt_u32_e32 vcc_lo, 29, v130
	s_or_b32 s8, vcc_lo, s8
	s_waitcnt vmcnt(2) lgkmcnt(0)
	v_mul_f64 v[140:141], v[134:135], v[136:137]
	v_mul_f64 v[136:137], v[132:133], v[136:137]
	s_waitcnt vmcnt(0)
	v_fma_f64 v[132:133], v[132:133], v[138:139], -v[140:141]
	v_fma_f64 v[134:135], v[134:135], v[138:139], v[136:137]
	v_add_f64 v[1:2], v[1:2], v[132:133]
	v_add_f64 v[3:4], v[3:4], v[134:135]
	s_andn2_b32 exec_lo, exec_lo, s8
	s_cbranch_execnz .LBB123_716
; %bb.717:
	s_or_b32 exec_lo, exec_lo, s8
.LBB123_718:
	s_or_b32 exec_lo, exec_lo, s6
	v_mov_b32_e32 v128, 0
	ds_read_b128 v[132:135], v128 offset:496
	s_waitcnt lgkmcnt(0)
	v_mul_f64 v[128:129], v[3:4], v[134:135]
	v_mul_f64 v[134:135], v[1:2], v[134:135]
	v_fma_f64 v[1:2], v[1:2], v[132:133], -v[128:129]
	v_fma_f64 v[3:4], v[3:4], v[132:133], v[134:135]
	buffer_store_dword v2, off, s[0:3], 0 offset:500
	buffer_store_dword v1, off, s[0:3], 0 offset:496
	;; [unrolled: 1-line block ×4, first 2 shown]
.LBB123_719:
	s_or_b32 exec_lo, exec_lo, s4
	v_mov_b32_e32 v4, s36
	s_mov_b32 s4, exec_lo
	s_clause 0x3
	buffer_load_dword v1, v4, s[0:3], 0 offen
	buffer_load_dword v2, v4, s[0:3], 0 offen offset:4
	buffer_load_dword v3, v4, s[0:3], 0 offen offset:8
	;; [unrolled: 1-line block ×3, first 2 shown]
	s_waitcnt vmcnt(0)
	ds_write_b128 v126, v[1:4]
	s_waitcnt lgkmcnt(0)
	s_waitcnt_vscnt null, 0x0
	s_barrier
	buffer_gl0_inv
	v_cmpx_gt_u32_e32 32, v0
	s_cbranch_execz .LBB123_727
; %bb.720:
	ds_read_b128 v[1:4], v126
	v_cmp_ne_u32_e32 vcc_lo, 1, v127
	s_cbranch_vccnz .LBB123_722
; %bb.721:
	s_clause 0x3
	buffer_load_dword v128, v125, s[0:3], 0 offen offset:8
	buffer_load_dword v129, v125, s[0:3], 0 offen offset:12
	buffer_load_dword v132, v125, s[0:3], 0 offen
	buffer_load_dword v133, v125, s[0:3], 0 offen offset:4
	s_waitcnt vmcnt(2) lgkmcnt(0)
	v_mul_f64 v[134:135], v[3:4], v[128:129]
	v_mul_f64 v[128:129], v[1:2], v[128:129]
	s_waitcnt vmcnt(0)
	v_fma_f64 v[1:2], v[1:2], v[132:133], -v[134:135]
	v_fma_f64 v[3:4], v[3:4], v[132:133], v[128:129]
.LBB123_722:
	s_mov_b32 s6, exec_lo
	v_cmpx_ne_u32_e32 31, v0
	s_cbranch_execz .LBB123_726
; %bb.723:
	v_add_nc_u32_e32 v128, 0x3d0, v131
	v_add3_u32 v129, 0, v131, 16
	v_mov_b32_e32 v130, v0
	s_mov_b32 s8, 0
	.p2align	6
.LBB123_724:                            ; =>This Inner Loop Header: Depth=1
	s_clause 0x3
	buffer_load_dword v136, v129, s[0:3], 0 offen offset:8
	buffer_load_dword v137, v129, s[0:3], 0 offen offset:12
	buffer_load_dword v138, v129, s[0:3], 0 offen
	buffer_load_dword v139, v129, s[0:3], 0 offen offset:4
	ds_read_b128 v[132:135], v128
	v_add_nc_u32_e32 v130, 1, v130
	v_add_nc_u32_e32 v128, 16, v128
	;; [unrolled: 1-line block ×3, first 2 shown]
	v_cmp_lt_u32_e32 vcc_lo, 30, v130
	s_or_b32 s8, vcc_lo, s8
	s_waitcnt vmcnt(2) lgkmcnt(0)
	v_mul_f64 v[140:141], v[134:135], v[136:137]
	v_mul_f64 v[136:137], v[132:133], v[136:137]
	s_waitcnt vmcnt(0)
	v_fma_f64 v[132:133], v[132:133], v[138:139], -v[140:141]
	v_fma_f64 v[134:135], v[134:135], v[138:139], v[136:137]
	v_add_f64 v[1:2], v[1:2], v[132:133]
	v_add_f64 v[3:4], v[3:4], v[134:135]
	s_andn2_b32 exec_lo, exec_lo, s8
	s_cbranch_execnz .LBB123_724
; %bb.725:
	s_or_b32 exec_lo, exec_lo, s8
.LBB123_726:
	s_or_b32 exec_lo, exec_lo, s6
	v_mov_b32_e32 v128, 0
	ds_read_b128 v[132:135], v128 offset:512
	s_waitcnt lgkmcnt(0)
	v_mul_f64 v[128:129], v[3:4], v[134:135]
	v_mul_f64 v[134:135], v[1:2], v[134:135]
	v_fma_f64 v[1:2], v[1:2], v[132:133], -v[128:129]
	v_fma_f64 v[3:4], v[3:4], v[132:133], v[134:135]
	buffer_store_dword v2, off, s[0:3], 0 offset:516
	buffer_store_dword v1, off, s[0:3], 0 offset:512
	;; [unrolled: 1-line block ×4, first 2 shown]
.LBB123_727:
	s_or_b32 exec_lo, exec_lo, s4
	v_mov_b32_e32 v4, s35
	s_mov_b32 s4, exec_lo
	s_clause 0x3
	buffer_load_dword v1, v4, s[0:3], 0 offen
	buffer_load_dword v2, v4, s[0:3], 0 offen offset:4
	buffer_load_dword v3, v4, s[0:3], 0 offen offset:8
	;; [unrolled: 1-line block ×3, first 2 shown]
	s_waitcnt vmcnt(0)
	ds_write_b128 v126, v[1:4]
	s_waitcnt lgkmcnt(0)
	s_waitcnt_vscnt null, 0x0
	s_barrier
	buffer_gl0_inv
	v_cmpx_gt_u32_e32 33, v0
	s_cbranch_execz .LBB123_735
; %bb.728:
	ds_read_b128 v[1:4], v126
	v_cmp_ne_u32_e32 vcc_lo, 1, v127
	s_cbranch_vccnz .LBB123_730
; %bb.729:
	s_clause 0x3
	buffer_load_dword v128, v125, s[0:3], 0 offen offset:8
	buffer_load_dword v129, v125, s[0:3], 0 offen offset:12
	buffer_load_dword v132, v125, s[0:3], 0 offen
	buffer_load_dword v133, v125, s[0:3], 0 offen offset:4
	s_waitcnt vmcnt(2) lgkmcnt(0)
	v_mul_f64 v[134:135], v[3:4], v[128:129]
	v_mul_f64 v[128:129], v[1:2], v[128:129]
	s_waitcnt vmcnt(0)
	v_fma_f64 v[1:2], v[1:2], v[132:133], -v[134:135]
	v_fma_f64 v[3:4], v[3:4], v[132:133], v[128:129]
.LBB123_730:
	s_mov_b32 s6, exec_lo
	v_cmpx_ne_u32_e32 32, v0
	s_cbranch_execz .LBB123_734
; %bb.731:
	v_add_nc_u32_e32 v128, 0x3d0, v131
	v_add3_u32 v129, 0, v131, 16
	v_mov_b32_e32 v130, v0
	s_mov_b32 s8, 0
	.p2align	6
.LBB123_732:                            ; =>This Inner Loop Header: Depth=1
	s_clause 0x3
	buffer_load_dword v136, v129, s[0:3], 0 offen offset:8
	buffer_load_dword v137, v129, s[0:3], 0 offen offset:12
	buffer_load_dword v138, v129, s[0:3], 0 offen
	buffer_load_dword v139, v129, s[0:3], 0 offen offset:4
	ds_read_b128 v[132:135], v128
	v_add_nc_u32_e32 v130, 1, v130
	v_add_nc_u32_e32 v128, 16, v128
	;; [unrolled: 1-line block ×3, first 2 shown]
	v_cmp_lt_u32_e32 vcc_lo, 31, v130
	s_or_b32 s8, vcc_lo, s8
	s_waitcnt vmcnt(2) lgkmcnt(0)
	v_mul_f64 v[140:141], v[134:135], v[136:137]
	v_mul_f64 v[136:137], v[132:133], v[136:137]
	s_waitcnt vmcnt(0)
	v_fma_f64 v[132:133], v[132:133], v[138:139], -v[140:141]
	v_fma_f64 v[134:135], v[134:135], v[138:139], v[136:137]
	v_add_f64 v[1:2], v[1:2], v[132:133]
	v_add_f64 v[3:4], v[3:4], v[134:135]
	s_andn2_b32 exec_lo, exec_lo, s8
	s_cbranch_execnz .LBB123_732
; %bb.733:
	s_or_b32 exec_lo, exec_lo, s8
.LBB123_734:
	s_or_b32 exec_lo, exec_lo, s6
	v_mov_b32_e32 v128, 0
	ds_read_b128 v[132:135], v128 offset:528
	s_waitcnt lgkmcnt(0)
	v_mul_f64 v[128:129], v[3:4], v[134:135]
	v_mul_f64 v[134:135], v[1:2], v[134:135]
	v_fma_f64 v[1:2], v[1:2], v[132:133], -v[128:129]
	v_fma_f64 v[3:4], v[3:4], v[132:133], v[134:135]
	buffer_store_dword v2, off, s[0:3], 0 offset:532
	buffer_store_dword v1, off, s[0:3], 0 offset:528
	;; [unrolled: 1-line block ×4, first 2 shown]
.LBB123_735:
	s_or_b32 exec_lo, exec_lo, s4
	v_mov_b32_e32 v4, s34
	s_mov_b32 s4, exec_lo
	s_clause 0x3
	buffer_load_dword v1, v4, s[0:3], 0 offen
	buffer_load_dword v2, v4, s[0:3], 0 offen offset:4
	buffer_load_dword v3, v4, s[0:3], 0 offen offset:8
	buffer_load_dword v4, v4, s[0:3], 0 offen offset:12
	s_waitcnt vmcnt(0)
	ds_write_b128 v126, v[1:4]
	s_waitcnt lgkmcnt(0)
	s_waitcnt_vscnt null, 0x0
	s_barrier
	buffer_gl0_inv
	v_cmpx_gt_u32_e32 34, v0
	s_cbranch_execz .LBB123_743
; %bb.736:
	ds_read_b128 v[1:4], v126
	v_cmp_ne_u32_e32 vcc_lo, 1, v127
	s_cbranch_vccnz .LBB123_738
; %bb.737:
	s_clause 0x3
	buffer_load_dword v128, v125, s[0:3], 0 offen offset:8
	buffer_load_dword v129, v125, s[0:3], 0 offen offset:12
	buffer_load_dword v132, v125, s[0:3], 0 offen
	buffer_load_dword v133, v125, s[0:3], 0 offen offset:4
	s_waitcnt vmcnt(2) lgkmcnt(0)
	v_mul_f64 v[134:135], v[3:4], v[128:129]
	v_mul_f64 v[128:129], v[1:2], v[128:129]
	s_waitcnt vmcnt(0)
	v_fma_f64 v[1:2], v[1:2], v[132:133], -v[134:135]
	v_fma_f64 v[3:4], v[3:4], v[132:133], v[128:129]
.LBB123_738:
	s_mov_b32 s6, exec_lo
	v_cmpx_ne_u32_e32 33, v0
	s_cbranch_execz .LBB123_742
; %bb.739:
	v_add_nc_u32_e32 v128, 0x3d0, v131
	v_add3_u32 v129, 0, v131, 16
	v_mov_b32_e32 v130, v0
	s_mov_b32 s8, 0
	.p2align	6
.LBB123_740:                            ; =>This Inner Loop Header: Depth=1
	s_clause 0x3
	buffer_load_dword v136, v129, s[0:3], 0 offen offset:8
	buffer_load_dword v137, v129, s[0:3], 0 offen offset:12
	buffer_load_dword v138, v129, s[0:3], 0 offen
	buffer_load_dword v139, v129, s[0:3], 0 offen offset:4
	ds_read_b128 v[132:135], v128
	v_add_nc_u32_e32 v130, 1, v130
	v_add_nc_u32_e32 v128, 16, v128
	;; [unrolled: 1-line block ×3, first 2 shown]
	v_cmp_lt_u32_e32 vcc_lo, 32, v130
	s_or_b32 s8, vcc_lo, s8
	s_waitcnt vmcnt(2) lgkmcnt(0)
	v_mul_f64 v[140:141], v[134:135], v[136:137]
	v_mul_f64 v[136:137], v[132:133], v[136:137]
	s_waitcnt vmcnt(0)
	v_fma_f64 v[132:133], v[132:133], v[138:139], -v[140:141]
	v_fma_f64 v[134:135], v[134:135], v[138:139], v[136:137]
	v_add_f64 v[1:2], v[1:2], v[132:133]
	v_add_f64 v[3:4], v[3:4], v[134:135]
	s_andn2_b32 exec_lo, exec_lo, s8
	s_cbranch_execnz .LBB123_740
; %bb.741:
	s_or_b32 exec_lo, exec_lo, s8
.LBB123_742:
	s_or_b32 exec_lo, exec_lo, s6
	v_mov_b32_e32 v128, 0
	ds_read_b128 v[132:135], v128 offset:544
	s_waitcnt lgkmcnt(0)
	v_mul_f64 v[128:129], v[3:4], v[134:135]
	v_mul_f64 v[134:135], v[1:2], v[134:135]
	v_fma_f64 v[1:2], v[1:2], v[132:133], -v[128:129]
	v_fma_f64 v[3:4], v[3:4], v[132:133], v[134:135]
	buffer_store_dword v2, off, s[0:3], 0 offset:548
	buffer_store_dword v1, off, s[0:3], 0 offset:544
	;; [unrolled: 1-line block ×4, first 2 shown]
.LBB123_743:
	s_or_b32 exec_lo, exec_lo, s4
	v_mov_b32_e32 v4, s33
	s_mov_b32 s4, exec_lo
	s_clause 0x3
	buffer_load_dword v1, v4, s[0:3], 0 offen
	buffer_load_dword v2, v4, s[0:3], 0 offen offset:4
	buffer_load_dword v3, v4, s[0:3], 0 offen offset:8
	;; [unrolled: 1-line block ×3, first 2 shown]
	s_waitcnt vmcnt(0)
	ds_write_b128 v126, v[1:4]
	s_waitcnt lgkmcnt(0)
	s_waitcnt_vscnt null, 0x0
	s_barrier
	buffer_gl0_inv
	v_cmpx_gt_u32_e32 35, v0
	s_cbranch_execz .LBB123_751
; %bb.744:
	ds_read_b128 v[1:4], v126
	v_cmp_ne_u32_e32 vcc_lo, 1, v127
	s_cbranch_vccnz .LBB123_746
; %bb.745:
	s_clause 0x3
	buffer_load_dword v128, v125, s[0:3], 0 offen offset:8
	buffer_load_dword v129, v125, s[0:3], 0 offen offset:12
	buffer_load_dword v132, v125, s[0:3], 0 offen
	buffer_load_dword v133, v125, s[0:3], 0 offen offset:4
	s_waitcnt vmcnt(2) lgkmcnt(0)
	v_mul_f64 v[134:135], v[3:4], v[128:129]
	v_mul_f64 v[128:129], v[1:2], v[128:129]
	s_waitcnt vmcnt(0)
	v_fma_f64 v[1:2], v[1:2], v[132:133], -v[134:135]
	v_fma_f64 v[3:4], v[3:4], v[132:133], v[128:129]
.LBB123_746:
	s_mov_b32 s6, exec_lo
	v_cmpx_ne_u32_e32 34, v0
	s_cbranch_execz .LBB123_750
; %bb.747:
	v_add_nc_u32_e32 v128, 0x3d0, v131
	v_add3_u32 v129, 0, v131, 16
	v_mov_b32_e32 v130, v0
	s_mov_b32 s8, 0
	.p2align	6
.LBB123_748:                            ; =>This Inner Loop Header: Depth=1
	s_clause 0x3
	buffer_load_dword v136, v129, s[0:3], 0 offen offset:8
	buffer_load_dword v137, v129, s[0:3], 0 offen offset:12
	buffer_load_dword v138, v129, s[0:3], 0 offen
	buffer_load_dword v139, v129, s[0:3], 0 offen offset:4
	ds_read_b128 v[132:135], v128
	v_add_nc_u32_e32 v130, 1, v130
	v_add_nc_u32_e32 v128, 16, v128
	;; [unrolled: 1-line block ×3, first 2 shown]
	v_cmp_lt_u32_e32 vcc_lo, 33, v130
	s_or_b32 s8, vcc_lo, s8
	s_waitcnt vmcnt(2) lgkmcnt(0)
	v_mul_f64 v[140:141], v[134:135], v[136:137]
	v_mul_f64 v[136:137], v[132:133], v[136:137]
	s_waitcnt vmcnt(0)
	v_fma_f64 v[132:133], v[132:133], v[138:139], -v[140:141]
	v_fma_f64 v[134:135], v[134:135], v[138:139], v[136:137]
	v_add_f64 v[1:2], v[1:2], v[132:133]
	v_add_f64 v[3:4], v[3:4], v[134:135]
	s_andn2_b32 exec_lo, exec_lo, s8
	s_cbranch_execnz .LBB123_748
; %bb.749:
	s_or_b32 exec_lo, exec_lo, s8
.LBB123_750:
	s_or_b32 exec_lo, exec_lo, s6
	v_mov_b32_e32 v128, 0
	ds_read_b128 v[132:135], v128 offset:560
	s_waitcnt lgkmcnt(0)
	v_mul_f64 v[128:129], v[3:4], v[134:135]
	v_mul_f64 v[134:135], v[1:2], v[134:135]
	v_fma_f64 v[1:2], v[1:2], v[132:133], -v[128:129]
	v_fma_f64 v[3:4], v[3:4], v[132:133], v[134:135]
	buffer_store_dword v2, off, s[0:3], 0 offset:564
	buffer_store_dword v1, off, s[0:3], 0 offset:560
	;; [unrolled: 1-line block ×4, first 2 shown]
.LBB123_751:
	s_or_b32 exec_lo, exec_lo, s4
	v_mov_b32_e32 v4, s31
	s_mov_b32 s4, exec_lo
	s_clause 0x3
	buffer_load_dword v1, v4, s[0:3], 0 offen
	buffer_load_dword v2, v4, s[0:3], 0 offen offset:4
	buffer_load_dword v3, v4, s[0:3], 0 offen offset:8
	;; [unrolled: 1-line block ×3, first 2 shown]
	s_waitcnt vmcnt(0)
	ds_write_b128 v126, v[1:4]
	s_waitcnt lgkmcnt(0)
	s_waitcnt_vscnt null, 0x0
	s_barrier
	buffer_gl0_inv
	v_cmpx_gt_u32_e32 36, v0
	s_cbranch_execz .LBB123_759
; %bb.752:
	ds_read_b128 v[1:4], v126
	v_cmp_ne_u32_e32 vcc_lo, 1, v127
	s_cbranch_vccnz .LBB123_754
; %bb.753:
	s_clause 0x3
	buffer_load_dword v128, v125, s[0:3], 0 offen offset:8
	buffer_load_dword v129, v125, s[0:3], 0 offen offset:12
	buffer_load_dword v132, v125, s[0:3], 0 offen
	buffer_load_dword v133, v125, s[0:3], 0 offen offset:4
	s_waitcnt vmcnt(2) lgkmcnt(0)
	v_mul_f64 v[134:135], v[3:4], v[128:129]
	v_mul_f64 v[128:129], v[1:2], v[128:129]
	s_waitcnt vmcnt(0)
	v_fma_f64 v[1:2], v[1:2], v[132:133], -v[134:135]
	v_fma_f64 v[3:4], v[3:4], v[132:133], v[128:129]
.LBB123_754:
	s_mov_b32 s6, exec_lo
	v_cmpx_ne_u32_e32 35, v0
	s_cbranch_execz .LBB123_758
; %bb.755:
	v_add_nc_u32_e32 v128, 0x3d0, v131
	v_add3_u32 v129, 0, v131, 16
	v_mov_b32_e32 v130, v0
	s_mov_b32 s8, 0
	.p2align	6
.LBB123_756:                            ; =>This Inner Loop Header: Depth=1
	s_clause 0x3
	buffer_load_dword v136, v129, s[0:3], 0 offen offset:8
	buffer_load_dword v137, v129, s[0:3], 0 offen offset:12
	buffer_load_dword v138, v129, s[0:3], 0 offen
	buffer_load_dword v139, v129, s[0:3], 0 offen offset:4
	ds_read_b128 v[132:135], v128
	v_add_nc_u32_e32 v130, 1, v130
	v_add_nc_u32_e32 v128, 16, v128
	;; [unrolled: 1-line block ×3, first 2 shown]
	v_cmp_lt_u32_e32 vcc_lo, 34, v130
	s_or_b32 s8, vcc_lo, s8
	s_waitcnt vmcnt(2) lgkmcnt(0)
	v_mul_f64 v[140:141], v[134:135], v[136:137]
	v_mul_f64 v[136:137], v[132:133], v[136:137]
	s_waitcnt vmcnt(0)
	v_fma_f64 v[132:133], v[132:133], v[138:139], -v[140:141]
	v_fma_f64 v[134:135], v[134:135], v[138:139], v[136:137]
	v_add_f64 v[1:2], v[1:2], v[132:133]
	v_add_f64 v[3:4], v[3:4], v[134:135]
	s_andn2_b32 exec_lo, exec_lo, s8
	s_cbranch_execnz .LBB123_756
; %bb.757:
	s_or_b32 exec_lo, exec_lo, s8
.LBB123_758:
	s_or_b32 exec_lo, exec_lo, s6
	v_mov_b32_e32 v128, 0
	ds_read_b128 v[132:135], v128 offset:576
	s_waitcnt lgkmcnt(0)
	v_mul_f64 v[128:129], v[3:4], v[134:135]
	v_mul_f64 v[134:135], v[1:2], v[134:135]
	v_fma_f64 v[1:2], v[1:2], v[132:133], -v[128:129]
	v_fma_f64 v[3:4], v[3:4], v[132:133], v[134:135]
	buffer_store_dword v2, off, s[0:3], 0 offset:580
	buffer_store_dword v1, off, s[0:3], 0 offset:576
	;; [unrolled: 1-line block ×4, first 2 shown]
.LBB123_759:
	s_or_b32 exec_lo, exec_lo, s4
	v_mov_b32_e32 v4, s30
	s_mov_b32 s4, exec_lo
	s_clause 0x3
	buffer_load_dword v1, v4, s[0:3], 0 offen
	buffer_load_dword v2, v4, s[0:3], 0 offen offset:4
	buffer_load_dword v3, v4, s[0:3], 0 offen offset:8
	;; [unrolled: 1-line block ×3, first 2 shown]
	s_waitcnt vmcnt(0)
	ds_write_b128 v126, v[1:4]
	s_waitcnt lgkmcnt(0)
	s_waitcnt_vscnt null, 0x0
	s_barrier
	buffer_gl0_inv
	v_cmpx_gt_u32_e32 37, v0
	s_cbranch_execz .LBB123_767
; %bb.760:
	ds_read_b128 v[1:4], v126
	v_cmp_ne_u32_e32 vcc_lo, 1, v127
	s_cbranch_vccnz .LBB123_762
; %bb.761:
	s_clause 0x3
	buffer_load_dword v128, v125, s[0:3], 0 offen offset:8
	buffer_load_dword v129, v125, s[0:3], 0 offen offset:12
	buffer_load_dword v132, v125, s[0:3], 0 offen
	buffer_load_dword v133, v125, s[0:3], 0 offen offset:4
	s_waitcnt vmcnt(2) lgkmcnt(0)
	v_mul_f64 v[134:135], v[3:4], v[128:129]
	v_mul_f64 v[128:129], v[1:2], v[128:129]
	s_waitcnt vmcnt(0)
	v_fma_f64 v[1:2], v[1:2], v[132:133], -v[134:135]
	v_fma_f64 v[3:4], v[3:4], v[132:133], v[128:129]
.LBB123_762:
	s_mov_b32 s6, exec_lo
	v_cmpx_ne_u32_e32 36, v0
	s_cbranch_execz .LBB123_766
; %bb.763:
	v_add_nc_u32_e32 v128, 0x3d0, v131
	v_add3_u32 v129, 0, v131, 16
	v_mov_b32_e32 v130, v0
	s_mov_b32 s8, 0
	.p2align	6
.LBB123_764:                            ; =>This Inner Loop Header: Depth=1
	s_clause 0x3
	buffer_load_dword v136, v129, s[0:3], 0 offen offset:8
	buffer_load_dword v137, v129, s[0:3], 0 offen offset:12
	buffer_load_dword v138, v129, s[0:3], 0 offen
	buffer_load_dword v139, v129, s[0:3], 0 offen offset:4
	ds_read_b128 v[132:135], v128
	v_add_nc_u32_e32 v130, 1, v130
	v_add_nc_u32_e32 v128, 16, v128
	v_add_nc_u32_e32 v129, 16, v129
	v_cmp_lt_u32_e32 vcc_lo, 35, v130
	s_or_b32 s8, vcc_lo, s8
	s_waitcnt vmcnt(2) lgkmcnt(0)
	v_mul_f64 v[140:141], v[134:135], v[136:137]
	v_mul_f64 v[136:137], v[132:133], v[136:137]
	s_waitcnt vmcnt(0)
	v_fma_f64 v[132:133], v[132:133], v[138:139], -v[140:141]
	v_fma_f64 v[134:135], v[134:135], v[138:139], v[136:137]
	v_add_f64 v[1:2], v[1:2], v[132:133]
	v_add_f64 v[3:4], v[3:4], v[134:135]
	s_andn2_b32 exec_lo, exec_lo, s8
	s_cbranch_execnz .LBB123_764
; %bb.765:
	s_or_b32 exec_lo, exec_lo, s8
.LBB123_766:
	s_or_b32 exec_lo, exec_lo, s6
	v_mov_b32_e32 v128, 0
	ds_read_b128 v[132:135], v128 offset:592
	s_waitcnt lgkmcnt(0)
	v_mul_f64 v[128:129], v[3:4], v[134:135]
	v_mul_f64 v[134:135], v[1:2], v[134:135]
	v_fma_f64 v[1:2], v[1:2], v[132:133], -v[128:129]
	v_fma_f64 v[3:4], v[3:4], v[132:133], v[134:135]
	buffer_store_dword v2, off, s[0:3], 0 offset:596
	buffer_store_dword v1, off, s[0:3], 0 offset:592
	;; [unrolled: 1-line block ×4, first 2 shown]
.LBB123_767:
	s_or_b32 exec_lo, exec_lo, s4
	v_mov_b32_e32 v4, s29
	s_mov_b32 s4, exec_lo
	s_clause 0x3
	buffer_load_dword v1, v4, s[0:3], 0 offen
	buffer_load_dword v2, v4, s[0:3], 0 offen offset:4
	buffer_load_dword v3, v4, s[0:3], 0 offen offset:8
	;; [unrolled: 1-line block ×3, first 2 shown]
	s_waitcnt vmcnt(0)
	ds_write_b128 v126, v[1:4]
	s_waitcnt lgkmcnt(0)
	s_waitcnt_vscnt null, 0x0
	s_barrier
	buffer_gl0_inv
	v_cmpx_gt_u32_e32 38, v0
	s_cbranch_execz .LBB123_775
; %bb.768:
	ds_read_b128 v[1:4], v126
	v_cmp_ne_u32_e32 vcc_lo, 1, v127
	s_cbranch_vccnz .LBB123_770
; %bb.769:
	s_clause 0x3
	buffer_load_dword v128, v125, s[0:3], 0 offen offset:8
	buffer_load_dword v129, v125, s[0:3], 0 offen offset:12
	buffer_load_dword v132, v125, s[0:3], 0 offen
	buffer_load_dword v133, v125, s[0:3], 0 offen offset:4
	s_waitcnt vmcnt(2) lgkmcnt(0)
	v_mul_f64 v[134:135], v[3:4], v[128:129]
	v_mul_f64 v[128:129], v[1:2], v[128:129]
	s_waitcnt vmcnt(0)
	v_fma_f64 v[1:2], v[1:2], v[132:133], -v[134:135]
	v_fma_f64 v[3:4], v[3:4], v[132:133], v[128:129]
.LBB123_770:
	s_mov_b32 s6, exec_lo
	v_cmpx_ne_u32_e32 37, v0
	s_cbranch_execz .LBB123_774
; %bb.771:
	v_add_nc_u32_e32 v128, 0x3d0, v131
	v_add3_u32 v129, 0, v131, 16
	v_mov_b32_e32 v130, v0
	s_mov_b32 s8, 0
	.p2align	6
.LBB123_772:                            ; =>This Inner Loop Header: Depth=1
	s_clause 0x3
	buffer_load_dword v136, v129, s[0:3], 0 offen offset:8
	buffer_load_dword v137, v129, s[0:3], 0 offen offset:12
	buffer_load_dword v138, v129, s[0:3], 0 offen
	buffer_load_dword v139, v129, s[0:3], 0 offen offset:4
	ds_read_b128 v[132:135], v128
	v_add_nc_u32_e32 v130, 1, v130
	v_add_nc_u32_e32 v128, 16, v128
	;; [unrolled: 1-line block ×3, first 2 shown]
	v_cmp_lt_u32_e32 vcc_lo, 36, v130
	s_or_b32 s8, vcc_lo, s8
	s_waitcnt vmcnt(2) lgkmcnt(0)
	v_mul_f64 v[140:141], v[134:135], v[136:137]
	v_mul_f64 v[136:137], v[132:133], v[136:137]
	s_waitcnt vmcnt(0)
	v_fma_f64 v[132:133], v[132:133], v[138:139], -v[140:141]
	v_fma_f64 v[134:135], v[134:135], v[138:139], v[136:137]
	v_add_f64 v[1:2], v[1:2], v[132:133]
	v_add_f64 v[3:4], v[3:4], v[134:135]
	s_andn2_b32 exec_lo, exec_lo, s8
	s_cbranch_execnz .LBB123_772
; %bb.773:
	s_or_b32 exec_lo, exec_lo, s8
.LBB123_774:
	s_or_b32 exec_lo, exec_lo, s6
	v_mov_b32_e32 v128, 0
	ds_read_b128 v[132:135], v128 offset:608
	s_waitcnt lgkmcnt(0)
	v_mul_f64 v[128:129], v[3:4], v[134:135]
	v_mul_f64 v[134:135], v[1:2], v[134:135]
	v_fma_f64 v[1:2], v[1:2], v[132:133], -v[128:129]
	v_fma_f64 v[3:4], v[3:4], v[132:133], v[134:135]
	buffer_store_dword v2, off, s[0:3], 0 offset:612
	buffer_store_dword v1, off, s[0:3], 0 offset:608
	;; [unrolled: 1-line block ×4, first 2 shown]
.LBB123_775:
	s_or_b32 exec_lo, exec_lo, s4
	v_mov_b32_e32 v4, s28
	s_mov_b32 s4, exec_lo
	s_clause 0x3
	buffer_load_dword v1, v4, s[0:3], 0 offen
	buffer_load_dword v2, v4, s[0:3], 0 offen offset:4
	buffer_load_dword v3, v4, s[0:3], 0 offen offset:8
	;; [unrolled: 1-line block ×3, first 2 shown]
	s_waitcnt vmcnt(0)
	ds_write_b128 v126, v[1:4]
	s_waitcnt lgkmcnt(0)
	s_waitcnt_vscnt null, 0x0
	s_barrier
	buffer_gl0_inv
	v_cmpx_gt_u32_e32 39, v0
	s_cbranch_execz .LBB123_783
; %bb.776:
	ds_read_b128 v[1:4], v126
	v_cmp_ne_u32_e32 vcc_lo, 1, v127
	s_cbranch_vccnz .LBB123_778
; %bb.777:
	s_clause 0x3
	buffer_load_dword v128, v125, s[0:3], 0 offen offset:8
	buffer_load_dword v129, v125, s[0:3], 0 offen offset:12
	buffer_load_dword v132, v125, s[0:3], 0 offen
	buffer_load_dword v133, v125, s[0:3], 0 offen offset:4
	s_waitcnt vmcnt(2) lgkmcnt(0)
	v_mul_f64 v[134:135], v[3:4], v[128:129]
	v_mul_f64 v[128:129], v[1:2], v[128:129]
	s_waitcnt vmcnt(0)
	v_fma_f64 v[1:2], v[1:2], v[132:133], -v[134:135]
	v_fma_f64 v[3:4], v[3:4], v[132:133], v[128:129]
.LBB123_778:
	s_mov_b32 s6, exec_lo
	v_cmpx_ne_u32_e32 38, v0
	s_cbranch_execz .LBB123_782
; %bb.779:
	v_add_nc_u32_e32 v128, 0x3d0, v131
	v_add3_u32 v129, 0, v131, 16
	v_mov_b32_e32 v130, v0
	s_mov_b32 s8, 0
	.p2align	6
.LBB123_780:                            ; =>This Inner Loop Header: Depth=1
	s_clause 0x3
	buffer_load_dword v136, v129, s[0:3], 0 offen offset:8
	buffer_load_dword v137, v129, s[0:3], 0 offen offset:12
	buffer_load_dword v138, v129, s[0:3], 0 offen
	buffer_load_dword v139, v129, s[0:3], 0 offen offset:4
	ds_read_b128 v[132:135], v128
	v_add_nc_u32_e32 v130, 1, v130
	v_add_nc_u32_e32 v128, 16, v128
	;; [unrolled: 1-line block ×3, first 2 shown]
	v_cmp_lt_u32_e32 vcc_lo, 37, v130
	s_or_b32 s8, vcc_lo, s8
	s_waitcnt vmcnt(2) lgkmcnt(0)
	v_mul_f64 v[140:141], v[134:135], v[136:137]
	v_mul_f64 v[136:137], v[132:133], v[136:137]
	s_waitcnt vmcnt(0)
	v_fma_f64 v[132:133], v[132:133], v[138:139], -v[140:141]
	v_fma_f64 v[134:135], v[134:135], v[138:139], v[136:137]
	v_add_f64 v[1:2], v[1:2], v[132:133]
	v_add_f64 v[3:4], v[3:4], v[134:135]
	s_andn2_b32 exec_lo, exec_lo, s8
	s_cbranch_execnz .LBB123_780
; %bb.781:
	s_or_b32 exec_lo, exec_lo, s8
.LBB123_782:
	s_or_b32 exec_lo, exec_lo, s6
	v_mov_b32_e32 v128, 0
	ds_read_b128 v[132:135], v128 offset:624
	s_waitcnt lgkmcnt(0)
	v_mul_f64 v[128:129], v[3:4], v[134:135]
	v_mul_f64 v[134:135], v[1:2], v[134:135]
	v_fma_f64 v[1:2], v[1:2], v[132:133], -v[128:129]
	v_fma_f64 v[3:4], v[3:4], v[132:133], v[134:135]
	buffer_store_dword v2, off, s[0:3], 0 offset:628
	buffer_store_dword v1, off, s[0:3], 0 offset:624
	buffer_store_dword v4, off, s[0:3], 0 offset:636
	buffer_store_dword v3, off, s[0:3], 0 offset:632
.LBB123_783:
	s_or_b32 exec_lo, exec_lo, s4
	v_mov_b32_e32 v4, s27
	s_mov_b32 s4, exec_lo
	s_clause 0x3
	buffer_load_dword v1, v4, s[0:3], 0 offen
	buffer_load_dword v2, v4, s[0:3], 0 offen offset:4
	buffer_load_dword v3, v4, s[0:3], 0 offen offset:8
	;; [unrolled: 1-line block ×3, first 2 shown]
	s_waitcnt vmcnt(0)
	ds_write_b128 v126, v[1:4]
	s_waitcnt lgkmcnt(0)
	s_waitcnt_vscnt null, 0x0
	s_barrier
	buffer_gl0_inv
	v_cmpx_gt_u32_e32 40, v0
	s_cbranch_execz .LBB123_791
; %bb.784:
	ds_read_b128 v[1:4], v126
	v_cmp_ne_u32_e32 vcc_lo, 1, v127
	s_cbranch_vccnz .LBB123_786
; %bb.785:
	s_clause 0x3
	buffer_load_dword v128, v125, s[0:3], 0 offen offset:8
	buffer_load_dword v129, v125, s[0:3], 0 offen offset:12
	buffer_load_dword v132, v125, s[0:3], 0 offen
	buffer_load_dword v133, v125, s[0:3], 0 offen offset:4
	s_waitcnt vmcnt(2) lgkmcnt(0)
	v_mul_f64 v[134:135], v[3:4], v[128:129]
	v_mul_f64 v[128:129], v[1:2], v[128:129]
	s_waitcnt vmcnt(0)
	v_fma_f64 v[1:2], v[1:2], v[132:133], -v[134:135]
	v_fma_f64 v[3:4], v[3:4], v[132:133], v[128:129]
.LBB123_786:
	s_mov_b32 s6, exec_lo
	v_cmpx_ne_u32_e32 39, v0
	s_cbranch_execz .LBB123_790
; %bb.787:
	v_add_nc_u32_e32 v128, 0x3d0, v131
	v_add3_u32 v129, 0, v131, 16
	v_mov_b32_e32 v130, v0
	s_mov_b32 s8, 0
	.p2align	6
.LBB123_788:                            ; =>This Inner Loop Header: Depth=1
	s_clause 0x3
	buffer_load_dword v136, v129, s[0:3], 0 offen offset:8
	buffer_load_dword v137, v129, s[0:3], 0 offen offset:12
	buffer_load_dword v138, v129, s[0:3], 0 offen
	buffer_load_dword v139, v129, s[0:3], 0 offen offset:4
	ds_read_b128 v[132:135], v128
	v_add_nc_u32_e32 v130, 1, v130
	v_add_nc_u32_e32 v128, 16, v128
	;; [unrolled: 1-line block ×3, first 2 shown]
	v_cmp_lt_u32_e32 vcc_lo, 38, v130
	s_or_b32 s8, vcc_lo, s8
	s_waitcnt vmcnt(2) lgkmcnt(0)
	v_mul_f64 v[140:141], v[134:135], v[136:137]
	v_mul_f64 v[136:137], v[132:133], v[136:137]
	s_waitcnt vmcnt(0)
	v_fma_f64 v[132:133], v[132:133], v[138:139], -v[140:141]
	v_fma_f64 v[134:135], v[134:135], v[138:139], v[136:137]
	v_add_f64 v[1:2], v[1:2], v[132:133]
	v_add_f64 v[3:4], v[3:4], v[134:135]
	s_andn2_b32 exec_lo, exec_lo, s8
	s_cbranch_execnz .LBB123_788
; %bb.789:
	s_or_b32 exec_lo, exec_lo, s8
.LBB123_790:
	s_or_b32 exec_lo, exec_lo, s6
	v_mov_b32_e32 v128, 0
	ds_read_b128 v[132:135], v128 offset:640
	s_waitcnt lgkmcnt(0)
	v_mul_f64 v[128:129], v[3:4], v[134:135]
	v_mul_f64 v[134:135], v[1:2], v[134:135]
	v_fma_f64 v[1:2], v[1:2], v[132:133], -v[128:129]
	v_fma_f64 v[3:4], v[3:4], v[132:133], v[134:135]
	buffer_store_dword v2, off, s[0:3], 0 offset:644
	buffer_store_dword v1, off, s[0:3], 0 offset:640
	;; [unrolled: 1-line block ×4, first 2 shown]
.LBB123_791:
	s_or_b32 exec_lo, exec_lo, s4
	v_mov_b32_e32 v4, s26
	s_mov_b32 s4, exec_lo
	s_clause 0x3
	buffer_load_dword v1, v4, s[0:3], 0 offen
	buffer_load_dword v2, v4, s[0:3], 0 offen offset:4
	buffer_load_dword v3, v4, s[0:3], 0 offen offset:8
	;; [unrolled: 1-line block ×3, first 2 shown]
	s_waitcnt vmcnt(0)
	ds_write_b128 v126, v[1:4]
	s_waitcnt lgkmcnt(0)
	s_waitcnt_vscnt null, 0x0
	s_barrier
	buffer_gl0_inv
	v_cmpx_gt_u32_e32 41, v0
	s_cbranch_execz .LBB123_799
; %bb.792:
	ds_read_b128 v[1:4], v126
	v_cmp_ne_u32_e32 vcc_lo, 1, v127
	s_cbranch_vccnz .LBB123_794
; %bb.793:
	s_clause 0x3
	buffer_load_dword v128, v125, s[0:3], 0 offen offset:8
	buffer_load_dword v129, v125, s[0:3], 0 offen offset:12
	buffer_load_dword v132, v125, s[0:3], 0 offen
	buffer_load_dword v133, v125, s[0:3], 0 offen offset:4
	s_waitcnt vmcnt(2) lgkmcnt(0)
	v_mul_f64 v[134:135], v[3:4], v[128:129]
	v_mul_f64 v[128:129], v[1:2], v[128:129]
	s_waitcnt vmcnt(0)
	v_fma_f64 v[1:2], v[1:2], v[132:133], -v[134:135]
	v_fma_f64 v[3:4], v[3:4], v[132:133], v[128:129]
.LBB123_794:
	s_mov_b32 s6, exec_lo
	v_cmpx_ne_u32_e32 40, v0
	s_cbranch_execz .LBB123_798
; %bb.795:
	v_add_nc_u32_e32 v128, 0x3d0, v131
	v_add3_u32 v129, 0, v131, 16
	v_mov_b32_e32 v130, v0
	s_mov_b32 s8, 0
	.p2align	6
.LBB123_796:                            ; =>This Inner Loop Header: Depth=1
	s_clause 0x3
	buffer_load_dword v136, v129, s[0:3], 0 offen offset:8
	buffer_load_dword v137, v129, s[0:3], 0 offen offset:12
	buffer_load_dword v138, v129, s[0:3], 0 offen
	buffer_load_dword v139, v129, s[0:3], 0 offen offset:4
	ds_read_b128 v[132:135], v128
	v_add_nc_u32_e32 v130, 1, v130
	v_add_nc_u32_e32 v128, 16, v128
	;; [unrolled: 1-line block ×3, first 2 shown]
	v_cmp_lt_u32_e32 vcc_lo, 39, v130
	s_or_b32 s8, vcc_lo, s8
	s_waitcnt vmcnt(2) lgkmcnt(0)
	v_mul_f64 v[140:141], v[134:135], v[136:137]
	v_mul_f64 v[136:137], v[132:133], v[136:137]
	s_waitcnt vmcnt(0)
	v_fma_f64 v[132:133], v[132:133], v[138:139], -v[140:141]
	v_fma_f64 v[134:135], v[134:135], v[138:139], v[136:137]
	v_add_f64 v[1:2], v[1:2], v[132:133]
	v_add_f64 v[3:4], v[3:4], v[134:135]
	s_andn2_b32 exec_lo, exec_lo, s8
	s_cbranch_execnz .LBB123_796
; %bb.797:
	s_or_b32 exec_lo, exec_lo, s8
.LBB123_798:
	s_or_b32 exec_lo, exec_lo, s6
	v_mov_b32_e32 v128, 0
	ds_read_b128 v[132:135], v128 offset:656
	s_waitcnt lgkmcnt(0)
	v_mul_f64 v[128:129], v[3:4], v[134:135]
	v_mul_f64 v[134:135], v[1:2], v[134:135]
	v_fma_f64 v[1:2], v[1:2], v[132:133], -v[128:129]
	v_fma_f64 v[3:4], v[3:4], v[132:133], v[134:135]
	buffer_store_dword v2, off, s[0:3], 0 offset:660
	buffer_store_dword v1, off, s[0:3], 0 offset:656
	buffer_store_dword v4, off, s[0:3], 0 offset:668
	buffer_store_dword v3, off, s[0:3], 0 offset:664
.LBB123_799:
	s_or_b32 exec_lo, exec_lo, s4
	v_mov_b32_e32 v4, s25
	s_mov_b32 s4, exec_lo
	s_clause 0x3
	buffer_load_dword v1, v4, s[0:3], 0 offen
	buffer_load_dword v2, v4, s[0:3], 0 offen offset:4
	buffer_load_dword v3, v4, s[0:3], 0 offen offset:8
	;; [unrolled: 1-line block ×3, first 2 shown]
	s_waitcnt vmcnt(0)
	ds_write_b128 v126, v[1:4]
	s_waitcnt lgkmcnt(0)
	s_waitcnt_vscnt null, 0x0
	s_barrier
	buffer_gl0_inv
	v_cmpx_gt_u32_e32 42, v0
	s_cbranch_execz .LBB123_807
; %bb.800:
	ds_read_b128 v[1:4], v126
	v_cmp_ne_u32_e32 vcc_lo, 1, v127
	s_cbranch_vccnz .LBB123_802
; %bb.801:
	s_clause 0x3
	buffer_load_dword v128, v125, s[0:3], 0 offen offset:8
	buffer_load_dword v129, v125, s[0:3], 0 offen offset:12
	buffer_load_dword v132, v125, s[0:3], 0 offen
	buffer_load_dword v133, v125, s[0:3], 0 offen offset:4
	s_waitcnt vmcnt(2) lgkmcnt(0)
	v_mul_f64 v[134:135], v[3:4], v[128:129]
	v_mul_f64 v[128:129], v[1:2], v[128:129]
	s_waitcnt vmcnt(0)
	v_fma_f64 v[1:2], v[1:2], v[132:133], -v[134:135]
	v_fma_f64 v[3:4], v[3:4], v[132:133], v[128:129]
.LBB123_802:
	s_mov_b32 s6, exec_lo
	v_cmpx_ne_u32_e32 41, v0
	s_cbranch_execz .LBB123_806
; %bb.803:
	v_add_nc_u32_e32 v128, 0x3d0, v131
	v_add3_u32 v129, 0, v131, 16
	v_mov_b32_e32 v130, v0
	s_mov_b32 s8, 0
	.p2align	6
.LBB123_804:                            ; =>This Inner Loop Header: Depth=1
	s_clause 0x3
	buffer_load_dword v136, v129, s[0:3], 0 offen offset:8
	buffer_load_dword v137, v129, s[0:3], 0 offen offset:12
	buffer_load_dword v138, v129, s[0:3], 0 offen
	buffer_load_dword v139, v129, s[0:3], 0 offen offset:4
	ds_read_b128 v[132:135], v128
	v_add_nc_u32_e32 v130, 1, v130
	v_add_nc_u32_e32 v128, 16, v128
	;; [unrolled: 1-line block ×3, first 2 shown]
	v_cmp_lt_u32_e32 vcc_lo, 40, v130
	s_or_b32 s8, vcc_lo, s8
	s_waitcnt vmcnt(2) lgkmcnt(0)
	v_mul_f64 v[140:141], v[134:135], v[136:137]
	v_mul_f64 v[136:137], v[132:133], v[136:137]
	s_waitcnt vmcnt(0)
	v_fma_f64 v[132:133], v[132:133], v[138:139], -v[140:141]
	v_fma_f64 v[134:135], v[134:135], v[138:139], v[136:137]
	v_add_f64 v[1:2], v[1:2], v[132:133]
	v_add_f64 v[3:4], v[3:4], v[134:135]
	s_andn2_b32 exec_lo, exec_lo, s8
	s_cbranch_execnz .LBB123_804
; %bb.805:
	s_or_b32 exec_lo, exec_lo, s8
.LBB123_806:
	s_or_b32 exec_lo, exec_lo, s6
	v_mov_b32_e32 v128, 0
	ds_read_b128 v[132:135], v128 offset:672
	s_waitcnt lgkmcnt(0)
	v_mul_f64 v[128:129], v[3:4], v[134:135]
	v_mul_f64 v[134:135], v[1:2], v[134:135]
	v_fma_f64 v[1:2], v[1:2], v[132:133], -v[128:129]
	v_fma_f64 v[3:4], v[3:4], v[132:133], v[134:135]
	buffer_store_dword v2, off, s[0:3], 0 offset:676
	buffer_store_dword v1, off, s[0:3], 0 offset:672
	;; [unrolled: 1-line block ×4, first 2 shown]
.LBB123_807:
	s_or_b32 exec_lo, exec_lo, s4
	v_mov_b32_e32 v4, s24
	s_mov_b32 s4, exec_lo
	s_clause 0x3
	buffer_load_dword v1, v4, s[0:3], 0 offen
	buffer_load_dword v2, v4, s[0:3], 0 offen offset:4
	buffer_load_dword v3, v4, s[0:3], 0 offen offset:8
	;; [unrolled: 1-line block ×3, first 2 shown]
	s_waitcnt vmcnt(0)
	ds_write_b128 v126, v[1:4]
	s_waitcnt lgkmcnt(0)
	s_waitcnt_vscnt null, 0x0
	s_barrier
	buffer_gl0_inv
	v_cmpx_gt_u32_e32 43, v0
	s_cbranch_execz .LBB123_815
; %bb.808:
	ds_read_b128 v[1:4], v126
	v_cmp_ne_u32_e32 vcc_lo, 1, v127
	s_cbranch_vccnz .LBB123_810
; %bb.809:
	s_clause 0x3
	buffer_load_dword v128, v125, s[0:3], 0 offen offset:8
	buffer_load_dword v129, v125, s[0:3], 0 offen offset:12
	buffer_load_dword v132, v125, s[0:3], 0 offen
	buffer_load_dword v133, v125, s[0:3], 0 offen offset:4
	s_waitcnt vmcnt(2) lgkmcnt(0)
	v_mul_f64 v[134:135], v[3:4], v[128:129]
	v_mul_f64 v[128:129], v[1:2], v[128:129]
	s_waitcnt vmcnt(0)
	v_fma_f64 v[1:2], v[1:2], v[132:133], -v[134:135]
	v_fma_f64 v[3:4], v[3:4], v[132:133], v[128:129]
.LBB123_810:
	s_mov_b32 s6, exec_lo
	v_cmpx_ne_u32_e32 42, v0
	s_cbranch_execz .LBB123_814
; %bb.811:
	v_add_nc_u32_e32 v128, 0x3d0, v131
	v_add3_u32 v129, 0, v131, 16
	v_mov_b32_e32 v130, v0
	s_mov_b32 s8, 0
	.p2align	6
.LBB123_812:                            ; =>This Inner Loop Header: Depth=1
	s_clause 0x3
	buffer_load_dword v136, v129, s[0:3], 0 offen offset:8
	buffer_load_dword v137, v129, s[0:3], 0 offen offset:12
	buffer_load_dword v138, v129, s[0:3], 0 offen
	buffer_load_dword v139, v129, s[0:3], 0 offen offset:4
	ds_read_b128 v[132:135], v128
	v_add_nc_u32_e32 v130, 1, v130
	v_add_nc_u32_e32 v128, 16, v128
	;; [unrolled: 1-line block ×3, first 2 shown]
	v_cmp_lt_u32_e32 vcc_lo, 41, v130
	s_or_b32 s8, vcc_lo, s8
	s_waitcnt vmcnt(2) lgkmcnt(0)
	v_mul_f64 v[140:141], v[134:135], v[136:137]
	v_mul_f64 v[136:137], v[132:133], v[136:137]
	s_waitcnt vmcnt(0)
	v_fma_f64 v[132:133], v[132:133], v[138:139], -v[140:141]
	v_fma_f64 v[134:135], v[134:135], v[138:139], v[136:137]
	v_add_f64 v[1:2], v[1:2], v[132:133]
	v_add_f64 v[3:4], v[3:4], v[134:135]
	s_andn2_b32 exec_lo, exec_lo, s8
	s_cbranch_execnz .LBB123_812
; %bb.813:
	s_or_b32 exec_lo, exec_lo, s8
.LBB123_814:
	s_or_b32 exec_lo, exec_lo, s6
	v_mov_b32_e32 v128, 0
	ds_read_b128 v[132:135], v128 offset:688
	s_waitcnt lgkmcnt(0)
	v_mul_f64 v[128:129], v[3:4], v[134:135]
	v_mul_f64 v[134:135], v[1:2], v[134:135]
	v_fma_f64 v[1:2], v[1:2], v[132:133], -v[128:129]
	v_fma_f64 v[3:4], v[3:4], v[132:133], v[134:135]
	buffer_store_dword v2, off, s[0:3], 0 offset:692
	buffer_store_dword v1, off, s[0:3], 0 offset:688
	;; [unrolled: 1-line block ×4, first 2 shown]
.LBB123_815:
	s_or_b32 exec_lo, exec_lo, s4
	v_mov_b32_e32 v4, s23
	s_mov_b32 s4, exec_lo
	s_clause 0x3
	buffer_load_dword v1, v4, s[0:3], 0 offen
	buffer_load_dword v2, v4, s[0:3], 0 offen offset:4
	buffer_load_dword v3, v4, s[0:3], 0 offen offset:8
	;; [unrolled: 1-line block ×3, first 2 shown]
	s_waitcnt vmcnt(0)
	ds_write_b128 v126, v[1:4]
	s_waitcnt lgkmcnt(0)
	s_waitcnt_vscnt null, 0x0
	s_barrier
	buffer_gl0_inv
	v_cmpx_gt_u32_e32 44, v0
	s_cbranch_execz .LBB123_823
; %bb.816:
	ds_read_b128 v[1:4], v126
	v_cmp_ne_u32_e32 vcc_lo, 1, v127
	s_cbranch_vccnz .LBB123_818
; %bb.817:
	s_clause 0x3
	buffer_load_dword v128, v125, s[0:3], 0 offen offset:8
	buffer_load_dword v129, v125, s[0:3], 0 offen offset:12
	buffer_load_dword v132, v125, s[0:3], 0 offen
	buffer_load_dword v133, v125, s[0:3], 0 offen offset:4
	s_waitcnt vmcnt(2) lgkmcnt(0)
	v_mul_f64 v[134:135], v[3:4], v[128:129]
	v_mul_f64 v[128:129], v[1:2], v[128:129]
	s_waitcnt vmcnt(0)
	v_fma_f64 v[1:2], v[1:2], v[132:133], -v[134:135]
	v_fma_f64 v[3:4], v[3:4], v[132:133], v[128:129]
.LBB123_818:
	s_mov_b32 s6, exec_lo
	v_cmpx_ne_u32_e32 43, v0
	s_cbranch_execz .LBB123_822
; %bb.819:
	v_add_nc_u32_e32 v128, 0x3d0, v131
	v_add3_u32 v129, 0, v131, 16
	v_mov_b32_e32 v130, v0
	s_mov_b32 s8, 0
	.p2align	6
.LBB123_820:                            ; =>This Inner Loop Header: Depth=1
	s_clause 0x3
	buffer_load_dword v136, v129, s[0:3], 0 offen offset:8
	buffer_load_dword v137, v129, s[0:3], 0 offen offset:12
	buffer_load_dword v138, v129, s[0:3], 0 offen
	buffer_load_dword v139, v129, s[0:3], 0 offen offset:4
	ds_read_b128 v[132:135], v128
	v_add_nc_u32_e32 v130, 1, v130
	v_add_nc_u32_e32 v128, 16, v128
	;; [unrolled: 1-line block ×3, first 2 shown]
	v_cmp_lt_u32_e32 vcc_lo, 42, v130
	s_or_b32 s8, vcc_lo, s8
	s_waitcnt vmcnt(2) lgkmcnt(0)
	v_mul_f64 v[140:141], v[134:135], v[136:137]
	v_mul_f64 v[136:137], v[132:133], v[136:137]
	s_waitcnt vmcnt(0)
	v_fma_f64 v[132:133], v[132:133], v[138:139], -v[140:141]
	v_fma_f64 v[134:135], v[134:135], v[138:139], v[136:137]
	v_add_f64 v[1:2], v[1:2], v[132:133]
	v_add_f64 v[3:4], v[3:4], v[134:135]
	s_andn2_b32 exec_lo, exec_lo, s8
	s_cbranch_execnz .LBB123_820
; %bb.821:
	s_or_b32 exec_lo, exec_lo, s8
.LBB123_822:
	s_or_b32 exec_lo, exec_lo, s6
	v_mov_b32_e32 v128, 0
	ds_read_b128 v[132:135], v128 offset:704
	s_waitcnt lgkmcnt(0)
	v_mul_f64 v[128:129], v[3:4], v[134:135]
	v_mul_f64 v[134:135], v[1:2], v[134:135]
	v_fma_f64 v[1:2], v[1:2], v[132:133], -v[128:129]
	v_fma_f64 v[3:4], v[3:4], v[132:133], v[134:135]
	buffer_store_dword v2, off, s[0:3], 0 offset:708
	buffer_store_dword v1, off, s[0:3], 0 offset:704
	;; [unrolled: 1-line block ×4, first 2 shown]
.LBB123_823:
	s_or_b32 exec_lo, exec_lo, s4
	v_mov_b32_e32 v4, s22
	s_mov_b32 s4, exec_lo
	s_clause 0x3
	buffer_load_dword v1, v4, s[0:3], 0 offen
	buffer_load_dword v2, v4, s[0:3], 0 offen offset:4
	buffer_load_dword v3, v4, s[0:3], 0 offen offset:8
	;; [unrolled: 1-line block ×3, first 2 shown]
	s_waitcnt vmcnt(0)
	ds_write_b128 v126, v[1:4]
	s_waitcnt lgkmcnt(0)
	s_waitcnt_vscnt null, 0x0
	s_barrier
	buffer_gl0_inv
	v_cmpx_gt_u32_e32 45, v0
	s_cbranch_execz .LBB123_831
; %bb.824:
	ds_read_b128 v[1:4], v126
	v_cmp_ne_u32_e32 vcc_lo, 1, v127
	s_cbranch_vccnz .LBB123_826
; %bb.825:
	s_clause 0x3
	buffer_load_dword v128, v125, s[0:3], 0 offen offset:8
	buffer_load_dword v129, v125, s[0:3], 0 offen offset:12
	buffer_load_dword v132, v125, s[0:3], 0 offen
	buffer_load_dword v133, v125, s[0:3], 0 offen offset:4
	s_waitcnt vmcnt(2) lgkmcnt(0)
	v_mul_f64 v[134:135], v[3:4], v[128:129]
	v_mul_f64 v[128:129], v[1:2], v[128:129]
	s_waitcnt vmcnt(0)
	v_fma_f64 v[1:2], v[1:2], v[132:133], -v[134:135]
	v_fma_f64 v[3:4], v[3:4], v[132:133], v[128:129]
.LBB123_826:
	s_mov_b32 s6, exec_lo
	v_cmpx_ne_u32_e32 44, v0
	s_cbranch_execz .LBB123_830
; %bb.827:
	v_add_nc_u32_e32 v128, 0x3d0, v131
	v_add3_u32 v129, 0, v131, 16
	v_mov_b32_e32 v130, v0
	s_mov_b32 s8, 0
	.p2align	6
.LBB123_828:                            ; =>This Inner Loop Header: Depth=1
	s_clause 0x3
	buffer_load_dword v136, v129, s[0:3], 0 offen offset:8
	buffer_load_dword v137, v129, s[0:3], 0 offen offset:12
	buffer_load_dword v138, v129, s[0:3], 0 offen
	buffer_load_dword v139, v129, s[0:3], 0 offen offset:4
	ds_read_b128 v[132:135], v128
	v_add_nc_u32_e32 v130, 1, v130
	v_add_nc_u32_e32 v128, 16, v128
	;; [unrolled: 1-line block ×3, first 2 shown]
	v_cmp_lt_u32_e32 vcc_lo, 43, v130
	s_or_b32 s8, vcc_lo, s8
	s_waitcnt vmcnt(2) lgkmcnt(0)
	v_mul_f64 v[140:141], v[134:135], v[136:137]
	v_mul_f64 v[136:137], v[132:133], v[136:137]
	s_waitcnt vmcnt(0)
	v_fma_f64 v[132:133], v[132:133], v[138:139], -v[140:141]
	v_fma_f64 v[134:135], v[134:135], v[138:139], v[136:137]
	v_add_f64 v[1:2], v[1:2], v[132:133]
	v_add_f64 v[3:4], v[3:4], v[134:135]
	s_andn2_b32 exec_lo, exec_lo, s8
	s_cbranch_execnz .LBB123_828
; %bb.829:
	s_or_b32 exec_lo, exec_lo, s8
.LBB123_830:
	s_or_b32 exec_lo, exec_lo, s6
	v_mov_b32_e32 v128, 0
	ds_read_b128 v[132:135], v128 offset:720
	s_waitcnt lgkmcnt(0)
	v_mul_f64 v[128:129], v[3:4], v[134:135]
	v_mul_f64 v[134:135], v[1:2], v[134:135]
	v_fma_f64 v[1:2], v[1:2], v[132:133], -v[128:129]
	v_fma_f64 v[3:4], v[3:4], v[132:133], v[134:135]
	buffer_store_dword v2, off, s[0:3], 0 offset:724
	buffer_store_dword v1, off, s[0:3], 0 offset:720
	;; [unrolled: 1-line block ×4, first 2 shown]
.LBB123_831:
	s_or_b32 exec_lo, exec_lo, s4
	v_mov_b32_e32 v4, s21
	s_mov_b32 s4, exec_lo
	s_clause 0x3
	buffer_load_dword v1, v4, s[0:3], 0 offen
	buffer_load_dword v2, v4, s[0:3], 0 offen offset:4
	buffer_load_dword v3, v4, s[0:3], 0 offen offset:8
	buffer_load_dword v4, v4, s[0:3], 0 offen offset:12
	s_waitcnt vmcnt(0)
	ds_write_b128 v126, v[1:4]
	s_waitcnt lgkmcnt(0)
	s_waitcnt_vscnt null, 0x0
	s_barrier
	buffer_gl0_inv
	v_cmpx_gt_u32_e32 46, v0
	s_cbranch_execz .LBB123_839
; %bb.832:
	ds_read_b128 v[1:4], v126
	v_cmp_ne_u32_e32 vcc_lo, 1, v127
	s_cbranch_vccnz .LBB123_834
; %bb.833:
	s_clause 0x3
	buffer_load_dword v128, v125, s[0:3], 0 offen offset:8
	buffer_load_dword v129, v125, s[0:3], 0 offen offset:12
	buffer_load_dword v132, v125, s[0:3], 0 offen
	buffer_load_dword v133, v125, s[0:3], 0 offen offset:4
	s_waitcnt vmcnt(2) lgkmcnt(0)
	v_mul_f64 v[134:135], v[3:4], v[128:129]
	v_mul_f64 v[128:129], v[1:2], v[128:129]
	s_waitcnt vmcnt(0)
	v_fma_f64 v[1:2], v[1:2], v[132:133], -v[134:135]
	v_fma_f64 v[3:4], v[3:4], v[132:133], v[128:129]
.LBB123_834:
	s_mov_b32 s6, exec_lo
	v_cmpx_ne_u32_e32 45, v0
	s_cbranch_execz .LBB123_838
; %bb.835:
	v_add_nc_u32_e32 v128, 0x3d0, v131
	v_add3_u32 v129, 0, v131, 16
	v_mov_b32_e32 v130, v0
	s_mov_b32 s8, 0
	.p2align	6
.LBB123_836:                            ; =>This Inner Loop Header: Depth=1
	s_clause 0x3
	buffer_load_dword v136, v129, s[0:3], 0 offen offset:8
	buffer_load_dword v137, v129, s[0:3], 0 offen offset:12
	buffer_load_dword v138, v129, s[0:3], 0 offen
	buffer_load_dword v139, v129, s[0:3], 0 offen offset:4
	ds_read_b128 v[132:135], v128
	v_add_nc_u32_e32 v130, 1, v130
	v_add_nc_u32_e32 v128, 16, v128
	v_add_nc_u32_e32 v129, 16, v129
	v_cmp_lt_u32_e32 vcc_lo, 44, v130
	s_or_b32 s8, vcc_lo, s8
	s_waitcnt vmcnt(2) lgkmcnt(0)
	v_mul_f64 v[140:141], v[134:135], v[136:137]
	v_mul_f64 v[136:137], v[132:133], v[136:137]
	s_waitcnt vmcnt(0)
	v_fma_f64 v[132:133], v[132:133], v[138:139], -v[140:141]
	v_fma_f64 v[134:135], v[134:135], v[138:139], v[136:137]
	v_add_f64 v[1:2], v[1:2], v[132:133]
	v_add_f64 v[3:4], v[3:4], v[134:135]
	s_andn2_b32 exec_lo, exec_lo, s8
	s_cbranch_execnz .LBB123_836
; %bb.837:
	s_or_b32 exec_lo, exec_lo, s8
.LBB123_838:
	s_or_b32 exec_lo, exec_lo, s6
	v_mov_b32_e32 v128, 0
	ds_read_b128 v[132:135], v128 offset:736
	s_waitcnt lgkmcnt(0)
	v_mul_f64 v[128:129], v[3:4], v[134:135]
	v_mul_f64 v[134:135], v[1:2], v[134:135]
	v_fma_f64 v[1:2], v[1:2], v[132:133], -v[128:129]
	v_fma_f64 v[3:4], v[3:4], v[132:133], v[134:135]
	buffer_store_dword v2, off, s[0:3], 0 offset:740
	buffer_store_dword v1, off, s[0:3], 0 offset:736
	;; [unrolled: 1-line block ×4, first 2 shown]
.LBB123_839:
	s_or_b32 exec_lo, exec_lo, s4
	v_mov_b32_e32 v4, s20
	s_mov_b32 s4, exec_lo
	s_clause 0x3
	buffer_load_dword v1, v4, s[0:3], 0 offen
	buffer_load_dword v2, v4, s[0:3], 0 offen offset:4
	buffer_load_dword v3, v4, s[0:3], 0 offen offset:8
	;; [unrolled: 1-line block ×3, first 2 shown]
	s_waitcnt vmcnt(0)
	ds_write_b128 v126, v[1:4]
	s_waitcnt lgkmcnt(0)
	s_waitcnt_vscnt null, 0x0
	s_barrier
	buffer_gl0_inv
	v_cmpx_gt_u32_e32 47, v0
	s_cbranch_execz .LBB123_847
; %bb.840:
	ds_read_b128 v[1:4], v126
	v_cmp_ne_u32_e32 vcc_lo, 1, v127
	s_cbranch_vccnz .LBB123_842
; %bb.841:
	s_clause 0x3
	buffer_load_dword v128, v125, s[0:3], 0 offen offset:8
	buffer_load_dword v129, v125, s[0:3], 0 offen offset:12
	buffer_load_dword v132, v125, s[0:3], 0 offen
	buffer_load_dword v133, v125, s[0:3], 0 offen offset:4
	s_waitcnt vmcnt(2) lgkmcnt(0)
	v_mul_f64 v[134:135], v[3:4], v[128:129]
	v_mul_f64 v[128:129], v[1:2], v[128:129]
	s_waitcnt vmcnt(0)
	v_fma_f64 v[1:2], v[1:2], v[132:133], -v[134:135]
	v_fma_f64 v[3:4], v[3:4], v[132:133], v[128:129]
.LBB123_842:
	s_mov_b32 s6, exec_lo
	v_cmpx_ne_u32_e32 46, v0
	s_cbranch_execz .LBB123_846
; %bb.843:
	v_add_nc_u32_e32 v128, 0x3d0, v131
	v_add3_u32 v129, 0, v131, 16
	v_mov_b32_e32 v130, v0
	s_mov_b32 s8, 0
	.p2align	6
.LBB123_844:                            ; =>This Inner Loop Header: Depth=1
	s_clause 0x3
	buffer_load_dword v136, v129, s[0:3], 0 offen offset:8
	buffer_load_dword v137, v129, s[0:3], 0 offen offset:12
	buffer_load_dword v138, v129, s[0:3], 0 offen
	buffer_load_dword v139, v129, s[0:3], 0 offen offset:4
	ds_read_b128 v[132:135], v128
	v_add_nc_u32_e32 v130, 1, v130
	v_add_nc_u32_e32 v128, 16, v128
	;; [unrolled: 1-line block ×3, first 2 shown]
	v_cmp_lt_u32_e32 vcc_lo, 45, v130
	s_or_b32 s8, vcc_lo, s8
	s_waitcnt vmcnt(2) lgkmcnt(0)
	v_mul_f64 v[140:141], v[134:135], v[136:137]
	v_mul_f64 v[136:137], v[132:133], v[136:137]
	s_waitcnt vmcnt(0)
	v_fma_f64 v[132:133], v[132:133], v[138:139], -v[140:141]
	v_fma_f64 v[134:135], v[134:135], v[138:139], v[136:137]
	v_add_f64 v[1:2], v[1:2], v[132:133]
	v_add_f64 v[3:4], v[3:4], v[134:135]
	s_andn2_b32 exec_lo, exec_lo, s8
	s_cbranch_execnz .LBB123_844
; %bb.845:
	s_or_b32 exec_lo, exec_lo, s8
.LBB123_846:
	s_or_b32 exec_lo, exec_lo, s6
	v_mov_b32_e32 v128, 0
	ds_read_b128 v[132:135], v128 offset:752
	s_waitcnt lgkmcnt(0)
	v_mul_f64 v[128:129], v[3:4], v[134:135]
	v_mul_f64 v[134:135], v[1:2], v[134:135]
	v_fma_f64 v[1:2], v[1:2], v[132:133], -v[128:129]
	v_fma_f64 v[3:4], v[3:4], v[132:133], v[134:135]
	buffer_store_dword v2, off, s[0:3], 0 offset:756
	buffer_store_dword v1, off, s[0:3], 0 offset:752
	buffer_store_dword v4, off, s[0:3], 0 offset:764
	buffer_store_dword v3, off, s[0:3], 0 offset:760
.LBB123_847:
	s_or_b32 exec_lo, exec_lo, s4
	v_mov_b32_e32 v4, s19
	s_mov_b32 s4, exec_lo
	s_clause 0x3
	buffer_load_dword v1, v4, s[0:3], 0 offen
	buffer_load_dword v2, v4, s[0:3], 0 offen offset:4
	buffer_load_dword v3, v4, s[0:3], 0 offen offset:8
	;; [unrolled: 1-line block ×3, first 2 shown]
	s_waitcnt vmcnt(0)
	ds_write_b128 v126, v[1:4]
	s_waitcnt lgkmcnt(0)
	s_waitcnt_vscnt null, 0x0
	s_barrier
	buffer_gl0_inv
	v_cmpx_gt_u32_e32 48, v0
	s_cbranch_execz .LBB123_855
; %bb.848:
	ds_read_b128 v[1:4], v126
	v_cmp_ne_u32_e32 vcc_lo, 1, v127
	s_cbranch_vccnz .LBB123_850
; %bb.849:
	s_clause 0x3
	buffer_load_dword v128, v125, s[0:3], 0 offen offset:8
	buffer_load_dword v129, v125, s[0:3], 0 offen offset:12
	buffer_load_dword v132, v125, s[0:3], 0 offen
	buffer_load_dword v133, v125, s[0:3], 0 offen offset:4
	s_waitcnt vmcnt(2) lgkmcnt(0)
	v_mul_f64 v[134:135], v[3:4], v[128:129]
	v_mul_f64 v[128:129], v[1:2], v[128:129]
	s_waitcnt vmcnt(0)
	v_fma_f64 v[1:2], v[1:2], v[132:133], -v[134:135]
	v_fma_f64 v[3:4], v[3:4], v[132:133], v[128:129]
.LBB123_850:
	s_mov_b32 s6, exec_lo
	v_cmpx_ne_u32_e32 47, v0
	s_cbranch_execz .LBB123_854
; %bb.851:
	v_add_nc_u32_e32 v128, 0x3d0, v131
	v_add3_u32 v129, 0, v131, 16
	v_mov_b32_e32 v130, v0
	s_mov_b32 s8, 0
	.p2align	6
.LBB123_852:                            ; =>This Inner Loop Header: Depth=1
	s_clause 0x3
	buffer_load_dword v136, v129, s[0:3], 0 offen offset:8
	buffer_load_dword v137, v129, s[0:3], 0 offen offset:12
	buffer_load_dword v138, v129, s[0:3], 0 offen
	buffer_load_dword v139, v129, s[0:3], 0 offen offset:4
	ds_read_b128 v[132:135], v128
	v_add_nc_u32_e32 v130, 1, v130
	v_add_nc_u32_e32 v128, 16, v128
	;; [unrolled: 1-line block ×3, first 2 shown]
	v_cmp_lt_u32_e32 vcc_lo, 46, v130
	s_or_b32 s8, vcc_lo, s8
	s_waitcnt vmcnt(2) lgkmcnt(0)
	v_mul_f64 v[140:141], v[134:135], v[136:137]
	v_mul_f64 v[136:137], v[132:133], v[136:137]
	s_waitcnt vmcnt(0)
	v_fma_f64 v[132:133], v[132:133], v[138:139], -v[140:141]
	v_fma_f64 v[134:135], v[134:135], v[138:139], v[136:137]
	v_add_f64 v[1:2], v[1:2], v[132:133]
	v_add_f64 v[3:4], v[3:4], v[134:135]
	s_andn2_b32 exec_lo, exec_lo, s8
	s_cbranch_execnz .LBB123_852
; %bb.853:
	s_or_b32 exec_lo, exec_lo, s8
.LBB123_854:
	s_or_b32 exec_lo, exec_lo, s6
	v_mov_b32_e32 v128, 0
	ds_read_b128 v[132:135], v128 offset:768
	s_waitcnt lgkmcnt(0)
	v_mul_f64 v[128:129], v[3:4], v[134:135]
	v_mul_f64 v[134:135], v[1:2], v[134:135]
	v_fma_f64 v[1:2], v[1:2], v[132:133], -v[128:129]
	v_fma_f64 v[3:4], v[3:4], v[132:133], v[134:135]
	buffer_store_dword v2, off, s[0:3], 0 offset:772
	buffer_store_dword v1, off, s[0:3], 0 offset:768
	;; [unrolled: 1-line block ×4, first 2 shown]
.LBB123_855:
	s_or_b32 exec_lo, exec_lo, s4
	v_mov_b32_e32 v4, s18
	s_mov_b32 s4, exec_lo
	s_clause 0x3
	buffer_load_dword v1, v4, s[0:3], 0 offen
	buffer_load_dword v2, v4, s[0:3], 0 offen offset:4
	buffer_load_dword v3, v4, s[0:3], 0 offen offset:8
	buffer_load_dword v4, v4, s[0:3], 0 offen offset:12
	s_waitcnt vmcnt(0)
	ds_write_b128 v126, v[1:4]
	s_waitcnt lgkmcnt(0)
	s_waitcnt_vscnt null, 0x0
	s_barrier
	buffer_gl0_inv
	v_cmpx_gt_u32_e32 49, v0
	s_cbranch_execz .LBB123_863
; %bb.856:
	ds_read_b128 v[1:4], v126
	v_cmp_ne_u32_e32 vcc_lo, 1, v127
	s_cbranch_vccnz .LBB123_858
; %bb.857:
	s_clause 0x3
	buffer_load_dword v128, v125, s[0:3], 0 offen offset:8
	buffer_load_dword v129, v125, s[0:3], 0 offen offset:12
	buffer_load_dword v132, v125, s[0:3], 0 offen
	buffer_load_dword v133, v125, s[0:3], 0 offen offset:4
	s_waitcnt vmcnt(2) lgkmcnt(0)
	v_mul_f64 v[134:135], v[3:4], v[128:129]
	v_mul_f64 v[128:129], v[1:2], v[128:129]
	s_waitcnt vmcnt(0)
	v_fma_f64 v[1:2], v[1:2], v[132:133], -v[134:135]
	v_fma_f64 v[3:4], v[3:4], v[132:133], v[128:129]
.LBB123_858:
	s_mov_b32 s6, exec_lo
	v_cmpx_ne_u32_e32 48, v0
	s_cbranch_execz .LBB123_862
; %bb.859:
	v_add_nc_u32_e32 v128, 0x3d0, v131
	v_add3_u32 v129, 0, v131, 16
	v_mov_b32_e32 v130, v0
	s_mov_b32 s8, 0
	.p2align	6
.LBB123_860:                            ; =>This Inner Loop Header: Depth=1
	s_clause 0x3
	buffer_load_dword v136, v129, s[0:3], 0 offen offset:8
	buffer_load_dword v137, v129, s[0:3], 0 offen offset:12
	buffer_load_dword v138, v129, s[0:3], 0 offen
	buffer_load_dword v139, v129, s[0:3], 0 offen offset:4
	ds_read_b128 v[132:135], v128
	v_add_nc_u32_e32 v130, 1, v130
	v_add_nc_u32_e32 v128, 16, v128
	;; [unrolled: 1-line block ×3, first 2 shown]
	v_cmp_lt_u32_e32 vcc_lo, 47, v130
	s_or_b32 s8, vcc_lo, s8
	s_waitcnt vmcnt(2) lgkmcnt(0)
	v_mul_f64 v[140:141], v[134:135], v[136:137]
	v_mul_f64 v[136:137], v[132:133], v[136:137]
	s_waitcnt vmcnt(0)
	v_fma_f64 v[132:133], v[132:133], v[138:139], -v[140:141]
	v_fma_f64 v[134:135], v[134:135], v[138:139], v[136:137]
	v_add_f64 v[1:2], v[1:2], v[132:133]
	v_add_f64 v[3:4], v[3:4], v[134:135]
	s_andn2_b32 exec_lo, exec_lo, s8
	s_cbranch_execnz .LBB123_860
; %bb.861:
	s_or_b32 exec_lo, exec_lo, s8
.LBB123_862:
	s_or_b32 exec_lo, exec_lo, s6
	v_mov_b32_e32 v128, 0
	ds_read_b128 v[132:135], v128 offset:784
	s_waitcnt lgkmcnt(0)
	v_mul_f64 v[128:129], v[3:4], v[134:135]
	v_mul_f64 v[134:135], v[1:2], v[134:135]
	v_fma_f64 v[1:2], v[1:2], v[132:133], -v[128:129]
	v_fma_f64 v[3:4], v[3:4], v[132:133], v[134:135]
	buffer_store_dword v2, off, s[0:3], 0 offset:788
	buffer_store_dword v1, off, s[0:3], 0 offset:784
	;; [unrolled: 1-line block ×4, first 2 shown]
.LBB123_863:
	s_or_b32 exec_lo, exec_lo, s4
	v_mov_b32_e32 v4, s17
	s_mov_b32 s4, exec_lo
	s_clause 0x3
	buffer_load_dword v1, v4, s[0:3], 0 offen
	buffer_load_dword v2, v4, s[0:3], 0 offen offset:4
	buffer_load_dword v3, v4, s[0:3], 0 offen offset:8
	;; [unrolled: 1-line block ×3, first 2 shown]
	s_waitcnt vmcnt(0)
	ds_write_b128 v126, v[1:4]
	s_waitcnt lgkmcnt(0)
	s_waitcnt_vscnt null, 0x0
	s_barrier
	buffer_gl0_inv
	v_cmpx_gt_u32_e32 50, v0
	s_cbranch_execz .LBB123_871
; %bb.864:
	ds_read_b128 v[1:4], v126
	v_cmp_ne_u32_e32 vcc_lo, 1, v127
	s_cbranch_vccnz .LBB123_866
; %bb.865:
	s_clause 0x3
	buffer_load_dword v128, v125, s[0:3], 0 offen offset:8
	buffer_load_dword v129, v125, s[0:3], 0 offen offset:12
	buffer_load_dword v132, v125, s[0:3], 0 offen
	buffer_load_dword v133, v125, s[0:3], 0 offen offset:4
	s_waitcnt vmcnt(2) lgkmcnt(0)
	v_mul_f64 v[134:135], v[3:4], v[128:129]
	v_mul_f64 v[128:129], v[1:2], v[128:129]
	s_waitcnt vmcnt(0)
	v_fma_f64 v[1:2], v[1:2], v[132:133], -v[134:135]
	v_fma_f64 v[3:4], v[3:4], v[132:133], v[128:129]
.LBB123_866:
	s_mov_b32 s6, exec_lo
	v_cmpx_ne_u32_e32 49, v0
	s_cbranch_execz .LBB123_870
; %bb.867:
	v_add_nc_u32_e32 v128, 0x3d0, v131
	v_add3_u32 v129, 0, v131, 16
	v_mov_b32_e32 v130, v0
	s_mov_b32 s8, 0
	.p2align	6
.LBB123_868:                            ; =>This Inner Loop Header: Depth=1
	s_clause 0x3
	buffer_load_dword v136, v129, s[0:3], 0 offen offset:8
	buffer_load_dword v137, v129, s[0:3], 0 offen offset:12
	buffer_load_dword v138, v129, s[0:3], 0 offen
	buffer_load_dword v139, v129, s[0:3], 0 offen offset:4
	ds_read_b128 v[132:135], v128
	v_add_nc_u32_e32 v130, 1, v130
	v_add_nc_u32_e32 v128, 16, v128
	v_add_nc_u32_e32 v129, 16, v129
	v_cmp_lt_u32_e32 vcc_lo, 48, v130
	s_or_b32 s8, vcc_lo, s8
	s_waitcnt vmcnt(2) lgkmcnt(0)
	v_mul_f64 v[140:141], v[134:135], v[136:137]
	v_mul_f64 v[136:137], v[132:133], v[136:137]
	s_waitcnt vmcnt(0)
	v_fma_f64 v[132:133], v[132:133], v[138:139], -v[140:141]
	v_fma_f64 v[134:135], v[134:135], v[138:139], v[136:137]
	v_add_f64 v[1:2], v[1:2], v[132:133]
	v_add_f64 v[3:4], v[3:4], v[134:135]
	s_andn2_b32 exec_lo, exec_lo, s8
	s_cbranch_execnz .LBB123_868
; %bb.869:
	s_or_b32 exec_lo, exec_lo, s8
.LBB123_870:
	s_or_b32 exec_lo, exec_lo, s6
	v_mov_b32_e32 v128, 0
	ds_read_b128 v[132:135], v128 offset:800
	s_waitcnt lgkmcnt(0)
	v_mul_f64 v[128:129], v[3:4], v[134:135]
	v_mul_f64 v[134:135], v[1:2], v[134:135]
	v_fma_f64 v[1:2], v[1:2], v[132:133], -v[128:129]
	v_fma_f64 v[3:4], v[3:4], v[132:133], v[134:135]
	buffer_store_dword v2, off, s[0:3], 0 offset:804
	buffer_store_dword v1, off, s[0:3], 0 offset:800
	;; [unrolled: 1-line block ×4, first 2 shown]
.LBB123_871:
	s_or_b32 exec_lo, exec_lo, s4
	v_mov_b32_e32 v4, s16
	s_mov_b32 s4, exec_lo
	s_clause 0x3
	buffer_load_dword v1, v4, s[0:3], 0 offen
	buffer_load_dword v2, v4, s[0:3], 0 offen offset:4
	buffer_load_dword v3, v4, s[0:3], 0 offen offset:8
	;; [unrolled: 1-line block ×3, first 2 shown]
	s_waitcnt vmcnt(0)
	ds_write_b128 v126, v[1:4]
	s_waitcnt lgkmcnt(0)
	s_waitcnt_vscnt null, 0x0
	s_barrier
	buffer_gl0_inv
	v_cmpx_gt_u32_e32 51, v0
	s_cbranch_execz .LBB123_879
; %bb.872:
	ds_read_b128 v[1:4], v126
	v_cmp_ne_u32_e32 vcc_lo, 1, v127
	s_cbranch_vccnz .LBB123_874
; %bb.873:
	s_clause 0x3
	buffer_load_dword v128, v125, s[0:3], 0 offen offset:8
	buffer_load_dword v129, v125, s[0:3], 0 offen offset:12
	buffer_load_dword v132, v125, s[0:3], 0 offen
	buffer_load_dword v133, v125, s[0:3], 0 offen offset:4
	s_waitcnt vmcnt(2) lgkmcnt(0)
	v_mul_f64 v[134:135], v[3:4], v[128:129]
	v_mul_f64 v[128:129], v[1:2], v[128:129]
	s_waitcnt vmcnt(0)
	v_fma_f64 v[1:2], v[1:2], v[132:133], -v[134:135]
	v_fma_f64 v[3:4], v[3:4], v[132:133], v[128:129]
.LBB123_874:
	s_mov_b32 s6, exec_lo
	v_cmpx_ne_u32_e32 50, v0
	s_cbranch_execz .LBB123_878
; %bb.875:
	v_add_nc_u32_e32 v128, 0x3d0, v131
	v_add3_u32 v129, 0, v131, 16
	v_mov_b32_e32 v130, v0
	s_mov_b32 s8, 0
	.p2align	6
.LBB123_876:                            ; =>This Inner Loop Header: Depth=1
	s_clause 0x3
	buffer_load_dword v136, v129, s[0:3], 0 offen offset:8
	buffer_load_dword v137, v129, s[0:3], 0 offen offset:12
	buffer_load_dword v138, v129, s[0:3], 0 offen
	buffer_load_dword v139, v129, s[0:3], 0 offen offset:4
	ds_read_b128 v[132:135], v128
	v_add_nc_u32_e32 v130, 1, v130
	v_add_nc_u32_e32 v128, 16, v128
	;; [unrolled: 1-line block ×3, first 2 shown]
	v_cmp_lt_u32_e32 vcc_lo, 49, v130
	s_or_b32 s8, vcc_lo, s8
	s_waitcnt vmcnt(2) lgkmcnt(0)
	v_mul_f64 v[140:141], v[134:135], v[136:137]
	v_mul_f64 v[136:137], v[132:133], v[136:137]
	s_waitcnt vmcnt(0)
	v_fma_f64 v[132:133], v[132:133], v[138:139], -v[140:141]
	v_fma_f64 v[134:135], v[134:135], v[138:139], v[136:137]
	v_add_f64 v[1:2], v[1:2], v[132:133]
	v_add_f64 v[3:4], v[3:4], v[134:135]
	s_andn2_b32 exec_lo, exec_lo, s8
	s_cbranch_execnz .LBB123_876
; %bb.877:
	s_or_b32 exec_lo, exec_lo, s8
.LBB123_878:
	s_or_b32 exec_lo, exec_lo, s6
	v_mov_b32_e32 v128, 0
	ds_read_b128 v[132:135], v128 offset:816
	s_waitcnt lgkmcnt(0)
	v_mul_f64 v[128:129], v[3:4], v[134:135]
	v_mul_f64 v[134:135], v[1:2], v[134:135]
	v_fma_f64 v[1:2], v[1:2], v[132:133], -v[128:129]
	v_fma_f64 v[3:4], v[3:4], v[132:133], v[134:135]
	buffer_store_dword v2, off, s[0:3], 0 offset:820
	buffer_store_dword v1, off, s[0:3], 0 offset:816
	;; [unrolled: 1-line block ×4, first 2 shown]
.LBB123_879:
	s_or_b32 exec_lo, exec_lo, s4
	v_mov_b32_e32 v4, s15
	s_mov_b32 s4, exec_lo
	s_clause 0x3
	buffer_load_dword v1, v4, s[0:3], 0 offen
	buffer_load_dword v2, v4, s[0:3], 0 offen offset:4
	buffer_load_dword v3, v4, s[0:3], 0 offen offset:8
	;; [unrolled: 1-line block ×3, first 2 shown]
	s_waitcnt vmcnt(0)
	ds_write_b128 v126, v[1:4]
	s_waitcnt lgkmcnt(0)
	s_waitcnt_vscnt null, 0x0
	s_barrier
	buffer_gl0_inv
	v_cmpx_gt_u32_e32 52, v0
	s_cbranch_execz .LBB123_887
; %bb.880:
	ds_read_b128 v[1:4], v126
	v_cmp_ne_u32_e32 vcc_lo, 1, v127
	s_cbranch_vccnz .LBB123_882
; %bb.881:
	s_clause 0x3
	buffer_load_dword v128, v125, s[0:3], 0 offen offset:8
	buffer_load_dword v129, v125, s[0:3], 0 offen offset:12
	buffer_load_dword v132, v125, s[0:3], 0 offen
	buffer_load_dword v133, v125, s[0:3], 0 offen offset:4
	s_waitcnt vmcnt(2) lgkmcnt(0)
	v_mul_f64 v[134:135], v[3:4], v[128:129]
	v_mul_f64 v[128:129], v[1:2], v[128:129]
	s_waitcnt vmcnt(0)
	v_fma_f64 v[1:2], v[1:2], v[132:133], -v[134:135]
	v_fma_f64 v[3:4], v[3:4], v[132:133], v[128:129]
.LBB123_882:
	s_mov_b32 s6, exec_lo
	v_cmpx_ne_u32_e32 51, v0
	s_cbranch_execz .LBB123_886
; %bb.883:
	v_add_nc_u32_e32 v128, 0x3d0, v131
	v_add3_u32 v129, 0, v131, 16
	v_mov_b32_e32 v130, v0
	s_mov_b32 s8, 0
	.p2align	6
.LBB123_884:                            ; =>This Inner Loop Header: Depth=1
	s_clause 0x3
	buffer_load_dword v136, v129, s[0:3], 0 offen offset:8
	buffer_load_dword v137, v129, s[0:3], 0 offen offset:12
	buffer_load_dword v138, v129, s[0:3], 0 offen
	buffer_load_dword v139, v129, s[0:3], 0 offen offset:4
	ds_read_b128 v[132:135], v128
	v_add_nc_u32_e32 v130, 1, v130
	v_add_nc_u32_e32 v128, 16, v128
	;; [unrolled: 1-line block ×3, first 2 shown]
	v_cmp_lt_u32_e32 vcc_lo, 50, v130
	s_or_b32 s8, vcc_lo, s8
	s_waitcnt vmcnt(2) lgkmcnt(0)
	v_mul_f64 v[140:141], v[134:135], v[136:137]
	v_mul_f64 v[136:137], v[132:133], v[136:137]
	s_waitcnt vmcnt(0)
	v_fma_f64 v[132:133], v[132:133], v[138:139], -v[140:141]
	v_fma_f64 v[134:135], v[134:135], v[138:139], v[136:137]
	v_add_f64 v[1:2], v[1:2], v[132:133]
	v_add_f64 v[3:4], v[3:4], v[134:135]
	s_andn2_b32 exec_lo, exec_lo, s8
	s_cbranch_execnz .LBB123_884
; %bb.885:
	s_or_b32 exec_lo, exec_lo, s8
.LBB123_886:
	s_or_b32 exec_lo, exec_lo, s6
	v_mov_b32_e32 v128, 0
	ds_read_b128 v[132:135], v128 offset:832
	s_waitcnt lgkmcnt(0)
	v_mul_f64 v[128:129], v[3:4], v[134:135]
	v_mul_f64 v[134:135], v[1:2], v[134:135]
	v_fma_f64 v[1:2], v[1:2], v[132:133], -v[128:129]
	v_fma_f64 v[3:4], v[3:4], v[132:133], v[134:135]
	buffer_store_dword v2, off, s[0:3], 0 offset:836
	buffer_store_dword v1, off, s[0:3], 0 offset:832
	;; [unrolled: 1-line block ×4, first 2 shown]
.LBB123_887:
	s_or_b32 exec_lo, exec_lo, s4
	v_mov_b32_e32 v4, s14
	s_mov_b32 s4, exec_lo
	s_clause 0x3
	buffer_load_dword v1, v4, s[0:3], 0 offen
	buffer_load_dword v2, v4, s[0:3], 0 offen offset:4
	buffer_load_dword v3, v4, s[0:3], 0 offen offset:8
	;; [unrolled: 1-line block ×3, first 2 shown]
	s_waitcnt vmcnt(0)
	ds_write_b128 v126, v[1:4]
	s_waitcnt lgkmcnt(0)
	s_waitcnt_vscnt null, 0x0
	s_barrier
	buffer_gl0_inv
	v_cmpx_gt_u32_e32 53, v0
	s_cbranch_execz .LBB123_895
; %bb.888:
	ds_read_b128 v[1:4], v126
	v_cmp_ne_u32_e32 vcc_lo, 1, v127
	s_cbranch_vccnz .LBB123_890
; %bb.889:
	s_clause 0x3
	buffer_load_dword v128, v125, s[0:3], 0 offen offset:8
	buffer_load_dword v129, v125, s[0:3], 0 offen offset:12
	buffer_load_dword v132, v125, s[0:3], 0 offen
	buffer_load_dword v133, v125, s[0:3], 0 offen offset:4
	s_waitcnt vmcnt(2) lgkmcnt(0)
	v_mul_f64 v[134:135], v[3:4], v[128:129]
	v_mul_f64 v[128:129], v[1:2], v[128:129]
	s_waitcnt vmcnt(0)
	v_fma_f64 v[1:2], v[1:2], v[132:133], -v[134:135]
	v_fma_f64 v[3:4], v[3:4], v[132:133], v[128:129]
.LBB123_890:
	s_mov_b32 s6, exec_lo
	v_cmpx_ne_u32_e32 52, v0
	s_cbranch_execz .LBB123_894
; %bb.891:
	v_add_nc_u32_e32 v128, 0x3d0, v131
	v_add3_u32 v129, 0, v131, 16
	v_mov_b32_e32 v130, v0
	s_mov_b32 s8, 0
	.p2align	6
.LBB123_892:                            ; =>This Inner Loop Header: Depth=1
	s_clause 0x3
	buffer_load_dword v136, v129, s[0:3], 0 offen offset:8
	buffer_load_dword v137, v129, s[0:3], 0 offen offset:12
	buffer_load_dword v138, v129, s[0:3], 0 offen
	buffer_load_dword v139, v129, s[0:3], 0 offen offset:4
	ds_read_b128 v[132:135], v128
	v_add_nc_u32_e32 v130, 1, v130
	v_add_nc_u32_e32 v128, 16, v128
	;; [unrolled: 1-line block ×3, first 2 shown]
	v_cmp_lt_u32_e32 vcc_lo, 51, v130
	s_or_b32 s8, vcc_lo, s8
	s_waitcnt vmcnt(2) lgkmcnt(0)
	v_mul_f64 v[140:141], v[134:135], v[136:137]
	v_mul_f64 v[136:137], v[132:133], v[136:137]
	s_waitcnt vmcnt(0)
	v_fma_f64 v[132:133], v[132:133], v[138:139], -v[140:141]
	v_fma_f64 v[134:135], v[134:135], v[138:139], v[136:137]
	v_add_f64 v[1:2], v[1:2], v[132:133]
	v_add_f64 v[3:4], v[3:4], v[134:135]
	s_andn2_b32 exec_lo, exec_lo, s8
	s_cbranch_execnz .LBB123_892
; %bb.893:
	s_or_b32 exec_lo, exec_lo, s8
.LBB123_894:
	s_or_b32 exec_lo, exec_lo, s6
	v_mov_b32_e32 v128, 0
	ds_read_b128 v[132:135], v128 offset:848
	s_waitcnt lgkmcnt(0)
	v_mul_f64 v[128:129], v[3:4], v[134:135]
	v_mul_f64 v[134:135], v[1:2], v[134:135]
	v_fma_f64 v[1:2], v[1:2], v[132:133], -v[128:129]
	v_fma_f64 v[3:4], v[3:4], v[132:133], v[134:135]
	buffer_store_dword v2, off, s[0:3], 0 offset:852
	buffer_store_dword v1, off, s[0:3], 0 offset:848
	;; [unrolled: 1-line block ×4, first 2 shown]
.LBB123_895:
	s_or_b32 exec_lo, exec_lo, s4
	v_mov_b32_e32 v4, s13
	s_mov_b32 s4, exec_lo
	s_clause 0x3
	buffer_load_dword v1, v4, s[0:3], 0 offen
	buffer_load_dword v2, v4, s[0:3], 0 offen offset:4
	buffer_load_dword v3, v4, s[0:3], 0 offen offset:8
	;; [unrolled: 1-line block ×3, first 2 shown]
	s_waitcnt vmcnt(0)
	ds_write_b128 v126, v[1:4]
	s_waitcnt lgkmcnt(0)
	s_waitcnt_vscnt null, 0x0
	s_barrier
	buffer_gl0_inv
	v_cmpx_gt_u32_e32 54, v0
	s_cbranch_execz .LBB123_903
; %bb.896:
	ds_read_b128 v[1:4], v126
	v_cmp_ne_u32_e32 vcc_lo, 1, v127
	s_cbranch_vccnz .LBB123_898
; %bb.897:
	s_clause 0x3
	buffer_load_dword v128, v125, s[0:3], 0 offen offset:8
	buffer_load_dword v129, v125, s[0:3], 0 offen offset:12
	buffer_load_dword v132, v125, s[0:3], 0 offen
	buffer_load_dword v133, v125, s[0:3], 0 offen offset:4
	s_waitcnt vmcnt(2) lgkmcnt(0)
	v_mul_f64 v[134:135], v[3:4], v[128:129]
	v_mul_f64 v[128:129], v[1:2], v[128:129]
	s_waitcnt vmcnt(0)
	v_fma_f64 v[1:2], v[1:2], v[132:133], -v[134:135]
	v_fma_f64 v[3:4], v[3:4], v[132:133], v[128:129]
.LBB123_898:
	s_mov_b32 s6, exec_lo
	v_cmpx_ne_u32_e32 53, v0
	s_cbranch_execz .LBB123_902
; %bb.899:
	v_add_nc_u32_e32 v128, 0x3d0, v131
	v_add3_u32 v129, 0, v131, 16
	v_mov_b32_e32 v130, v0
	s_mov_b32 s8, 0
	.p2align	6
.LBB123_900:                            ; =>This Inner Loop Header: Depth=1
	s_clause 0x3
	buffer_load_dword v136, v129, s[0:3], 0 offen offset:8
	buffer_load_dword v137, v129, s[0:3], 0 offen offset:12
	buffer_load_dword v138, v129, s[0:3], 0 offen
	buffer_load_dword v139, v129, s[0:3], 0 offen offset:4
	ds_read_b128 v[132:135], v128
	v_add_nc_u32_e32 v130, 1, v130
	v_add_nc_u32_e32 v128, 16, v128
	v_add_nc_u32_e32 v129, 16, v129
	v_cmp_lt_u32_e32 vcc_lo, 52, v130
	s_or_b32 s8, vcc_lo, s8
	s_waitcnt vmcnt(2) lgkmcnt(0)
	v_mul_f64 v[140:141], v[134:135], v[136:137]
	v_mul_f64 v[136:137], v[132:133], v[136:137]
	s_waitcnt vmcnt(0)
	v_fma_f64 v[132:133], v[132:133], v[138:139], -v[140:141]
	v_fma_f64 v[134:135], v[134:135], v[138:139], v[136:137]
	v_add_f64 v[1:2], v[1:2], v[132:133]
	v_add_f64 v[3:4], v[3:4], v[134:135]
	s_andn2_b32 exec_lo, exec_lo, s8
	s_cbranch_execnz .LBB123_900
; %bb.901:
	s_or_b32 exec_lo, exec_lo, s8
.LBB123_902:
	s_or_b32 exec_lo, exec_lo, s6
	v_mov_b32_e32 v128, 0
	ds_read_b128 v[132:135], v128 offset:864
	s_waitcnt lgkmcnt(0)
	v_mul_f64 v[128:129], v[3:4], v[134:135]
	v_mul_f64 v[134:135], v[1:2], v[134:135]
	v_fma_f64 v[1:2], v[1:2], v[132:133], -v[128:129]
	v_fma_f64 v[3:4], v[3:4], v[132:133], v[134:135]
	buffer_store_dword v2, off, s[0:3], 0 offset:868
	buffer_store_dword v1, off, s[0:3], 0 offset:864
	buffer_store_dword v4, off, s[0:3], 0 offset:876
	buffer_store_dword v3, off, s[0:3], 0 offset:872
.LBB123_903:
	s_or_b32 exec_lo, exec_lo, s4
	v_mov_b32_e32 v4, s12
	s_mov_b32 s4, exec_lo
	s_clause 0x3
	buffer_load_dword v1, v4, s[0:3], 0 offen
	buffer_load_dword v2, v4, s[0:3], 0 offen offset:4
	buffer_load_dword v3, v4, s[0:3], 0 offen offset:8
	;; [unrolled: 1-line block ×3, first 2 shown]
	s_waitcnt vmcnt(0)
	ds_write_b128 v126, v[1:4]
	s_waitcnt lgkmcnt(0)
	s_waitcnt_vscnt null, 0x0
	s_barrier
	buffer_gl0_inv
	v_cmpx_gt_u32_e32 55, v0
	s_cbranch_execz .LBB123_911
; %bb.904:
	ds_read_b128 v[1:4], v126
	v_cmp_ne_u32_e32 vcc_lo, 1, v127
	s_cbranch_vccnz .LBB123_906
; %bb.905:
	s_clause 0x3
	buffer_load_dword v128, v125, s[0:3], 0 offen offset:8
	buffer_load_dword v129, v125, s[0:3], 0 offen offset:12
	buffer_load_dword v132, v125, s[0:3], 0 offen
	buffer_load_dword v133, v125, s[0:3], 0 offen offset:4
	s_waitcnt vmcnt(2) lgkmcnt(0)
	v_mul_f64 v[134:135], v[3:4], v[128:129]
	v_mul_f64 v[128:129], v[1:2], v[128:129]
	s_waitcnt vmcnt(0)
	v_fma_f64 v[1:2], v[1:2], v[132:133], -v[134:135]
	v_fma_f64 v[3:4], v[3:4], v[132:133], v[128:129]
.LBB123_906:
	s_mov_b32 s6, exec_lo
	v_cmpx_ne_u32_e32 54, v0
	s_cbranch_execz .LBB123_910
; %bb.907:
	v_add_nc_u32_e32 v128, 0x3d0, v131
	v_add3_u32 v129, 0, v131, 16
	v_mov_b32_e32 v130, v0
	s_mov_b32 s8, 0
	.p2align	6
.LBB123_908:                            ; =>This Inner Loop Header: Depth=1
	s_clause 0x3
	buffer_load_dword v136, v129, s[0:3], 0 offen offset:8
	buffer_load_dword v137, v129, s[0:3], 0 offen offset:12
	buffer_load_dword v138, v129, s[0:3], 0 offen
	buffer_load_dword v139, v129, s[0:3], 0 offen offset:4
	ds_read_b128 v[132:135], v128
	v_add_nc_u32_e32 v130, 1, v130
	v_add_nc_u32_e32 v128, 16, v128
	;; [unrolled: 1-line block ×3, first 2 shown]
	v_cmp_lt_u32_e32 vcc_lo, 53, v130
	s_or_b32 s8, vcc_lo, s8
	s_waitcnt vmcnt(2) lgkmcnt(0)
	v_mul_f64 v[140:141], v[134:135], v[136:137]
	v_mul_f64 v[136:137], v[132:133], v[136:137]
	s_waitcnt vmcnt(0)
	v_fma_f64 v[132:133], v[132:133], v[138:139], -v[140:141]
	v_fma_f64 v[134:135], v[134:135], v[138:139], v[136:137]
	v_add_f64 v[1:2], v[1:2], v[132:133]
	v_add_f64 v[3:4], v[3:4], v[134:135]
	s_andn2_b32 exec_lo, exec_lo, s8
	s_cbranch_execnz .LBB123_908
; %bb.909:
	s_or_b32 exec_lo, exec_lo, s8
.LBB123_910:
	s_or_b32 exec_lo, exec_lo, s6
	v_mov_b32_e32 v128, 0
	ds_read_b128 v[132:135], v128 offset:880
	s_waitcnt lgkmcnt(0)
	v_mul_f64 v[128:129], v[3:4], v[134:135]
	v_mul_f64 v[134:135], v[1:2], v[134:135]
	v_fma_f64 v[1:2], v[1:2], v[132:133], -v[128:129]
	v_fma_f64 v[3:4], v[3:4], v[132:133], v[134:135]
	buffer_store_dword v2, off, s[0:3], 0 offset:884
	buffer_store_dword v1, off, s[0:3], 0 offset:880
	buffer_store_dword v4, off, s[0:3], 0 offset:892
	buffer_store_dword v3, off, s[0:3], 0 offset:888
.LBB123_911:
	s_or_b32 exec_lo, exec_lo, s4
	v_mov_b32_e32 v4, s11
	s_mov_b32 s4, exec_lo
	s_clause 0x3
	buffer_load_dword v1, v4, s[0:3], 0 offen
	buffer_load_dword v2, v4, s[0:3], 0 offen offset:4
	buffer_load_dword v3, v4, s[0:3], 0 offen offset:8
	;; [unrolled: 1-line block ×3, first 2 shown]
	s_waitcnt vmcnt(0)
	ds_write_b128 v126, v[1:4]
	s_waitcnt lgkmcnt(0)
	s_waitcnt_vscnt null, 0x0
	s_barrier
	buffer_gl0_inv
	v_cmpx_gt_u32_e32 56, v0
	s_cbranch_execz .LBB123_919
; %bb.912:
	ds_read_b128 v[1:4], v126
	v_cmp_ne_u32_e32 vcc_lo, 1, v127
	s_cbranch_vccnz .LBB123_914
; %bb.913:
	s_clause 0x3
	buffer_load_dword v128, v125, s[0:3], 0 offen offset:8
	buffer_load_dword v129, v125, s[0:3], 0 offen offset:12
	buffer_load_dword v132, v125, s[0:3], 0 offen
	buffer_load_dword v133, v125, s[0:3], 0 offen offset:4
	s_waitcnt vmcnt(2) lgkmcnt(0)
	v_mul_f64 v[134:135], v[3:4], v[128:129]
	v_mul_f64 v[128:129], v[1:2], v[128:129]
	s_waitcnt vmcnt(0)
	v_fma_f64 v[1:2], v[1:2], v[132:133], -v[134:135]
	v_fma_f64 v[3:4], v[3:4], v[132:133], v[128:129]
.LBB123_914:
	s_mov_b32 s6, exec_lo
	v_cmpx_ne_u32_e32 55, v0
	s_cbranch_execz .LBB123_918
; %bb.915:
	v_add_nc_u32_e32 v128, 0x3d0, v131
	v_add3_u32 v129, 0, v131, 16
	v_mov_b32_e32 v130, v0
	s_mov_b32 s8, 0
	.p2align	6
.LBB123_916:                            ; =>This Inner Loop Header: Depth=1
	s_clause 0x3
	buffer_load_dword v136, v129, s[0:3], 0 offen offset:8
	buffer_load_dword v137, v129, s[0:3], 0 offen offset:12
	buffer_load_dword v138, v129, s[0:3], 0 offen
	buffer_load_dword v139, v129, s[0:3], 0 offen offset:4
	ds_read_b128 v[132:135], v128
	v_add_nc_u32_e32 v130, 1, v130
	v_add_nc_u32_e32 v128, 16, v128
	v_add_nc_u32_e32 v129, 16, v129
	v_cmp_lt_u32_e32 vcc_lo, 54, v130
	s_or_b32 s8, vcc_lo, s8
	s_waitcnt vmcnt(2) lgkmcnt(0)
	v_mul_f64 v[140:141], v[134:135], v[136:137]
	v_mul_f64 v[136:137], v[132:133], v[136:137]
	s_waitcnt vmcnt(0)
	v_fma_f64 v[132:133], v[132:133], v[138:139], -v[140:141]
	v_fma_f64 v[134:135], v[134:135], v[138:139], v[136:137]
	v_add_f64 v[1:2], v[1:2], v[132:133]
	v_add_f64 v[3:4], v[3:4], v[134:135]
	s_andn2_b32 exec_lo, exec_lo, s8
	s_cbranch_execnz .LBB123_916
; %bb.917:
	s_or_b32 exec_lo, exec_lo, s8
.LBB123_918:
	s_or_b32 exec_lo, exec_lo, s6
	v_mov_b32_e32 v128, 0
	ds_read_b128 v[132:135], v128 offset:896
	s_waitcnt lgkmcnt(0)
	v_mul_f64 v[128:129], v[3:4], v[134:135]
	v_mul_f64 v[134:135], v[1:2], v[134:135]
	v_fma_f64 v[1:2], v[1:2], v[132:133], -v[128:129]
	v_fma_f64 v[3:4], v[3:4], v[132:133], v[134:135]
	buffer_store_dword v2, off, s[0:3], 0 offset:900
	buffer_store_dword v1, off, s[0:3], 0 offset:896
	;; [unrolled: 1-line block ×4, first 2 shown]
.LBB123_919:
	s_or_b32 exec_lo, exec_lo, s4
	v_mov_b32_e32 v4, s10
	s_mov_b32 s4, exec_lo
	s_clause 0x3
	buffer_load_dword v1, v4, s[0:3], 0 offen
	buffer_load_dword v2, v4, s[0:3], 0 offen offset:4
	buffer_load_dword v3, v4, s[0:3], 0 offen offset:8
	;; [unrolled: 1-line block ×3, first 2 shown]
	s_waitcnt vmcnt(0)
	ds_write_b128 v126, v[1:4]
	s_waitcnt lgkmcnt(0)
	s_waitcnt_vscnt null, 0x0
	s_barrier
	buffer_gl0_inv
	v_cmpx_gt_u32_e32 57, v0
	s_cbranch_execz .LBB123_927
; %bb.920:
	ds_read_b128 v[1:4], v126
	v_cmp_ne_u32_e32 vcc_lo, 1, v127
	s_cbranch_vccnz .LBB123_922
; %bb.921:
	s_clause 0x3
	buffer_load_dword v128, v125, s[0:3], 0 offen offset:8
	buffer_load_dword v129, v125, s[0:3], 0 offen offset:12
	buffer_load_dword v132, v125, s[0:3], 0 offen
	buffer_load_dword v133, v125, s[0:3], 0 offen offset:4
	s_waitcnt vmcnt(2) lgkmcnt(0)
	v_mul_f64 v[134:135], v[3:4], v[128:129]
	v_mul_f64 v[128:129], v[1:2], v[128:129]
	s_waitcnt vmcnt(0)
	v_fma_f64 v[1:2], v[1:2], v[132:133], -v[134:135]
	v_fma_f64 v[3:4], v[3:4], v[132:133], v[128:129]
.LBB123_922:
	s_mov_b32 s6, exec_lo
	v_cmpx_ne_u32_e32 56, v0
	s_cbranch_execz .LBB123_926
; %bb.923:
	v_add_nc_u32_e32 v128, 0x3d0, v131
	v_add3_u32 v129, 0, v131, 16
	v_mov_b32_e32 v130, v0
	s_mov_b32 s8, 0
	.p2align	6
.LBB123_924:                            ; =>This Inner Loop Header: Depth=1
	s_clause 0x3
	buffer_load_dword v136, v129, s[0:3], 0 offen offset:8
	buffer_load_dword v137, v129, s[0:3], 0 offen offset:12
	buffer_load_dword v138, v129, s[0:3], 0 offen
	buffer_load_dword v139, v129, s[0:3], 0 offen offset:4
	ds_read_b128 v[132:135], v128
	v_add_nc_u32_e32 v130, 1, v130
	v_add_nc_u32_e32 v128, 16, v128
	;; [unrolled: 1-line block ×3, first 2 shown]
	v_cmp_lt_u32_e32 vcc_lo, 55, v130
	s_or_b32 s8, vcc_lo, s8
	s_waitcnt vmcnt(2) lgkmcnt(0)
	v_mul_f64 v[140:141], v[134:135], v[136:137]
	v_mul_f64 v[136:137], v[132:133], v[136:137]
	s_waitcnt vmcnt(0)
	v_fma_f64 v[132:133], v[132:133], v[138:139], -v[140:141]
	v_fma_f64 v[134:135], v[134:135], v[138:139], v[136:137]
	v_add_f64 v[1:2], v[1:2], v[132:133]
	v_add_f64 v[3:4], v[3:4], v[134:135]
	s_andn2_b32 exec_lo, exec_lo, s8
	s_cbranch_execnz .LBB123_924
; %bb.925:
	s_or_b32 exec_lo, exec_lo, s8
.LBB123_926:
	s_or_b32 exec_lo, exec_lo, s6
	v_mov_b32_e32 v128, 0
	ds_read_b128 v[132:135], v128 offset:912
	s_waitcnt lgkmcnt(0)
	v_mul_f64 v[128:129], v[3:4], v[134:135]
	v_mul_f64 v[134:135], v[1:2], v[134:135]
	v_fma_f64 v[1:2], v[1:2], v[132:133], -v[128:129]
	v_fma_f64 v[3:4], v[3:4], v[132:133], v[134:135]
	buffer_store_dword v2, off, s[0:3], 0 offset:916
	buffer_store_dword v1, off, s[0:3], 0 offset:912
	;; [unrolled: 1-line block ×4, first 2 shown]
.LBB123_927:
	s_or_b32 exec_lo, exec_lo, s4
	v_mov_b32_e32 v4, s9
	v_cmp_gt_u32_e64 s4, 58, v0
	s_clause 0x3
	buffer_load_dword v1, v4, s[0:3], 0 offen
	buffer_load_dword v2, v4, s[0:3], 0 offen offset:4
	buffer_load_dword v3, v4, s[0:3], 0 offen offset:8
	;; [unrolled: 1-line block ×3, first 2 shown]
	s_waitcnt vmcnt(0)
	ds_write_b128 v126, v[1:4]
	s_waitcnt lgkmcnt(0)
	s_waitcnt_vscnt null, 0x0
	s_barrier
	buffer_gl0_inv
	s_and_saveexec_b32 s6, s4
	s_cbranch_execz .LBB123_935
; %bb.928:
	ds_read_b128 v[1:4], v126
	v_cmp_ne_u32_e32 vcc_lo, 1, v127
	s_cbranch_vccnz .LBB123_930
; %bb.929:
	s_clause 0x3
	buffer_load_dword v128, v125, s[0:3], 0 offen offset:8
	buffer_load_dword v129, v125, s[0:3], 0 offen offset:12
	buffer_load_dword v132, v125, s[0:3], 0 offen
	buffer_load_dword v133, v125, s[0:3], 0 offen offset:4
	s_waitcnt vmcnt(2) lgkmcnt(0)
	v_mul_f64 v[134:135], v[3:4], v[128:129]
	v_mul_f64 v[128:129], v[1:2], v[128:129]
	s_waitcnt vmcnt(0)
	v_fma_f64 v[1:2], v[1:2], v[132:133], -v[134:135]
	v_fma_f64 v[3:4], v[3:4], v[132:133], v[128:129]
.LBB123_930:
	s_mov_b32 s8, exec_lo
	v_cmpx_ne_u32_e32 57, v0
	s_cbranch_execz .LBB123_934
; %bb.931:
	v_add_nc_u32_e32 v128, 0x3d0, v131
	v_add3_u32 v129, 0, v131, 16
	v_mov_b32_e32 v130, v0
	s_mov_b32 s68, 0
	.p2align	6
.LBB123_932:                            ; =>This Inner Loop Header: Depth=1
	s_clause 0x3
	buffer_load_dword v136, v129, s[0:3], 0 offen offset:8
	buffer_load_dword v137, v129, s[0:3], 0 offen offset:12
	buffer_load_dword v138, v129, s[0:3], 0 offen
	buffer_load_dword v139, v129, s[0:3], 0 offen offset:4
	ds_read_b128 v[132:135], v128
	v_add_nc_u32_e32 v130, 1, v130
	v_add_nc_u32_e32 v128, 16, v128
	;; [unrolled: 1-line block ×3, first 2 shown]
	v_cmp_lt_u32_e32 vcc_lo, 56, v130
	s_or_b32 s68, vcc_lo, s68
	s_waitcnt vmcnt(2) lgkmcnt(0)
	v_mul_f64 v[140:141], v[134:135], v[136:137]
	v_mul_f64 v[136:137], v[132:133], v[136:137]
	s_waitcnt vmcnt(0)
	v_fma_f64 v[132:133], v[132:133], v[138:139], -v[140:141]
	v_fma_f64 v[134:135], v[134:135], v[138:139], v[136:137]
	v_add_f64 v[1:2], v[1:2], v[132:133]
	v_add_f64 v[3:4], v[3:4], v[134:135]
	s_andn2_b32 exec_lo, exec_lo, s68
	s_cbranch_execnz .LBB123_932
; %bb.933:
	s_or_b32 exec_lo, exec_lo, s68
.LBB123_934:
	s_or_b32 exec_lo, exec_lo, s8
	v_mov_b32_e32 v128, 0
	ds_read_b128 v[132:135], v128 offset:928
	s_waitcnt lgkmcnt(0)
	v_mul_f64 v[128:129], v[3:4], v[134:135]
	v_mul_f64 v[134:135], v[1:2], v[134:135]
	v_fma_f64 v[1:2], v[1:2], v[132:133], -v[128:129]
	v_fma_f64 v[3:4], v[3:4], v[132:133], v[134:135]
	buffer_store_dword v2, off, s[0:3], 0 offset:932
	buffer_store_dword v1, off, s[0:3], 0 offset:928
	;; [unrolled: 1-line block ×4, first 2 shown]
.LBB123_935:
	s_or_b32 exec_lo, exec_lo, s6
	v_mov_b32_e32 v4, s7
	s_mov_b32 s6, exec_lo
                                        ; implicit-def: $sgpr69
	s_clause 0x3
	buffer_load_dword v1, v4, s[0:3], 0 offen
	buffer_load_dword v2, v4, s[0:3], 0 offen offset:4
	buffer_load_dword v3, v4, s[0:3], 0 offen offset:8
	;; [unrolled: 1-line block ×3, first 2 shown]
	s_waitcnt vmcnt(0)
	ds_write_b128 v126, v[1:4]
	s_waitcnt lgkmcnt(0)
	s_waitcnt_vscnt null, 0x0
	s_barrier
	buffer_gl0_inv
                                        ; implicit-def: $vgpr1_vgpr2
	v_cmpx_ne_u32_e32 59, v0
	s_cbranch_execz .LBB123_943
; %bb.936:
	ds_read_b128 v[1:4], v126
	v_cmp_ne_u32_e32 vcc_lo, 1, v127
	s_cbranch_vccnz .LBB123_938
; %bb.937:
	s_clause 0x3
	buffer_load_dword v126, v125, s[0:3], 0 offen offset:8
	buffer_load_dword v127, v125, s[0:3], 0 offen offset:12
	buffer_load_dword v128, v125, s[0:3], 0 offen
	buffer_load_dword v129, v125, s[0:3], 0 offen offset:4
	s_waitcnt vmcnt(2) lgkmcnt(0)
	v_mul_f64 v[132:133], v[3:4], v[126:127]
	v_mul_f64 v[125:126], v[1:2], v[126:127]
	s_waitcnt vmcnt(0)
	v_fma_f64 v[1:2], v[1:2], v[128:129], -v[132:133]
	v_fma_f64 v[3:4], v[3:4], v[128:129], v[125:126]
.LBB123_938:
	s_and_saveexec_b32 s8, s4
	s_cbranch_execz .LBB123_942
; %bb.939:
	v_add_nc_u32_e32 v125, 0x3d0, v131
	v_add3_u32 v126, 0, v131, 16
	s_mov_b32 s4, 0
	.p2align	6
.LBB123_940:                            ; =>This Inner Loop Header: Depth=1
	s_clause 0x3
	buffer_load_dword v131, v126, s[0:3], 0 offen offset:8
	buffer_load_dword v132, v126, s[0:3], 0 offen offset:12
	buffer_load_dword v133, v126, s[0:3], 0 offen
	buffer_load_dword v134, v126, s[0:3], 0 offen offset:4
	ds_read_b128 v[127:130], v125
	v_add_nc_u32_e32 v0, 1, v0
	v_add_nc_u32_e32 v125, 16, v125
	;; [unrolled: 1-line block ×3, first 2 shown]
	v_cmp_lt_u32_e32 vcc_lo, 57, v0
	s_or_b32 s4, vcc_lo, s4
	s_waitcnt vmcnt(2) lgkmcnt(0)
	v_mul_f64 v[135:136], v[129:130], v[131:132]
	v_mul_f64 v[131:132], v[127:128], v[131:132]
	s_waitcnt vmcnt(0)
	v_fma_f64 v[127:128], v[127:128], v[133:134], -v[135:136]
	v_fma_f64 v[129:130], v[129:130], v[133:134], v[131:132]
	v_add_f64 v[1:2], v[1:2], v[127:128]
	v_add_f64 v[3:4], v[3:4], v[129:130]
	s_andn2_b32 exec_lo, exec_lo, s4
	s_cbranch_execnz .LBB123_940
; %bb.941:
	s_or_b32 exec_lo, exec_lo, s4
.LBB123_942:
	s_or_b32 exec_lo, exec_lo, s8
	v_mov_b32_e32 v0, 0
	s_movk_i32 s69, 0x3b8
	s_or_b32 s5, s5, exec_lo
	ds_read_b128 v[125:128], v0 offset:944
	s_waitcnt lgkmcnt(0)
	v_mul_f64 v[129:130], v[3:4], v[127:128]
	v_mul_f64 v[127:128], v[1:2], v[127:128]
	v_fma_f64 v[129:130], v[1:2], v[125:126], -v[129:130]
	v_fma_f64 v[1:2], v[3:4], v[125:126], v[127:128]
	buffer_store_dword v130, off, s[0:3], 0 offset:948
	buffer_store_dword v129, off, s[0:3], 0 offset:944
.LBB123_943:
	s_or_b32 exec_lo, exec_lo, s6
.LBB123_944:
	s_and_saveexec_b32 s4, s5
	s_cbranch_execz .LBB123_946
; %bb.945:
	v_mov_b32_e32 v0, s69
	buffer_store_dword v2, v0, s[0:3], 0 offen offset:4
	buffer_store_dword v1, v0, s[0:3], 0 offen
.LBB123_946:
	s_or_b32 exec_lo, exec_lo, s4
	s_clause 0x3
	buffer_load_dword v0, off, s[0:3], 0
	buffer_load_dword v1, off, s[0:3], 0 offset:4
	buffer_load_dword v2, off, s[0:3], 0 offset:8
	;; [unrolled: 1-line block ×3, first 2 shown]
	v_mov_b32_e32 v4, s67
	s_waitcnt vmcnt(0)
	flat_store_dwordx4 v[5:6], v[0:3]
	s_clause 0x3
	buffer_load_dword v0, v4, s[0:3], 0 offen
	buffer_load_dword v1, v4, s[0:3], 0 offen offset:4
	buffer_load_dword v2, v4, s[0:3], 0 offen offset:8
	buffer_load_dword v3, v4, s[0:3], 0 offen offset:12
	v_mov_b32_e32 v4, s66
	s_waitcnt vmcnt(0)
	flat_store_dwordx4 v[59:60], v[0:3]
	s_clause 0x3
	buffer_load_dword v0, v4, s[0:3], 0 offen
	buffer_load_dword v1, v4, s[0:3], 0 offen offset:4
	buffer_load_dword v2, v4, s[0:3], 0 offen offset:8
	buffer_load_dword v3, v4, s[0:3], 0 offen offset:12
	;; [unrolled: 8-line block ×59, first 2 shown]
	s_waitcnt vmcnt(0)
	flat_store_dwordx4 v[123:124], v[0:3]
.LBB123_947:
	s_endpgm
	.section	.rodata,"a",@progbits
	.p2align	6, 0x0
	.amdhsa_kernel _ZN9rocsolver6v33100L18trti2_kernel_smallILi60E19rocblas_complex_numIdEPKPS3_EEv13rocblas_fill_17rocblas_diagonal_T1_iil
		.amdhsa_group_segment_fixed_size 1920
		.amdhsa_private_segment_fixed_size 976
		.amdhsa_kernarg_size 32
		.amdhsa_user_sgpr_count 6
		.amdhsa_user_sgpr_private_segment_buffer 1
		.amdhsa_user_sgpr_dispatch_ptr 0
		.amdhsa_user_sgpr_queue_ptr 0
		.amdhsa_user_sgpr_kernarg_segment_ptr 1
		.amdhsa_user_sgpr_dispatch_id 0
		.amdhsa_user_sgpr_flat_scratch_init 0
		.amdhsa_user_sgpr_private_segment_size 0
		.amdhsa_wavefront_size32 1
		.amdhsa_uses_dynamic_stack 0
		.amdhsa_system_sgpr_private_segment_wavefront_offset 1
		.amdhsa_system_sgpr_workgroup_id_x 1
		.amdhsa_system_sgpr_workgroup_id_y 0
		.amdhsa_system_sgpr_workgroup_id_z 0
		.amdhsa_system_sgpr_workgroup_info 0
		.amdhsa_system_vgpr_workitem_id 0
		.amdhsa_next_free_vgpr 142
		.amdhsa_next_free_sgpr 95
		.amdhsa_reserve_vcc 1
		.amdhsa_reserve_flat_scratch 0
		.amdhsa_float_round_mode_32 0
		.amdhsa_float_round_mode_16_64 0
		.amdhsa_float_denorm_mode_32 3
		.amdhsa_float_denorm_mode_16_64 3
		.amdhsa_dx10_clamp 1
		.amdhsa_ieee_mode 1
		.amdhsa_fp16_overflow 0
		.amdhsa_workgroup_processor_mode 1
		.amdhsa_memory_ordered 1
		.amdhsa_forward_progress 1
		.amdhsa_shared_vgpr_count 0
		.amdhsa_exception_fp_ieee_invalid_op 0
		.amdhsa_exception_fp_denorm_src 0
		.amdhsa_exception_fp_ieee_div_zero 0
		.amdhsa_exception_fp_ieee_overflow 0
		.amdhsa_exception_fp_ieee_underflow 0
		.amdhsa_exception_fp_ieee_inexact 0
		.amdhsa_exception_int_div_zero 0
	.end_amdhsa_kernel
	.section	.text._ZN9rocsolver6v33100L18trti2_kernel_smallILi60E19rocblas_complex_numIdEPKPS3_EEv13rocblas_fill_17rocblas_diagonal_T1_iil,"axG",@progbits,_ZN9rocsolver6v33100L18trti2_kernel_smallILi60E19rocblas_complex_numIdEPKPS3_EEv13rocblas_fill_17rocblas_diagonal_T1_iil,comdat
.Lfunc_end123:
	.size	_ZN9rocsolver6v33100L18trti2_kernel_smallILi60E19rocblas_complex_numIdEPKPS3_EEv13rocblas_fill_17rocblas_diagonal_T1_iil, .Lfunc_end123-_ZN9rocsolver6v33100L18trti2_kernel_smallILi60E19rocblas_complex_numIdEPKPS3_EEv13rocblas_fill_17rocblas_diagonal_T1_iil
                                        ; -- End function
	.set _ZN9rocsolver6v33100L18trti2_kernel_smallILi60E19rocblas_complex_numIdEPKPS3_EEv13rocblas_fill_17rocblas_diagonal_T1_iil.num_vgpr, 142
	.set _ZN9rocsolver6v33100L18trti2_kernel_smallILi60E19rocblas_complex_numIdEPKPS3_EEv13rocblas_fill_17rocblas_diagonal_T1_iil.num_agpr, 0
	.set _ZN9rocsolver6v33100L18trti2_kernel_smallILi60E19rocblas_complex_numIdEPKPS3_EEv13rocblas_fill_17rocblas_diagonal_T1_iil.numbered_sgpr, 95
	.set _ZN9rocsolver6v33100L18trti2_kernel_smallILi60E19rocblas_complex_numIdEPKPS3_EEv13rocblas_fill_17rocblas_diagonal_T1_iil.num_named_barrier, 0
	.set _ZN9rocsolver6v33100L18trti2_kernel_smallILi60E19rocblas_complex_numIdEPKPS3_EEv13rocblas_fill_17rocblas_diagonal_T1_iil.private_seg_size, 976
	.set _ZN9rocsolver6v33100L18trti2_kernel_smallILi60E19rocblas_complex_numIdEPKPS3_EEv13rocblas_fill_17rocblas_diagonal_T1_iil.uses_vcc, 1
	.set _ZN9rocsolver6v33100L18trti2_kernel_smallILi60E19rocblas_complex_numIdEPKPS3_EEv13rocblas_fill_17rocblas_diagonal_T1_iil.uses_flat_scratch, 0
	.set _ZN9rocsolver6v33100L18trti2_kernel_smallILi60E19rocblas_complex_numIdEPKPS3_EEv13rocblas_fill_17rocblas_diagonal_T1_iil.has_dyn_sized_stack, 0
	.set _ZN9rocsolver6v33100L18trti2_kernel_smallILi60E19rocblas_complex_numIdEPKPS3_EEv13rocblas_fill_17rocblas_diagonal_T1_iil.has_recursion, 0
	.set _ZN9rocsolver6v33100L18trti2_kernel_smallILi60E19rocblas_complex_numIdEPKPS3_EEv13rocblas_fill_17rocblas_diagonal_T1_iil.has_indirect_call, 0
	.section	.AMDGPU.csdata,"",@progbits
; Kernel info:
; codeLenInByte = 61220
; TotalNumSgprs: 97
; NumVgprs: 142
; ScratchSize: 976
; MemoryBound: 0
; FloatMode: 240
; IeeeMode: 1
; LDSByteSize: 1920 bytes/workgroup (compile time only)
; SGPRBlocks: 0
; VGPRBlocks: 17
; NumSGPRsForWavesPerEU: 97
; NumVGPRsForWavesPerEU: 142
; Occupancy: 7
; WaveLimiterHint : 1
; COMPUTE_PGM_RSRC2:SCRATCH_EN: 1
; COMPUTE_PGM_RSRC2:USER_SGPR: 6
; COMPUTE_PGM_RSRC2:TRAP_HANDLER: 0
; COMPUTE_PGM_RSRC2:TGID_X_EN: 1
; COMPUTE_PGM_RSRC2:TGID_Y_EN: 0
; COMPUTE_PGM_RSRC2:TGID_Z_EN: 0
; COMPUTE_PGM_RSRC2:TIDIG_COMP_CNT: 0
	.section	.text._ZN9rocsolver6v33100L18trti2_kernel_smallILi61E19rocblas_complex_numIdEPKPS3_EEv13rocblas_fill_17rocblas_diagonal_T1_iil,"axG",@progbits,_ZN9rocsolver6v33100L18trti2_kernel_smallILi61E19rocblas_complex_numIdEPKPS3_EEv13rocblas_fill_17rocblas_diagonal_T1_iil,comdat
	.globl	_ZN9rocsolver6v33100L18trti2_kernel_smallILi61E19rocblas_complex_numIdEPKPS3_EEv13rocblas_fill_17rocblas_diagonal_T1_iil ; -- Begin function _ZN9rocsolver6v33100L18trti2_kernel_smallILi61E19rocblas_complex_numIdEPKPS3_EEv13rocblas_fill_17rocblas_diagonal_T1_iil
	.p2align	8
	.type	_ZN9rocsolver6v33100L18trti2_kernel_smallILi61E19rocblas_complex_numIdEPKPS3_EEv13rocblas_fill_17rocblas_diagonal_T1_iil,@function
_ZN9rocsolver6v33100L18trti2_kernel_smallILi61E19rocblas_complex_numIdEPKPS3_EEv13rocblas_fill_17rocblas_diagonal_T1_iil: ; @_ZN9rocsolver6v33100L18trti2_kernel_smallILi61E19rocblas_complex_numIdEPKPS3_EEv13rocblas_fill_17rocblas_diagonal_T1_iil
; %bb.0:
	s_add_u32 s0, s0, s7
	s_addc_u32 s1, s1, 0
	s_mov_b32 s7, exec_lo
	v_cmpx_gt_u32_e32 61, v0
	s_cbranch_execz .LBB124_1323
; %bb.1:
	s_clause 0x1
	s_load_dwordx2 s[12:13], s[4:5], 0x10
	s_load_dwordx4 s[8:11], s[4:5], 0x0
	s_ashr_i32 s7, s6, 31
	v_lshlrev_b32_e32 v133, 4, v0
	s_lshl_b64 s[4:5], s[6:7], 3
	s_movk_i32 s14, 0xc0
	s_movk_i32 s15, 0xd0
	;; [unrolled: 1-line block ×15, first 2 shown]
	s_waitcnt lgkmcnt(0)
	s_ashr_i32 s7, s12, 31
	s_add_u32 s4, s10, s4
	s_addc_u32 s5, s11, s5
	s_mov_b32 s6, s12
	s_load_dwordx2 s[4:5], s[4:5], 0x0
	s_lshl_b64 s[6:7], s[6:7], 4
	v_add3_u32 v7, s13, s13, v0
	s_movk_i32 s10, 0x80
	s_movk_i32 s11, 0x90
	;; [unrolled: 1-line block ×4, first 2 shown]
	v_ashrrev_i32_e32 v8, 31, v7
	s_movk_i32 s30, 0x1c0
	s_movk_i32 s31, 0x1d0
	s_movk_i32 s33, 0x1e0
	s_movk_i32 s34, 0x1f0
	v_lshlrev_b64 v[8:9], 4, v[7:8]
	v_add_nc_u32_e32 v7, s13, v7
	s_movk_i32 s35, 0x200
	s_movk_i32 s36, 0x210
	;; [unrolled: 1-line block ×6, first 2 shown]
	s_waitcnt lgkmcnt(0)
	s_add_u32 s6, s4, s6
	s_addc_u32 s7, s5, s7
	v_add_co_u32 v5, s4, s6, v133
	v_add_co_ci_u32_e64 v6, null, s7, 0, s4
	s_mov_b32 s4, s13
	s_ashr_i32 s5, s13, 31
	s_movk_i32 s74, 0x260
	flat_load_dwordx4 v[1:4], v[5:6]
	s_lshl_b64 s[4:5], s[4:5], 4
	s_cmpk_lg_i32 s9, 0x84
	v_add_co_u32 v59, vcc_lo, v5, s4
	v_add_co_ci_u32_e64 v60, null, s5, v6, vcc_lo
	v_add_co_u32 v57, vcc_lo, s6, v8
	v_add_co_ci_u32_e64 v58, null, s7, v9, vcc_lo
	v_ashrrev_i32_e32 v8, 31, v7
	s_movk_i32 s4, 0x50
	s_movk_i32 s5, 0x60
	s_movk_i32 s75, 0x270
	s_movk_i32 s76, 0x280
	v_lshlrev_b64 v[8:9], 4, v[7:8]
	v_add_nc_u32_e32 v7, s13, v7
	s_movk_i32 s77, 0x290
	s_movk_i32 s78, 0x2a0
	s_movk_i32 s79, 0x2b0
	s_movk_i32 s80, 0x2c0
	v_add_co_u32 v55, vcc_lo, s6, v8
	v_add_co_ci_u32_e64 v56, null, s7, v9, vcc_lo
	v_ashrrev_i32_e32 v8, 31, v7
	s_movk_i32 s81, 0x2d0
	s_movk_i32 s82, 0x2e0
	s_movk_i32 s83, 0x2f0
	s_movk_i32 s84, 0x300
	v_lshlrev_b64 v[8:9], 4, v[7:8]
	v_add_nc_u32_e32 v7, s13, v7
	s_movk_i32 s85, 0x310
	s_movk_i32 s86, 0x320
	s_movk_i32 s87, 0x330
	s_movk_i32 s88, 0x340
	;; [unrolled: 13-line block ×3, first 2 shown]
	v_add_co_u32 v49, vcc_lo, s6, v8
	v_add_co_ci_u32_e64 v50, null, s7, v9, vcc_lo
	v_ashrrev_i32_e32 v8, 31, v7
	s_waitcnt vmcnt(0) lgkmcnt(0)
	buffer_store_dword v4, off, s[0:3], 0 offset:12
	buffer_store_dword v3, off, s[0:3], 0 offset:8
	;; [unrolled: 1-line block ×3, first 2 shown]
	buffer_store_dword v1, off, s[0:3], 0
	flat_load_dwordx4 v[1:4], v[59:60]
	v_lshlrev_b64 v[8:9], 4, v[7:8]
	v_add_nc_u32_e32 v7, s13, v7
	s_waitcnt vmcnt(0) lgkmcnt(0)
	buffer_store_dword v4, off, s[0:3], 0 offset:28
	buffer_store_dword v3, off, s[0:3], 0 offset:24
	buffer_store_dword v2, off, s[0:3], 0 offset:20
	buffer_store_dword v1, off, s[0:3], 0 offset:16
	flat_load_dwordx4 v[1:4], v[57:58]
	v_add_co_u32 v47, vcc_lo, s6, v8
	v_add_co_ci_u32_e64 v48, null, s7, v9, vcc_lo
	v_ashrrev_i32_e32 v8, 31, v7
	s_waitcnt vmcnt(0) lgkmcnt(0)
	buffer_store_dword v4, off, s[0:3], 0 offset:44
	buffer_store_dword v3, off, s[0:3], 0 offset:40
	buffer_store_dword v2, off, s[0:3], 0 offset:36
	buffer_store_dword v1, off, s[0:3], 0 offset:32
	flat_load_dwordx4 v[1:4], v[55:56]
	v_lshlrev_b64 v[8:9], 4, v[7:8]
	v_add_nc_u32_e32 v7, s13, v7
	s_waitcnt vmcnt(0) lgkmcnt(0)
	buffer_store_dword v4, off, s[0:3], 0 offset:60
	buffer_store_dword v3, off, s[0:3], 0 offset:56
	buffer_store_dword v2, off, s[0:3], 0 offset:52
	buffer_store_dword v1, off, s[0:3], 0 offset:48
	flat_load_dwordx4 v[1:4], v[53:54]
	v_add_co_u32 v45, vcc_lo, s6, v8
	v_add_co_ci_u32_e64 v46, null, s7, v9, vcc_lo
	v_ashrrev_i32_e32 v8, 31, v7
	s_waitcnt vmcnt(0) lgkmcnt(0)
	buffer_store_dword v4, off, s[0:3], 0 offset:76
	buffer_store_dword v3, off, s[0:3], 0 offset:72
	buffer_store_dword v2, off, s[0:3], 0 offset:68
	buffer_store_dword v1, off, s[0:3], 0 offset:64
	flat_load_dwordx4 v[1:4], v[49:50]
	v_lshlrev_b64 v[8:9], 4, v[7:8]
	v_add_nc_u32_e32 v7, s13, v7
	s_waitcnt vmcnt(0) lgkmcnt(0)
	buffer_store_dword v4, off, s[0:3], 0 offset:92
	buffer_store_dword v3, off, s[0:3], 0 offset:88
	buffer_store_dword v2, off, s[0:3], 0 offset:84
	buffer_store_dword v1, off, s[0:3], 0 offset:80
	flat_load_dwordx4 v[1:4], v[47:48]
	v_add_co_u32 v43, vcc_lo, s6, v8
	v_add_co_ci_u32_e64 v44, null, s7, v9, vcc_lo
	v_ashrrev_i32_e32 v8, 31, v7
	s_waitcnt vmcnt(0) lgkmcnt(0)
	buffer_store_dword v4, off, s[0:3], 0 offset:108
	buffer_store_dword v3, off, s[0:3], 0 offset:104
	buffer_store_dword v2, off, s[0:3], 0 offset:100
	buffer_store_dword v1, off, s[0:3], 0 offset:96
	flat_load_dwordx4 v[1:4], v[45:46]
	v_lshlrev_b64 v[8:9], 4, v[7:8]
	v_add_nc_u32_e32 v7, s13, v7
	s_waitcnt vmcnt(0) lgkmcnt(0)
	buffer_store_dword v4, off, s[0:3], 0 offset:124
	buffer_store_dword v3, off, s[0:3], 0 offset:120
	buffer_store_dword v2, off, s[0:3], 0 offset:116
	buffer_store_dword v1, off, s[0:3], 0 offset:112
	flat_load_dwordx4 v[1:4], v[43:44]
	v_add_co_u32 v41, vcc_lo, s6, v8
	v_add_co_ci_u32_e64 v42, null, s7, v9, vcc_lo
	v_ashrrev_i32_e32 v8, 31, v7
	s_waitcnt vmcnt(0) lgkmcnt(0)
	buffer_store_dword v4, off, s[0:3], 0 offset:140
	buffer_store_dword v3, off, s[0:3], 0 offset:136
	buffer_store_dword v2, off, s[0:3], 0 offset:132
	buffer_store_dword v1, off, s[0:3], 0 offset:128
	flat_load_dwordx4 v[1:4], v[41:42]
	v_lshlrev_b64 v[8:9], 4, v[7:8]
	v_add_nc_u32_e32 v7, s13, v7
	s_waitcnt vmcnt(0) lgkmcnt(0)
	buffer_store_dword v4, off, s[0:3], 0 offset:156
	buffer_store_dword v3, off, s[0:3], 0 offset:152
	buffer_store_dword v2, off, s[0:3], 0 offset:148
	buffer_store_dword v1, off, s[0:3], 0 offset:144
	v_add_co_u32 v39, vcc_lo, s6, v8
	v_add_co_ci_u32_e64 v40, null, s7, v9, vcc_lo
	v_ashrrev_i32_e32 v8, 31, v7
	flat_load_dwordx4 v[1:4], v[39:40]
	s_waitcnt vmcnt(0) lgkmcnt(0)
	buffer_store_dword v4, off, s[0:3], 0 offset:172
	buffer_store_dword v3, off, s[0:3], 0 offset:168
	buffer_store_dword v2, off, s[0:3], 0 offset:164
	buffer_store_dword v1, off, s[0:3], 0 offset:160
	v_lshlrev_b64 v[8:9], 4, v[7:8]
	v_add_nc_u32_e32 v7, s13, v7
	v_add_co_u32 v37, vcc_lo, s6, v8
	v_add_co_ci_u32_e64 v38, null, s7, v9, vcc_lo
	v_ashrrev_i32_e32 v8, 31, v7
	flat_load_dwordx4 v[1:4], v[37:38]
	s_waitcnt vmcnt(0) lgkmcnt(0)
	buffer_store_dword v4, off, s[0:3], 0 offset:188
	buffer_store_dword v3, off, s[0:3], 0 offset:184
	buffer_store_dword v2, off, s[0:3], 0 offset:180
	buffer_store_dword v1, off, s[0:3], 0 offset:176
	v_lshlrev_b64 v[8:9], 4, v[7:8]
	v_add_nc_u32_e32 v7, s13, v7
	;; [unrolled: 11-line block ×13, first 2 shown]
	v_add_co_u32 v11, vcc_lo, s6, v8
	v_add_co_ci_u32_e64 v12, null, s7, v9, vcc_lo
	v_ashrrev_i32_e32 v8, 31, v7
	v_add_nc_u32_e32 v33, s13, v7
	flat_load_dwordx4 v[1:4], v[11:12]
	s_waitcnt vmcnt(0) lgkmcnt(0)
	buffer_store_dword v4, off, s[0:3], 0 offset:380
	buffer_store_dword v3, off, s[0:3], 0 offset:376
	;; [unrolled: 1-line block ×4, first 2 shown]
	v_lshlrev_b64 v[9:10], 4, v[7:8]
	v_ashrrev_i32_e32 v34, 31, v33
	v_add_nc_u32_e32 v51, s13, v33
	v_add_co_u32 v9, vcc_lo, s6, v9
	v_add_co_ci_u32_e64 v10, null, s7, v10, vcc_lo
	v_lshlrev_b64 v[7:8], 4, v[33:34]
	v_ashrrev_i32_e32 v52, 31, v51
	v_add_nc_u32_e32 v61, s13, v51
	flat_load_dwordx4 v[1:4], v[9:10]
	s_waitcnt vmcnt(0) lgkmcnt(0)
	buffer_store_dword v4, off, s[0:3], 0 offset:396
	buffer_store_dword v3, off, s[0:3], 0 offset:392
	buffer_store_dword v2, off, s[0:3], 0 offset:388
	buffer_store_dword v1, off, s[0:3], 0 offset:384
	v_add_co_u32 v7, vcc_lo, s6, v7
	v_add_co_ci_u32_e64 v8, null, s7, v8, vcc_lo
	v_lshlrev_b64 v[33:34], 4, v[51:52]
	v_ashrrev_i32_e32 v62, 31, v61
	v_add_nc_u32_e32 v63, s13, v61
	flat_load_dwordx4 v[1:4], v[7:8]
	s_waitcnt vmcnt(0) lgkmcnt(0)
	buffer_store_dword v4, off, s[0:3], 0 offset:412
	buffer_store_dword v3, off, s[0:3], 0 offset:408
	buffer_store_dword v2, off, s[0:3], 0 offset:404
	buffer_store_dword v1, off, s[0:3], 0 offset:400
	;; [unrolled: 11-line block ×33, first 2 shown]
	v_add_co_u32 v119, vcc_lo, s6, v119
	v_add_co_ci_u32_e64 v120, null, s7, v120, vcc_lo
	v_lshlrev_b64 v[121:122], 4, v[123:124]
	v_ashrrev_i32_e32 v126, 31, v125
	flat_load_dwordx4 v[1:4], v[119:120]
	s_waitcnt vmcnt(0) lgkmcnt(0)
	buffer_store_dword v4, off, s[0:3], 0 offset:924
	buffer_store_dword v3, off, s[0:3], 0 offset:920
	buffer_store_dword v2, off, s[0:3], 0 offset:916
	buffer_store_dword v1, off, s[0:3], 0 offset:912
	v_add_co_u32 v121, vcc_lo, s6, v121
	v_add_co_ci_u32_e64 v122, null, s7, v122, vcc_lo
	v_lshlrev_b64 v[123:124], 4, v[125:126]
	v_add_nc_u32_e32 v125, s13, v125
	s_movk_i32 s13, 0xb0
	flat_load_dwordx4 v[1:4], v[121:122]
	s_waitcnt vmcnt(0) lgkmcnt(0)
	buffer_store_dword v4, off, s[0:3], 0 offset:940
	buffer_store_dword v3, off, s[0:3], 0 offset:936
	;; [unrolled: 1-line block ×4, first 2 shown]
	v_add_co_u32 v123, vcc_lo, s6, v123
	v_add_co_ci_u32_e64 v124, null, s7, v124, vcc_lo
	v_ashrrev_i32_e32 v126, 31, v125
	flat_load_dwordx4 v[1:4], v[123:124]
	s_waitcnt vmcnt(0) lgkmcnt(0)
	buffer_store_dword v4, off, s[0:3], 0 offset:956
	buffer_store_dword v3, off, s[0:3], 0 offset:952
	buffer_store_dword v2, off, s[0:3], 0 offset:948
	buffer_store_dword v1, off, s[0:3], 0 offset:944
	v_lshlrev_b64 v[125:126], 4, v[125:126]
	v_add_co_u32 v125, vcc_lo, s6, v125
	v_add_co_ci_u32_e64 v126, null, s7, v126, vcc_lo
	s_movk_i32 s6, 0x70
	s_cselect_b32 s7, -1, 0
	s_cmpk_eq_i32 s9, 0x84
	flat_load_dwordx4 v[1:4], v[125:126]
	s_waitcnt vmcnt(0) lgkmcnt(0)
	buffer_store_dword v4, off, s[0:3], 0 offset:972
	buffer_store_dword v3, off, s[0:3], 0 offset:968
	;; [unrolled: 1-line block ×4, first 2 shown]
	s_cbranch_scc1 .LBB124_7
; %bb.2:
	v_lshl_add_u32 v134, v0, 4, 0
                                        ; implicit-def: $vgpr129_vgpr130
                                        ; implicit-def: $vgpr3_vgpr4
	s_clause 0x3
	buffer_load_dword v127, v134, s[0:3], 0 offen
	buffer_load_dword v128, v134, s[0:3], 0 offen offset:4
	buffer_load_dword v131, v134, s[0:3], 0 offen offset:8
	;; [unrolled: 1-line block ×3, first 2 shown]
	s_waitcnt vmcnt(0)
	v_cmp_ngt_f64_e64 s9, |v[127:128]|, |v[131:132]|
	s_and_saveexec_b32 s37, s9
	s_xor_b32 s9, exec_lo, s37
	s_cbranch_execz .LBB124_4
; %bb.3:
	v_div_scale_f64 v[1:2], null, v[131:132], v[131:132], v[127:128]
	v_div_scale_f64 v[135:136], vcc_lo, v[127:128], v[131:132], v[127:128]
	v_rcp_f64_e32 v[3:4], v[1:2]
	v_fma_f64 v[129:130], -v[1:2], v[3:4], 1.0
	v_fma_f64 v[3:4], v[3:4], v[129:130], v[3:4]
	v_fma_f64 v[129:130], -v[1:2], v[3:4], 1.0
	v_fma_f64 v[3:4], v[3:4], v[129:130], v[3:4]
	v_mul_f64 v[129:130], v[135:136], v[3:4]
	v_fma_f64 v[1:2], -v[1:2], v[129:130], v[135:136]
	v_div_fmas_f64 v[1:2], v[1:2], v[3:4], v[129:130]
	v_div_fixup_f64 v[1:2], v[1:2], v[131:132], v[127:128]
	v_fma_f64 v[3:4], v[127:128], v[1:2], v[131:132]
	v_div_scale_f64 v[127:128], null, v[3:4], v[3:4], 1.0
	v_div_scale_f64 v[135:136], vcc_lo, 1.0, v[3:4], 1.0
	v_rcp_f64_e32 v[129:130], v[127:128]
	v_fma_f64 v[131:132], -v[127:128], v[129:130], 1.0
	v_fma_f64 v[129:130], v[129:130], v[131:132], v[129:130]
	v_fma_f64 v[131:132], -v[127:128], v[129:130], 1.0
	v_fma_f64 v[129:130], v[129:130], v[131:132], v[129:130]
	v_mul_f64 v[131:132], v[135:136], v[129:130]
	v_fma_f64 v[127:128], -v[127:128], v[131:132], v[135:136]
	v_div_fmas_f64 v[127:128], v[127:128], v[129:130], v[131:132]
                                        ; implicit-def: $vgpr131_vgpr132
	v_div_fixup_f64 v[3:4], v[127:128], v[3:4], 1.0
                                        ; implicit-def: $vgpr127_vgpr128
	v_mul_f64 v[129:130], v[1:2], v[3:4]
	v_xor_b32_e32 v4, 0x80000000, v4
	v_xor_b32_e32 v2, 0x80000000, v130
	v_mov_b32_e32 v1, v129
.LBB124_4:
	s_andn2_saveexec_b32 s9, s9
	s_cbranch_execz .LBB124_6
; %bb.5:
	v_div_scale_f64 v[1:2], null, v[127:128], v[127:128], v[131:132]
	v_div_scale_f64 v[135:136], vcc_lo, v[131:132], v[127:128], v[131:132]
	v_rcp_f64_e32 v[3:4], v[1:2]
	v_fma_f64 v[129:130], -v[1:2], v[3:4], 1.0
	v_fma_f64 v[3:4], v[3:4], v[129:130], v[3:4]
	v_fma_f64 v[129:130], -v[1:2], v[3:4], 1.0
	v_fma_f64 v[3:4], v[3:4], v[129:130], v[3:4]
	v_mul_f64 v[129:130], v[135:136], v[3:4]
	v_fma_f64 v[1:2], -v[1:2], v[129:130], v[135:136]
	v_div_fmas_f64 v[1:2], v[1:2], v[3:4], v[129:130]
	v_div_fixup_f64 v[1:2], v[1:2], v[127:128], v[131:132]
	v_fma_f64 v[3:4], v[131:132], v[1:2], v[127:128]
	v_div_scale_f64 v[127:128], null, v[3:4], v[3:4], 1.0
	v_rcp_f64_e32 v[129:130], v[127:128]
	v_fma_f64 v[131:132], -v[127:128], v[129:130], 1.0
	v_fma_f64 v[129:130], v[129:130], v[131:132], v[129:130]
	v_fma_f64 v[131:132], -v[127:128], v[129:130], 1.0
	v_fma_f64 v[129:130], v[129:130], v[131:132], v[129:130]
	v_div_scale_f64 v[131:132], vcc_lo, 1.0, v[3:4], 1.0
	v_mul_f64 v[135:136], v[131:132], v[129:130]
	v_fma_f64 v[127:128], -v[127:128], v[135:136], v[131:132]
	v_div_fmas_f64 v[127:128], v[127:128], v[129:130], v[135:136]
	v_div_fixup_f64 v[129:130], v[127:128], v[3:4], 1.0
	v_mul_f64 v[3:4], v[1:2], -v[129:130]
	v_xor_b32_e32 v2, 0x80000000, v130
	v_mov_b32_e32 v1, v129
.LBB124_6:
	s_or_b32 exec_lo, exec_lo, s9
	buffer_store_dword v4, v134, s[0:3], 0 offen offset:12
	v_xor_b32_e32 v4, 0x80000000, v4
	buffer_store_dword v130, v134, s[0:3], 0 offen offset:4
	buffer_store_dword v129, v134, s[0:3], 0 offen
	buffer_store_dword v3, v134, s[0:3], 0 offen offset:8
	s_branch .LBB124_8
.LBB124_7:
	v_mov_b32_e32 v1, 0
	v_mov_b32_e32 v3, 0
	;; [unrolled: 1-line block ×4, first 2 shown]
.LBB124_8:
	v_add_nc_u32_e32 v128, 0x3d0, v133
	v_mov_b32_e32 v127, v133
	s_mov_b32 s69, 16
	s_mov_b32 s68, 32
	s_mov_b32 s67, 48
	s_mov_b32 s66, 64
	s_mov_b32 s65, s4
	s_mov_b32 s64, s5
	s_mov_b32 s63, s6
	s_mov_b32 s62, s10
	s_mov_b32 s61, s11
	s_mov_b32 s60, s12
	s_mov_b32 s59, s13
	s_mov_b32 s58, s14
	s_mov_b32 s57, s15
	s_mov_b32 s56, s16
	s_mov_b32 s55, s17
	s_mov_b32 s54, s18
	s_mov_b32 s53, s19
	s_mov_b32 s52, s20
	s_mov_b32 s51, s21
	s_mov_b32 s50, s22
	s_mov_b32 s49, s23
	s_mov_b32 s48, s24
	s_mov_b32 s47, s25
	s_mov_b32 s46, s26
	s_mov_b32 s45, s27
	s_mov_b32 s44, s28
	s_mov_b32 s43, s29
	s_mov_b32 s42, s30
	s_mov_b32 s41, s31
	s_mov_b32 s40, s33
	s_mov_b32 s39, s34
	s_mov_b32 s38, s35
	s_mov_b32 s37, s36
	s_mov_b32 s36, s70
	s_mov_b32 s35, s71
	s_mov_b32 s34, s72
	s_mov_b32 s33, s73
	s_mov_b32 s31, s74
	s_mov_b32 s30, s75
	s_mov_b32 s29, s76
	s_mov_b32 s28, s77
	s_mov_b32 s27, s78
	s_mov_b32 s26, s79
	s_mov_b32 s25, s80
	s_mov_b32 s24, s81
	s_mov_b32 s23, s82
	s_mov_b32 s22, s83
	s_mov_b32 s21, s84
	s_mov_b32 s20, s85
	s_mov_b32 s19, s86
	s_mov_b32 s18, s87
	s_mov_b32 s17, s88
	s_mov_b32 s16, s89
	s_mov_b32 s15, s90
	s_mov_b32 s14, s91
	s_mov_b32 s13, s92
	s_mov_b32 s12, s93
	s_mov_b32 s11, s94
	s_mov_b32 s10, s95
	s_mov_b32 s9, s96
	s_cmpk_eq_i32 s8, 0x79
	ds_write_b128 v133, v[1:4]
	s_cbranch_scc1 .LBB124_832
; %bb.9:
	v_mov_b32_e32 v4, s10
	v_cmp_eq_u32_e64 s4, 60, v0
	s_clause 0x3
	buffer_load_dword v1, v4, s[0:3], 0 offen
	buffer_load_dword v2, v4, s[0:3], 0 offen offset:4
	buffer_load_dword v3, v4, s[0:3], 0 offen offset:8
	;; [unrolled: 1-line block ×3, first 2 shown]
	s_waitcnt vmcnt(0)
	ds_write_b128 v128, v[1:4]
	s_waitcnt lgkmcnt(0)
	s_waitcnt_vscnt null, 0x0
	s_barrier
	buffer_gl0_inv
	s_and_saveexec_b32 s5, s4
	s_cbranch_execz .LBB124_13
; %bb.10:
	ds_read_b128 v[1:4], v128
	s_andn2_b32 vcc_lo, exec_lo, s7
	s_cbranch_vccnz .LBB124_12
; %bb.11:
	s_clause 0x3
	buffer_load_dword v129, v127, s[0:3], 0 offen offset:8
	buffer_load_dword v130, v127, s[0:3], 0 offen offset:12
	buffer_load_dword v131, v127, s[0:3], 0 offen
	buffer_load_dword v132, v127, s[0:3], 0 offen offset:4
	s_waitcnt vmcnt(2) lgkmcnt(0)
	v_mul_f64 v[134:135], v[3:4], v[129:130]
	v_mul_f64 v[129:130], v[1:2], v[129:130]
	s_waitcnt vmcnt(0)
	v_fma_f64 v[1:2], v[1:2], v[131:132], -v[134:135]
	v_fma_f64 v[3:4], v[3:4], v[131:132], v[129:130]
.LBB124_12:
	v_mov_b32_e32 v129, 0
	ds_read_b128 v[129:132], v129 offset:944
	s_waitcnt lgkmcnt(0)
	v_mul_f64 v[134:135], v[3:4], v[131:132]
	v_mul_f64 v[131:132], v[1:2], v[131:132]
	v_fma_f64 v[1:2], v[1:2], v[129:130], -v[134:135]
	v_fma_f64 v[3:4], v[3:4], v[129:130], v[131:132]
	buffer_store_dword v2, off, s[0:3], 0 offset:948
	buffer_store_dword v1, off, s[0:3], 0 offset:944
	;; [unrolled: 1-line block ×4, first 2 shown]
.LBB124_13:
	s_or_b32 exec_lo, exec_lo, s5
	v_mov_b32_e32 v4, s11
	v_cmp_lt_u32_e64 s5, 58, v0
	s_clause 0x3
	buffer_load_dword v1, v4, s[0:3], 0 offen
	buffer_load_dword v2, v4, s[0:3], 0 offen offset:4
	buffer_load_dword v3, v4, s[0:3], 0 offen offset:8
	;; [unrolled: 1-line block ×3, first 2 shown]
	s_waitcnt vmcnt(0)
	ds_write_b128 v128, v[1:4]
	s_waitcnt lgkmcnt(0)
	s_waitcnt_vscnt null, 0x0
	s_barrier
	buffer_gl0_inv
	s_and_saveexec_b32 s6, s5
	s_cbranch_execz .LBB124_19
; %bb.14:
	ds_read_b128 v[1:4], v128
	s_andn2_b32 vcc_lo, exec_lo, s7
	s_cbranch_vccnz .LBB124_16
; %bb.15:
	s_clause 0x3
	buffer_load_dword v129, v127, s[0:3], 0 offen offset:8
	buffer_load_dword v130, v127, s[0:3], 0 offen offset:12
	buffer_load_dword v131, v127, s[0:3], 0 offen
	buffer_load_dword v132, v127, s[0:3], 0 offen offset:4
	s_waitcnt vmcnt(2) lgkmcnt(0)
	v_mul_f64 v[134:135], v[3:4], v[129:130]
	v_mul_f64 v[129:130], v[1:2], v[129:130]
	s_waitcnt vmcnt(0)
	v_fma_f64 v[1:2], v[1:2], v[131:132], -v[134:135]
	v_fma_f64 v[3:4], v[3:4], v[131:132], v[129:130]
.LBB124_16:
	s_and_saveexec_b32 s8, s4
	s_cbranch_execz .LBB124_18
; %bb.17:
	s_clause 0x3
	buffer_load_dword v134, off, s[0:3], 0 offset:952
	buffer_load_dword v135, off, s[0:3], 0 offset:956
	;; [unrolled: 1-line block ×4, first 2 shown]
	v_mov_b32_e32 v129, 0
	ds_read_b128 v[129:132], v129 offset:1920
	s_waitcnt vmcnt(2) lgkmcnt(0)
	v_mul_f64 v[138:139], v[129:130], v[134:135]
	v_mul_f64 v[134:135], v[131:132], v[134:135]
	s_waitcnt vmcnt(0)
	v_fma_f64 v[131:132], v[131:132], v[136:137], v[138:139]
	v_fma_f64 v[129:130], v[129:130], v[136:137], -v[134:135]
	v_add_f64 v[3:4], v[3:4], v[131:132]
	v_add_f64 v[1:2], v[1:2], v[129:130]
.LBB124_18:
	s_or_b32 exec_lo, exec_lo, s8
	v_mov_b32_e32 v129, 0
	ds_read_b128 v[129:132], v129 offset:928
	s_waitcnt lgkmcnt(0)
	v_mul_f64 v[134:135], v[3:4], v[131:132]
	v_mul_f64 v[131:132], v[1:2], v[131:132]
	v_fma_f64 v[1:2], v[1:2], v[129:130], -v[134:135]
	v_fma_f64 v[3:4], v[3:4], v[129:130], v[131:132]
	buffer_store_dword v2, off, s[0:3], 0 offset:932
	buffer_store_dword v1, off, s[0:3], 0 offset:928
	;; [unrolled: 1-line block ×4, first 2 shown]
.LBB124_19:
	s_or_b32 exec_lo, exec_lo, s6
	v_mov_b32_e32 v4, s12
	v_cmp_lt_u32_e64 s4, 57, v0
	s_clause 0x3
	buffer_load_dword v1, v4, s[0:3], 0 offen
	buffer_load_dword v2, v4, s[0:3], 0 offen offset:4
	buffer_load_dword v3, v4, s[0:3], 0 offen offset:8
	buffer_load_dword v4, v4, s[0:3], 0 offen offset:12
	s_waitcnt vmcnt(0)
	ds_write_b128 v128, v[1:4]
	s_waitcnt lgkmcnt(0)
	s_waitcnt_vscnt null, 0x0
	s_barrier
	buffer_gl0_inv
	s_and_saveexec_b32 s6, s4
	s_cbranch_execz .LBB124_33
; %bb.20:
	ds_read_b128 v[1:4], v128
	s_andn2_b32 vcc_lo, exec_lo, s7
	s_cbranch_vccnz .LBB124_22
; %bb.21:
	s_clause 0x3
	buffer_load_dword v129, v127, s[0:3], 0 offen offset:8
	buffer_load_dword v130, v127, s[0:3], 0 offen offset:12
	buffer_load_dword v131, v127, s[0:3], 0 offen
	buffer_load_dword v132, v127, s[0:3], 0 offen offset:4
	s_waitcnt vmcnt(2) lgkmcnt(0)
	v_mul_f64 v[134:135], v[3:4], v[129:130]
	v_mul_f64 v[129:130], v[1:2], v[129:130]
	s_waitcnt vmcnt(0)
	v_fma_f64 v[1:2], v[1:2], v[131:132], -v[134:135]
	v_fma_f64 v[3:4], v[3:4], v[131:132], v[129:130]
.LBB124_22:
	s_and_saveexec_b32 s8, s5
	s_cbranch_execz .LBB124_32
; %bb.23:
	v_subrev_nc_u32_e32 v130, 59, v0
	v_mov_b32_e32 v131, 58
	v_subrev_nc_u32_e32 v129, 58, v0
	s_mov_b32 s5, exec_lo
	v_cmpx_lt_u32_e32 6, v130
	s_cbranch_execz .LBB124_27
; %bb.24:
	v_and_b32_e32 v130, -8, v129
	s_movk_i32 s71, 0x770
	s_mov_b32 s70, 0
	s_mov_b32 s72, s11
	s_mov_b32 s73, 0
.LBB124_25:                             ; =>This Inner Loop Header: Depth=1
	v_mov_b32_e32 v134, s72
	v_mov_b32_e32 v184, s71
	s_add_i32 s74, s73, 8
	s_addk_i32 s73, 0x42
	v_cmp_eq_u32_e32 vcc_lo, s74, v130
	s_clause 0x1f
	buffer_load_dword v131, v134, s[0:3], 0 offen offset:8
	buffer_load_dword v132, v134, s[0:3], 0 offen offset:12
	;; [unrolled: 1-line block ×4, first 2 shown]
	buffer_load_dword v152, v134, s[0:3], 0 offen
	buffer_load_dword v153, v134, s[0:3], 0 offen offset:4
	buffer_load_dword v154, v134, s[0:3], 0 offen offset:40
	;; [unrolled: 1-line block ×27, first 2 shown]
	ds_read_b128 v[134:137], v184
	ds_read_b128 v[138:141], v184 offset:16
	ds_read_b128 v[142:145], v184 offset:32
	;; [unrolled: 1-line block ×3, first 2 shown]
	s_addk_i32 s71, 0x80
	s_addk_i32 s72, 0x80
	s_or_b32 s70, vcc_lo, s70
	s_waitcnt vmcnt(30) lgkmcnt(3)
	v_mul_f64 v[180:181], v[136:137], v[131:132]
	v_mul_f64 v[131:132], v[134:135], v[131:132]
	s_waitcnt vmcnt(28) lgkmcnt(2)
	v_mul_f64 v[182:183], v[140:141], v[150:151]
	v_mul_f64 v[150:151], v[138:139], v[150:151]
	s_waitcnt vmcnt(26)
	v_fma_f64 v[134:135], v[134:135], v[152:153], -v[180:181]
	v_fma_f64 v[131:132], v[136:137], v[152:153], v[131:132]
	s_waitcnt vmcnt(24) lgkmcnt(1)
	v_mul_f64 v[136:137], v[144:145], v[154:155]
	v_mul_f64 v[152:153], v[142:143], v[154:155]
	s_waitcnt vmcnt(22)
	v_fma_f64 v[138:139], v[138:139], v[156:157], -v[182:183]
	v_fma_f64 v[140:141], v[140:141], v[156:157], v[150:151]
	v_add_f64 v[1:2], v[1:2], v[134:135]
	v_add_f64 v[3:4], v[3:4], v[131:132]
	s_waitcnt vmcnt(20) lgkmcnt(0)
	v_mul_f64 v[131:132], v[148:149], v[158:159]
	v_mul_f64 v[134:135], v[146:147], v[158:159]
	s_waitcnt vmcnt(18)
	v_fma_f64 v[136:137], v[142:143], v[160:161], -v[136:137]
	v_fma_f64 v[142:143], v[144:145], v[160:161], v[152:153]
	v_add_f64 v[138:139], v[1:2], v[138:139]
	v_add_f64 v[140:141], v[3:4], v[140:141]
	ds_read_b128 v[1:4], v184 offset:64
	s_waitcnt vmcnt(14)
	v_fma_f64 v[131:132], v[146:147], v[164:165], -v[131:132]
	v_fma_f64 v[146:147], v[148:149], v[164:165], v[134:135]
	v_add_f64 v[138:139], v[138:139], v[136:137]
	v_add_f64 v[140:141], v[140:141], v[142:143]
	ds_read_b128 v[134:137], v184 offset:80
	s_waitcnt lgkmcnt(1)
	v_mul_f64 v[144:145], v[3:4], v[162:163]
	v_mul_f64 v[150:151], v[1:2], v[162:163]
	s_waitcnt vmcnt(12) lgkmcnt(0)
	v_mul_f64 v[142:143], v[136:137], v[166:167]
	v_mul_f64 v[148:149], v[134:135], v[166:167]
	v_add_f64 v[131:132], v[138:139], v[131:132]
	s_waitcnt vmcnt(10)
	v_fma_f64 v[144:145], v[1:2], v[168:169], -v[144:145]
	v_fma_f64 v[150:151], v[3:4], v[168:169], v[150:151]
	v_add_f64 v[138:139], v[140:141], v[146:147]
	ds_read_b128 v[1:4], v184 offset:96
	s_waitcnt vmcnt(6)
	v_fma_f64 v[142:143], v[134:135], v[172:173], -v[142:143]
	v_fma_f64 v[148:149], v[136:137], v[172:173], v[148:149]
	ds_read_b128 v[134:137], v184 offset:112
	v_add_f64 v[131:132], v[131:132], v[144:145]
	s_waitcnt lgkmcnt(1)
	v_mul_f64 v[140:141], v[3:4], v[170:171]
	v_mul_f64 v[146:147], v[1:2], v[170:171]
	v_add_f64 v[138:139], v[138:139], v[150:151]
	s_waitcnt vmcnt(4) lgkmcnt(0)
	v_mul_f64 v[144:145], v[136:137], v[174:175]
	v_mul_f64 v[150:151], v[134:135], v[174:175]
	v_add_f64 v[131:132], v[131:132], v[142:143]
	s_waitcnt vmcnt(2)
	v_fma_f64 v[1:2], v[1:2], v[176:177], -v[140:141]
	v_fma_f64 v[3:4], v[3:4], v[176:177], v[146:147]
	v_add_f64 v[138:139], v[138:139], v[148:149]
	s_waitcnt vmcnt(0)
	v_fma_f64 v[134:135], v[134:135], v[178:179], -v[144:145]
	v_fma_f64 v[136:137], v[136:137], v[178:179], v[150:151]
	v_add_f64 v[1:2], v[131:132], v[1:2]
	v_mov_b32_e32 v131, s73
	v_add_f64 v[3:4], v[138:139], v[3:4]
	s_mov_b32 s73, s74
	v_add_f64 v[1:2], v[1:2], v[134:135]
	v_add_f64 v[3:4], v[3:4], v[136:137]
	s_andn2_b32 exec_lo, exec_lo, s70
	s_cbranch_execnz .LBB124_25
; %bb.26:
	s_or_b32 exec_lo, exec_lo, s70
.LBB124_27:
	s_or_b32 exec_lo, exec_lo, s5
	v_and_b32_e32 v129, 7, v129
	s_mov_b32 s70, 0
	s_mov_b32 s5, exec_lo
	v_cmpx_ne_u32_e32 0, v129
	s_cbranch_execz .LBB124_31
; %bb.28:
	v_lshlrev_b32_e32 v131, 4, v131
	v_add_nc_u32_e32 v130, 0x3d0, v131
	.p2align	6
.LBB124_29:                             ; =>This Inner Loop Header: Depth=1
	s_clause 0x3
	buffer_load_dword v138, v131, s[0:3], 0 offen offset:8
	buffer_load_dword v139, v131, s[0:3], 0 offen offset:12
	buffer_load_dword v140, v131, s[0:3], 0 offen
	buffer_load_dword v141, v131, s[0:3], 0 offen offset:4
	ds_read_b128 v[134:137], v130
	v_add_nc_u32_e32 v129, -1, v129
	v_add_nc_u32_e32 v130, 16, v130
	v_add_nc_u32_e32 v131, 16, v131
	v_cmp_eq_u32_e32 vcc_lo, 0, v129
	s_or_b32 s70, vcc_lo, s70
	s_waitcnt vmcnt(2) lgkmcnt(0)
	v_mul_f64 v[142:143], v[136:137], v[138:139]
	v_mul_f64 v[138:139], v[134:135], v[138:139]
	s_waitcnt vmcnt(0)
	v_fma_f64 v[134:135], v[134:135], v[140:141], -v[142:143]
	v_fma_f64 v[136:137], v[136:137], v[140:141], v[138:139]
	v_add_f64 v[1:2], v[1:2], v[134:135]
	v_add_f64 v[3:4], v[3:4], v[136:137]
	s_andn2_b32 exec_lo, exec_lo, s70
	s_cbranch_execnz .LBB124_29
; %bb.30:
	s_or_b32 exec_lo, exec_lo, s70
.LBB124_31:
	s_or_b32 exec_lo, exec_lo, s5
.LBB124_32:
	s_or_b32 exec_lo, exec_lo, s8
	v_mov_b32_e32 v129, 0
	ds_read_b128 v[129:132], v129 offset:912
	s_waitcnt lgkmcnt(0)
	v_mul_f64 v[134:135], v[3:4], v[131:132]
	v_mul_f64 v[131:132], v[1:2], v[131:132]
	v_fma_f64 v[1:2], v[1:2], v[129:130], -v[134:135]
	v_fma_f64 v[3:4], v[3:4], v[129:130], v[131:132]
	buffer_store_dword v2, off, s[0:3], 0 offset:916
	buffer_store_dword v1, off, s[0:3], 0 offset:912
	;; [unrolled: 1-line block ×4, first 2 shown]
.LBB124_33:
	s_or_b32 exec_lo, exec_lo, s6
	v_mov_b32_e32 v4, s13
	v_cmp_lt_u32_e64 s5, 56, v0
	s_clause 0x3
	buffer_load_dword v1, v4, s[0:3], 0 offen
	buffer_load_dword v2, v4, s[0:3], 0 offen offset:4
	buffer_load_dword v3, v4, s[0:3], 0 offen offset:8
	;; [unrolled: 1-line block ×3, first 2 shown]
	s_waitcnt vmcnt(0)
	ds_write_b128 v128, v[1:4]
	s_waitcnt lgkmcnt(0)
	s_waitcnt_vscnt null, 0x0
	s_barrier
	buffer_gl0_inv
	s_and_saveexec_b32 s6, s5
	s_cbranch_execz .LBB124_47
; %bb.34:
	ds_read_b128 v[1:4], v128
	s_andn2_b32 vcc_lo, exec_lo, s7
	s_cbranch_vccnz .LBB124_36
; %bb.35:
	s_clause 0x3
	buffer_load_dword v129, v127, s[0:3], 0 offen offset:8
	buffer_load_dword v130, v127, s[0:3], 0 offen offset:12
	buffer_load_dword v131, v127, s[0:3], 0 offen
	buffer_load_dword v132, v127, s[0:3], 0 offen offset:4
	s_waitcnt vmcnt(2) lgkmcnt(0)
	v_mul_f64 v[134:135], v[3:4], v[129:130]
	v_mul_f64 v[129:130], v[1:2], v[129:130]
	s_waitcnt vmcnt(0)
	v_fma_f64 v[1:2], v[1:2], v[131:132], -v[134:135]
	v_fma_f64 v[3:4], v[3:4], v[131:132], v[129:130]
.LBB124_36:
	s_and_saveexec_b32 s8, s4
	s_cbranch_execz .LBB124_46
; %bb.37:
	v_subrev_nc_u32_e32 v130, 58, v0
	v_mov_b32_e32 v131, 57
	v_subrev_nc_u32_e32 v129, 57, v0
	s_mov_b32 s4, exec_lo
	v_cmpx_lt_u32_e32 6, v130
	s_cbranch_execz .LBB124_41
; %bb.38:
	v_and_b32_e32 v130, -8, v129
	s_movk_i32 s71, 0x760
	s_mov_b32 s70, 0
	s_mov_b32 s72, s12
	;; [unrolled: 1-line block ×3, first 2 shown]
.LBB124_39:                             ; =>This Inner Loop Header: Depth=1
	v_mov_b32_e32 v134, s72
	v_mov_b32_e32 v180, s71
	s_add_i32 s74, s73, 8
	s_addk_i32 s73, 0x41
	v_cmp_eq_u32_e32 vcc_lo, s74, v130
	s_clause 0x1f
	buffer_load_dword v131, v134, s[0:3], 0 offen offset:8
	buffer_load_dword v132, v134, s[0:3], 0 offen offset:12
	buffer_load_dword v142, v134, s[0:3], 0 offen
	buffer_load_dword v143, v134, s[0:3], 0 offen offset:4
	buffer_load_dword v144, v134, s[0:3], 0 offen offset:24
	;; [unrolled: 1-line block ×29, first 2 shown]
	ds_read_b128 v[134:137], v180
	ds_read_b128 v[138:141], v180 offset:16
	s_addk_i32 s71, 0x80
	s_addk_i32 s72, 0x80
	s_or_b32 s70, vcc_lo, s70
	s_waitcnt vmcnt(30) lgkmcnt(1)
	v_mul_f64 v[172:173], v[136:137], v[131:132]
	v_mul_f64 v[131:132], v[134:135], v[131:132]
	s_waitcnt vmcnt(26) lgkmcnt(0)
	v_mul_f64 v[174:175], v[140:141], v[144:145]
	v_mul_f64 v[176:177], v[138:139], v[144:145]
	v_fma_f64 v[172:173], v[134:135], v[142:143], -v[172:173]
	v_fma_f64 v[131:132], v[136:137], v[142:143], v[131:132]
	ds_read_b128 v[134:137], v180 offset:32
	ds_read_b128 v[142:145], v180 offset:48
	s_waitcnt vmcnt(24)
	v_fma_f64 v[138:139], v[138:139], v[146:147], -v[174:175]
	v_fma_f64 v[140:141], v[140:141], v[146:147], v[176:177]
	s_waitcnt vmcnt(22) lgkmcnt(1)
	v_mul_f64 v[178:179], v[136:137], v[148:149]
	v_mul_f64 v[148:149], v[134:135], v[148:149]
	v_add_f64 v[1:2], v[1:2], v[172:173]
	v_add_f64 v[3:4], v[3:4], v[131:132]
	s_waitcnt vmcnt(18) lgkmcnt(0)
	v_mul_f64 v[131:132], v[144:145], v[152:153]
	v_mul_f64 v[146:147], v[142:143], v[152:153]
	v_fma_f64 v[152:153], v[134:135], v[150:151], -v[178:179]
	v_fma_f64 v[148:149], v[136:137], v[150:151], v[148:149]
	v_add_f64 v[138:139], v[1:2], v[138:139]
	v_add_f64 v[140:141], v[3:4], v[140:141]
	ds_read_b128 v[1:4], v180 offset:64
	ds_read_b128 v[134:137], v180 offset:80
	s_waitcnt vmcnt(16)
	v_fma_f64 v[131:132], v[142:143], v[154:155], -v[131:132]
	v_fma_f64 v[142:143], v[144:145], v[154:155], v[146:147]
	s_waitcnt vmcnt(12) lgkmcnt(1)
	v_mul_f64 v[150:151], v[3:4], v[156:157]
	v_mul_f64 v[156:157], v[1:2], v[156:157]
	v_add_f64 v[138:139], v[138:139], v[152:153]
	v_add_f64 v[140:141], v[140:141], v[148:149]
	s_waitcnt vmcnt(10) lgkmcnt(0)
	v_mul_f64 v[144:145], v[136:137], v[158:159]
	v_mul_f64 v[146:147], v[134:135], v[158:159]
	s_waitcnt vmcnt(8)
	v_fma_f64 v[148:149], v[1:2], v[162:163], -v[150:151]
	v_fma_f64 v[150:151], v[3:4], v[162:163], v[156:157]
	v_add_f64 v[131:132], v[138:139], v[131:132]
	v_add_f64 v[142:143], v[140:141], v[142:143]
	ds_read_b128 v[1:4], v180 offset:96
	ds_read_b128 v[138:141], v180 offset:112
	v_fma_f64 v[134:135], v[134:135], v[160:161], -v[144:145]
	v_fma_f64 v[136:137], v[136:137], v[160:161], v[146:147]
	s_waitcnt vmcnt(4) lgkmcnt(1)
	v_mul_f64 v[152:153], v[3:4], v[164:165]
	v_mul_f64 v[154:155], v[1:2], v[164:165]
	v_add_f64 v[131:132], v[131:132], v[148:149]
	v_add_f64 v[142:143], v[142:143], v[150:151]
	s_waitcnt vmcnt(2) lgkmcnt(0)
	v_mul_f64 v[144:145], v[140:141], v[166:167]
	v_mul_f64 v[146:147], v[138:139], v[166:167]
	s_waitcnt vmcnt(0)
	v_fma_f64 v[1:2], v[1:2], v[170:171], -v[152:153]
	v_fma_f64 v[3:4], v[3:4], v[170:171], v[154:155]
	v_add_f64 v[131:132], v[131:132], v[134:135]
	v_add_f64 v[134:135], v[142:143], v[136:137]
	v_fma_f64 v[136:137], v[138:139], v[168:169], -v[144:145]
	v_fma_f64 v[138:139], v[140:141], v[168:169], v[146:147]
	v_add_f64 v[1:2], v[131:132], v[1:2]
	v_add_f64 v[3:4], v[134:135], v[3:4]
	v_mov_b32_e32 v131, s73
	s_mov_b32 s73, s74
	v_add_f64 v[1:2], v[1:2], v[136:137]
	v_add_f64 v[3:4], v[3:4], v[138:139]
	s_andn2_b32 exec_lo, exec_lo, s70
	s_cbranch_execnz .LBB124_39
; %bb.40:
	s_or_b32 exec_lo, exec_lo, s70
.LBB124_41:
	s_or_b32 exec_lo, exec_lo, s4
	v_and_b32_e32 v129, 7, v129
	s_mov_b32 s70, 0
	s_mov_b32 s4, exec_lo
	v_cmpx_ne_u32_e32 0, v129
	s_cbranch_execz .LBB124_45
; %bb.42:
	v_lshlrev_b32_e32 v131, 4, v131
	v_add_nc_u32_e32 v130, 0x3d0, v131
	.p2align	6
.LBB124_43:                             ; =>This Inner Loop Header: Depth=1
	s_clause 0x3
	buffer_load_dword v138, v131, s[0:3], 0 offen offset:8
	buffer_load_dword v139, v131, s[0:3], 0 offen offset:12
	buffer_load_dword v140, v131, s[0:3], 0 offen
	buffer_load_dword v141, v131, s[0:3], 0 offen offset:4
	ds_read_b128 v[134:137], v130
	v_add_nc_u32_e32 v129, -1, v129
	v_add_nc_u32_e32 v130, 16, v130
	v_add_nc_u32_e32 v131, 16, v131
	v_cmp_eq_u32_e32 vcc_lo, 0, v129
	s_or_b32 s70, vcc_lo, s70
	s_waitcnt vmcnt(2) lgkmcnt(0)
	v_mul_f64 v[142:143], v[136:137], v[138:139]
	v_mul_f64 v[138:139], v[134:135], v[138:139]
	s_waitcnt vmcnt(0)
	v_fma_f64 v[134:135], v[134:135], v[140:141], -v[142:143]
	v_fma_f64 v[136:137], v[136:137], v[140:141], v[138:139]
	v_add_f64 v[1:2], v[1:2], v[134:135]
	v_add_f64 v[3:4], v[3:4], v[136:137]
	s_andn2_b32 exec_lo, exec_lo, s70
	s_cbranch_execnz .LBB124_43
; %bb.44:
	s_or_b32 exec_lo, exec_lo, s70
.LBB124_45:
	s_or_b32 exec_lo, exec_lo, s4
.LBB124_46:
	s_or_b32 exec_lo, exec_lo, s8
	v_mov_b32_e32 v129, 0
	ds_read_b128 v[129:132], v129 offset:896
	s_waitcnt lgkmcnt(0)
	v_mul_f64 v[134:135], v[3:4], v[131:132]
	v_mul_f64 v[131:132], v[1:2], v[131:132]
	v_fma_f64 v[1:2], v[1:2], v[129:130], -v[134:135]
	v_fma_f64 v[3:4], v[3:4], v[129:130], v[131:132]
	buffer_store_dword v2, off, s[0:3], 0 offset:900
	buffer_store_dword v1, off, s[0:3], 0 offset:896
	;; [unrolled: 1-line block ×4, first 2 shown]
.LBB124_47:
	s_or_b32 exec_lo, exec_lo, s6
	v_mov_b32_e32 v4, s14
	v_cmp_lt_u32_e64 s6, 55, v0
	s_clause 0x3
	buffer_load_dword v1, v4, s[0:3], 0 offen
	buffer_load_dword v2, v4, s[0:3], 0 offen offset:4
	buffer_load_dword v3, v4, s[0:3], 0 offen offset:8
	;; [unrolled: 1-line block ×3, first 2 shown]
	s_waitcnt vmcnt(0)
	ds_write_b128 v128, v[1:4]
	s_waitcnt lgkmcnt(0)
	s_waitcnt_vscnt null, 0x0
	s_barrier
	buffer_gl0_inv
	s_and_saveexec_b32 s4, s6
	s_cbranch_execz .LBB124_61
; %bb.48:
	ds_read_b128 v[1:4], v128
	s_andn2_b32 vcc_lo, exec_lo, s7
	s_cbranch_vccnz .LBB124_50
; %bb.49:
	s_clause 0x3
	buffer_load_dword v129, v127, s[0:3], 0 offen offset:8
	buffer_load_dword v130, v127, s[0:3], 0 offen offset:12
	buffer_load_dword v131, v127, s[0:3], 0 offen
	buffer_load_dword v132, v127, s[0:3], 0 offen offset:4
	s_waitcnt vmcnt(2) lgkmcnt(0)
	v_mul_f64 v[134:135], v[3:4], v[129:130]
	v_mul_f64 v[129:130], v[1:2], v[129:130]
	s_waitcnt vmcnt(0)
	v_fma_f64 v[1:2], v[1:2], v[131:132], -v[134:135]
	v_fma_f64 v[3:4], v[3:4], v[131:132], v[129:130]
.LBB124_50:
	s_and_saveexec_b32 s8, s5
	s_cbranch_execz .LBB124_60
; %bb.51:
	v_subrev_nc_u32_e32 v129, 57, v0
	v_cmp_lt_u32_e32 vcc_lo, 6, v129
	v_mov_b32_e32 v129, 56
	s_and_saveexec_b32 s5, vcc_lo
	s_cbranch_execz .LBB124_55
; %bb.52:
	v_and_b32_e32 v129, 56, v0
	s_mov_b32 s70, 56
	s_movk_i32 s72, 0x750
	s_mov_b32 s71, 0
	s_mov_b32 s73, s13
.LBB124_53:                             ; =>This Inner Loop Header: Depth=1
	v_mov_b32_e32 v132, s73
	s_add_i32 s70, s70, 8
	s_addk_i32 s73, 0x80
	v_cmp_eq_u32_e32 vcc_lo, s70, v129
	s_clause 0x1f
	buffer_load_dword v130, v132, s[0:3], 0 offen offset:8
	buffer_load_dword v131, v132, s[0:3], 0 offen offset:12
	buffer_load_dword v142, v132, s[0:3], 0 offen
	buffer_load_dword v143, v132, s[0:3], 0 offen offset:4
	buffer_load_dword v144, v132, s[0:3], 0 offen offset:24
	;; [unrolled: 1-line block ×29, first 2 shown]
	v_mov_b32_e32 v132, s72
	s_addk_i32 s72, 0x80
	s_or_b32 s71, vcc_lo, s71
	ds_read_b128 v[134:137], v132
	ds_read_b128 v[138:141], v132 offset:16
	s_waitcnt vmcnt(30) lgkmcnt(1)
	v_mul_f64 v[172:173], v[136:137], v[130:131]
	v_mul_f64 v[130:131], v[134:135], v[130:131]
	s_waitcnt vmcnt(26) lgkmcnt(0)
	v_mul_f64 v[174:175], v[140:141], v[144:145]
	v_mul_f64 v[176:177], v[138:139], v[144:145]
	v_fma_f64 v[172:173], v[134:135], v[142:143], -v[172:173]
	v_fma_f64 v[130:131], v[136:137], v[142:143], v[130:131]
	ds_read_b128 v[134:137], v132 offset:32
	ds_read_b128 v[142:145], v132 offset:48
	s_waitcnt vmcnt(24)
	v_fma_f64 v[138:139], v[138:139], v[146:147], -v[174:175]
	v_fma_f64 v[140:141], v[140:141], v[146:147], v[176:177]
	s_waitcnt vmcnt(22) lgkmcnt(1)
	v_mul_f64 v[178:179], v[136:137], v[148:149]
	v_mul_f64 v[148:149], v[134:135], v[148:149]
	v_add_f64 v[1:2], v[1:2], v[172:173]
	v_add_f64 v[3:4], v[3:4], v[130:131]
	s_waitcnt vmcnt(18) lgkmcnt(0)
	v_mul_f64 v[130:131], v[144:145], v[152:153]
	v_mul_f64 v[146:147], v[142:143], v[152:153]
	v_fma_f64 v[152:153], v[134:135], v[150:151], -v[178:179]
	v_fma_f64 v[148:149], v[136:137], v[150:151], v[148:149]
	v_add_f64 v[138:139], v[1:2], v[138:139]
	v_add_f64 v[140:141], v[3:4], v[140:141]
	ds_read_b128 v[1:4], v132 offset:64
	ds_read_b128 v[134:137], v132 offset:80
	s_waitcnt vmcnt(16)
	v_fma_f64 v[130:131], v[142:143], v[154:155], -v[130:131]
	v_fma_f64 v[142:143], v[144:145], v[154:155], v[146:147]
	s_waitcnt vmcnt(12) lgkmcnt(1)
	v_mul_f64 v[150:151], v[3:4], v[156:157]
	v_mul_f64 v[156:157], v[1:2], v[156:157]
	v_add_f64 v[138:139], v[138:139], v[152:153]
	v_add_f64 v[140:141], v[140:141], v[148:149]
	s_waitcnt vmcnt(10) lgkmcnt(0)
	v_mul_f64 v[144:145], v[136:137], v[158:159]
	v_mul_f64 v[146:147], v[134:135], v[158:159]
	s_waitcnt vmcnt(8)
	v_fma_f64 v[148:149], v[1:2], v[162:163], -v[150:151]
	v_fma_f64 v[150:151], v[3:4], v[162:163], v[156:157]
	v_add_f64 v[130:131], v[138:139], v[130:131]
	v_add_f64 v[142:143], v[140:141], v[142:143]
	ds_read_b128 v[1:4], v132 offset:96
	ds_read_b128 v[138:141], v132 offset:112
	v_fma_f64 v[134:135], v[134:135], v[160:161], -v[144:145]
	v_fma_f64 v[136:137], v[136:137], v[160:161], v[146:147]
	s_waitcnt vmcnt(4) lgkmcnt(1)
	v_mul_f64 v[152:153], v[3:4], v[164:165]
	v_mul_f64 v[154:155], v[1:2], v[164:165]
	v_add_f64 v[130:131], v[130:131], v[148:149]
	v_add_f64 v[142:143], v[142:143], v[150:151]
	s_waitcnt vmcnt(2) lgkmcnt(0)
	v_mul_f64 v[144:145], v[140:141], v[166:167]
	v_mul_f64 v[146:147], v[138:139], v[166:167]
	s_waitcnt vmcnt(0)
	v_fma_f64 v[1:2], v[1:2], v[170:171], -v[152:153]
	v_fma_f64 v[3:4], v[3:4], v[170:171], v[154:155]
	v_add_f64 v[130:131], v[130:131], v[134:135]
	v_add_f64 v[134:135], v[142:143], v[136:137]
	v_fma_f64 v[136:137], v[138:139], v[168:169], -v[144:145]
	v_fma_f64 v[138:139], v[140:141], v[168:169], v[146:147]
	v_add_f64 v[1:2], v[130:131], v[1:2]
	v_add_f64 v[3:4], v[134:135], v[3:4]
	;; [unrolled: 1-line block ×4, first 2 shown]
	s_andn2_b32 exec_lo, exec_lo, s71
	s_cbranch_execnz .LBB124_53
; %bb.54:
	s_or_b32 exec_lo, exec_lo, s71
.LBB124_55:
	s_or_b32 exec_lo, exec_lo, s5
	v_and_b32_e32 v130, 7, v0
	s_mov_b32 s70, 0
	s_mov_b32 s5, exec_lo
	v_cmpx_ne_u32_e32 0, v130
	s_cbranch_execz .LBB124_59
; %bb.56:
	v_lshlrev_b32_e32 v131, 4, v129
	v_add_nc_u32_e32 v129, 0x3d0, v131
	.p2align	6
.LBB124_57:                             ; =>This Inner Loop Header: Depth=1
	s_clause 0x3
	buffer_load_dword v138, v131, s[0:3], 0 offen offset:8
	buffer_load_dword v139, v131, s[0:3], 0 offen offset:12
	buffer_load_dword v140, v131, s[0:3], 0 offen
	buffer_load_dword v141, v131, s[0:3], 0 offen offset:4
	ds_read_b128 v[134:137], v129
	v_add_nc_u32_e32 v130, -1, v130
	v_add_nc_u32_e32 v129, 16, v129
	v_add_nc_u32_e32 v131, 16, v131
	v_cmp_eq_u32_e32 vcc_lo, 0, v130
	s_or_b32 s70, vcc_lo, s70
	s_waitcnt vmcnt(2) lgkmcnt(0)
	v_mul_f64 v[142:143], v[136:137], v[138:139]
	v_mul_f64 v[138:139], v[134:135], v[138:139]
	s_waitcnt vmcnt(0)
	v_fma_f64 v[134:135], v[134:135], v[140:141], -v[142:143]
	v_fma_f64 v[136:137], v[136:137], v[140:141], v[138:139]
	v_add_f64 v[1:2], v[1:2], v[134:135]
	v_add_f64 v[3:4], v[3:4], v[136:137]
	s_andn2_b32 exec_lo, exec_lo, s70
	s_cbranch_execnz .LBB124_57
; %bb.58:
	s_or_b32 exec_lo, exec_lo, s70
.LBB124_59:
	s_or_b32 exec_lo, exec_lo, s5
.LBB124_60:
	s_or_b32 exec_lo, exec_lo, s8
	v_mov_b32_e32 v129, 0
	ds_read_b128 v[129:132], v129 offset:880
	s_waitcnt lgkmcnt(0)
	v_mul_f64 v[134:135], v[3:4], v[131:132]
	v_mul_f64 v[131:132], v[1:2], v[131:132]
	v_fma_f64 v[1:2], v[1:2], v[129:130], -v[134:135]
	v_fma_f64 v[3:4], v[3:4], v[129:130], v[131:132]
	buffer_store_dword v2, off, s[0:3], 0 offset:884
	buffer_store_dword v1, off, s[0:3], 0 offset:880
	buffer_store_dword v4, off, s[0:3], 0 offset:892
	buffer_store_dword v3, off, s[0:3], 0 offset:888
.LBB124_61:
	s_or_b32 exec_lo, exec_lo, s4
	v_mov_b32_e32 v4, s15
	v_cmp_lt_u32_e64 s4, 54, v0
	s_clause 0x3
	buffer_load_dword v1, v4, s[0:3], 0 offen
	buffer_load_dword v2, v4, s[0:3], 0 offen offset:4
	buffer_load_dword v3, v4, s[0:3], 0 offen offset:8
	;; [unrolled: 1-line block ×3, first 2 shown]
	s_waitcnt vmcnt(0)
	ds_write_b128 v128, v[1:4]
	s_waitcnt lgkmcnt(0)
	s_waitcnt_vscnt null, 0x0
	s_barrier
	buffer_gl0_inv
	s_and_saveexec_b32 s5, s4
	s_cbranch_execz .LBB124_75
; %bb.62:
	ds_read_b128 v[1:4], v128
	s_andn2_b32 vcc_lo, exec_lo, s7
	s_cbranch_vccnz .LBB124_64
; %bb.63:
	s_clause 0x3
	buffer_load_dword v129, v127, s[0:3], 0 offen offset:8
	buffer_load_dword v130, v127, s[0:3], 0 offen offset:12
	buffer_load_dword v131, v127, s[0:3], 0 offen
	buffer_load_dword v132, v127, s[0:3], 0 offen offset:4
	s_waitcnt vmcnt(2) lgkmcnt(0)
	v_mul_f64 v[134:135], v[3:4], v[129:130]
	v_mul_f64 v[129:130], v[1:2], v[129:130]
	s_waitcnt vmcnt(0)
	v_fma_f64 v[1:2], v[1:2], v[131:132], -v[134:135]
	v_fma_f64 v[3:4], v[3:4], v[131:132], v[129:130]
.LBB124_64:
	s_and_saveexec_b32 s8, s6
	s_cbranch_execz .LBB124_74
; %bb.65:
	v_subrev_nc_u32_e32 v130, 56, v0
	v_mov_b32_e32 v131, 55
	v_subrev_nc_u32_e32 v129, 55, v0
	s_mov_b32 s6, exec_lo
	v_cmpx_lt_u32_e32 6, v130
	s_cbranch_execz .LBB124_69
; %bb.66:
	v_and_b32_e32 v130, -8, v129
	s_movk_i32 s71, 0x740
	s_mov_b32 s70, 0
	s_mov_b32 s72, s14
	;; [unrolled: 1-line block ×3, first 2 shown]
.LBB124_67:                             ; =>This Inner Loop Header: Depth=1
	v_mov_b32_e32 v134, s72
	v_mov_b32_e32 v180, s71
	s_add_i32 s74, s73, 8
	s_add_i32 s73, s73, 63
	v_cmp_eq_u32_e32 vcc_lo, s74, v130
	s_clause 0x1f
	buffer_load_dword v131, v134, s[0:3], 0 offen offset:8
	buffer_load_dword v132, v134, s[0:3], 0 offen offset:12
	buffer_load_dword v142, v134, s[0:3], 0 offen
	buffer_load_dword v143, v134, s[0:3], 0 offen offset:4
	buffer_load_dword v144, v134, s[0:3], 0 offen offset:24
	;; [unrolled: 1-line block ×29, first 2 shown]
	ds_read_b128 v[134:137], v180
	ds_read_b128 v[138:141], v180 offset:16
	s_addk_i32 s71, 0x80
	s_addk_i32 s72, 0x80
	s_or_b32 s70, vcc_lo, s70
	s_waitcnt vmcnt(30) lgkmcnt(1)
	v_mul_f64 v[172:173], v[136:137], v[131:132]
	v_mul_f64 v[131:132], v[134:135], v[131:132]
	s_waitcnt vmcnt(26) lgkmcnt(0)
	v_mul_f64 v[174:175], v[140:141], v[144:145]
	v_mul_f64 v[176:177], v[138:139], v[144:145]
	v_fma_f64 v[172:173], v[134:135], v[142:143], -v[172:173]
	v_fma_f64 v[131:132], v[136:137], v[142:143], v[131:132]
	ds_read_b128 v[134:137], v180 offset:32
	ds_read_b128 v[142:145], v180 offset:48
	s_waitcnt vmcnt(24)
	v_fma_f64 v[138:139], v[138:139], v[146:147], -v[174:175]
	v_fma_f64 v[140:141], v[140:141], v[146:147], v[176:177]
	s_waitcnt vmcnt(22) lgkmcnt(1)
	v_mul_f64 v[178:179], v[136:137], v[148:149]
	v_mul_f64 v[148:149], v[134:135], v[148:149]
	v_add_f64 v[1:2], v[1:2], v[172:173]
	v_add_f64 v[3:4], v[3:4], v[131:132]
	s_waitcnt vmcnt(18) lgkmcnt(0)
	v_mul_f64 v[131:132], v[144:145], v[152:153]
	v_mul_f64 v[146:147], v[142:143], v[152:153]
	v_fma_f64 v[152:153], v[134:135], v[150:151], -v[178:179]
	v_fma_f64 v[148:149], v[136:137], v[150:151], v[148:149]
	v_add_f64 v[138:139], v[1:2], v[138:139]
	v_add_f64 v[140:141], v[3:4], v[140:141]
	ds_read_b128 v[1:4], v180 offset:64
	ds_read_b128 v[134:137], v180 offset:80
	s_waitcnt vmcnt(16)
	v_fma_f64 v[131:132], v[142:143], v[154:155], -v[131:132]
	v_fma_f64 v[142:143], v[144:145], v[154:155], v[146:147]
	s_waitcnt vmcnt(12) lgkmcnt(1)
	v_mul_f64 v[150:151], v[3:4], v[156:157]
	v_mul_f64 v[156:157], v[1:2], v[156:157]
	v_add_f64 v[138:139], v[138:139], v[152:153]
	v_add_f64 v[140:141], v[140:141], v[148:149]
	s_waitcnt vmcnt(10) lgkmcnt(0)
	v_mul_f64 v[144:145], v[136:137], v[158:159]
	v_mul_f64 v[146:147], v[134:135], v[158:159]
	s_waitcnt vmcnt(8)
	v_fma_f64 v[148:149], v[1:2], v[162:163], -v[150:151]
	v_fma_f64 v[150:151], v[3:4], v[162:163], v[156:157]
	v_add_f64 v[131:132], v[138:139], v[131:132]
	v_add_f64 v[142:143], v[140:141], v[142:143]
	ds_read_b128 v[1:4], v180 offset:96
	ds_read_b128 v[138:141], v180 offset:112
	v_fma_f64 v[134:135], v[134:135], v[160:161], -v[144:145]
	v_fma_f64 v[136:137], v[136:137], v[160:161], v[146:147]
	s_waitcnt vmcnt(4) lgkmcnt(1)
	v_mul_f64 v[152:153], v[3:4], v[164:165]
	v_mul_f64 v[154:155], v[1:2], v[164:165]
	v_add_f64 v[131:132], v[131:132], v[148:149]
	v_add_f64 v[142:143], v[142:143], v[150:151]
	s_waitcnt vmcnt(2) lgkmcnt(0)
	v_mul_f64 v[144:145], v[140:141], v[166:167]
	v_mul_f64 v[146:147], v[138:139], v[166:167]
	s_waitcnt vmcnt(0)
	v_fma_f64 v[1:2], v[1:2], v[170:171], -v[152:153]
	v_fma_f64 v[3:4], v[3:4], v[170:171], v[154:155]
	v_add_f64 v[131:132], v[131:132], v[134:135]
	v_add_f64 v[134:135], v[142:143], v[136:137]
	v_fma_f64 v[136:137], v[138:139], v[168:169], -v[144:145]
	v_fma_f64 v[138:139], v[140:141], v[168:169], v[146:147]
	v_add_f64 v[1:2], v[131:132], v[1:2]
	v_add_f64 v[3:4], v[134:135], v[3:4]
	v_mov_b32_e32 v131, s73
	s_mov_b32 s73, s74
	v_add_f64 v[1:2], v[1:2], v[136:137]
	v_add_f64 v[3:4], v[3:4], v[138:139]
	s_andn2_b32 exec_lo, exec_lo, s70
	s_cbranch_execnz .LBB124_67
; %bb.68:
	s_or_b32 exec_lo, exec_lo, s70
.LBB124_69:
	s_or_b32 exec_lo, exec_lo, s6
	v_and_b32_e32 v129, 7, v129
	s_mov_b32 s70, 0
	s_mov_b32 s6, exec_lo
	v_cmpx_ne_u32_e32 0, v129
	s_cbranch_execz .LBB124_73
; %bb.70:
	v_lshlrev_b32_e32 v131, 4, v131
	v_add_nc_u32_e32 v130, 0x3d0, v131
	.p2align	6
.LBB124_71:                             ; =>This Inner Loop Header: Depth=1
	s_clause 0x3
	buffer_load_dword v138, v131, s[0:3], 0 offen offset:8
	buffer_load_dword v139, v131, s[0:3], 0 offen offset:12
	buffer_load_dword v140, v131, s[0:3], 0 offen
	buffer_load_dword v141, v131, s[0:3], 0 offen offset:4
	ds_read_b128 v[134:137], v130
	v_add_nc_u32_e32 v129, -1, v129
	v_add_nc_u32_e32 v130, 16, v130
	v_add_nc_u32_e32 v131, 16, v131
	v_cmp_eq_u32_e32 vcc_lo, 0, v129
	s_or_b32 s70, vcc_lo, s70
	s_waitcnt vmcnt(2) lgkmcnt(0)
	v_mul_f64 v[142:143], v[136:137], v[138:139]
	v_mul_f64 v[138:139], v[134:135], v[138:139]
	s_waitcnt vmcnt(0)
	v_fma_f64 v[134:135], v[134:135], v[140:141], -v[142:143]
	v_fma_f64 v[136:137], v[136:137], v[140:141], v[138:139]
	v_add_f64 v[1:2], v[1:2], v[134:135]
	v_add_f64 v[3:4], v[3:4], v[136:137]
	s_andn2_b32 exec_lo, exec_lo, s70
	s_cbranch_execnz .LBB124_71
; %bb.72:
	s_or_b32 exec_lo, exec_lo, s70
.LBB124_73:
	s_or_b32 exec_lo, exec_lo, s6
.LBB124_74:
	s_or_b32 exec_lo, exec_lo, s8
	v_mov_b32_e32 v129, 0
	ds_read_b128 v[129:132], v129 offset:864
	s_waitcnt lgkmcnt(0)
	v_mul_f64 v[134:135], v[3:4], v[131:132]
	v_mul_f64 v[131:132], v[1:2], v[131:132]
	v_fma_f64 v[1:2], v[1:2], v[129:130], -v[134:135]
	v_fma_f64 v[3:4], v[3:4], v[129:130], v[131:132]
	buffer_store_dword v2, off, s[0:3], 0 offset:868
	buffer_store_dword v1, off, s[0:3], 0 offset:864
	;; [unrolled: 1-line block ×4, first 2 shown]
.LBB124_75:
	s_or_b32 exec_lo, exec_lo, s5
	v_mov_b32_e32 v4, s16
	v_cmp_lt_u32_e64 s5, 53, v0
	s_clause 0x3
	buffer_load_dword v1, v4, s[0:3], 0 offen
	buffer_load_dword v2, v4, s[0:3], 0 offen offset:4
	buffer_load_dword v3, v4, s[0:3], 0 offen offset:8
	;; [unrolled: 1-line block ×3, first 2 shown]
	s_waitcnt vmcnt(0)
	ds_write_b128 v128, v[1:4]
	s_waitcnt lgkmcnt(0)
	s_waitcnt_vscnt null, 0x0
	s_barrier
	buffer_gl0_inv
	s_and_saveexec_b32 s6, s5
	s_cbranch_execz .LBB124_89
; %bb.76:
	ds_read_b128 v[1:4], v128
	s_andn2_b32 vcc_lo, exec_lo, s7
	s_cbranch_vccnz .LBB124_78
; %bb.77:
	s_clause 0x3
	buffer_load_dword v129, v127, s[0:3], 0 offen offset:8
	buffer_load_dword v130, v127, s[0:3], 0 offen offset:12
	buffer_load_dword v131, v127, s[0:3], 0 offen
	buffer_load_dword v132, v127, s[0:3], 0 offen offset:4
	s_waitcnt vmcnt(2) lgkmcnt(0)
	v_mul_f64 v[134:135], v[3:4], v[129:130]
	v_mul_f64 v[129:130], v[1:2], v[129:130]
	s_waitcnt vmcnt(0)
	v_fma_f64 v[1:2], v[1:2], v[131:132], -v[134:135]
	v_fma_f64 v[3:4], v[3:4], v[131:132], v[129:130]
.LBB124_78:
	s_and_saveexec_b32 s8, s4
	s_cbranch_execz .LBB124_88
; %bb.79:
	v_subrev_nc_u32_e32 v130, 55, v0
	v_mov_b32_e32 v131, 54
	v_subrev_nc_u32_e32 v129, 54, v0
	s_mov_b32 s4, exec_lo
	v_cmpx_lt_u32_e32 6, v130
	s_cbranch_execz .LBB124_83
; %bb.80:
	v_and_b32_e32 v130, -8, v129
	s_movk_i32 s71, 0x730
	s_mov_b32 s70, 0
	s_mov_b32 s72, s15
	;; [unrolled: 1-line block ×3, first 2 shown]
.LBB124_81:                             ; =>This Inner Loop Header: Depth=1
	v_mov_b32_e32 v134, s72
	v_mov_b32_e32 v180, s71
	s_add_i32 s74, s73, 8
	s_add_i32 s73, s73, 62
	v_cmp_eq_u32_e32 vcc_lo, s74, v130
	s_clause 0x1f
	buffer_load_dword v131, v134, s[0:3], 0 offen offset:8
	buffer_load_dword v132, v134, s[0:3], 0 offen offset:12
	buffer_load_dword v142, v134, s[0:3], 0 offen
	buffer_load_dword v143, v134, s[0:3], 0 offen offset:4
	buffer_load_dword v144, v134, s[0:3], 0 offen offset:24
	;; [unrolled: 1-line block ×29, first 2 shown]
	ds_read_b128 v[134:137], v180
	ds_read_b128 v[138:141], v180 offset:16
	s_addk_i32 s71, 0x80
	s_addk_i32 s72, 0x80
	s_or_b32 s70, vcc_lo, s70
	s_waitcnt vmcnt(30) lgkmcnt(1)
	v_mul_f64 v[172:173], v[136:137], v[131:132]
	v_mul_f64 v[131:132], v[134:135], v[131:132]
	s_waitcnt vmcnt(26) lgkmcnt(0)
	v_mul_f64 v[174:175], v[140:141], v[144:145]
	v_mul_f64 v[176:177], v[138:139], v[144:145]
	v_fma_f64 v[172:173], v[134:135], v[142:143], -v[172:173]
	v_fma_f64 v[131:132], v[136:137], v[142:143], v[131:132]
	ds_read_b128 v[134:137], v180 offset:32
	ds_read_b128 v[142:145], v180 offset:48
	s_waitcnt vmcnt(24)
	v_fma_f64 v[138:139], v[138:139], v[146:147], -v[174:175]
	v_fma_f64 v[140:141], v[140:141], v[146:147], v[176:177]
	s_waitcnt vmcnt(22) lgkmcnt(1)
	v_mul_f64 v[178:179], v[136:137], v[148:149]
	v_mul_f64 v[148:149], v[134:135], v[148:149]
	v_add_f64 v[1:2], v[1:2], v[172:173]
	v_add_f64 v[3:4], v[3:4], v[131:132]
	s_waitcnt vmcnt(18) lgkmcnt(0)
	v_mul_f64 v[131:132], v[144:145], v[152:153]
	v_mul_f64 v[146:147], v[142:143], v[152:153]
	v_fma_f64 v[152:153], v[134:135], v[150:151], -v[178:179]
	v_fma_f64 v[148:149], v[136:137], v[150:151], v[148:149]
	v_add_f64 v[138:139], v[1:2], v[138:139]
	v_add_f64 v[140:141], v[3:4], v[140:141]
	ds_read_b128 v[1:4], v180 offset:64
	ds_read_b128 v[134:137], v180 offset:80
	s_waitcnt vmcnt(16)
	v_fma_f64 v[131:132], v[142:143], v[154:155], -v[131:132]
	v_fma_f64 v[142:143], v[144:145], v[154:155], v[146:147]
	s_waitcnt vmcnt(12) lgkmcnt(1)
	v_mul_f64 v[150:151], v[3:4], v[156:157]
	v_mul_f64 v[156:157], v[1:2], v[156:157]
	v_add_f64 v[138:139], v[138:139], v[152:153]
	v_add_f64 v[140:141], v[140:141], v[148:149]
	s_waitcnt vmcnt(10) lgkmcnt(0)
	v_mul_f64 v[144:145], v[136:137], v[158:159]
	v_mul_f64 v[146:147], v[134:135], v[158:159]
	s_waitcnt vmcnt(8)
	v_fma_f64 v[148:149], v[1:2], v[162:163], -v[150:151]
	v_fma_f64 v[150:151], v[3:4], v[162:163], v[156:157]
	v_add_f64 v[131:132], v[138:139], v[131:132]
	v_add_f64 v[142:143], v[140:141], v[142:143]
	ds_read_b128 v[1:4], v180 offset:96
	ds_read_b128 v[138:141], v180 offset:112
	v_fma_f64 v[134:135], v[134:135], v[160:161], -v[144:145]
	v_fma_f64 v[136:137], v[136:137], v[160:161], v[146:147]
	s_waitcnt vmcnt(4) lgkmcnt(1)
	v_mul_f64 v[152:153], v[3:4], v[164:165]
	v_mul_f64 v[154:155], v[1:2], v[164:165]
	v_add_f64 v[131:132], v[131:132], v[148:149]
	v_add_f64 v[142:143], v[142:143], v[150:151]
	s_waitcnt vmcnt(2) lgkmcnt(0)
	v_mul_f64 v[144:145], v[140:141], v[166:167]
	v_mul_f64 v[146:147], v[138:139], v[166:167]
	s_waitcnt vmcnt(0)
	v_fma_f64 v[1:2], v[1:2], v[170:171], -v[152:153]
	v_fma_f64 v[3:4], v[3:4], v[170:171], v[154:155]
	v_add_f64 v[131:132], v[131:132], v[134:135]
	v_add_f64 v[134:135], v[142:143], v[136:137]
	v_fma_f64 v[136:137], v[138:139], v[168:169], -v[144:145]
	v_fma_f64 v[138:139], v[140:141], v[168:169], v[146:147]
	v_add_f64 v[1:2], v[131:132], v[1:2]
	v_add_f64 v[3:4], v[134:135], v[3:4]
	v_mov_b32_e32 v131, s73
	s_mov_b32 s73, s74
	v_add_f64 v[1:2], v[1:2], v[136:137]
	v_add_f64 v[3:4], v[3:4], v[138:139]
	s_andn2_b32 exec_lo, exec_lo, s70
	s_cbranch_execnz .LBB124_81
; %bb.82:
	s_or_b32 exec_lo, exec_lo, s70
.LBB124_83:
	s_or_b32 exec_lo, exec_lo, s4
	v_and_b32_e32 v129, 7, v129
	s_mov_b32 s70, 0
	s_mov_b32 s4, exec_lo
	v_cmpx_ne_u32_e32 0, v129
	s_cbranch_execz .LBB124_87
; %bb.84:
	v_lshlrev_b32_e32 v131, 4, v131
	v_add_nc_u32_e32 v130, 0x3d0, v131
	.p2align	6
.LBB124_85:                             ; =>This Inner Loop Header: Depth=1
	s_clause 0x3
	buffer_load_dword v138, v131, s[0:3], 0 offen offset:8
	buffer_load_dword v139, v131, s[0:3], 0 offen offset:12
	buffer_load_dword v140, v131, s[0:3], 0 offen
	buffer_load_dword v141, v131, s[0:3], 0 offen offset:4
	ds_read_b128 v[134:137], v130
	v_add_nc_u32_e32 v129, -1, v129
	v_add_nc_u32_e32 v130, 16, v130
	v_add_nc_u32_e32 v131, 16, v131
	v_cmp_eq_u32_e32 vcc_lo, 0, v129
	s_or_b32 s70, vcc_lo, s70
	s_waitcnt vmcnt(2) lgkmcnt(0)
	v_mul_f64 v[142:143], v[136:137], v[138:139]
	v_mul_f64 v[138:139], v[134:135], v[138:139]
	s_waitcnt vmcnt(0)
	v_fma_f64 v[134:135], v[134:135], v[140:141], -v[142:143]
	v_fma_f64 v[136:137], v[136:137], v[140:141], v[138:139]
	v_add_f64 v[1:2], v[1:2], v[134:135]
	v_add_f64 v[3:4], v[3:4], v[136:137]
	s_andn2_b32 exec_lo, exec_lo, s70
	s_cbranch_execnz .LBB124_85
; %bb.86:
	s_or_b32 exec_lo, exec_lo, s70
.LBB124_87:
	s_or_b32 exec_lo, exec_lo, s4
.LBB124_88:
	s_or_b32 exec_lo, exec_lo, s8
	v_mov_b32_e32 v129, 0
	ds_read_b128 v[129:132], v129 offset:848
	s_waitcnt lgkmcnt(0)
	v_mul_f64 v[134:135], v[3:4], v[131:132]
	v_mul_f64 v[131:132], v[1:2], v[131:132]
	v_fma_f64 v[1:2], v[1:2], v[129:130], -v[134:135]
	v_fma_f64 v[3:4], v[3:4], v[129:130], v[131:132]
	buffer_store_dword v2, off, s[0:3], 0 offset:852
	buffer_store_dword v1, off, s[0:3], 0 offset:848
	;; [unrolled: 1-line block ×4, first 2 shown]
.LBB124_89:
	s_or_b32 exec_lo, exec_lo, s6
	v_mov_b32_e32 v4, s17
	v_cmp_lt_u32_e64 s4, 52, v0
	s_clause 0x3
	buffer_load_dword v1, v4, s[0:3], 0 offen
	buffer_load_dword v2, v4, s[0:3], 0 offen offset:4
	buffer_load_dword v3, v4, s[0:3], 0 offen offset:8
	buffer_load_dword v4, v4, s[0:3], 0 offen offset:12
	s_waitcnt vmcnt(0)
	ds_write_b128 v128, v[1:4]
	s_waitcnt lgkmcnt(0)
	s_waitcnt_vscnt null, 0x0
	s_barrier
	buffer_gl0_inv
	s_and_saveexec_b32 s6, s4
	s_cbranch_execz .LBB124_103
; %bb.90:
	ds_read_b128 v[1:4], v128
	s_andn2_b32 vcc_lo, exec_lo, s7
	s_cbranch_vccnz .LBB124_92
; %bb.91:
	s_clause 0x3
	buffer_load_dword v129, v127, s[0:3], 0 offen offset:8
	buffer_load_dword v130, v127, s[0:3], 0 offen offset:12
	buffer_load_dword v131, v127, s[0:3], 0 offen
	buffer_load_dword v132, v127, s[0:3], 0 offen offset:4
	s_waitcnt vmcnt(2) lgkmcnt(0)
	v_mul_f64 v[134:135], v[3:4], v[129:130]
	v_mul_f64 v[129:130], v[1:2], v[129:130]
	s_waitcnt vmcnt(0)
	v_fma_f64 v[1:2], v[1:2], v[131:132], -v[134:135]
	v_fma_f64 v[3:4], v[3:4], v[131:132], v[129:130]
.LBB124_92:
	s_and_saveexec_b32 s8, s5
	s_cbranch_execz .LBB124_102
; %bb.93:
	v_subrev_nc_u32_e32 v130, 54, v0
	v_mov_b32_e32 v131, 53
	v_subrev_nc_u32_e32 v129, 53, v0
	s_mov_b32 s5, exec_lo
	v_cmpx_lt_u32_e32 6, v130
	s_cbranch_execz .LBB124_97
; %bb.94:
	v_and_b32_e32 v130, -8, v129
	s_movk_i32 s71, 0x720
	s_mov_b32 s70, 0
	s_mov_b32 s72, s16
	;; [unrolled: 1-line block ×3, first 2 shown]
.LBB124_95:                             ; =>This Inner Loop Header: Depth=1
	v_mov_b32_e32 v134, s72
	v_mov_b32_e32 v180, s71
	s_add_i32 s74, s73, 8
	s_add_i32 s73, s73, 61
	v_cmp_eq_u32_e32 vcc_lo, s74, v130
	s_clause 0x1f
	buffer_load_dword v131, v134, s[0:3], 0 offen offset:8
	buffer_load_dword v132, v134, s[0:3], 0 offen offset:12
	buffer_load_dword v142, v134, s[0:3], 0 offen
	buffer_load_dword v143, v134, s[0:3], 0 offen offset:4
	buffer_load_dword v144, v134, s[0:3], 0 offen offset:24
	;; [unrolled: 1-line block ×29, first 2 shown]
	ds_read_b128 v[134:137], v180
	ds_read_b128 v[138:141], v180 offset:16
	s_addk_i32 s71, 0x80
	s_addk_i32 s72, 0x80
	s_or_b32 s70, vcc_lo, s70
	s_waitcnt vmcnt(30) lgkmcnt(1)
	v_mul_f64 v[172:173], v[136:137], v[131:132]
	v_mul_f64 v[131:132], v[134:135], v[131:132]
	s_waitcnt vmcnt(26) lgkmcnt(0)
	v_mul_f64 v[174:175], v[140:141], v[144:145]
	v_mul_f64 v[176:177], v[138:139], v[144:145]
	v_fma_f64 v[172:173], v[134:135], v[142:143], -v[172:173]
	v_fma_f64 v[131:132], v[136:137], v[142:143], v[131:132]
	ds_read_b128 v[134:137], v180 offset:32
	ds_read_b128 v[142:145], v180 offset:48
	s_waitcnt vmcnt(24)
	v_fma_f64 v[138:139], v[138:139], v[146:147], -v[174:175]
	v_fma_f64 v[140:141], v[140:141], v[146:147], v[176:177]
	s_waitcnt vmcnt(22) lgkmcnt(1)
	v_mul_f64 v[178:179], v[136:137], v[148:149]
	v_mul_f64 v[148:149], v[134:135], v[148:149]
	v_add_f64 v[1:2], v[1:2], v[172:173]
	v_add_f64 v[3:4], v[3:4], v[131:132]
	s_waitcnt vmcnt(18) lgkmcnt(0)
	v_mul_f64 v[131:132], v[144:145], v[152:153]
	v_mul_f64 v[146:147], v[142:143], v[152:153]
	v_fma_f64 v[152:153], v[134:135], v[150:151], -v[178:179]
	v_fma_f64 v[148:149], v[136:137], v[150:151], v[148:149]
	v_add_f64 v[138:139], v[1:2], v[138:139]
	v_add_f64 v[140:141], v[3:4], v[140:141]
	ds_read_b128 v[1:4], v180 offset:64
	ds_read_b128 v[134:137], v180 offset:80
	s_waitcnt vmcnt(16)
	v_fma_f64 v[131:132], v[142:143], v[154:155], -v[131:132]
	v_fma_f64 v[142:143], v[144:145], v[154:155], v[146:147]
	s_waitcnt vmcnt(12) lgkmcnt(1)
	v_mul_f64 v[150:151], v[3:4], v[156:157]
	v_mul_f64 v[156:157], v[1:2], v[156:157]
	v_add_f64 v[138:139], v[138:139], v[152:153]
	v_add_f64 v[140:141], v[140:141], v[148:149]
	s_waitcnt vmcnt(10) lgkmcnt(0)
	v_mul_f64 v[144:145], v[136:137], v[158:159]
	v_mul_f64 v[146:147], v[134:135], v[158:159]
	s_waitcnt vmcnt(8)
	v_fma_f64 v[148:149], v[1:2], v[162:163], -v[150:151]
	v_fma_f64 v[150:151], v[3:4], v[162:163], v[156:157]
	v_add_f64 v[131:132], v[138:139], v[131:132]
	v_add_f64 v[142:143], v[140:141], v[142:143]
	ds_read_b128 v[1:4], v180 offset:96
	ds_read_b128 v[138:141], v180 offset:112
	v_fma_f64 v[134:135], v[134:135], v[160:161], -v[144:145]
	v_fma_f64 v[136:137], v[136:137], v[160:161], v[146:147]
	s_waitcnt vmcnt(4) lgkmcnt(1)
	v_mul_f64 v[152:153], v[3:4], v[164:165]
	v_mul_f64 v[154:155], v[1:2], v[164:165]
	v_add_f64 v[131:132], v[131:132], v[148:149]
	v_add_f64 v[142:143], v[142:143], v[150:151]
	s_waitcnt vmcnt(2) lgkmcnt(0)
	v_mul_f64 v[144:145], v[140:141], v[166:167]
	v_mul_f64 v[146:147], v[138:139], v[166:167]
	s_waitcnt vmcnt(0)
	v_fma_f64 v[1:2], v[1:2], v[170:171], -v[152:153]
	v_fma_f64 v[3:4], v[3:4], v[170:171], v[154:155]
	v_add_f64 v[131:132], v[131:132], v[134:135]
	v_add_f64 v[134:135], v[142:143], v[136:137]
	v_fma_f64 v[136:137], v[138:139], v[168:169], -v[144:145]
	v_fma_f64 v[138:139], v[140:141], v[168:169], v[146:147]
	v_add_f64 v[1:2], v[131:132], v[1:2]
	v_add_f64 v[3:4], v[134:135], v[3:4]
	v_mov_b32_e32 v131, s73
	s_mov_b32 s73, s74
	v_add_f64 v[1:2], v[1:2], v[136:137]
	v_add_f64 v[3:4], v[3:4], v[138:139]
	s_andn2_b32 exec_lo, exec_lo, s70
	s_cbranch_execnz .LBB124_95
; %bb.96:
	s_or_b32 exec_lo, exec_lo, s70
.LBB124_97:
	s_or_b32 exec_lo, exec_lo, s5
	v_and_b32_e32 v129, 7, v129
	s_mov_b32 s70, 0
	s_mov_b32 s5, exec_lo
	v_cmpx_ne_u32_e32 0, v129
	s_cbranch_execz .LBB124_101
; %bb.98:
	v_lshlrev_b32_e32 v131, 4, v131
	v_add_nc_u32_e32 v130, 0x3d0, v131
	.p2align	6
.LBB124_99:                             ; =>This Inner Loop Header: Depth=1
	s_clause 0x3
	buffer_load_dword v138, v131, s[0:3], 0 offen offset:8
	buffer_load_dword v139, v131, s[0:3], 0 offen offset:12
	buffer_load_dword v140, v131, s[0:3], 0 offen
	buffer_load_dword v141, v131, s[0:3], 0 offen offset:4
	ds_read_b128 v[134:137], v130
	v_add_nc_u32_e32 v129, -1, v129
	v_add_nc_u32_e32 v130, 16, v130
	v_add_nc_u32_e32 v131, 16, v131
	v_cmp_eq_u32_e32 vcc_lo, 0, v129
	s_or_b32 s70, vcc_lo, s70
	s_waitcnt vmcnt(2) lgkmcnt(0)
	v_mul_f64 v[142:143], v[136:137], v[138:139]
	v_mul_f64 v[138:139], v[134:135], v[138:139]
	s_waitcnt vmcnt(0)
	v_fma_f64 v[134:135], v[134:135], v[140:141], -v[142:143]
	v_fma_f64 v[136:137], v[136:137], v[140:141], v[138:139]
	v_add_f64 v[1:2], v[1:2], v[134:135]
	v_add_f64 v[3:4], v[3:4], v[136:137]
	s_andn2_b32 exec_lo, exec_lo, s70
	s_cbranch_execnz .LBB124_99
; %bb.100:
	s_or_b32 exec_lo, exec_lo, s70
.LBB124_101:
	s_or_b32 exec_lo, exec_lo, s5
.LBB124_102:
	s_or_b32 exec_lo, exec_lo, s8
	v_mov_b32_e32 v129, 0
	ds_read_b128 v[129:132], v129 offset:832
	s_waitcnt lgkmcnt(0)
	v_mul_f64 v[134:135], v[3:4], v[131:132]
	v_mul_f64 v[131:132], v[1:2], v[131:132]
	v_fma_f64 v[1:2], v[1:2], v[129:130], -v[134:135]
	v_fma_f64 v[3:4], v[3:4], v[129:130], v[131:132]
	buffer_store_dword v2, off, s[0:3], 0 offset:836
	buffer_store_dword v1, off, s[0:3], 0 offset:832
	;; [unrolled: 1-line block ×4, first 2 shown]
.LBB124_103:
	s_or_b32 exec_lo, exec_lo, s6
	v_mov_b32_e32 v4, s18
	v_cmp_lt_u32_e64 s5, 51, v0
	s_clause 0x3
	buffer_load_dword v1, v4, s[0:3], 0 offen
	buffer_load_dword v2, v4, s[0:3], 0 offen offset:4
	buffer_load_dword v3, v4, s[0:3], 0 offen offset:8
	buffer_load_dword v4, v4, s[0:3], 0 offen offset:12
	s_waitcnt vmcnt(0)
	ds_write_b128 v128, v[1:4]
	s_waitcnt lgkmcnt(0)
	s_waitcnt_vscnt null, 0x0
	s_barrier
	buffer_gl0_inv
	s_and_saveexec_b32 s6, s5
	s_cbranch_execz .LBB124_117
; %bb.104:
	ds_read_b128 v[1:4], v128
	s_andn2_b32 vcc_lo, exec_lo, s7
	s_cbranch_vccnz .LBB124_106
; %bb.105:
	s_clause 0x3
	buffer_load_dword v129, v127, s[0:3], 0 offen offset:8
	buffer_load_dword v130, v127, s[0:3], 0 offen offset:12
	buffer_load_dword v131, v127, s[0:3], 0 offen
	buffer_load_dword v132, v127, s[0:3], 0 offen offset:4
	s_waitcnt vmcnt(2) lgkmcnt(0)
	v_mul_f64 v[134:135], v[3:4], v[129:130]
	v_mul_f64 v[129:130], v[1:2], v[129:130]
	s_waitcnt vmcnt(0)
	v_fma_f64 v[1:2], v[1:2], v[131:132], -v[134:135]
	v_fma_f64 v[3:4], v[3:4], v[131:132], v[129:130]
.LBB124_106:
	s_and_saveexec_b32 s8, s4
	s_cbranch_execz .LBB124_116
; %bb.107:
	v_subrev_nc_u32_e32 v130, 53, v0
	v_mov_b32_e32 v131, 52
	v_subrev_nc_u32_e32 v129, 52, v0
	s_mov_b32 s4, exec_lo
	v_cmpx_lt_u32_e32 6, v130
	s_cbranch_execz .LBB124_111
; %bb.108:
	v_and_b32_e32 v130, -8, v129
	s_movk_i32 s71, 0x710
	s_mov_b32 s70, 0
	s_mov_b32 s72, s17
	s_mov_b32 s73, 0
.LBB124_109:                            ; =>This Inner Loop Header: Depth=1
	v_mov_b32_e32 v134, s72
	v_mov_b32_e32 v180, s71
	s_add_i32 s74, s73, 8
	s_add_i32 s73, s73, 60
	v_cmp_eq_u32_e32 vcc_lo, s74, v130
	s_clause 0x1f
	buffer_load_dword v131, v134, s[0:3], 0 offen offset:8
	buffer_load_dword v132, v134, s[0:3], 0 offen offset:12
	buffer_load_dword v142, v134, s[0:3], 0 offen
	buffer_load_dword v143, v134, s[0:3], 0 offen offset:4
	buffer_load_dword v144, v134, s[0:3], 0 offen offset:24
	;; [unrolled: 1-line block ×29, first 2 shown]
	ds_read_b128 v[134:137], v180
	ds_read_b128 v[138:141], v180 offset:16
	s_addk_i32 s71, 0x80
	s_addk_i32 s72, 0x80
	s_or_b32 s70, vcc_lo, s70
	s_waitcnt vmcnt(30) lgkmcnt(1)
	v_mul_f64 v[172:173], v[136:137], v[131:132]
	v_mul_f64 v[131:132], v[134:135], v[131:132]
	s_waitcnt vmcnt(26) lgkmcnt(0)
	v_mul_f64 v[174:175], v[140:141], v[144:145]
	v_mul_f64 v[176:177], v[138:139], v[144:145]
	v_fma_f64 v[172:173], v[134:135], v[142:143], -v[172:173]
	v_fma_f64 v[131:132], v[136:137], v[142:143], v[131:132]
	ds_read_b128 v[134:137], v180 offset:32
	ds_read_b128 v[142:145], v180 offset:48
	s_waitcnt vmcnt(24)
	v_fma_f64 v[138:139], v[138:139], v[146:147], -v[174:175]
	v_fma_f64 v[140:141], v[140:141], v[146:147], v[176:177]
	s_waitcnt vmcnt(22) lgkmcnt(1)
	v_mul_f64 v[178:179], v[136:137], v[148:149]
	v_mul_f64 v[148:149], v[134:135], v[148:149]
	v_add_f64 v[1:2], v[1:2], v[172:173]
	v_add_f64 v[3:4], v[3:4], v[131:132]
	s_waitcnt vmcnt(18) lgkmcnt(0)
	v_mul_f64 v[131:132], v[144:145], v[152:153]
	v_mul_f64 v[146:147], v[142:143], v[152:153]
	v_fma_f64 v[152:153], v[134:135], v[150:151], -v[178:179]
	v_fma_f64 v[148:149], v[136:137], v[150:151], v[148:149]
	v_add_f64 v[138:139], v[1:2], v[138:139]
	v_add_f64 v[140:141], v[3:4], v[140:141]
	ds_read_b128 v[1:4], v180 offset:64
	ds_read_b128 v[134:137], v180 offset:80
	s_waitcnt vmcnt(16)
	v_fma_f64 v[131:132], v[142:143], v[154:155], -v[131:132]
	v_fma_f64 v[142:143], v[144:145], v[154:155], v[146:147]
	s_waitcnt vmcnt(12) lgkmcnt(1)
	v_mul_f64 v[150:151], v[3:4], v[156:157]
	v_mul_f64 v[156:157], v[1:2], v[156:157]
	v_add_f64 v[138:139], v[138:139], v[152:153]
	v_add_f64 v[140:141], v[140:141], v[148:149]
	s_waitcnt vmcnt(10) lgkmcnt(0)
	v_mul_f64 v[144:145], v[136:137], v[158:159]
	v_mul_f64 v[146:147], v[134:135], v[158:159]
	s_waitcnt vmcnt(8)
	v_fma_f64 v[148:149], v[1:2], v[162:163], -v[150:151]
	v_fma_f64 v[150:151], v[3:4], v[162:163], v[156:157]
	v_add_f64 v[131:132], v[138:139], v[131:132]
	v_add_f64 v[142:143], v[140:141], v[142:143]
	ds_read_b128 v[1:4], v180 offset:96
	ds_read_b128 v[138:141], v180 offset:112
	v_fma_f64 v[134:135], v[134:135], v[160:161], -v[144:145]
	v_fma_f64 v[136:137], v[136:137], v[160:161], v[146:147]
	s_waitcnt vmcnt(4) lgkmcnt(1)
	v_mul_f64 v[152:153], v[3:4], v[164:165]
	v_mul_f64 v[154:155], v[1:2], v[164:165]
	v_add_f64 v[131:132], v[131:132], v[148:149]
	v_add_f64 v[142:143], v[142:143], v[150:151]
	s_waitcnt vmcnt(2) lgkmcnt(0)
	v_mul_f64 v[144:145], v[140:141], v[166:167]
	v_mul_f64 v[146:147], v[138:139], v[166:167]
	s_waitcnt vmcnt(0)
	v_fma_f64 v[1:2], v[1:2], v[170:171], -v[152:153]
	v_fma_f64 v[3:4], v[3:4], v[170:171], v[154:155]
	v_add_f64 v[131:132], v[131:132], v[134:135]
	v_add_f64 v[134:135], v[142:143], v[136:137]
	v_fma_f64 v[136:137], v[138:139], v[168:169], -v[144:145]
	v_fma_f64 v[138:139], v[140:141], v[168:169], v[146:147]
	v_add_f64 v[1:2], v[131:132], v[1:2]
	v_add_f64 v[3:4], v[134:135], v[3:4]
	v_mov_b32_e32 v131, s73
	s_mov_b32 s73, s74
	v_add_f64 v[1:2], v[1:2], v[136:137]
	v_add_f64 v[3:4], v[3:4], v[138:139]
	s_andn2_b32 exec_lo, exec_lo, s70
	s_cbranch_execnz .LBB124_109
; %bb.110:
	s_or_b32 exec_lo, exec_lo, s70
.LBB124_111:
	s_or_b32 exec_lo, exec_lo, s4
	v_and_b32_e32 v129, 7, v129
	s_mov_b32 s70, 0
	s_mov_b32 s4, exec_lo
	v_cmpx_ne_u32_e32 0, v129
	s_cbranch_execz .LBB124_115
; %bb.112:
	v_lshlrev_b32_e32 v131, 4, v131
	v_add_nc_u32_e32 v130, 0x3d0, v131
	.p2align	6
.LBB124_113:                            ; =>This Inner Loop Header: Depth=1
	s_clause 0x3
	buffer_load_dword v138, v131, s[0:3], 0 offen offset:8
	buffer_load_dword v139, v131, s[0:3], 0 offen offset:12
	buffer_load_dword v140, v131, s[0:3], 0 offen
	buffer_load_dword v141, v131, s[0:3], 0 offen offset:4
	ds_read_b128 v[134:137], v130
	v_add_nc_u32_e32 v129, -1, v129
	v_add_nc_u32_e32 v130, 16, v130
	v_add_nc_u32_e32 v131, 16, v131
	v_cmp_eq_u32_e32 vcc_lo, 0, v129
	s_or_b32 s70, vcc_lo, s70
	s_waitcnt vmcnt(2) lgkmcnt(0)
	v_mul_f64 v[142:143], v[136:137], v[138:139]
	v_mul_f64 v[138:139], v[134:135], v[138:139]
	s_waitcnt vmcnt(0)
	v_fma_f64 v[134:135], v[134:135], v[140:141], -v[142:143]
	v_fma_f64 v[136:137], v[136:137], v[140:141], v[138:139]
	v_add_f64 v[1:2], v[1:2], v[134:135]
	v_add_f64 v[3:4], v[3:4], v[136:137]
	s_andn2_b32 exec_lo, exec_lo, s70
	s_cbranch_execnz .LBB124_113
; %bb.114:
	s_or_b32 exec_lo, exec_lo, s70
.LBB124_115:
	s_or_b32 exec_lo, exec_lo, s4
.LBB124_116:
	s_or_b32 exec_lo, exec_lo, s8
	v_mov_b32_e32 v129, 0
	ds_read_b128 v[129:132], v129 offset:816
	s_waitcnt lgkmcnt(0)
	v_mul_f64 v[134:135], v[3:4], v[131:132]
	v_mul_f64 v[131:132], v[1:2], v[131:132]
	v_fma_f64 v[1:2], v[1:2], v[129:130], -v[134:135]
	v_fma_f64 v[3:4], v[3:4], v[129:130], v[131:132]
	buffer_store_dword v2, off, s[0:3], 0 offset:820
	buffer_store_dword v1, off, s[0:3], 0 offset:816
	;; [unrolled: 1-line block ×4, first 2 shown]
.LBB124_117:
	s_or_b32 exec_lo, exec_lo, s6
	v_mov_b32_e32 v4, s19
	v_cmp_lt_u32_e64 s4, 50, v0
	s_clause 0x3
	buffer_load_dword v1, v4, s[0:3], 0 offen
	buffer_load_dword v2, v4, s[0:3], 0 offen offset:4
	buffer_load_dword v3, v4, s[0:3], 0 offen offset:8
	;; [unrolled: 1-line block ×3, first 2 shown]
	s_waitcnt vmcnt(0)
	ds_write_b128 v128, v[1:4]
	s_waitcnt lgkmcnt(0)
	s_waitcnt_vscnt null, 0x0
	s_barrier
	buffer_gl0_inv
	s_and_saveexec_b32 s6, s4
	s_cbranch_execz .LBB124_131
; %bb.118:
	ds_read_b128 v[1:4], v128
	s_andn2_b32 vcc_lo, exec_lo, s7
	s_cbranch_vccnz .LBB124_120
; %bb.119:
	s_clause 0x3
	buffer_load_dword v129, v127, s[0:3], 0 offen offset:8
	buffer_load_dword v130, v127, s[0:3], 0 offen offset:12
	buffer_load_dword v131, v127, s[0:3], 0 offen
	buffer_load_dword v132, v127, s[0:3], 0 offen offset:4
	s_waitcnt vmcnt(2) lgkmcnt(0)
	v_mul_f64 v[134:135], v[3:4], v[129:130]
	v_mul_f64 v[129:130], v[1:2], v[129:130]
	s_waitcnt vmcnt(0)
	v_fma_f64 v[1:2], v[1:2], v[131:132], -v[134:135]
	v_fma_f64 v[3:4], v[3:4], v[131:132], v[129:130]
.LBB124_120:
	s_and_saveexec_b32 s8, s5
	s_cbranch_execz .LBB124_130
; %bb.121:
	v_subrev_nc_u32_e32 v130, 52, v0
	v_mov_b32_e32 v131, 51
	v_subrev_nc_u32_e32 v129, 51, v0
	s_mov_b32 s5, exec_lo
	v_cmpx_lt_u32_e32 6, v130
	s_cbranch_execz .LBB124_125
; %bb.122:
	v_and_b32_e32 v130, -8, v129
	s_movk_i32 s71, 0x700
	s_mov_b32 s70, 0
	s_mov_b32 s72, s18
	s_mov_b32 s73, 0
.LBB124_123:                            ; =>This Inner Loop Header: Depth=1
	v_mov_b32_e32 v134, s72
	v_mov_b32_e32 v180, s71
	s_add_i32 s74, s73, 8
	s_add_i32 s73, s73, 59
	v_cmp_eq_u32_e32 vcc_lo, s74, v130
	s_clause 0x1f
	buffer_load_dword v131, v134, s[0:3], 0 offen offset:8
	buffer_load_dword v132, v134, s[0:3], 0 offen offset:12
	buffer_load_dword v142, v134, s[0:3], 0 offen
	buffer_load_dword v143, v134, s[0:3], 0 offen offset:4
	buffer_load_dword v144, v134, s[0:3], 0 offen offset:24
	buffer_load_dword v145, v134, s[0:3], 0 offen offset:28
	buffer_load_dword v146, v134, s[0:3], 0 offen offset:16
	buffer_load_dword v147, v134, s[0:3], 0 offen offset:20
	buffer_load_dword v148, v134, s[0:3], 0 offen offset:40
	buffer_load_dword v149, v134, s[0:3], 0 offen offset:44
	buffer_load_dword v150, v134, s[0:3], 0 offen offset:32
	buffer_load_dword v151, v134, s[0:3], 0 offen offset:36
	buffer_load_dword v152, v134, s[0:3], 0 offen offset:56
	buffer_load_dword v153, v134, s[0:3], 0 offen offset:60
	buffer_load_dword v154, v134, s[0:3], 0 offen offset:48
	buffer_load_dword v155, v134, s[0:3], 0 offen offset:52
	buffer_load_dword v157, v134, s[0:3], 0 offen offset:76
	buffer_load_dword v158, v134, s[0:3], 0 offen offset:88
	buffer_load_dword v160, v134, s[0:3], 0 offen offset:80
	buffer_load_dword v156, v134, s[0:3], 0 offen offset:72
	buffer_load_dword v161, v134, s[0:3], 0 offen offset:84
	buffer_load_dword v159, v134, s[0:3], 0 offen offset:92
	buffer_load_dword v163, v134, s[0:3], 0 offen offset:68
	buffer_load_dword v162, v134, s[0:3], 0 offen offset:64
	buffer_load_dword v165, v134, s[0:3], 0 offen offset:108
	buffer_load_dword v166, v134, s[0:3], 0 offen offset:120
	buffer_load_dword v168, v134, s[0:3], 0 offen offset:112
	buffer_load_dword v164, v134, s[0:3], 0 offen offset:104
	buffer_load_dword v169, v134, s[0:3], 0 offen offset:116
	buffer_load_dword v167, v134, s[0:3], 0 offen offset:124
	buffer_load_dword v171, v134, s[0:3], 0 offen offset:100
	buffer_load_dword v170, v134, s[0:3], 0 offen offset:96
	ds_read_b128 v[134:137], v180
	ds_read_b128 v[138:141], v180 offset:16
	s_addk_i32 s71, 0x80
	s_addk_i32 s72, 0x80
	s_or_b32 s70, vcc_lo, s70
	s_waitcnt vmcnt(30) lgkmcnt(1)
	v_mul_f64 v[172:173], v[136:137], v[131:132]
	v_mul_f64 v[131:132], v[134:135], v[131:132]
	s_waitcnt vmcnt(26) lgkmcnt(0)
	v_mul_f64 v[174:175], v[140:141], v[144:145]
	v_mul_f64 v[176:177], v[138:139], v[144:145]
	v_fma_f64 v[172:173], v[134:135], v[142:143], -v[172:173]
	v_fma_f64 v[131:132], v[136:137], v[142:143], v[131:132]
	ds_read_b128 v[134:137], v180 offset:32
	ds_read_b128 v[142:145], v180 offset:48
	s_waitcnt vmcnt(24)
	v_fma_f64 v[138:139], v[138:139], v[146:147], -v[174:175]
	v_fma_f64 v[140:141], v[140:141], v[146:147], v[176:177]
	s_waitcnt vmcnt(22) lgkmcnt(1)
	v_mul_f64 v[178:179], v[136:137], v[148:149]
	v_mul_f64 v[148:149], v[134:135], v[148:149]
	v_add_f64 v[1:2], v[1:2], v[172:173]
	v_add_f64 v[3:4], v[3:4], v[131:132]
	s_waitcnt vmcnt(18) lgkmcnt(0)
	v_mul_f64 v[131:132], v[144:145], v[152:153]
	v_mul_f64 v[146:147], v[142:143], v[152:153]
	v_fma_f64 v[152:153], v[134:135], v[150:151], -v[178:179]
	v_fma_f64 v[148:149], v[136:137], v[150:151], v[148:149]
	v_add_f64 v[138:139], v[1:2], v[138:139]
	v_add_f64 v[140:141], v[3:4], v[140:141]
	ds_read_b128 v[1:4], v180 offset:64
	ds_read_b128 v[134:137], v180 offset:80
	s_waitcnt vmcnt(16)
	v_fma_f64 v[131:132], v[142:143], v[154:155], -v[131:132]
	v_fma_f64 v[142:143], v[144:145], v[154:155], v[146:147]
	s_waitcnt vmcnt(12) lgkmcnt(1)
	v_mul_f64 v[150:151], v[3:4], v[156:157]
	v_mul_f64 v[156:157], v[1:2], v[156:157]
	v_add_f64 v[138:139], v[138:139], v[152:153]
	v_add_f64 v[140:141], v[140:141], v[148:149]
	s_waitcnt vmcnt(10) lgkmcnt(0)
	v_mul_f64 v[144:145], v[136:137], v[158:159]
	v_mul_f64 v[146:147], v[134:135], v[158:159]
	s_waitcnt vmcnt(8)
	v_fma_f64 v[148:149], v[1:2], v[162:163], -v[150:151]
	v_fma_f64 v[150:151], v[3:4], v[162:163], v[156:157]
	v_add_f64 v[131:132], v[138:139], v[131:132]
	v_add_f64 v[142:143], v[140:141], v[142:143]
	ds_read_b128 v[1:4], v180 offset:96
	ds_read_b128 v[138:141], v180 offset:112
	v_fma_f64 v[134:135], v[134:135], v[160:161], -v[144:145]
	v_fma_f64 v[136:137], v[136:137], v[160:161], v[146:147]
	s_waitcnt vmcnt(4) lgkmcnt(1)
	v_mul_f64 v[152:153], v[3:4], v[164:165]
	v_mul_f64 v[154:155], v[1:2], v[164:165]
	v_add_f64 v[131:132], v[131:132], v[148:149]
	v_add_f64 v[142:143], v[142:143], v[150:151]
	s_waitcnt vmcnt(2) lgkmcnt(0)
	v_mul_f64 v[144:145], v[140:141], v[166:167]
	v_mul_f64 v[146:147], v[138:139], v[166:167]
	s_waitcnt vmcnt(0)
	v_fma_f64 v[1:2], v[1:2], v[170:171], -v[152:153]
	v_fma_f64 v[3:4], v[3:4], v[170:171], v[154:155]
	v_add_f64 v[131:132], v[131:132], v[134:135]
	v_add_f64 v[134:135], v[142:143], v[136:137]
	v_fma_f64 v[136:137], v[138:139], v[168:169], -v[144:145]
	v_fma_f64 v[138:139], v[140:141], v[168:169], v[146:147]
	v_add_f64 v[1:2], v[131:132], v[1:2]
	v_add_f64 v[3:4], v[134:135], v[3:4]
	v_mov_b32_e32 v131, s73
	s_mov_b32 s73, s74
	v_add_f64 v[1:2], v[1:2], v[136:137]
	v_add_f64 v[3:4], v[3:4], v[138:139]
	s_andn2_b32 exec_lo, exec_lo, s70
	s_cbranch_execnz .LBB124_123
; %bb.124:
	s_or_b32 exec_lo, exec_lo, s70
.LBB124_125:
	s_or_b32 exec_lo, exec_lo, s5
	v_and_b32_e32 v129, 7, v129
	s_mov_b32 s70, 0
	s_mov_b32 s5, exec_lo
	v_cmpx_ne_u32_e32 0, v129
	s_cbranch_execz .LBB124_129
; %bb.126:
	v_lshlrev_b32_e32 v131, 4, v131
	v_add_nc_u32_e32 v130, 0x3d0, v131
	.p2align	6
.LBB124_127:                            ; =>This Inner Loop Header: Depth=1
	s_clause 0x3
	buffer_load_dword v138, v131, s[0:3], 0 offen offset:8
	buffer_load_dword v139, v131, s[0:3], 0 offen offset:12
	buffer_load_dword v140, v131, s[0:3], 0 offen
	buffer_load_dword v141, v131, s[0:3], 0 offen offset:4
	ds_read_b128 v[134:137], v130
	v_add_nc_u32_e32 v129, -1, v129
	v_add_nc_u32_e32 v130, 16, v130
	v_add_nc_u32_e32 v131, 16, v131
	v_cmp_eq_u32_e32 vcc_lo, 0, v129
	s_or_b32 s70, vcc_lo, s70
	s_waitcnt vmcnt(2) lgkmcnt(0)
	v_mul_f64 v[142:143], v[136:137], v[138:139]
	v_mul_f64 v[138:139], v[134:135], v[138:139]
	s_waitcnt vmcnt(0)
	v_fma_f64 v[134:135], v[134:135], v[140:141], -v[142:143]
	v_fma_f64 v[136:137], v[136:137], v[140:141], v[138:139]
	v_add_f64 v[1:2], v[1:2], v[134:135]
	v_add_f64 v[3:4], v[3:4], v[136:137]
	s_andn2_b32 exec_lo, exec_lo, s70
	s_cbranch_execnz .LBB124_127
; %bb.128:
	s_or_b32 exec_lo, exec_lo, s70
.LBB124_129:
	s_or_b32 exec_lo, exec_lo, s5
.LBB124_130:
	s_or_b32 exec_lo, exec_lo, s8
	v_mov_b32_e32 v129, 0
	ds_read_b128 v[129:132], v129 offset:800
	s_waitcnt lgkmcnt(0)
	v_mul_f64 v[134:135], v[3:4], v[131:132]
	v_mul_f64 v[131:132], v[1:2], v[131:132]
	v_fma_f64 v[1:2], v[1:2], v[129:130], -v[134:135]
	v_fma_f64 v[3:4], v[3:4], v[129:130], v[131:132]
	buffer_store_dword v2, off, s[0:3], 0 offset:804
	buffer_store_dword v1, off, s[0:3], 0 offset:800
	;; [unrolled: 1-line block ×4, first 2 shown]
.LBB124_131:
	s_or_b32 exec_lo, exec_lo, s6
	v_mov_b32_e32 v4, s20
	v_cmp_lt_u32_e64 s5, 49, v0
	s_clause 0x3
	buffer_load_dword v1, v4, s[0:3], 0 offen
	buffer_load_dword v2, v4, s[0:3], 0 offen offset:4
	buffer_load_dword v3, v4, s[0:3], 0 offen offset:8
	;; [unrolled: 1-line block ×3, first 2 shown]
	s_waitcnt vmcnt(0)
	ds_write_b128 v128, v[1:4]
	s_waitcnt lgkmcnt(0)
	s_waitcnt_vscnt null, 0x0
	s_barrier
	buffer_gl0_inv
	s_and_saveexec_b32 s6, s5
	s_cbranch_execz .LBB124_145
; %bb.132:
	ds_read_b128 v[1:4], v128
	s_andn2_b32 vcc_lo, exec_lo, s7
	s_cbranch_vccnz .LBB124_134
; %bb.133:
	s_clause 0x3
	buffer_load_dword v129, v127, s[0:3], 0 offen offset:8
	buffer_load_dword v130, v127, s[0:3], 0 offen offset:12
	buffer_load_dword v131, v127, s[0:3], 0 offen
	buffer_load_dword v132, v127, s[0:3], 0 offen offset:4
	s_waitcnt vmcnt(2) lgkmcnt(0)
	v_mul_f64 v[134:135], v[3:4], v[129:130]
	v_mul_f64 v[129:130], v[1:2], v[129:130]
	s_waitcnt vmcnt(0)
	v_fma_f64 v[1:2], v[1:2], v[131:132], -v[134:135]
	v_fma_f64 v[3:4], v[3:4], v[131:132], v[129:130]
.LBB124_134:
	s_and_saveexec_b32 s8, s4
	s_cbranch_execz .LBB124_144
; %bb.135:
	v_subrev_nc_u32_e32 v130, 51, v0
	v_mov_b32_e32 v131, 50
	v_subrev_nc_u32_e32 v129, 50, v0
	s_mov_b32 s4, exec_lo
	v_cmpx_lt_u32_e32 6, v130
	s_cbranch_execz .LBB124_139
; %bb.136:
	v_and_b32_e32 v130, -8, v129
	s_movk_i32 s71, 0x6f0
	s_mov_b32 s70, 0
	s_mov_b32 s72, s19
	;; [unrolled: 1-line block ×3, first 2 shown]
.LBB124_137:                            ; =>This Inner Loop Header: Depth=1
	v_mov_b32_e32 v134, s72
	v_mov_b32_e32 v180, s71
	s_add_i32 s74, s73, 8
	s_add_i32 s73, s73, 58
	v_cmp_eq_u32_e32 vcc_lo, s74, v130
	s_clause 0x1f
	buffer_load_dword v131, v134, s[0:3], 0 offen offset:8
	buffer_load_dword v132, v134, s[0:3], 0 offen offset:12
	buffer_load_dword v142, v134, s[0:3], 0 offen
	buffer_load_dword v143, v134, s[0:3], 0 offen offset:4
	buffer_load_dword v144, v134, s[0:3], 0 offen offset:24
	;; [unrolled: 1-line block ×29, first 2 shown]
	ds_read_b128 v[134:137], v180
	ds_read_b128 v[138:141], v180 offset:16
	s_addk_i32 s71, 0x80
	s_addk_i32 s72, 0x80
	s_or_b32 s70, vcc_lo, s70
	s_waitcnt vmcnt(30) lgkmcnt(1)
	v_mul_f64 v[172:173], v[136:137], v[131:132]
	v_mul_f64 v[131:132], v[134:135], v[131:132]
	s_waitcnt vmcnt(26) lgkmcnt(0)
	v_mul_f64 v[174:175], v[140:141], v[144:145]
	v_mul_f64 v[176:177], v[138:139], v[144:145]
	v_fma_f64 v[172:173], v[134:135], v[142:143], -v[172:173]
	v_fma_f64 v[131:132], v[136:137], v[142:143], v[131:132]
	ds_read_b128 v[134:137], v180 offset:32
	ds_read_b128 v[142:145], v180 offset:48
	s_waitcnt vmcnt(24)
	v_fma_f64 v[138:139], v[138:139], v[146:147], -v[174:175]
	v_fma_f64 v[140:141], v[140:141], v[146:147], v[176:177]
	s_waitcnt vmcnt(22) lgkmcnt(1)
	v_mul_f64 v[178:179], v[136:137], v[148:149]
	v_mul_f64 v[148:149], v[134:135], v[148:149]
	v_add_f64 v[1:2], v[1:2], v[172:173]
	v_add_f64 v[3:4], v[3:4], v[131:132]
	s_waitcnt vmcnt(18) lgkmcnt(0)
	v_mul_f64 v[131:132], v[144:145], v[152:153]
	v_mul_f64 v[146:147], v[142:143], v[152:153]
	v_fma_f64 v[152:153], v[134:135], v[150:151], -v[178:179]
	v_fma_f64 v[148:149], v[136:137], v[150:151], v[148:149]
	v_add_f64 v[138:139], v[1:2], v[138:139]
	v_add_f64 v[140:141], v[3:4], v[140:141]
	ds_read_b128 v[1:4], v180 offset:64
	ds_read_b128 v[134:137], v180 offset:80
	s_waitcnt vmcnt(16)
	v_fma_f64 v[131:132], v[142:143], v[154:155], -v[131:132]
	v_fma_f64 v[142:143], v[144:145], v[154:155], v[146:147]
	s_waitcnt vmcnt(12) lgkmcnt(1)
	v_mul_f64 v[150:151], v[3:4], v[156:157]
	v_mul_f64 v[156:157], v[1:2], v[156:157]
	v_add_f64 v[138:139], v[138:139], v[152:153]
	v_add_f64 v[140:141], v[140:141], v[148:149]
	s_waitcnt vmcnt(10) lgkmcnt(0)
	v_mul_f64 v[144:145], v[136:137], v[158:159]
	v_mul_f64 v[146:147], v[134:135], v[158:159]
	s_waitcnt vmcnt(8)
	v_fma_f64 v[148:149], v[1:2], v[162:163], -v[150:151]
	v_fma_f64 v[150:151], v[3:4], v[162:163], v[156:157]
	v_add_f64 v[131:132], v[138:139], v[131:132]
	v_add_f64 v[142:143], v[140:141], v[142:143]
	ds_read_b128 v[1:4], v180 offset:96
	ds_read_b128 v[138:141], v180 offset:112
	v_fma_f64 v[134:135], v[134:135], v[160:161], -v[144:145]
	v_fma_f64 v[136:137], v[136:137], v[160:161], v[146:147]
	s_waitcnt vmcnt(4) lgkmcnt(1)
	v_mul_f64 v[152:153], v[3:4], v[164:165]
	v_mul_f64 v[154:155], v[1:2], v[164:165]
	v_add_f64 v[131:132], v[131:132], v[148:149]
	v_add_f64 v[142:143], v[142:143], v[150:151]
	s_waitcnt vmcnt(2) lgkmcnt(0)
	v_mul_f64 v[144:145], v[140:141], v[166:167]
	v_mul_f64 v[146:147], v[138:139], v[166:167]
	s_waitcnt vmcnt(0)
	v_fma_f64 v[1:2], v[1:2], v[170:171], -v[152:153]
	v_fma_f64 v[3:4], v[3:4], v[170:171], v[154:155]
	v_add_f64 v[131:132], v[131:132], v[134:135]
	v_add_f64 v[134:135], v[142:143], v[136:137]
	v_fma_f64 v[136:137], v[138:139], v[168:169], -v[144:145]
	v_fma_f64 v[138:139], v[140:141], v[168:169], v[146:147]
	v_add_f64 v[1:2], v[131:132], v[1:2]
	v_add_f64 v[3:4], v[134:135], v[3:4]
	v_mov_b32_e32 v131, s73
	s_mov_b32 s73, s74
	v_add_f64 v[1:2], v[1:2], v[136:137]
	v_add_f64 v[3:4], v[3:4], v[138:139]
	s_andn2_b32 exec_lo, exec_lo, s70
	s_cbranch_execnz .LBB124_137
; %bb.138:
	s_or_b32 exec_lo, exec_lo, s70
.LBB124_139:
	s_or_b32 exec_lo, exec_lo, s4
	v_and_b32_e32 v129, 7, v129
	s_mov_b32 s70, 0
	s_mov_b32 s4, exec_lo
	v_cmpx_ne_u32_e32 0, v129
	s_cbranch_execz .LBB124_143
; %bb.140:
	v_lshlrev_b32_e32 v131, 4, v131
	v_add_nc_u32_e32 v130, 0x3d0, v131
	.p2align	6
.LBB124_141:                            ; =>This Inner Loop Header: Depth=1
	s_clause 0x3
	buffer_load_dword v138, v131, s[0:3], 0 offen offset:8
	buffer_load_dword v139, v131, s[0:3], 0 offen offset:12
	buffer_load_dword v140, v131, s[0:3], 0 offen
	buffer_load_dword v141, v131, s[0:3], 0 offen offset:4
	ds_read_b128 v[134:137], v130
	v_add_nc_u32_e32 v129, -1, v129
	v_add_nc_u32_e32 v130, 16, v130
	v_add_nc_u32_e32 v131, 16, v131
	v_cmp_eq_u32_e32 vcc_lo, 0, v129
	s_or_b32 s70, vcc_lo, s70
	s_waitcnt vmcnt(2) lgkmcnt(0)
	v_mul_f64 v[142:143], v[136:137], v[138:139]
	v_mul_f64 v[138:139], v[134:135], v[138:139]
	s_waitcnt vmcnt(0)
	v_fma_f64 v[134:135], v[134:135], v[140:141], -v[142:143]
	v_fma_f64 v[136:137], v[136:137], v[140:141], v[138:139]
	v_add_f64 v[1:2], v[1:2], v[134:135]
	v_add_f64 v[3:4], v[3:4], v[136:137]
	s_andn2_b32 exec_lo, exec_lo, s70
	s_cbranch_execnz .LBB124_141
; %bb.142:
	s_or_b32 exec_lo, exec_lo, s70
.LBB124_143:
	s_or_b32 exec_lo, exec_lo, s4
.LBB124_144:
	s_or_b32 exec_lo, exec_lo, s8
	v_mov_b32_e32 v129, 0
	ds_read_b128 v[129:132], v129 offset:784
	s_waitcnt lgkmcnt(0)
	v_mul_f64 v[134:135], v[3:4], v[131:132]
	v_mul_f64 v[131:132], v[1:2], v[131:132]
	v_fma_f64 v[1:2], v[1:2], v[129:130], -v[134:135]
	v_fma_f64 v[3:4], v[3:4], v[129:130], v[131:132]
	buffer_store_dword v2, off, s[0:3], 0 offset:788
	buffer_store_dword v1, off, s[0:3], 0 offset:784
	;; [unrolled: 1-line block ×4, first 2 shown]
.LBB124_145:
	s_or_b32 exec_lo, exec_lo, s6
	v_mov_b32_e32 v4, s21
	v_cmp_lt_u32_e64 s4, 48, v0
	s_clause 0x3
	buffer_load_dword v1, v4, s[0:3], 0 offen
	buffer_load_dword v2, v4, s[0:3], 0 offen offset:4
	buffer_load_dword v3, v4, s[0:3], 0 offen offset:8
	;; [unrolled: 1-line block ×3, first 2 shown]
	s_waitcnt vmcnt(0)
	ds_write_b128 v128, v[1:4]
	s_waitcnt lgkmcnt(0)
	s_waitcnt_vscnt null, 0x0
	s_barrier
	buffer_gl0_inv
	s_and_saveexec_b32 s6, s4
	s_cbranch_execz .LBB124_159
; %bb.146:
	ds_read_b128 v[1:4], v128
	s_andn2_b32 vcc_lo, exec_lo, s7
	s_cbranch_vccnz .LBB124_148
; %bb.147:
	s_clause 0x3
	buffer_load_dword v129, v127, s[0:3], 0 offen offset:8
	buffer_load_dword v130, v127, s[0:3], 0 offen offset:12
	buffer_load_dword v131, v127, s[0:3], 0 offen
	buffer_load_dword v132, v127, s[0:3], 0 offen offset:4
	s_waitcnt vmcnt(2) lgkmcnt(0)
	v_mul_f64 v[134:135], v[3:4], v[129:130]
	v_mul_f64 v[129:130], v[1:2], v[129:130]
	s_waitcnt vmcnt(0)
	v_fma_f64 v[1:2], v[1:2], v[131:132], -v[134:135]
	v_fma_f64 v[3:4], v[3:4], v[131:132], v[129:130]
.LBB124_148:
	s_and_saveexec_b32 s8, s5
	s_cbranch_execz .LBB124_158
; %bb.149:
	v_subrev_nc_u32_e32 v130, 50, v0
	v_mov_b32_e32 v131, 49
	v_subrev_nc_u32_e32 v129, 49, v0
	s_mov_b32 s5, exec_lo
	v_cmpx_lt_u32_e32 6, v130
	s_cbranch_execz .LBB124_153
; %bb.150:
	v_and_b32_e32 v130, -8, v129
	s_movk_i32 s71, 0x6e0
	s_mov_b32 s70, 0
	s_mov_b32 s72, s20
	;; [unrolled: 1-line block ×3, first 2 shown]
.LBB124_151:                            ; =>This Inner Loop Header: Depth=1
	v_mov_b32_e32 v134, s72
	v_mov_b32_e32 v180, s71
	s_add_i32 s74, s73, 8
	s_add_i32 s73, s73, 57
	v_cmp_eq_u32_e32 vcc_lo, s74, v130
	s_clause 0x1f
	buffer_load_dword v131, v134, s[0:3], 0 offen offset:8
	buffer_load_dword v132, v134, s[0:3], 0 offen offset:12
	buffer_load_dword v142, v134, s[0:3], 0 offen
	buffer_load_dword v143, v134, s[0:3], 0 offen offset:4
	buffer_load_dword v144, v134, s[0:3], 0 offen offset:24
	;; [unrolled: 1-line block ×29, first 2 shown]
	ds_read_b128 v[134:137], v180
	ds_read_b128 v[138:141], v180 offset:16
	s_addk_i32 s71, 0x80
	s_addk_i32 s72, 0x80
	s_or_b32 s70, vcc_lo, s70
	s_waitcnt vmcnt(30) lgkmcnt(1)
	v_mul_f64 v[172:173], v[136:137], v[131:132]
	v_mul_f64 v[131:132], v[134:135], v[131:132]
	s_waitcnt vmcnt(26) lgkmcnt(0)
	v_mul_f64 v[174:175], v[140:141], v[144:145]
	v_mul_f64 v[176:177], v[138:139], v[144:145]
	v_fma_f64 v[172:173], v[134:135], v[142:143], -v[172:173]
	v_fma_f64 v[131:132], v[136:137], v[142:143], v[131:132]
	ds_read_b128 v[134:137], v180 offset:32
	ds_read_b128 v[142:145], v180 offset:48
	s_waitcnt vmcnt(24)
	v_fma_f64 v[138:139], v[138:139], v[146:147], -v[174:175]
	v_fma_f64 v[140:141], v[140:141], v[146:147], v[176:177]
	s_waitcnt vmcnt(22) lgkmcnt(1)
	v_mul_f64 v[178:179], v[136:137], v[148:149]
	v_mul_f64 v[148:149], v[134:135], v[148:149]
	v_add_f64 v[1:2], v[1:2], v[172:173]
	v_add_f64 v[3:4], v[3:4], v[131:132]
	s_waitcnt vmcnt(18) lgkmcnt(0)
	v_mul_f64 v[131:132], v[144:145], v[152:153]
	v_mul_f64 v[146:147], v[142:143], v[152:153]
	v_fma_f64 v[152:153], v[134:135], v[150:151], -v[178:179]
	v_fma_f64 v[148:149], v[136:137], v[150:151], v[148:149]
	v_add_f64 v[138:139], v[1:2], v[138:139]
	v_add_f64 v[140:141], v[3:4], v[140:141]
	ds_read_b128 v[1:4], v180 offset:64
	ds_read_b128 v[134:137], v180 offset:80
	s_waitcnt vmcnt(16)
	v_fma_f64 v[131:132], v[142:143], v[154:155], -v[131:132]
	v_fma_f64 v[142:143], v[144:145], v[154:155], v[146:147]
	s_waitcnt vmcnt(12) lgkmcnt(1)
	v_mul_f64 v[150:151], v[3:4], v[156:157]
	v_mul_f64 v[156:157], v[1:2], v[156:157]
	v_add_f64 v[138:139], v[138:139], v[152:153]
	v_add_f64 v[140:141], v[140:141], v[148:149]
	s_waitcnt vmcnt(10) lgkmcnt(0)
	v_mul_f64 v[144:145], v[136:137], v[158:159]
	v_mul_f64 v[146:147], v[134:135], v[158:159]
	s_waitcnt vmcnt(8)
	v_fma_f64 v[148:149], v[1:2], v[162:163], -v[150:151]
	v_fma_f64 v[150:151], v[3:4], v[162:163], v[156:157]
	v_add_f64 v[131:132], v[138:139], v[131:132]
	v_add_f64 v[142:143], v[140:141], v[142:143]
	ds_read_b128 v[1:4], v180 offset:96
	ds_read_b128 v[138:141], v180 offset:112
	v_fma_f64 v[134:135], v[134:135], v[160:161], -v[144:145]
	v_fma_f64 v[136:137], v[136:137], v[160:161], v[146:147]
	s_waitcnt vmcnt(4) lgkmcnt(1)
	v_mul_f64 v[152:153], v[3:4], v[164:165]
	v_mul_f64 v[154:155], v[1:2], v[164:165]
	v_add_f64 v[131:132], v[131:132], v[148:149]
	v_add_f64 v[142:143], v[142:143], v[150:151]
	s_waitcnt vmcnt(2) lgkmcnt(0)
	v_mul_f64 v[144:145], v[140:141], v[166:167]
	v_mul_f64 v[146:147], v[138:139], v[166:167]
	s_waitcnt vmcnt(0)
	v_fma_f64 v[1:2], v[1:2], v[170:171], -v[152:153]
	v_fma_f64 v[3:4], v[3:4], v[170:171], v[154:155]
	v_add_f64 v[131:132], v[131:132], v[134:135]
	v_add_f64 v[134:135], v[142:143], v[136:137]
	v_fma_f64 v[136:137], v[138:139], v[168:169], -v[144:145]
	v_fma_f64 v[138:139], v[140:141], v[168:169], v[146:147]
	v_add_f64 v[1:2], v[131:132], v[1:2]
	v_add_f64 v[3:4], v[134:135], v[3:4]
	v_mov_b32_e32 v131, s73
	s_mov_b32 s73, s74
	v_add_f64 v[1:2], v[1:2], v[136:137]
	v_add_f64 v[3:4], v[3:4], v[138:139]
	s_andn2_b32 exec_lo, exec_lo, s70
	s_cbranch_execnz .LBB124_151
; %bb.152:
	s_or_b32 exec_lo, exec_lo, s70
.LBB124_153:
	s_or_b32 exec_lo, exec_lo, s5
	v_and_b32_e32 v129, 7, v129
	s_mov_b32 s70, 0
	s_mov_b32 s5, exec_lo
	v_cmpx_ne_u32_e32 0, v129
	s_cbranch_execz .LBB124_157
; %bb.154:
	v_lshlrev_b32_e32 v131, 4, v131
	v_add_nc_u32_e32 v130, 0x3d0, v131
	.p2align	6
.LBB124_155:                            ; =>This Inner Loop Header: Depth=1
	s_clause 0x3
	buffer_load_dword v138, v131, s[0:3], 0 offen offset:8
	buffer_load_dword v139, v131, s[0:3], 0 offen offset:12
	buffer_load_dword v140, v131, s[0:3], 0 offen
	buffer_load_dword v141, v131, s[0:3], 0 offen offset:4
	ds_read_b128 v[134:137], v130
	v_add_nc_u32_e32 v129, -1, v129
	v_add_nc_u32_e32 v130, 16, v130
	v_add_nc_u32_e32 v131, 16, v131
	v_cmp_eq_u32_e32 vcc_lo, 0, v129
	s_or_b32 s70, vcc_lo, s70
	s_waitcnt vmcnt(2) lgkmcnt(0)
	v_mul_f64 v[142:143], v[136:137], v[138:139]
	v_mul_f64 v[138:139], v[134:135], v[138:139]
	s_waitcnt vmcnt(0)
	v_fma_f64 v[134:135], v[134:135], v[140:141], -v[142:143]
	v_fma_f64 v[136:137], v[136:137], v[140:141], v[138:139]
	v_add_f64 v[1:2], v[1:2], v[134:135]
	v_add_f64 v[3:4], v[3:4], v[136:137]
	s_andn2_b32 exec_lo, exec_lo, s70
	s_cbranch_execnz .LBB124_155
; %bb.156:
	s_or_b32 exec_lo, exec_lo, s70
.LBB124_157:
	s_or_b32 exec_lo, exec_lo, s5
.LBB124_158:
	s_or_b32 exec_lo, exec_lo, s8
	v_mov_b32_e32 v129, 0
	ds_read_b128 v[129:132], v129 offset:768
	s_waitcnt lgkmcnt(0)
	v_mul_f64 v[134:135], v[3:4], v[131:132]
	v_mul_f64 v[131:132], v[1:2], v[131:132]
	v_fma_f64 v[1:2], v[1:2], v[129:130], -v[134:135]
	v_fma_f64 v[3:4], v[3:4], v[129:130], v[131:132]
	buffer_store_dword v2, off, s[0:3], 0 offset:772
	buffer_store_dword v1, off, s[0:3], 0 offset:768
	buffer_store_dword v4, off, s[0:3], 0 offset:780
	buffer_store_dword v3, off, s[0:3], 0 offset:776
.LBB124_159:
	s_or_b32 exec_lo, exec_lo, s6
	v_mov_b32_e32 v4, s22
	v_cmp_lt_u32_e64 s5, 47, v0
	s_clause 0x3
	buffer_load_dword v1, v4, s[0:3], 0 offen
	buffer_load_dword v2, v4, s[0:3], 0 offen offset:4
	buffer_load_dword v3, v4, s[0:3], 0 offen offset:8
	;; [unrolled: 1-line block ×3, first 2 shown]
	s_waitcnt vmcnt(0)
	ds_write_b128 v128, v[1:4]
	s_waitcnt lgkmcnt(0)
	s_waitcnt_vscnt null, 0x0
	s_barrier
	buffer_gl0_inv
	s_and_saveexec_b32 s6, s5
	s_cbranch_execz .LBB124_173
; %bb.160:
	ds_read_b128 v[1:4], v128
	s_andn2_b32 vcc_lo, exec_lo, s7
	s_cbranch_vccnz .LBB124_162
; %bb.161:
	s_clause 0x3
	buffer_load_dword v129, v127, s[0:3], 0 offen offset:8
	buffer_load_dword v130, v127, s[0:3], 0 offen offset:12
	buffer_load_dword v131, v127, s[0:3], 0 offen
	buffer_load_dword v132, v127, s[0:3], 0 offen offset:4
	s_waitcnt vmcnt(2) lgkmcnt(0)
	v_mul_f64 v[134:135], v[3:4], v[129:130]
	v_mul_f64 v[129:130], v[1:2], v[129:130]
	s_waitcnt vmcnt(0)
	v_fma_f64 v[1:2], v[1:2], v[131:132], -v[134:135]
	v_fma_f64 v[3:4], v[3:4], v[131:132], v[129:130]
.LBB124_162:
	s_and_saveexec_b32 s8, s4
	s_cbranch_execz .LBB124_172
; %bb.163:
	v_subrev_nc_u32_e32 v129, 49, v0
	v_cmp_lt_u32_e32 vcc_lo, 6, v129
	v_mov_b32_e32 v129, 48
	s_and_saveexec_b32 s4, vcc_lo
	s_cbranch_execz .LBB124_167
; %bb.164:
	v_and_b32_e32 v129, 56, v0
	s_mov_b32 s70, 48
	s_movk_i32 s72, 0x6d0
	s_mov_b32 s71, 0
	s_mov_b32 s73, s21
.LBB124_165:                            ; =>This Inner Loop Header: Depth=1
	v_mov_b32_e32 v132, s73
	s_add_i32 s70, s70, 8
	s_addk_i32 s73, 0x80
	v_cmp_eq_u32_e32 vcc_lo, s70, v129
	s_clause 0x1f
	buffer_load_dword v130, v132, s[0:3], 0 offen offset:8
	buffer_load_dword v131, v132, s[0:3], 0 offen offset:12
	buffer_load_dword v142, v132, s[0:3], 0 offen
	buffer_load_dword v143, v132, s[0:3], 0 offen offset:4
	buffer_load_dword v144, v132, s[0:3], 0 offen offset:24
	;; [unrolled: 1-line block ×29, first 2 shown]
	v_mov_b32_e32 v132, s72
	s_addk_i32 s72, 0x80
	s_or_b32 s71, vcc_lo, s71
	ds_read_b128 v[134:137], v132
	ds_read_b128 v[138:141], v132 offset:16
	s_waitcnt vmcnt(30) lgkmcnt(1)
	v_mul_f64 v[172:173], v[136:137], v[130:131]
	v_mul_f64 v[130:131], v[134:135], v[130:131]
	s_waitcnt vmcnt(26) lgkmcnt(0)
	v_mul_f64 v[174:175], v[140:141], v[144:145]
	v_mul_f64 v[176:177], v[138:139], v[144:145]
	v_fma_f64 v[172:173], v[134:135], v[142:143], -v[172:173]
	v_fma_f64 v[130:131], v[136:137], v[142:143], v[130:131]
	ds_read_b128 v[134:137], v132 offset:32
	ds_read_b128 v[142:145], v132 offset:48
	s_waitcnt vmcnt(24)
	v_fma_f64 v[138:139], v[138:139], v[146:147], -v[174:175]
	v_fma_f64 v[140:141], v[140:141], v[146:147], v[176:177]
	s_waitcnt vmcnt(22) lgkmcnt(1)
	v_mul_f64 v[178:179], v[136:137], v[148:149]
	v_mul_f64 v[148:149], v[134:135], v[148:149]
	v_add_f64 v[1:2], v[1:2], v[172:173]
	v_add_f64 v[3:4], v[3:4], v[130:131]
	s_waitcnt vmcnt(18) lgkmcnt(0)
	v_mul_f64 v[130:131], v[144:145], v[152:153]
	v_mul_f64 v[146:147], v[142:143], v[152:153]
	v_fma_f64 v[152:153], v[134:135], v[150:151], -v[178:179]
	v_fma_f64 v[148:149], v[136:137], v[150:151], v[148:149]
	v_add_f64 v[138:139], v[1:2], v[138:139]
	v_add_f64 v[140:141], v[3:4], v[140:141]
	ds_read_b128 v[1:4], v132 offset:64
	ds_read_b128 v[134:137], v132 offset:80
	s_waitcnt vmcnt(16)
	v_fma_f64 v[130:131], v[142:143], v[154:155], -v[130:131]
	v_fma_f64 v[142:143], v[144:145], v[154:155], v[146:147]
	s_waitcnt vmcnt(12) lgkmcnt(1)
	v_mul_f64 v[150:151], v[3:4], v[156:157]
	v_mul_f64 v[156:157], v[1:2], v[156:157]
	v_add_f64 v[138:139], v[138:139], v[152:153]
	v_add_f64 v[140:141], v[140:141], v[148:149]
	s_waitcnt vmcnt(10) lgkmcnt(0)
	v_mul_f64 v[144:145], v[136:137], v[158:159]
	v_mul_f64 v[146:147], v[134:135], v[158:159]
	s_waitcnt vmcnt(8)
	v_fma_f64 v[148:149], v[1:2], v[162:163], -v[150:151]
	v_fma_f64 v[150:151], v[3:4], v[162:163], v[156:157]
	v_add_f64 v[130:131], v[138:139], v[130:131]
	v_add_f64 v[142:143], v[140:141], v[142:143]
	ds_read_b128 v[1:4], v132 offset:96
	ds_read_b128 v[138:141], v132 offset:112
	v_fma_f64 v[134:135], v[134:135], v[160:161], -v[144:145]
	v_fma_f64 v[136:137], v[136:137], v[160:161], v[146:147]
	s_waitcnt vmcnt(4) lgkmcnt(1)
	v_mul_f64 v[152:153], v[3:4], v[164:165]
	v_mul_f64 v[154:155], v[1:2], v[164:165]
	v_add_f64 v[130:131], v[130:131], v[148:149]
	v_add_f64 v[142:143], v[142:143], v[150:151]
	s_waitcnt vmcnt(2) lgkmcnt(0)
	v_mul_f64 v[144:145], v[140:141], v[166:167]
	v_mul_f64 v[146:147], v[138:139], v[166:167]
	s_waitcnt vmcnt(0)
	v_fma_f64 v[1:2], v[1:2], v[170:171], -v[152:153]
	v_fma_f64 v[3:4], v[3:4], v[170:171], v[154:155]
	v_add_f64 v[130:131], v[130:131], v[134:135]
	v_add_f64 v[134:135], v[142:143], v[136:137]
	v_fma_f64 v[136:137], v[138:139], v[168:169], -v[144:145]
	v_fma_f64 v[138:139], v[140:141], v[168:169], v[146:147]
	v_add_f64 v[1:2], v[130:131], v[1:2]
	v_add_f64 v[3:4], v[134:135], v[3:4]
	;; [unrolled: 1-line block ×4, first 2 shown]
	s_andn2_b32 exec_lo, exec_lo, s71
	s_cbranch_execnz .LBB124_165
; %bb.166:
	s_or_b32 exec_lo, exec_lo, s71
.LBB124_167:
	s_or_b32 exec_lo, exec_lo, s4
	v_and_b32_e32 v130, 7, v0
	s_mov_b32 s70, 0
	s_mov_b32 s4, exec_lo
	v_cmpx_ne_u32_e32 0, v130
	s_cbranch_execz .LBB124_171
; %bb.168:
	v_lshlrev_b32_e32 v131, 4, v129
	v_add_nc_u32_e32 v129, 0x3d0, v131
	.p2align	6
.LBB124_169:                            ; =>This Inner Loop Header: Depth=1
	s_clause 0x3
	buffer_load_dword v138, v131, s[0:3], 0 offen offset:8
	buffer_load_dword v139, v131, s[0:3], 0 offen offset:12
	buffer_load_dword v140, v131, s[0:3], 0 offen
	buffer_load_dword v141, v131, s[0:3], 0 offen offset:4
	ds_read_b128 v[134:137], v129
	v_add_nc_u32_e32 v130, -1, v130
	v_add_nc_u32_e32 v129, 16, v129
	v_add_nc_u32_e32 v131, 16, v131
	v_cmp_eq_u32_e32 vcc_lo, 0, v130
	s_or_b32 s70, vcc_lo, s70
	s_waitcnt vmcnt(2) lgkmcnt(0)
	v_mul_f64 v[142:143], v[136:137], v[138:139]
	v_mul_f64 v[138:139], v[134:135], v[138:139]
	s_waitcnt vmcnt(0)
	v_fma_f64 v[134:135], v[134:135], v[140:141], -v[142:143]
	v_fma_f64 v[136:137], v[136:137], v[140:141], v[138:139]
	v_add_f64 v[1:2], v[1:2], v[134:135]
	v_add_f64 v[3:4], v[3:4], v[136:137]
	s_andn2_b32 exec_lo, exec_lo, s70
	s_cbranch_execnz .LBB124_169
; %bb.170:
	s_or_b32 exec_lo, exec_lo, s70
.LBB124_171:
	s_or_b32 exec_lo, exec_lo, s4
.LBB124_172:
	s_or_b32 exec_lo, exec_lo, s8
	v_mov_b32_e32 v129, 0
	ds_read_b128 v[129:132], v129 offset:752
	s_waitcnt lgkmcnt(0)
	v_mul_f64 v[134:135], v[3:4], v[131:132]
	v_mul_f64 v[131:132], v[1:2], v[131:132]
	v_fma_f64 v[1:2], v[1:2], v[129:130], -v[134:135]
	v_fma_f64 v[3:4], v[3:4], v[129:130], v[131:132]
	buffer_store_dword v2, off, s[0:3], 0 offset:756
	buffer_store_dword v1, off, s[0:3], 0 offset:752
	;; [unrolled: 1-line block ×4, first 2 shown]
.LBB124_173:
	s_or_b32 exec_lo, exec_lo, s6
	v_mov_b32_e32 v4, s23
	v_cmp_lt_u32_e64 s4, 46, v0
	s_clause 0x3
	buffer_load_dword v1, v4, s[0:3], 0 offen
	buffer_load_dword v2, v4, s[0:3], 0 offen offset:4
	buffer_load_dword v3, v4, s[0:3], 0 offen offset:8
	;; [unrolled: 1-line block ×3, first 2 shown]
	s_waitcnt vmcnt(0)
	ds_write_b128 v128, v[1:4]
	s_waitcnt lgkmcnt(0)
	s_waitcnt_vscnt null, 0x0
	s_barrier
	buffer_gl0_inv
	s_and_saveexec_b32 s6, s4
	s_cbranch_execz .LBB124_187
; %bb.174:
	ds_read_b128 v[1:4], v128
	s_andn2_b32 vcc_lo, exec_lo, s7
	s_cbranch_vccnz .LBB124_176
; %bb.175:
	s_clause 0x3
	buffer_load_dword v129, v127, s[0:3], 0 offen offset:8
	buffer_load_dword v130, v127, s[0:3], 0 offen offset:12
	buffer_load_dword v131, v127, s[0:3], 0 offen
	buffer_load_dword v132, v127, s[0:3], 0 offen offset:4
	s_waitcnt vmcnt(2) lgkmcnt(0)
	v_mul_f64 v[134:135], v[3:4], v[129:130]
	v_mul_f64 v[129:130], v[1:2], v[129:130]
	s_waitcnt vmcnt(0)
	v_fma_f64 v[1:2], v[1:2], v[131:132], -v[134:135]
	v_fma_f64 v[3:4], v[3:4], v[131:132], v[129:130]
.LBB124_176:
	s_and_saveexec_b32 s8, s5
	s_cbranch_execz .LBB124_186
; %bb.177:
	v_subrev_nc_u32_e32 v130, 48, v0
	v_mov_b32_e32 v131, 47
	v_subrev_nc_u32_e32 v129, 47, v0
	s_mov_b32 s5, exec_lo
	v_cmpx_lt_u32_e32 6, v130
	s_cbranch_execz .LBB124_181
; %bb.178:
	v_and_b32_e32 v130, -8, v129
	s_movk_i32 s71, 0x6c0
	s_mov_b32 s70, 0
	s_mov_b32 s72, s22
	;; [unrolled: 1-line block ×3, first 2 shown]
.LBB124_179:                            ; =>This Inner Loop Header: Depth=1
	v_mov_b32_e32 v134, s72
	v_mov_b32_e32 v180, s71
	s_add_i32 s74, s73, 8
	s_add_i32 s73, s73, 55
	v_cmp_eq_u32_e32 vcc_lo, s74, v130
	s_clause 0x1f
	buffer_load_dword v131, v134, s[0:3], 0 offen offset:8
	buffer_load_dword v132, v134, s[0:3], 0 offen offset:12
	buffer_load_dword v142, v134, s[0:3], 0 offen
	buffer_load_dword v143, v134, s[0:3], 0 offen offset:4
	buffer_load_dword v144, v134, s[0:3], 0 offen offset:24
	;; [unrolled: 1-line block ×29, first 2 shown]
	ds_read_b128 v[134:137], v180
	ds_read_b128 v[138:141], v180 offset:16
	s_addk_i32 s71, 0x80
	s_addk_i32 s72, 0x80
	s_or_b32 s70, vcc_lo, s70
	s_waitcnt vmcnt(30) lgkmcnt(1)
	v_mul_f64 v[172:173], v[136:137], v[131:132]
	v_mul_f64 v[131:132], v[134:135], v[131:132]
	s_waitcnt vmcnt(26) lgkmcnt(0)
	v_mul_f64 v[174:175], v[140:141], v[144:145]
	v_mul_f64 v[176:177], v[138:139], v[144:145]
	v_fma_f64 v[172:173], v[134:135], v[142:143], -v[172:173]
	v_fma_f64 v[131:132], v[136:137], v[142:143], v[131:132]
	ds_read_b128 v[134:137], v180 offset:32
	ds_read_b128 v[142:145], v180 offset:48
	s_waitcnt vmcnt(24)
	v_fma_f64 v[138:139], v[138:139], v[146:147], -v[174:175]
	v_fma_f64 v[140:141], v[140:141], v[146:147], v[176:177]
	s_waitcnt vmcnt(22) lgkmcnt(1)
	v_mul_f64 v[178:179], v[136:137], v[148:149]
	v_mul_f64 v[148:149], v[134:135], v[148:149]
	v_add_f64 v[1:2], v[1:2], v[172:173]
	v_add_f64 v[3:4], v[3:4], v[131:132]
	s_waitcnt vmcnt(18) lgkmcnt(0)
	v_mul_f64 v[131:132], v[144:145], v[152:153]
	v_mul_f64 v[146:147], v[142:143], v[152:153]
	v_fma_f64 v[152:153], v[134:135], v[150:151], -v[178:179]
	v_fma_f64 v[148:149], v[136:137], v[150:151], v[148:149]
	v_add_f64 v[138:139], v[1:2], v[138:139]
	v_add_f64 v[140:141], v[3:4], v[140:141]
	ds_read_b128 v[1:4], v180 offset:64
	ds_read_b128 v[134:137], v180 offset:80
	s_waitcnt vmcnt(16)
	v_fma_f64 v[131:132], v[142:143], v[154:155], -v[131:132]
	v_fma_f64 v[142:143], v[144:145], v[154:155], v[146:147]
	s_waitcnt vmcnt(12) lgkmcnt(1)
	v_mul_f64 v[150:151], v[3:4], v[156:157]
	v_mul_f64 v[156:157], v[1:2], v[156:157]
	v_add_f64 v[138:139], v[138:139], v[152:153]
	v_add_f64 v[140:141], v[140:141], v[148:149]
	s_waitcnt vmcnt(10) lgkmcnt(0)
	v_mul_f64 v[144:145], v[136:137], v[158:159]
	v_mul_f64 v[146:147], v[134:135], v[158:159]
	s_waitcnt vmcnt(8)
	v_fma_f64 v[148:149], v[1:2], v[162:163], -v[150:151]
	v_fma_f64 v[150:151], v[3:4], v[162:163], v[156:157]
	v_add_f64 v[131:132], v[138:139], v[131:132]
	v_add_f64 v[142:143], v[140:141], v[142:143]
	ds_read_b128 v[1:4], v180 offset:96
	ds_read_b128 v[138:141], v180 offset:112
	v_fma_f64 v[134:135], v[134:135], v[160:161], -v[144:145]
	v_fma_f64 v[136:137], v[136:137], v[160:161], v[146:147]
	s_waitcnt vmcnt(4) lgkmcnt(1)
	v_mul_f64 v[152:153], v[3:4], v[164:165]
	v_mul_f64 v[154:155], v[1:2], v[164:165]
	v_add_f64 v[131:132], v[131:132], v[148:149]
	v_add_f64 v[142:143], v[142:143], v[150:151]
	s_waitcnt vmcnt(2) lgkmcnt(0)
	v_mul_f64 v[144:145], v[140:141], v[166:167]
	v_mul_f64 v[146:147], v[138:139], v[166:167]
	s_waitcnt vmcnt(0)
	v_fma_f64 v[1:2], v[1:2], v[170:171], -v[152:153]
	v_fma_f64 v[3:4], v[3:4], v[170:171], v[154:155]
	v_add_f64 v[131:132], v[131:132], v[134:135]
	v_add_f64 v[134:135], v[142:143], v[136:137]
	v_fma_f64 v[136:137], v[138:139], v[168:169], -v[144:145]
	v_fma_f64 v[138:139], v[140:141], v[168:169], v[146:147]
	v_add_f64 v[1:2], v[131:132], v[1:2]
	v_add_f64 v[3:4], v[134:135], v[3:4]
	v_mov_b32_e32 v131, s73
	s_mov_b32 s73, s74
	v_add_f64 v[1:2], v[1:2], v[136:137]
	v_add_f64 v[3:4], v[3:4], v[138:139]
	s_andn2_b32 exec_lo, exec_lo, s70
	s_cbranch_execnz .LBB124_179
; %bb.180:
	s_or_b32 exec_lo, exec_lo, s70
.LBB124_181:
	s_or_b32 exec_lo, exec_lo, s5
	v_and_b32_e32 v129, 7, v129
	s_mov_b32 s70, 0
	s_mov_b32 s5, exec_lo
	v_cmpx_ne_u32_e32 0, v129
	s_cbranch_execz .LBB124_185
; %bb.182:
	v_lshlrev_b32_e32 v131, 4, v131
	v_add_nc_u32_e32 v130, 0x3d0, v131
	.p2align	6
.LBB124_183:                            ; =>This Inner Loop Header: Depth=1
	s_clause 0x3
	buffer_load_dword v138, v131, s[0:3], 0 offen offset:8
	buffer_load_dword v139, v131, s[0:3], 0 offen offset:12
	buffer_load_dword v140, v131, s[0:3], 0 offen
	buffer_load_dword v141, v131, s[0:3], 0 offen offset:4
	ds_read_b128 v[134:137], v130
	v_add_nc_u32_e32 v129, -1, v129
	v_add_nc_u32_e32 v130, 16, v130
	v_add_nc_u32_e32 v131, 16, v131
	v_cmp_eq_u32_e32 vcc_lo, 0, v129
	s_or_b32 s70, vcc_lo, s70
	s_waitcnt vmcnt(2) lgkmcnt(0)
	v_mul_f64 v[142:143], v[136:137], v[138:139]
	v_mul_f64 v[138:139], v[134:135], v[138:139]
	s_waitcnt vmcnt(0)
	v_fma_f64 v[134:135], v[134:135], v[140:141], -v[142:143]
	v_fma_f64 v[136:137], v[136:137], v[140:141], v[138:139]
	v_add_f64 v[1:2], v[1:2], v[134:135]
	v_add_f64 v[3:4], v[3:4], v[136:137]
	s_andn2_b32 exec_lo, exec_lo, s70
	s_cbranch_execnz .LBB124_183
; %bb.184:
	s_or_b32 exec_lo, exec_lo, s70
.LBB124_185:
	s_or_b32 exec_lo, exec_lo, s5
.LBB124_186:
	s_or_b32 exec_lo, exec_lo, s8
	v_mov_b32_e32 v129, 0
	ds_read_b128 v[129:132], v129 offset:736
	s_waitcnt lgkmcnt(0)
	v_mul_f64 v[134:135], v[3:4], v[131:132]
	v_mul_f64 v[131:132], v[1:2], v[131:132]
	v_fma_f64 v[1:2], v[1:2], v[129:130], -v[134:135]
	v_fma_f64 v[3:4], v[3:4], v[129:130], v[131:132]
	buffer_store_dword v2, off, s[0:3], 0 offset:740
	buffer_store_dword v1, off, s[0:3], 0 offset:736
	;; [unrolled: 1-line block ×4, first 2 shown]
.LBB124_187:
	s_or_b32 exec_lo, exec_lo, s6
	v_mov_b32_e32 v4, s24
	v_cmp_lt_u32_e64 s5, 45, v0
	s_clause 0x3
	buffer_load_dword v1, v4, s[0:3], 0 offen
	buffer_load_dword v2, v4, s[0:3], 0 offen offset:4
	buffer_load_dword v3, v4, s[0:3], 0 offen offset:8
	;; [unrolled: 1-line block ×3, first 2 shown]
	s_waitcnt vmcnt(0)
	ds_write_b128 v128, v[1:4]
	s_waitcnt lgkmcnt(0)
	s_waitcnt_vscnt null, 0x0
	s_barrier
	buffer_gl0_inv
	s_and_saveexec_b32 s6, s5
	s_cbranch_execz .LBB124_201
; %bb.188:
	ds_read_b128 v[1:4], v128
	s_andn2_b32 vcc_lo, exec_lo, s7
	s_cbranch_vccnz .LBB124_190
; %bb.189:
	s_clause 0x3
	buffer_load_dword v129, v127, s[0:3], 0 offen offset:8
	buffer_load_dword v130, v127, s[0:3], 0 offen offset:12
	buffer_load_dword v131, v127, s[0:3], 0 offen
	buffer_load_dword v132, v127, s[0:3], 0 offen offset:4
	s_waitcnt vmcnt(2) lgkmcnt(0)
	v_mul_f64 v[134:135], v[3:4], v[129:130]
	v_mul_f64 v[129:130], v[1:2], v[129:130]
	s_waitcnt vmcnt(0)
	v_fma_f64 v[1:2], v[1:2], v[131:132], -v[134:135]
	v_fma_f64 v[3:4], v[3:4], v[131:132], v[129:130]
.LBB124_190:
	s_and_saveexec_b32 s8, s4
	s_cbranch_execz .LBB124_200
; %bb.191:
	v_subrev_nc_u32_e32 v130, 47, v0
	v_mov_b32_e32 v131, 46
	v_subrev_nc_u32_e32 v129, 46, v0
	s_mov_b32 s4, exec_lo
	v_cmpx_lt_u32_e32 6, v130
	s_cbranch_execz .LBB124_195
; %bb.192:
	v_and_b32_e32 v130, -8, v129
	s_movk_i32 s71, 0x6b0
	s_mov_b32 s70, 0
	s_mov_b32 s72, s23
	;; [unrolled: 1-line block ×3, first 2 shown]
.LBB124_193:                            ; =>This Inner Loop Header: Depth=1
	v_mov_b32_e32 v134, s72
	v_mov_b32_e32 v180, s71
	s_add_i32 s74, s73, 8
	s_add_i32 s73, s73, 54
	v_cmp_eq_u32_e32 vcc_lo, s74, v130
	s_clause 0x1f
	buffer_load_dword v131, v134, s[0:3], 0 offen offset:8
	buffer_load_dword v132, v134, s[0:3], 0 offen offset:12
	buffer_load_dword v142, v134, s[0:3], 0 offen
	buffer_load_dword v143, v134, s[0:3], 0 offen offset:4
	buffer_load_dword v144, v134, s[0:3], 0 offen offset:24
	;; [unrolled: 1-line block ×29, first 2 shown]
	ds_read_b128 v[134:137], v180
	ds_read_b128 v[138:141], v180 offset:16
	s_addk_i32 s71, 0x80
	s_addk_i32 s72, 0x80
	s_or_b32 s70, vcc_lo, s70
	s_waitcnt vmcnt(30) lgkmcnt(1)
	v_mul_f64 v[172:173], v[136:137], v[131:132]
	v_mul_f64 v[131:132], v[134:135], v[131:132]
	s_waitcnt vmcnt(26) lgkmcnt(0)
	v_mul_f64 v[174:175], v[140:141], v[144:145]
	v_mul_f64 v[176:177], v[138:139], v[144:145]
	v_fma_f64 v[172:173], v[134:135], v[142:143], -v[172:173]
	v_fma_f64 v[131:132], v[136:137], v[142:143], v[131:132]
	ds_read_b128 v[134:137], v180 offset:32
	ds_read_b128 v[142:145], v180 offset:48
	s_waitcnt vmcnt(24)
	v_fma_f64 v[138:139], v[138:139], v[146:147], -v[174:175]
	v_fma_f64 v[140:141], v[140:141], v[146:147], v[176:177]
	s_waitcnt vmcnt(22) lgkmcnt(1)
	v_mul_f64 v[178:179], v[136:137], v[148:149]
	v_mul_f64 v[148:149], v[134:135], v[148:149]
	v_add_f64 v[1:2], v[1:2], v[172:173]
	v_add_f64 v[3:4], v[3:4], v[131:132]
	s_waitcnt vmcnt(18) lgkmcnt(0)
	v_mul_f64 v[131:132], v[144:145], v[152:153]
	v_mul_f64 v[146:147], v[142:143], v[152:153]
	v_fma_f64 v[152:153], v[134:135], v[150:151], -v[178:179]
	v_fma_f64 v[148:149], v[136:137], v[150:151], v[148:149]
	v_add_f64 v[138:139], v[1:2], v[138:139]
	v_add_f64 v[140:141], v[3:4], v[140:141]
	ds_read_b128 v[1:4], v180 offset:64
	ds_read_b128 v[134:137], v180 offset:80
	s_waitcnt vmcnt(16)
	v_fma_f64 v[131:132], v[142:143], v[154:155], -v[131:132]
	v_fma_f64 v[142:143], v[144:145], v[154:155], v[146:147]
	s_waitcnt vmcnt(12) lgkmcnt(1)
	v_mul_f64 v[150:151], v[3:4], v[156:157]
	v_mul_f64 v[156:157], v[1:2], v[156:157]
	v_add_f64 v[138:139], v[138:139], v[152:153]
	v_add_f64 v[140:141], v[140:141], v[148:149]
	s_waitcnt vmcnt(10) lgkmcnt(0)
	v_mul_f64 v[144:145], v[136:137], v[158:159]
	v_mul_f64 v[146:147], v[134:135], v[158:159]
	s_waitcnt vmcnt(8)
	v_fma_f64 v[148:149], v[1:2], v[162:163], -v[150:151]
	v_fma_f64 v[150:151], v[3:4], v[162:163], v[156:157]
	v_add_f64 v[131:132], v[138:139], v[131:132]
	v_add_f64 v[142:143], v[140:141], v[142:143]
	ds_read_b128 v[1:4], v180 offset:96
	ds_read_b128 v[138:141], v180 offset:112
	v_fma_f64 v[134:135], v[134:135], v[160:161], -v[144:145]
	v_fma_f64 v[136:137], v[136:137], v[160:161], v[146:147]
	s_waitcnt vmcnt(4) lgkmcnt(1)
	v_mul_f64 v[152:153], v[3:4], v[164:165]
	v_mul_f64 v[154:155], v[1:2], v[164:165]
	v_add_f64 v[131:132], v[131:132], v[148:149]
	v_add_f64 v[142:143], v[142:143], v[150:151]
	s_waitcnt vmcnt(2) lgkmcnt(0)
	v_mul_f64 v[144:145], v[140:141], v[166:167]
	v_mul_f64 v[146:147], v[138:139], v[166:167]
	s_waitcnt vmcnt(0)
	v_fma_f64 v[1:2], v[1:2], v[170:171], -v[152:153]
	v_fma_f64 v[3:4], v[3:4], v[170:171], v[154:155]
	v_add_f64 v[131:132], v[131:132], v[134:135]
	v_add_f64 v[134:135], v[142:143], v[136:137]
	v_fma_f64 v[136:137], v[138:139], v[168:169], -v[144:145]
	v_fma_f64 v[138:139], v[140:141], v[168:169], v[146:147]
	v_add_f64 v[1:2], v[131:132], v[1:2]
	v_add_f64 v[3:4], v[134:135], v[3:4]
	v_mov_b32_e32 v131, s73
	s_mov_b32 s73, s74
	v_add_f64 v[1:2], v[1:2], v[136:137]
	v_add_f64 v[3:4], v[3:4], v[138:139]
	s_andn2_b32 exec_lo, exec_lo, s70
	s_cbranch_execnz .LBB124_193
; %bb.194:
	s_or_b32 exec_lo, exec_lo, s70
.LBB124_195:
	s_or_b32 exec_lo, exec_lo, s4
	v_and_b32_e32 v129, 7, v129
	s_mov_b32 s70, 0
	s_mov_b32 s4, exec_lo
	v_cmpx_ne_u32_e32 0, v129
	s_cbranch_execz .LBB124_199
; %bb.196:
	v_lshlrev_b32_e32 v131, 4, v131
	v_add_nc_u32_e32 v130, 0x3d0, v131
	.p2align	6
.LBB124_197:                            ; =>This Inner Loop Header: Depth=1
	s_clause 0x3
	buffer_load_dword v138, v131, s[0:3], 0 offen offset:8
	buffer_load_dword v139, v131, s[0:3], 0 offen offset:12
	buffer_load_dword v140, v131, s[0:3], 0 offen
	buffer_load_dword v141, v131, s[0:3], 0 offen offset:4
	ds_read_b128 v[134:137], v130
	v_add_nc_u32_e32 v129, -1, v129
	v_add_nc_u32_e32 v130, 16, v130
	v_add_nc_u32_e32 v131, 16, v131
	v_cmp_eq_u32_e32 vcc_lo, 0, v129
	s_or_b32 s70, vcc_lo, s70
	s_waitcnt vmcnt(2) lgkmcnt(0)
	v_mul_f64 v[142:143], v[136:137], v[138:139]
	v_mul_f64 v[138:139], v[134:135], v[138:139]
	s_waitcnt vmcnt(0)
	v_fma_f64 v[134:135], v[134:135], v[140:141], -v[142:143]
	v_fma_f64 v[136:137], v[136:137], v[140:141], v[138:139]
	v_add_f64 v[1:2], v[1:2], v[134:135]
	v_add_f64 v[3:4], v[3:4], v[136:137]
	s_andn2_b32 exec_lo, exec_lo, s70
	s_cbranch_execnz .LBB124_197
; %bb.198:
	s_or_b32 exec_lo, exec_lo, s70
.LBB124_199:
	s_or_b32 exec_lo, exec_lo, s4
.LBB124_200:
	s_or_b32 exec_lo, exec_lo, s8
	v_mov_b32_e32 v129, 0
	ds_read_b128 v[129:132], v129 offset:720
	s_waitcnt lgkmcnt(0)
	v_mul_f64 v[134:135], v[3:4], v[131:132]
	v_mul_f64 v[131:132], v[1:2], v[131:132]
	v_fma_f64 v[1:2], v[1:2], v[129:130], -v[134:135]
	v_fma_f64 v[3:4], v[3:4], v[129:130], v[131:132]
	buffer_store_dword v2, off, s[0:3], 0 offset:724
	buffer_store_dword v1, off, s[0:3], 0 offset:720
	;; [unrolled: 1-line block ×4, first 2 shown]
.LBB124_201:
	s_or_b32 exec_lo, exec_lo, s6
	v_mov_b32_e32 v4, s25
	v_cmp_lt_u32_e64 s4, 44, v0
	s_clause 0x3
	buffer_load_dword v1, v4, s[0:3], 0 offen
	buffer_load_dword v2, v4, s[0:3], 0 offen offset:4
	buffer_load_dword v3, v4, s[0:3], 0 offen offset:8
	buffer_load_dword v4, v4, s[0:3], 0 offen offset:12
	s_waitcnt vmcnt(0)
	ds_write_b128 v128, v[1:4]
	s_waitcnt lgkmcnt(0)
	s_waitcnt_vscnt null, 0x0
	s_barrier
	buffer_gl0_inv
	s_and_saveexec_b32 s6, s4
	s_cbranch_execz .LBB124_215
; %bb.202:
	ds_read_b128 v[1:4], v128
	s_andn2_b32 vcc_lo, exec_lo, s7
	s_cbranch_vccnz .LBB124_204
; %bb.203:
	s_clause 0x3
	buffer_load_dword v129, v127, s[0:3], 0 offen offset:8
	buffer_load_dword v130, v127, s[0:3], 0 offen offset:12
	buffer_load_dword v131, v127, s[0:3], 0 offen
	buffer_load_dword v132, v127, s[0:3], 0 offen offset:4
	s_waitcnt vmcnt(2) lgkmcnt(0)
	v_mul_f64 v[134:135], v[3:4], v[129:130]
	v_mul_f64 v[129:130], v[1:2], v[129:130]
	s_waitcnt vmcnt(0)
	v_fma_f64 v[1:2], v[1:2], v[131:132], -v[134:135]
	v_fma_f64 v[3:4], v[3:4], v[131:132], v[129:130]
.LBB124_204:
	s_and_saveexec_b32 s8, s5
	s_cbranch_execz .LBB124_214
; %bb.205:
	v_subrev_nc_u32_e32 v130, 46, v0
	v_mov_b32_e32 v131, 45
	v_subrev_nc_u32_e32 v129, 45, v0
	s_mov_b32 s5, exec_lo
	v_cmpx_lt_u32_e32 6, v130
	s_cbranch_execz .LBB124_209
; %bb.206:
	v_and_b32_e32 v130, -8, v129
	s_movk_i32 s71, 0x6a0
	s_mov_b32 s70, 0
	s_mov_b32 s72, s24
	;; [unrolled: 1-line block ×3, first 2 shown]
.LBB124_207:                            ; =>This Inner Loop Header: Depth=1
	v_mov_b32_e32 v134, s72
	v_mov_b32_e32 v180, s71
	s_add_i32 s74, s73, 8
	s_add_i32 s73, s73, 53
	v_cmp_eq_u32_e32 vcc_lo, s74, v130
	s_clause 0x1f
	buffer_load_dword v131, v134, s[0:3], 0 offen offset:8
	buffer_load_dword v132, v134, s[0:3], 0 offen offset:12
	buffer_load_dword v142, v134, s[0:3], 0 offen
	buffer_load_dword v143, v134, s[0:3], 0 offen offset:4
	buffer_load_dword v144, v134, s[0:3], 0 offen offset:24
	;; [unrolled: 1-line block ×29, first 2 shown]
	ds_read_b128 v[134:137], v180
	ds_read_b128 v[138:141], v180 offset:16
	s_addk_i32 s71, 0x80
	s_addk_i32 s72, 0x80
	s_or_b32 s70, vcc_lo, s70
	s_waitcnt vmcnt(30) lgkmcnt(1)
	v_mul_f64 v[172:173], v[136:137], v[131:132]
	v_mul_f64 v[131:132], v[134:135], v[131:132]
	s_waitcnt vmcnt(26) lgkmcnt(0)
	v_mul_f64 v[174:175], v[140:141], v[144:145]
	v_mul_f64 v[176:177], v[138:139], v[144:145]
	v_fma_f64 v[172:173], v[134:135], v[142:143], -v[172:173]
	v_fma_f64 v[131:132], v[136:137], v[142:143], v[131:132]
	ds_read_b128 v[134:137], v180 offset:32
	ds_read_b128 v[142:145], v180 offset:48
	s_waitcnt vmcnt(24)
	v_fma_f64 v[138:139], v[138:139], v[146:147], -v[174:175]
	v_fma_f64 v[140:141], v[140:141], v[146:147], v[176:177]
	s_waitcnt vmcnt(22) lgkmcnt(1)
	v_mul_f64 v[178:179], v[136:137], v[148:149]
	v_mul_f64 v[148:149], v[134:135], v[148:149]
	v_add_f64 v[1:2], v[1:2], v[172:173]
	v_add_f64 v[3:4], v[3:4], v[131:132]
	s_waitcnt vmcnt(18) lgkmcnt(0)
	v_mul_f64 v[131:132], v[144:145], v[152:153]
	v_mul_f64 v[146:147], v[142:143], v[152:153]
	v_fma_f64 v[152:153], v[134:135], v[150:151], -v[178:179]
	v_fma_f64 v[148:149], v[136:137], v[150:151], v[148:149]
	v_add_f64 v[138:139], v[1:2], v[138:139]
	v_add_f64 v[140:141], v[3:4], v[140:141]
	ds_read_b128 v[1:4], v180 offset:64
	ds_read_b128 v[134:137], v180 offset:80
	s_waitcnt vmcnt(16)
	v_fma_f64 v[131:132], v[142:143], v[154:155], -v[131:132]
	v_fma_f64 v[142:143], v[144:145], v[154:155], v[146:147]
	s_waitcnt vmcnt(12) lgkmcnt(1)
	v_mul_f64 v[150:151], v[3:4], v[156:157]
	v_mul_f64 v[156:157], v[1:2], v[156:157]
	v_add_f64 v[138:139], v[138:139], v[152:153]
	v_add_f64 v[140:141], v[140:141], v[148:149]
	s_waitcnt vmcnt(10) lgkmcnt(0)
	v_mul_f64 v[144:145], v[136:137], v[158:159]
	v_mul_f64 v[146:147], v[134:135], v[158:159]
	s_waitcnt vmcnt(8)
	v_fma_f64 v[148:149], v[1:2], v[162:163], -v[150:151]
	v_fma_f64 v[150:151], v[3:4], v[162:163], v[156:157]
	v_add_f64 v[131:132], v[138:139], v[131:132]
	v_add_f64 v[142:143], v[140:141], v[142:143]
	ds_read_b128 v[1:4], v180 offset:96
	ds_read_b128 v[138:141], v180 offset:112
	v_fma_f64 v[134:135], v[134:135], v[160:161], -v[144:145]
	v_fma_f64 v[136:137], v[136:137], v[160:161], v[146:147]
	s_waitcnt vmcnt(4) lgkmcnt(1)
	v_mul_f64 v[152:153], v[3:4], v[164:165]
	v_mul_f64 v[154:155], v[1:2], v[164:165]
	v_add_f64 v[131:132], v[131:132], v[148:149]
	v_add_f64 v[142:143], v[142:143], v[150:151]
	s_waitcnt vmcnt(2) lgkmcnt(0)
	v_mul_f64 v[144:145], v[140:141], v[166:167]
	v_mul_f64 v[146:147], v[138:139], v[166:167]
	s_waitcnt vmcnt(0)
	v_fma_f64 v[1:2], v[1:2], v[170:171], -v[152:153]
	v_fma_f64 v[3:4], v[3:4], v[170:171], v[154:155]
	v_add_f64 v[131:132], v[131:132], v[134:135]
	v_add_f64 v[134:135], v[142:143], v[136:137]
	v_fma_f64 v[136:137], v[138:139], v[168:169], -v[144:145]
	v_fma_f64 v[138:139], v[140:141], v[168:169], v[146:147]
	v_add_f64 v[1:2], v[131:132], v[1:2]
	v_add_f64 v[3:4], v[134:135], v[3:4]
	v_mov_b32_e32 v131, s73
	s_mov_b32 s73, s74
	v_add_f64 v[1:2], v[1:2], v[136:137]
	v_add_f64 v[3:4], v[3:4], v[138:139]
	s_andn2_b32 exec_lo, exec_lo, s70
	s_cbranch_execnz .LBB124_207
; %bb.208:
	s_or_b32 exec_lo, exec_lo, s70
.LBB124_209:
	s_or_b32 exec_lo, exec_lo, s5
	v_and_b32_e32 v129, 7, v129
	s_mov_b32 s70, 0
	s_mov_b32 s5, exec_lo
	v_cmpx_ne_u32_e32 0, v129
	s_cbranch_execz .LBB124_213
; %bb.210:
	v_lshlrev_b32_e32 v131, 4, v131
	v_add_nc_u32_e32 v130, 0x3d0, v131
	.p2align	6
.LBB124_211:                            ; =>This Inner Loop Header: Depth=1
	s_clause 0x3
	buffer_load_dword v138, v131, s[0:3], 0 offen offset:8
	buffer_load_dword v139, v131, s[0:3], 0 offen offset:12
	buffer_load_dword v140, v131, s[0:3], 0 offen
	buffer_load_dword v141, v131, s[0:3], 0 offen offset:4
	ds_read_b128 v[134:137], v130
	v_add_nc_u32_e32 v129, -1, v129
	v_add_nc_u32_e32 v130, 16, v130
	v_add_nc_u32_e32 v131, 16, v131
	v_cmp_eq_u32_e32 vcc_lo, 0, v129
	s_or_b32 s70, vcc_lo, s70
	s_waitcnt vmcnt(2) lgkmcnt(0)
	v_mul_f64 v[142:143], v[136:137], v[138:139]
	v_mul_f64 v[138:139], v[134:135], v[138:139]
	s_waitcnt vmcnt(0)
	v_fma_f64 v[134:135], v[134:135], v[140:141], -v[142:143]
	v_fma_f64 v[136:137], v[136:137], v[140:141], v[138:139]
	v_add_f64 v[1:2], v[1:2], v[134:135]
	v_add_f64 v[3:4], v[3:4], v[136:137]
	s_andn2_b32 exec_lo, exec_lo, s70
	s_cbranch_execnz .LBB124_211
; %bb.212:
	s_or_b32 exec_lo, exec_lo, s70
.LBB124_213:
	s_or_b32 exec_lo, exec_lo, s5
.LBB124_214:
	s_or_b32 exec_lo, exec_lo, s8
	v_mov_b32_e32 v129, 0
	ds_read_b128 v[129:132], v129 offset:704
	s_waitcnt lgkmcnt(0)
	v_mul_f64 v[134:135], v[3:4], v[131:132]
	v_mul_f64 v[131:132], v[1:2], v[131:132]
	v_fma_f64 v[1:2], v[1:2], v[129:130], -v[134:135]
	v_fma_f64 v[3:4], v[3:4], v[129:130], v[131:132]
	buffer_store_dword v2, off, s[0:3], 0 offset:708
	buffer_store_dword v1, off, s[0:3], 0 offset:704
	;; [unrolled: 1-line block ×4, first 2 shown]
.LBB124_215:
	s_or_b32 exec_lo, exec_lo, s6
	v_mov_b32_e32 v4, s26
	v_cmp_lt_u32_e64 s5, 43, v0
	s_clause 0x3
	buffer_load_dword v1, v4, s[0:3], 0 offen
	buffer_load_dword v2, v4, s[0:3], 0 offen offset:4
	buffer_load_dword v3, v4, s[0:3], 0 offen offset:8
	;; [unrolled: 1-line block ×3, first 2 shown]
	s_waitcnt vmcnt(0)
	ds_write_b128 v128, v[1:4]
	s_waitcnt lgkmcnt(0)
	s_waitcnt_vscnt null, 0x0
	s_barrier
	buffer_gl0_inv
	s_and_saveexec_b32 s6, s5
	s_cbranch_execz .LBB124_229
; %bb.216:
	ds_read_b128 v[1:4], v128
	s_andn2_b32 vcc_lo, exec_lo, s7
	s_cbranch_vccnz .LBB124_218
; %bb.217:
	s_clause 0x3
	buffer_load_dword v129, v127, s[0:3], 0 offen offset:8
	buffer_load_dword v130, v127, s[0:3], 0 offen offset:12
	buffer_load_dword v131, v127, s[0:3], 0 offen
	buffer_load_dword v132, v127, s[0:3], 0 offen offset:4
	s_waitcnt vmcnt(2) lgkmcnt(0)
	v_mul_f64 v[134:135], v[3:4], v[129:130]
	v_mul_f64 v[129:130], v[1:2], v[129:130]
	s_waitcnt vmcnt(0)
	v_fma_f64 v[1:2], v[1:2], v[131:132], -v[134:135]
	v_fma_f64 v[3:4], v[3:4], v[131:132], v[129:130]
.LBB124_218:
	s_and_saveexec_b32 s8, s4
	s_cbranch_execz .LBB124_228
; %bb.219:
	v_subrev_nc_u32_e32 v130, 45, v0
	v_mov_b32_e32 v131, 44
	v_subrev_nc_u32_e32 v129, 44, v0
	s_mov_b32 s4, exec_lo
	v_cmpx_lt_u32_e32 6, v130
	s_cbranch_execz .LBB124_223
; %bb.220:
	v_and_b32_e32 v130, -8, v129
	s_movk_i32 s71, 0x690
	s_mov_b32 s70, 0
	s_mov_b32 s72, s25
	;; [unrolled: 1-line block ×3, first 2 shown]
.LBB124_221:                            ; =>This Inner Loop Header: Depth=1
	v_mov_b32_e32 v134, s72
	v_mov_b32_e32 v180, s71
	s_add_i32 s74, s73, 8
	s_add_i32 s73, s73, 52
	v_cmp_eq_u32_e32 vcc_lo, s74, v130
	s_clause 0x1f
	buffer_load_dword v131, v134, s[0:3], 0 offen offset:8
	buffer_load_dword v132, v134, s[0:3], 0 offen offset:12
	buffer_load_dword v142, v134, s[0:3], 0 offen
	buffer_load_dword v143, v134, s[0:3], 0 offen offset:4
	buffer_load_dword v144, v134, s[0:3], 0 offen offset:24
	;; [unrolled: 1-line block ×29, first 2 shown]
	ds_read_b128 v[134:137], v180
	ds_read_b128 v[138:141], v180 offset:16
	s_addk_i32 s71, 0x80
	s_addk_i32 s72, 0x80
	s_or_b32 s70, vcc_lo, s70
	s_waitcnt vmcnt(30) lgkmcnt(1)
	v_mul_f64 v[172:173], v[136:137], v[131:132]
	v_mul_f64 v[131:132], v[134:135], v[131:132]
	s_waitcnt vmcnt(26) lgkmcnt(0)
	v_mul_f64 v[174:175], v[140:141], v[144:145]
	v_mul_f64 v[176:177], v[138:139], v[144:145]
	v_fma_f64 v[172:173], v[134:135], v[142:143], -v[172:173]
	v_fma_f64 v[131:132], v[136:137], v[142:143], v[131:132]
	ds_read_b128 v[134:137], v180 offset:32
	ds_read_b128 v[142:145], v180 offset:48
	s_waitcnt vmcnt(24)
	v_fma_f64 v[138:139], v[138:139], v[146:147], -v[174:175]
	v_fma_f64 v[140:141], v[140:141], v[146:147], v[176:177]
	s_waitcnt vmcnt(22) lgkmcnt(1)
	v_mul_f64 v[178:179], v[136:137], v[148:149]
	v_mul_f64 v[148:149], v[134:135], v[148:149]
	v_add_f64 v[1:2], v[1:2], v[172:173]
	v_add_f64 v[3:4], v[3:4], v[131:132]
	s_waitcnt vmcnt(18) lgkmcnt(0)
	v_mul_f64 v[131:132], v[144:145], v[152:153]
	v_mul_f64 v[146:147], v[142:143], v[152:153]
	v_fma_f64 v[152:153], v[134:135], v[150:151], -v[178:179]
	v_fma_f64 v[148:149], v[136:137], v[150:151], v[148:149]
	v_add_f64 v[138:139], v[1:2], v[138:139]
	v_add_f64 v[140:141], v[3:4], v[140:141]
	ds_read_b128 v[1:4], v180 offset:64
	ds_read_b128 v[134:137], v180 offset:80
	s_waitcnt vmcnt(16)
	v_fma_f64 v[131:132], v[142:143], v[154:155], -v[131:132]
	v_fma_f64 v[142:143], v[144:145], v[154:155], v[146:147]
	s_waitcnt vmcnt(12) lgkmcnt(1)
	v_mul_f64 v[150:151], v[3:4], v[156:157]
	v_mul_f64 v[156:157], v[1:2], v[156:157]
	v_add_f64 v[138:139], v[138:139], v[152:153]
	v_add_f64 v[140:141], v[140:141], v[148:149]
	s_waitcnt vmcnt(10) lgkmcnt(0)
	v_mul_f64 v[144:145], v[136:137], v[158:159]
	v_mul_f64 v[146:147], v[134:135], v[158:159]
	s_waitcnt vmcnt(8)
	v_fma_f64 v[148:149], v[1:2], v[162:163], -v[150:151]
	v_fma_f64 v[150:151], v[3:4], v[162:163], v[156:157]
	v_add_f64 v[131:132], v[138:139], v[131:132]
	v_add_f64 v[142:143], v[140:141], v[142:143]
	ds_read_b128 v[1:4], v180 offset:96
	ds_read_b128 v[138:141], v180 offset:112
	v_fma_f64 v[134:135], v[134:135], v[160:161], -v[144:145]
	v_fma_f64 v[136:137], v[136:137], v[160:161], v[146:147]
	s_waitcnt vmcnt(4) lgkmcnt(1)
	v_mul_f64 v[152:153], v[3:4], v[164:165]
	v_mul_f64 v[154:155], v[1:2], v[164:165]
	v_add_f64 v[131:132], v[131:132], v[148:149]
	v_add_f64 v[142:143], v[142:143], v[150:151]
	s_waitcnt vmcnt(2) lgkmcnt(0)
	v_mul_f64 v[144:145], v[140:141], v[166:167]
	v_mul_f64 v[146:147], v[138:139], v[166:167]
	s_waitcnt vmcnt(0)
	v_fma_f64 v[1:2], v[1:2], v[170:171], -v[152:153]
	v_fma_f64 v[3:4], v[3:4], v[170:171], v[154:155]
	v_add_f64 v[131:132], v[131:132], v[134:135]
	v_add_f64 v[134:135], v[142:143], v[136:137]
	v_fma_f64 v[136:137], v[138:139], v[168:169], -v[144:145]
	v_fma_f64 v[138:139], v[140:141], v[168:169], v[146:147]
	v_add_f64 v[1:2], v[131:132], v[1:2]
	v_add_f64 v[3:4], v[134:135], v[3:4]
	v_mov_b32_e32 v131, s73
	s_mov_b32 s73, s74
	v_add_f64 v[1:2], v[1:2], v[136:137]
	v_add_f64 v[3:4], v[3:4], v[138:139]
	s_andn2_b32 exec_lo, exec_lo, s70
	s_cbranch_execnz .LBB124_221
; %bb.222:
	s_or_b32 exec_lo, exec_lo, s70
.LBB124_223:
	s_or_b32 exec_lo, exec_lo, s4
	v_and_b32_e32 v129, 7, v129
	s_mov_b32 s70, 0
	s_mov_b32 s4, exec_lo
	v_cmpx_ne_u32_e32 0, v129
	s_cbranch_execz .LBB124_227
; %bb.224:
	v_lshlrev_b32_e32 v131, 4, v131
	v_add_nc_u32_e32 v130, 0x3d0, v131
	.p2align	6
.LBB124_225:                            ; =>This Inner Loop Header: Depth=1
	s_clause 0x3
	buffer_load_dword v138, v131, s[0:3], 0 offen offset:8
	buffer_load_dword v139, v131, s[0:3], 0 offen offset:12
	buffer_load_dword v140, v131, s[0:3], 0 offen
	buffer_load_dword v141, v131, s[0:3], 0 offen offset:4
	ds_read_b128 v[134:137], v130
	v_add_nc_u32_e32 v129, -1, v129
	v_add_nc_u32_e32 v130, 16, v130
	v_add_nc_u32_e32 v131, 16, v131
	v_cmp_eq_u32_e32 vcc_lo, 0, v129
	s_or_b32 s70, vcc_lo, s70
	s_waitcnt vmcnt(2) lgkmcnt(0)
	v_mul_f64 v[142:143], v[136:137], v[138:139]
	v_mul_f64 v[138:139], v[134:135], v[138:139]
	s_waitcnt vmcnt(0)
	v_fma_f64 v[134:135], v[134:135], v[140:141], -v[142:143]
	v_fma_f64 v[136:137], v[136:137], v[140:141], v[138:139]
	v_add_f64 v[1:2], v[1:2], v[134:135]
	v_add_f64 v[3:4], v[3:4], v[136:137]
	s_andn2_b32 exec_lo, exec_lo, s70
	s_cbranch_execnz .LBB124_225
; %bb.226:
	s_or_b32 exec_lo, exec_lo, s70
.LBB124_227:
	s_or_b32 exec_lo, exec_lo, s4
.LBB124_228:
	s_or_b32 exec_lo, exec_lo, s8
	v_mov_b32_e32 v129, 0
	ds_read_b128 v[129:132], v129 offset:688
	s_waitcnt lgkmcnt(0)
	v_mul_f64 v[134:135], v[3:4], v[131:132]
	v_mul_f64 v[131:132], v[1:2], v[131:132]
	v_fma_f64 v[1:2], v[1:2], v[129:130], -v[134:135]
	v_fma_f64 v[3:4], v[3:4], v[129:130], v[131:132]
	buffer_store_dword v2, off, s[0:3], 0 offset:692
	buffer_store_dword v1, off, s[0:3], 0 offset:688
	;; [unrolled: 1-line block ×4, first 2 shown]
.LBB124_229:
	s_or_b32 exec_lo, exec_lo, s6
	v_mov_b32_e32 v4, s27
	v_cmp_lt_u32_e64 s4, 42, v0
	s_clause 0x3
	buffer_load_dword v1, v4, s[0:3], 0 offen
	buffer_load_dword v2, v4, s[0:3], 0 offen offset:4
	buffer_load_dword v3, v4, s[0:3], 0 offen offset:8
	buffer_load_dword v4, v4, s[0:3], 0 offen offset:12
	s_waitcnt vmcnt(0)
	ds_write_b128 v128, v[1:4]
	s_waitcnt lgkmcnt(0)
	s_waitcnt_vscnt null, 0x0
	s_barrier
	buffer_gl0_inv
	s_and_saveexec_b32 s6, s4
	s_cbranch_execz .LBB124_243
; %bb.230:
	ds_read_b128 v[1:4], v128
	s_andn2_b32 vcc_lo, exec_lo, s7
	s_cbranch_vccnz .LBB124_232
; %bb.231:
	s_clause 0x3
	buffer_load_dword v129, v127, s[0:3], 0 offen offset:8
	buffer_load_dword v130, v127, s[0:3], 0 offen offset:12
	buffer_load_dword v131, v127, s[0:3], 0 offen
	buffer_load_dword v132, v127, s[0:3], 0 offen offset:4
	s_waitcnt vmcnt(2) lgkmcnt(0)
	v_mul_f64 v[134:135], v[3:4], v[129:130]
	v_mul_f64 v[129:130], v[1:2], v[129:130]
	s_waitcnt vmcnt(0)
	v_fma_f64 v[1:2], v[1:2], v[131:132], -v[134:135]
	v_fma_f64 v[3:4], v[3:4], v[131:132], v[129:130]
.LBB124_232:
	s_and_saveexec_b32 s8, s5
	s_cbranch_execz .LBB124_242
; %bb.233:
	v_subrev_nc_u32_e32 v130, 44, v0
	v_mov_b32_e32 v131, 43
	v_subrev_nc_u32_e32 v129, 43, v0
	s_mov_b32 s5, exec_lo
	v_cmpx_lt_u32_e32 6, v130
	s_cbranch_execz .LBB124_237
; %bb.234:
	v_and_b32_e32 v130, -8, v129
	s_movk_i32 s71, 0x680
	s_mov_b32 s70, 0
	s_mov_b32 s72, s26
	;; [unrolled: 1-line block ×3, first 2 shown]
.LBB124_235:                            ; =>This Inner Loop Header: Depth=1
	v_mov_b32_e32 v134, s72
	v_mov_b32_e32 v180, s71
	s_add_i32 s74, s73, 8
	s_add_i32 s73, s73, 51
	v_cmp_eq_u32_e32 vcc_lo, s74, v130
	s_clause 0x1f
	buffer_load_dword v131, v134, s[0:3], 0 offen offset:8
	buffer_load_dword v132, v134, s[0:3], 0 offen offset:12
	buffer_load_dword v142, v134, s[0:3], 0 offen
	buffer_load_dword v143, v134, s[0:3], 0 offen offset:4
	buffer_load_dword v144, v134, s[0:3], 0 offen offset:24
	;; [unrolled: 1-line block ×29, first 2 shown]
	ds_read_b128 v[134:137], v180
	ds_read_b128 v[138:141], v180 offset:16
	s_addk_i32 s71, 0x80
	s_addk_i32 s72, 0x80
	s_or_b32 s70, vcc_lo, s70
	s_waitcnt vmcnt(30) lgkmcnt(1)
	v_mul_f64 v[172:173], v[136:137], v[131:132]
	v_mul_f64 v[131:132], v[134:135], v[131:132]
	s_waitcnt vmcnt(26) lgkmcnt(0)
	v_mul_f64 v[174:175], v[140:141], v[144:145]
	v_mul_f64 v[176:177], v[138:139], v[144:145]
	v_fma_f64 v[172:173], v[134:135], v[142:143], -v[172:173]
	v_fma_f64 v[131:132], v[136:137], v[142:143], v[131:132]
	ds_read_b128 v[134:137], v180 offset:32
	ds_read_b128 v[142:145], v180 offset:48
	s_waitcnt vmcnt(24)
	v_fma_f64 v[138:139], v[138:139], v[146:147], -v[174:175]
	v_fma_f64 v[140:141], v[140:141], v[146:147], v[176:177]
	s_waitcnt vmcnt(22) lgkmcnt(1)
	v_mul_f64 v[178:179], v[136:137], v[148:149]
	v_mul_f64 v[148:149], v[134:135], v[148:149]
	v_add_f64 v[1:2], v[1:2], v[172:173]
	v_add_f64 v[3:4], v[3:4], v[131:132]
	s_waitcnt vmcnt(18) lgkmcnt(0)
	v_mul_f64 v[131:132], v[144:145], v[152:153]
	v_mul_f64 v[146:147], v[142:143], v[152:153]
	v_fma_f64 v[152:153], v[134:135], v[150:151], -v[178:179]
	v_fma_f64 v[148:149], v[136:137], v[150:151], v[148:149]
	v_add_f64 v[138:139], v[1:2], v[138:139]
	v_add_f64 v[140:141], v[3:4], v[140:141]
	ds_read_b128 v[1:4], v180 offset:64
	ds_read_b128 v[134:137], v180 offset:80
	s_waitcnt vmcnt(16)
	v_fma_f64 v[131:132], v[142:143], v[154:155], -v[131:132]
	v_fma_f64 v[142:143], v[144:145], v[154:155], v[146:147]
	s_waitcnt vmcnt(12) lgkmcnt(1)
	v_mul_f64 v[150:151], v[3:4], v[156:157]
	v_mul_f64 v[156:157], v[1:2], v[156:157]
	v_add_f64 v[138:139], v[138:139], v[152:153]
	v_add_f64 v[140:141], v[140:141], v[148:149]
	s_waitcnt vmcnt(10) lgkmcnt(0)
	v_mul_f64 v[144:145], v[136:137], v[158:159]
	v_mul_f64 v[146:147], v[134:135], v[158:159]
	s_waitcnt vmcnt(8)
	v_fma_f64 v[148:149], v[1:2], v[162:163], -v[150:151]
	v_fma_f64 v[150:151], v[3:4], v[162:163], v[156:157]
	v_add_f64 v[131:132], v[138:139], v[131:132]
	v_add_f64 v[142:143], v[140:141], v[142:143]
	ds_read_b128 v[1:4], v180 offset:96
	ds_read_b128 v[138:141], v180 offset:112
	v_fma_f64 v[134:135], v[134:135], v[160:161], -v[144:145]
	v_fma_f64 v[136:137], v[136:137], v[160:161], v[146:147]
	s_waitcnt vmcnt(4) lgkmcnt(1)
	v_mul_f64 v[152:153], v[3:4], v[164:165]
	v_mul_f64 v[154:155], v[1:2], v[164:165]
	v_add_f64 v[131:132], v[131:132], v[148:149]
	v_add_f64 v[142:143], v[142:143], v[150:151]
	s_waitcnt vmcnt(2) lgkmcnt(0)
	v_mul_f64 v[144:145], v[140:141], v[166:167]
	v_mul_f64 v[146:147], v[138:139], v[166:167]
	s_waitcnt vmcnt(0)
	v_fma_f64 v[1:2], v[1:2], v[170:171], -v[152:153]
	v_fma_f64 v[3:4], v[3:4], v[170:171], v[154:155]
	v_add_f64 v[131:132], v[131:132], v[134:135]
	v_add_f64 v[134:135], v[142:143], v[136:137]
	v_fma_f64 v[136:137], v[138:139], v[168:169], -v[144:145]
	v_fma_f64 v[138:139], v[140:141], v[168:169], v[146:147]
	v_add_f64 v[1:2], v[131:132], v[1:2]
	v_add_f64 v[3:4], v[134:135], v[3:4]
	v_mov_b32_e32 v131, s73
	s_mov_b32 s73, s74
	v_add_f64 v[1:2], v[1:2], v[136:137]
	v_add_f64 v[3:4], v[3:4], v[138:139]
	s_andn2_b32 exec_lo, exec_lo, s70
	s_cbranch_execnz .LBB124_235
; %bb.236:
	s_or_b32 exec_lo, exec_lo, s70
.LBB124_237:
	s_or_b32 exec_lo, exec_lo, s5
	v_and_b32_e32 v129, 7, v129
	s_mov_b32 s70, 0
	s_mov_b32 s5, exec_lo
	v_cmpx_ne_u32_e32 0, v129
	s_cbranch_execz .LBB124_241
; %bb.238:
	v_lshlrev_b32_e32 v131, 4, v131
	v_add_nc_u32_e32 v130, 0x3d0, v131
	.p2align	6
.LBB124_239:                            ; =>This Inner Loop Header: Depth=1
	s_clause 0x3
	buffer_load_dword v138, v131, s[0:3], 0 offen offset:8
	buffer_load_dword v139, v131, s[0:3], 0 offen offset:12
	buffer_load_dword v140, v131, s[0:3], 0 offen
	buffer_load_dword v141, v131, s[0:3], 0 offen offset:4
	ds_read_b128 v[134:137], v130
	v_add_nc_u32_e32 v129, -1, v129
	v_add_nc_u32_e32 v130, 16, v130
	v_add_nc_u32_e32 v131, 16, v131
	v_cmp_eq_u32_e32 vcc_lo, 0, v129
	s_or_b32 s70, vcc_lo, s70
	s_waitcnt vmcnt(2) lgkmcnt(0)
	v_mul_f64 v[142:143], v[136:137], v[138:139]
	v_mul_f64 v[138:139], v[134:135], v[138:139]
	s_waitcnt vmcnt(0)
	v_fma_f64 v[134:135], v[134:135], v[140:141], -v[142:143]
	v_fma_f64 v[136:137], v[136:137], v[140:141], v[138:139]
	v_add_f64 v[1:2], v[1:2], v[134:135]
	v_add_f64 v[3:4], v[3:4], v[136:137]
	s_andn2_b32 exec_lo, exec_lo, s70
	s_cbranch_execnz .LBB124_239
; %bb.240:
	s_or_b32 exec_lo, exec_lo, s70
.LBB124_241:
	s_or_b32 exec_lo, exec_lo, s5
.LBB124_242:
	s_or_b32 exec_lo, exec_lo, s8
	v_mov_b32_e32 v129, 0
	ds_read_b128 v[129:132], v129 offset:672
	s_waitcnt lgkmcnt(0)
	v_mul_f64 v[134:135], v[3:4], v[131:132]
	v_mul_f64 v[131:132], v[1:2], v[131:132]
	v_fma_f64 v[1:2], v[1:2], v[129:130], -v[134:135]
	v_fma_f64 v[3:4], v[3:4], v[129:130], v[131:132]
	buffer_store_dword v2, off, s[0:3], 0 offset:676
	buffer_store_dword v1, off, s[0:3], 0 offset:672
	;; [unrolled: 1-line block ×4, first 2 shown]
.LBB124_243:
	s_or_b32 exec_lo, exec_lo, s6
	v_mov_b32_e32 v4, s28
	v_cmp_lt_u32_e64 s5, 41, v0
	s_clause 0x3
	buffer_load_dword v1, v4, s[0:3], 0 offen
	buffer_load_dword v2, v4, s[0:3], 0 offen offset:4
	buffer_load_dword v3, v4, s[0:3], 0 offen offset:8
	;; [unrolled: 1-line block ×3, first 2 shown]
	s_waitcnt vmcnt(0)
	ds_write_b128 v128, v[1:4]
	s_waitcnt lgkmcnt(0)
	s_waitcnt_vscnt null, 0x0
	s_barrier
	buffer_gl0_inv
	s_and_saveexec_b32 s6, s5
	s_cbranch_execz .LBB124_257
; %bb.244:
	ds_read_b128 v[1:4], v128
	s_andn2_b32 vcc_lo, exec_lo, s7
	s_cbranch_vccnz .LBB124_246
; %bb.245:
	s_clause 0x3
	buffer_load_dword v129, v127, s[0:3], 0 offen offset:8
	buffer_load_dword v130, v127, s[0:3], 0 offen offset:12
	buffer_load_dword v131, v127, s[0:3], 0 offen
	buffer_load_dword v132, v127, s[0:3], 0 offen offset:4
	s_waitcnt vmcnt(2) lgkmcnt(0)
	v_mul_f64 v[134:135], v[3:4], v[129:130]
	v_mul_f64 v[129:130], v[1:2], v[129:130]
	s_waitcnt vmcnt(0)
	v_fma_f64 v[1:2], v[1:2], v[131:132], -v[134:135]
	v_fma_f64 v[3:4], v[3:4], v[131:132], v[129:130]
.LBB124_246:
	s_and_saveexec_b32 s8, s4
	s_cbranch_execz .LBB124_256
; %bb.247:
	v_subrev_nc_u32_e32 v130, 43, v0
	v_mov_b32_e32 v131, 42
	v_subrev_nc_u32_e32 v129, 42, v0
	s_mov_b32 s4, exec_lo
	v_cmpx_lt_u32_e32 6, v130
	s_cbranch_execz .LBB124_251
; %bb.248:
	v_and_b32_e32 v130, -8, v129
	s_movk_i32 s71, 0x670
	s_mov_b32 s70, 0
	s_mov_b32 s72, s27
	;; [unrolled: 1-line block ×3, first 2 shown]
.LBB124_249:                            ; =>This Inner Loop Header: Depth=1
	v_mov_b32_e32 v134, s72
	v_mov_b32_e32 v180, s71
	s_add_i32 s74, s73, 8
	s_add_i32 s73, s73, 50
	v_cmp_eq_u32_e32 vcc_lo, s74, v130
	s_clause 0x1f
	buffer_load_dword v131, v134, s[0:3], 0 offen offset:8
	buffer_load_dword v132, v134, s[0:3], 0 offen offset:12
	buffer_load_dword v142, v134, s[0:3], 0 offen
	buffer_load_dword v143, v134, s[0:3], 0 offen offset:4
	buffer_load_dword v144, v134, s[0:3], 0 offen offset:24
	;; [unrolled: 1-line block ×29, first 2 shown]
	ds_read_b128 v[134:137], v180
	ds_read_b128 v[138:141], v180 offset:16
	s_addk_i32 s71, 0x80
	s_addk_i32 s72, 0x80
	s_or_b32 s70, vcc_lo, s70
	s_waitcnt vmcnt(30) lgkmcnt(1)
	v_mul_f64 v[172:173], v[136:137], v[131:132]
	v_mul_f64 v[131:132], v[134:135], v[131:132]
	s_waitcnt vmcnt(26) lgkmcnt(0)
	v_mul_f64 v[174:175], v[140:141], v[144:145]
	v_mul_f64 v[176:177], v[138:139], v[144:145]
	v_fma_f64 v[172:173], v[134:135], v[142:143], -v[172:173]
	v_fma_f64 v[131:132], v[136:137], v[142:143], v[131:132]
	ds_read_b128 v[134:137], v180 offset:32
	ds_read_b128 v[142:145], v180 offset:48
	s_waitcnt vmcnt(24)
	v_fma_f64 v[138:139], v[138:139], v[146:147], -v[174:175]
	v_fma_f64 v[140:141], v[140:141], v[146:147], v[176:177]
	s_waitcnt vmcnt(22) lgkmcnt(1)
	v_mul_f64 v[178:179], v[136:137], v[148:149]
	v_mul_f64 v[148:149], v[134:135], v[148:149]
	v_add_f64 v[1:2], v[1:2], v[172:173]
	v_add_f64 v[3:4], v[3:4], v[131:132]
	s_waitcnt vmcnt(18) lgkmcnt(0)
	v_mul_f64 v[131:132], v[144:145], v[152:153]
	v_mul_f64 v[146:147], v[142:143], v[152:153]
	v_fma_f64 v[152:153], v[134:135], v[150:151], -v[178:179]
	v_fma_f64 v[148:149], v[136:137], v[150:151], v[148:149]
	v_add_f64 v[138:139], v[1:2], v[138:139]
	v_add_f64 v[140:141], v[3:4], v[140:141]
	ds_read_b128 v[1:4], v180 offset:64
	ds_read_b128 v[134:137], v180 offset:80
	s_waitcnt vmcnt(16)
	v_fma_f64 v[131:132], v[142:143], v[154:155], -v[131:132]
	v_fma_f64 v[142:143], v[144:145], v[154:155], v[146:147]
	s_waitcnt vmcnt(12) lgkmcnt(1)
	v_mul_f64 v[150:151], v[3:4], v[156:157]
	v_mul_f64 v[156:157], v[1:2], v[156:157]
	v_add_f64 v[138:139], v[138:139], v[152:153]
	v_add_f64 v[140:141], v[140:141], v[148:149]
	s_waitcnt vmcnt(10) lgkmcnt(0)
	v_mul_f64 v[144:145], v[136:137], v[158:159]
	v_mul_f64 v[146:147], v[134:135], v[158:159]
	s_waitcnt vmcnt(8)
	v_fma_f64 v[148:149], v[1:2], v[162:163], -v[150:151]
	v_fma_f64 v[150:151], v[3:4], v[162:163], v[156:157]
	v_add_f64 v[131:132], v[138:139], v[131:132]
	v_add_f64 v[142:143], v[140:141], v[142:143]
	ds_read_b128 v[1:4], v180 offset:96
	ds_read_b128 v[138:141], v180 offset:112
	v_fma_f64 v[134:135], v[134:135], v[160:161], -v[144:145]
	v_fma_f64 v[136:137], v[136:137], v[160:161], v[146:147]
	s_waitcnt vmcnt(4) lgkmcnt(1)
	v_mul_f64 v[152:153], v[3:4], v[164:165]
	v_mul_f64 v[154:155], v[1:2], v[164:165]
	v_add_f64 v[131:132], v[131:132], v[148:149]
	v_add_f64 v[142:143], v[142:143], v[150:151]
	s_waitcnt vmcnt(2) lgkmcnt(0)
	v_mul_f64 v[144:145], v[140:141], v[166:167]
	v_mul_f64 v[146:147], v[138:139], v[166:167]
	s_waitcnt vmcnt(0)
	v_fma_f64 v[1:2], v[1:2], v[170:171], -v[152:153]
	v_fma_f64 v[3:4], v[3:4], v[170:171], v[154:155]
	v_add_f64 v[131:132], v[131:132], v[134:135]
	v_add_f64 v[134:135], v[142:143], v[136:137]
	v_fma_f64 v[136:137], v[138:139], v[168:169], -v[144:145]
	v_fma_f64 v[138:139], v[140:141], v[168:169], v[146:147]
	v_add_f64 v[1:2], v[131:132], v[1:2]
	v_add_f64 v[3:4], v[134:135], v[3:4]
	v_mov_b32_e32 v131, s73
	s_mov_b32 s73, s74
	v_add_f64 v[1:2], v[1:2], v[136:137]
	v_add_f64 v[3:4], v[3:4], v[138:139]
	s_andn2_b32 exec_lo, exec_lo, s70
	s_cbranch_execnz .LBB124_249
; %bb.250:
	s_or_b32 exec_lo, exec_lo, s70
.LBB124_251:
	s_or_b32 exec_lo, exec_lo, s4
	v_and_b32_e32 v129, 7, v129
	s_mov_b32 s70, 0
	s_mov_b32 s4, exec_lo
	v_cmpx_ne_u32_e32 0, v129
	s_cbranch_execz .LBB124_255
; %bb.252:
	v_lshlrev_b32_e32 v131, 4, v131
	v_add_nc_u32_e32 v130, 0x3d0, v131
	.p2align	6
.LBB124_253:                            ; =>This Inner Loop Header: Depth=1
	s_clause 0x3
	buffer_load_dword v138, v131, s[0:3], 0 offen offset:8
	buffer_load_dword v139, v131, s[0:3], 0 offen offset:12
	buffer_load_dword v140, v131, s[0:3], 0 offen
	buffer_load_dword v141, v131, s[0:3], 0 offen offset:4
	ds_read_b128 v[134:137], v130
	v_add_nc_u32_e32 v129, -1, v129
	v_add_nc_u32_e32 v130, 16, v130
	v_add_nc_u32_e32 v131, 16, v131
	v_cmp_eq_u32_e32 vcc_lo, 0, v129
	s_or_b32 s70, vcc_lo, s70
	s_waitcnt vmcnt(2) lgkmcnt(0)
	v_mul_f64 v[142:143], v[136:137], v[138:139]
	v_mul_f64 v[138:139], v[134:135], v[138:139]
	s_waitcnt vmcnt(0)
	v_fma_f64 v[134:135], v[134:135], v[140:141], -v[142:143]
	v_fma_f64 v[136:137], v[136:137], v[140:141], v[138:139]
	v_add_f64 v[1:2], v[1:2], v[134:135]
	v_add_f64 v[3:4], v[3:4], v[136:137]
	s_andn2_b32 exec_lo, exec_lo, s70
	s_cbranch_execnz .LBB124_253
; %bb.254:
	s_or_b32 exec_lo, exec_lo, s70
.LBB124_255:
	s_or_b32 exec_lo, exec_lo, s4
.LBB124_256:
	s_or_b32 exec_lo, exec_lo, s8
	v_mov_b32_e32 v129, 0
	ds_read_b128 v[129:132], v129 offset:656
	s_waitcnt lgkmcnt(0)
	v_mul_f64 v[134:135], v[3:4], v[131:132]
	v_mul_f64 v[131:132], v[1:2], v[131:132]
	v_fma_f64 v[1:2], v[1:2], v[129:130], -v[134:135]
	v_fma_f64 v[3:4], v[3:4], v[129:130], v[131:132]
	buffer_store_dword v2, off, s[0:3], 0 offset:660
	buffer_store_dword v1, off, s[0:3], 0 offset:656
	;; [unrolled: 1-line block ×4, first 2 shown]
.LBB124_257:
	s_or_b32 exec_lo, exec_lo, s6
	v_mov_b32_e32 v4, s29
	v_cmp_lt_u32_e64 s4, 40, v0
	s_clause 0x3
	buffer_load_dword v1, v4, s[0:3], 0 offen
	buffer_load_dword v2, v4, s[0:3], 0 offen offset:4
	buffer_load_dword v3, v4, s[0:3], 0 offen offset:8
	;; [unrolled: 1-line block ×3, first 2 shown]
	s_waitcnt vmcnt(0)
	ds_write_b128 v128, v[1:4]
	s_waitcnt lgkmcnt(0)
	s_waitcnt_vscnt null, 0x0
	s_barrier
	buffer_gl0_inv
	s_and_saveexec_b32 s6, s4
	s_cbranch_execz .LBB124_271
; %bb.258:
	ds_read_b128 v[1:4], v128
	s_andn2_b32 vcc_lo, exec_lo, s7
	s_cbranch_vccnz .LBB124_260
; %bb.259:
	s_clause 0x3
	buffer_load_dword v129, v127, s[0:3], 0 offen offset:8
	buffer_load_dword v130, v127, s[0:3], 0 offen offset:12
	buffer_load_dword v131, v127, s[0:3], 0 offen
	buffer_load_dword v132, v127, s[0:3], 0 offen offset:4
	s_waitcnt vmcnt(2) lgkmcnt(0)
	v_mul_f64 v[134:135], v[3:4], v[129:130]
	v_mul_f64 v[129:130], v[1:2], v[129:130]
	s_waitcnt vmcnt(0)
	v_fma_f64 v[1:2], v[1:2], v[131:132], -v[134:135]
	v_fma_f64 v[3:4], v[3:4], v[131:132], v[129:130]
.LBB124_260:
	s_and_saveexec_b32 s8, s5
	s_cbranch_execz .LBB124_270
; %bb.261:
	v_subrev_nc_u32_e32 v130, 42, v0
	v_mov_b32_e32 v131, 41
	v_subrev_nc_u32_e32 v129, 41, v0
	s_mov_b32 s5, exec_lo
	v_cmpx_lt_u32_e32 6, v130
	s_cbranch_execz .LBB124_265
; %bb.262:
	v_and_b32_e32 v130, -8, v129
	s_movk_i32 s71, 0x660
	s_mov_b32 s70, 0
	s_mov_b32 s72, s28
	;; [unrolled: 1-line block ×3, first 2 shown]
.LBB124_263:                            ; =>This Inner Loop Header: Depth=1
	v_mov_b32_e32 v134, s72
	v_mov_b32_e32 v180, s71
	s_add_i32 s74, s73, 8
	s_add_i32 s73, s73, 49
	v_cmp_eq_u32_e32 vcc_lo, s74, v130
	s_clause 0x1f
	buffer_load_dword v131, v134, s[0:3], 0 offen offset:8
	buffer_load_dword v132, v134, s[0:3], 0 offen offset:12
	buffer_load_dword v142, v134, s[0:3], 0 offen
	buffer_load_dword v143, v134, s[0:3], 0 offen offset:4
	buffer_load_dword v144, v134, s[0:3], 0 offen offset:24
	;; [unrolled: 1-line block ×29, first 2 shown]
	ds_read_b128 v[134:137], v180
	ds_read_b128 v[138:141], v180 offset:16
	s_addk_i32 s71, 0x80
	s_addk_i32 s72, 0x80
	s_or_b32 s70, vcc_lo, s70
	s_waitcnt vmcnt(30) lgkmcnt(1)
	v_mul_f64 v[172:173], v[136:137], v[131:132]
	v_mul_f64 v[131:132], v[134:135], v[131:132]
	s_waitcnt vmcnt(26) lgkmcnt(0)
	v_mul_f64 v[174:175], v[140:141], v[144:145]
	v_mul_f64 v[176:177], v[138:139], v[144:145]
	v_fma_f64 v[172:173], v[134:135], v[142:143], -v[172:173]
	v_fma_f64 v[131:132], v[136:137], v[142:143], v[131:132]
	ds_read_b128 v[134:137], v180 offset:32
	ds_read_b128 v[142:145], v180 offset:48
	s_waitcnt vmcnt(24)
	v_fma_f64 v[138:139], v[138:139], v[146:147], -v[174:175]
	v_fma_f64 v[140:141], v[140:141], v[146:147], v[176:177]
	s_waitcnt vmcnt(22) lgkmcnt(1)
	v_mul_f64 v[178:179], v[136:137], v[148:149]
	v_mul_f64 v[148:149], v[134:135], v[148:149]
	v_add_f64 v[1:2], v[1:2], v[172:173]
	v_add_f64 v[3:4], v[3:4], v[131:132]
	s_waitcnt vmcnt(18) lgkmcnt(0)
	v_mul_f64 v[131:132], v[144:145], v[152:153]
	v_mul_f64 v[146:147], v[142:143], v[152:153]
	v_fma_f64 v[152:153], v[134:135], v[150:151], -v[178:179]
	v_fma_f64 v[148:149], v[136:137], v[150:151], v[148:149]
	v_add_f64 v[138:139], v[1:2], v[138:139]
	v_add_f64 v[140:141], v[3:4], v[140:141]
	ds_read_b128 v[1:4], v180 offset:64
	ds_read_b128 v[134:137], v180 offset:80
	s_waitcnt vmcnt(16)
	v_fma_f64 v[131:132], v[142:143], v[154:155], -v[131:132]
	v_fma_f64 v[142:143], v[144:145], v[154:155], v[146:147]
	s_waitcnt vmcnt(12) lgkmcnt(1)
	v_mul_f64 v[150:151], v[3:4], v[156:157]
	v_mul_f64 v[156:157], v[1:2], v[156:157]
	v_add_f64 v[138:139], v[138:139], v[152:153]
	v_add_f64 v[140:141], v[140:141], v[148:149]
	s_waitcnt vmcnt(10) lgkmcnt(0)
	v_mul_f64 v[144:145], v[136:137], v[158:159]
	v_mul_f64 v[146:147], v[134:135], v[158:159]
	s_waitcnt vmcnt(8)
	v_fma_f64 v[148:149], v[1:2], v[162:163], -v[150:151]
	v_fma_f64 v[150:151], v[3:4], v[162:163], v[156:157]
	v_add_f64 v[131:132], v[138:139], v[131:132]
	v_add_f64 v[142:143], v[140:141], v[142:143]
	ds_read_b128 v[1:4], v180 offset:96
	ds_read_b128 v[138:141], v180 offset:112
	v_fma_f64 v[134:135], v[134:135], v[160:161], -v[144:145]
	v_fma_f64 v[136:137], v[136:137], v[160:161], v[146:147]
	s_waitcnt vmcnt(4) lgkmcnt(1)
	v_mul_f64 v[152:153], v[3:4], v[164:165]
	v_mul_f64 v[154:155], v[1:2], v[164:165]
	v_add_f64 v[131:132], v[131:132], v[148:149]
	v_add_f64 v[142:143], v[142:143], v[150:151]
	s_waitcnt vmcnt(2) lgkmcnt(0)
	v_mul_f64 v[144:145], v[140:141], v[166:167]
	v_mul_f64 v[146:147], v[138:139], v[166:167]
	s_waitcnt vmcnt(0)
	v_fma_f64 v[1:2], v[1:2], v[170:171], -v[152:153]
	v_fma_f64 v[3:4], v[3:4], v[170:171], v[154:155]
	v_add_f64 v[131:132], v[131:132], v[134:135]
	v_add_f64 v[134:135], v[142:143], v[136:137]
	v_fma_f64 v[136:137], v[138:139], v[168:169], -v[144:145]
	v_fma_f64 v[138:139], v[140:141], v[168:169], v[146:147]
	v_add_f64 v[1:2], v[131:132], v[1:2]
	v_add_f64 v[3:4], v[134:135], v[3:4]
	v_mov_b32_e32 v131, s73
	s_mov_b32 s73, s74
	v_add_f64 v[1:2], v[1:2], v[136:137]
	v_add_f64 v[3:4], v[3:4], v[138:139]
	s_andn2_b32 exec_lo, exec_lo, s70
	s_cbranch_execnz .LBB124_263
; %bb.264:
	s_or_b32 exec_lo, exec_lo, s70
.LBB124_265:
	s_or_b32 exec_lo, exec_lo, s5
	v_and_b32_e32 v129, 7, v129
	s_mov_b32 s70, 0
	s_mov_b32 s5, exec_lo
	v_cmpx_ne_u32_e32 0, v129
	s_cbranch_execz .LBB124_269
; %bb.266:
	v_lshlrev_b32_e32 v131, 4, v131
	v_add_nc_u32_e32 v130, 0x3d0, v131
	.p2align	6
.LBB124_267:                            ; =>This Inner Loop Header: Depth=1
	s_clause 0x3
	buffer_load_dword v138, v131, s[0:3], 0 offen offset:8
	buffer_load_dword v139, v131, s[0:3], 0 offen offset:12
	buffer_load_dword v140, v131, s[0:3], 0 offen
	buffer_load_dword v141, v131, s[0:3], 0 offen offset:4
	ds_read_b128 v[134:137], v130
	v_add_nc_u32_e32 v129, -1, v129
	v_add_nc_u32_e32 v130, 16, v130
	v_add_nc_u32_e32 v131, 16, v131
	v_cmp_eq_u32_e32 vcc_lo, 0, v129
	s_or_b32 s70, vcc_lo, s70
	s_waitcnt vmcnt(2) lgkmcnt(0)
	v_mul_f64 v[142:143], v[136:137], v[138:139]
	v_mul_f64 v[138:139], v[134:135], v[138:139]
	s_waitcnt vmcnt(0)
	v_fma_f64 v[134:135], v[134:135], v[140:141], -v[142:143]
	v_fma_f64 v[136:137], v[136:137], v[140:141], v[138:139]
	v_add_f64 v[1:2], v[1:2], v[134:135]
	v_add_f64 v[3:4], v[3:4], v[136:137]
	s_andn2_b32 exec_lo, exec_lo, s70
	s_cbranch_execnz .LBB124_267
; %bb.268:
	s_or_b32 exec_lo, exec_lo, s70
.LBB124_269:
	s_or_b32 exec_lo, exec_lo, s5
.LBB124_270:
	s_or_b32 exec_lo, exec_lo, s8
	v_mov_b32_e32 v129, 0
	ds_read_b128 v[129:132], v129 offset:640
	s_waitcnt lgkmcnt(0)
	v_mul_f64 v[134:135], v[3:4], v[131:132]
	v_mul_f64 v[131:132], v[1:2], v[131:132]
	v_fma_f64 v[1:2], v[1:2], v[129:130], -v[134:135]
	v_fma_f64 v[3:4], v[3:4], v[129:130], v[131:132]
	buffer_store_dword v2, off, s[0:3], 0 offset:644
	buffer_store_dword v1, off, s[0:3], 0 offset:640
	;; [unrolled: 1-line block ×4, first 2 shown]
.LBB124_271:
	s_or_b32 exec_lo, exec_lo, s6
	v_mov_b32_e32 v4, s30
	v_cmp_lt_u32_e64 s5, 39, v0
	s_clause 0x3
	buffer_load_dword v1, v4, s[0:3], 0 offen
	buffer_load_dword v2, v4, s[0:3], 0 offen offset:4
	buffer_load_dword v3, v4, s[0:3], 0 offen offset:8
	;; [unrolled: 1-line block ×3, first 2 shown]
	s_waitcnt vmcnt(0)
	ds_write_b128 v128, v[1:4]
	s_waitcnt lgkmcnt(0)
	s_waitcnt_vscnt null, 0x0
	s_barrier
	buffer_gl0_inv
	s_and_saveexec_b32 s6, s5
	s_cbranch_execz .LBB124_285
; %bb.272:
	ds_read_b128 v[1:4], v128
	s_andn2_b32 vcc_lo, exec_lo, s7
	s_cbranch_vccnz .LBB124_274
; %bb.273:
	s_clause 0x3
	buffer_load_dword v129, v127, s[0:3], 0 offen offset:8
	buffer_load_dword v130, v127, s[0:3], 0 offen offset:12
	buffer_load_dword v131, v127, s[0:3], 0 offen
	buffer_load_dword v132, v127, s[0:3], 0 offen offset:4
	s_waitcnt vmcnt(2) lgkmcnt(0)
	v_mul_f64 v[134:135], v[3:4], v[129:130]
	v_mul_f64 v[129:130], v[1:2], v[129:130]
	s_waitcnt vmcnt(0)
	v_fma_f64 v[1:2], v[1:2], v[131:132], -v[134:135]
	v_fma_f64 v[3:4], v[3:4], v[131:132], v[129:130]
.LBB124_274:
	s_and_saveexec_b32 s8, s4
	s_cbranch_execz .LBB124_284
; %bb.275:
	v_subrev_nc_u32_e32 v129, 41, v0
	v_cmp_lt_u32_e32 vcc_lo, 6, v129
	v_mov_b32_e32 v129, 40
	s_and_saveexec_b32 s4, vcc_lo
	s_cbranch_execz .LBB124_279
; %bb.276:
	v_and_b32_e32 v129, 56, v0
	s_mov_b32 s70, 40
	s_movk_i32 s72, 0x650
	s_mov_b32 s71, 0
	s_mov_b32 s73, s29
.LBB124_277:                            ; =>This Inner Loop Header: Depth=1
	v_mov_b32_e32 v132, s73
	s_add_i32 s70, s70, 8
	s_addk_i32 s73, 0x80
	v_cmp_eq_u32_e32 vcc_lo, s70, v129
	s_clause 0x1f
	buffer_load_dword v130, v132, s[0:3], 0 offen offset:8
	buffer_load_dword v131, v132, s[0:3], 0 offen offset:12
	buffer_load_dword v142, v132, s[0:3], 0 offen
	buffer_load_dword v143, v132, s[0:3], 0 offen offset:4
	buffer_load_dword v144, v132, s[0:3], 0 offen offset:24
	;; [unrolled: 1-line block ×29, first 2 shown]
	v_mov_b32_e32 v132, s72
	s_addk_i32 s72, 0x80
	s_or_b32 s71, vcc_lo, s71
	ds_read_b128 v[134:137], v132
	ds_read_b128 v[138:141], v132 offset:16
	s_waitcnt vmcnt(30) lgkmcnt(1)
	v_mul_f64 v[172:173], v[136:137], v[130:131]
	v_mul_f64 v[130:131], v[134:135], v[130:131]
	s_waitcnt vmcnt(26) lgkmcnt(0)
	v_mul_f64 v[174:175], v[140:141], v[144:145]
	v_mul_f64 v[176:177], v[138:139], v[144:145]
	v_fma_f64 v[172:173], v[134:135], v[142:143], -v[172:173]
	v_fma_f64 v[130:131], v[136:137], v[142:143], v[130:131]
	ds_read_b128 v[134:137], v132 offset:32
	ds_read_b128 v[142:145], v132 offset:48
	s_waitcnt vmcnt(24)
	v_fma_f64 v[138:139], v[138:139], v[146:147], -v[174:175]
	v_fma_f64 v[140:141], v[140:141], v[146:147], v[176:177]
	s_waitcnt vmcnt(22) lgkmcnt(1)
	v_mul_f64 v[178:179], v[136:137], v[148:149]
	v_mul_f64 v[148:149], v[134:135], v[148:149]
	v_add_f64 v[1:2], v[1:2], v[172:173]
	v_add_f64 v[3:4], v[3:4], v[130:131]
	s_waitcnt vmcnt(18) lgkmcnt(0)
	v_mul_f64 v[130:131], v[144:145], v[152:153]
	v_mul_f64 v[146:147], v[142:143], v[152:153]
	v_fma_f64 v[152:153], v[134:135], v[150:151], -v[178:179]
	v_fma_f64 v[148:149], v[136:137], v[150:151], v[148:149]
	v_add_f64 v[138:139], v[1:2], v[138:139]
	v_add_f64 v[140:141], v[3:4], v[140:141]
	ds_read_b128 v[1:4], v132 offset:64
	ds_read_b128 v[134:137], v132 offset:80
	s_waitcnt vmcnt(16)
	v_fma_f64 v[130:131], v[142:143], v[154:155], -v[130:131]
	v_fma_f64 v[142:143], v[144:145], v[154:155], v[146:147]
	s_waitcnt vmcnt(12) lgkmcnt(1)
	v_mul_f64 v[150:151], v[3:4], v[156:157]
	v_mul_f64 v[156:157], v[1:2], v[156:157]
	v_add_f64 v[138:139], v[138:139], v[152:153]
	v_add_f64 v[140:141], v[140:141], v[148:149]
	s_waitcnt vmcnt(10) lgkmcnt(0)
	v_mul_f64 v[144:145], v[136:137], v[158:159]
	v_mul_f64 v[146:147], v[134:135], v[158:159]
	s_waitcnt vmcnt(8)
	v_fma_f64 v[148:149], v[1:2], v[162:163], -v[150:151]
	v_fma_f64 v[150:151], v[3:4], v[162:163], v[156:157]
	v_add_f64 v[130:131], v[138:139], v[130:131]
	v_add_f64 v[142:143], v[140:141], v[142:143]
	ds_read_b128 v[1:4], v132 offset:96
	ds_read_b128 v[138:141], v132 offset:112
	v_fma_f64 v[134:135], v[134:135], v[160:161], -v[144:145]
	v_fma_f64 v[136:137], v[136:137], v[160:161], v[146:147]
	s_waitcnt vmcnt(4) lgkmcnt(1)
	v_mul_f64 v[152:153], v[3:4], v[164:165]
	v_mul_f64 v[154:155], v[1:2], v[164:165]
	v_add_f64 v[130:131], v[130:131], v[148:149]
	v_add_f64 v[142:143], v[142:143], v[150:151]
	s_waitcnt vmcnt(2) lgkmcnt(0)
	v_mul_f64 v[144:145], v[140:141], v[166:167]
	v_mul_f64 v[146:147], v[138:139], v[166:167]
	s_waitcnt vmcnt(0)
	v_fma_f64 v[1:2], v[1:2], v[170:171], -v[152:153]
	v_fma_f64 v[3:4], v[3:4], v[170:171], v[154:155]
	v_add_f64 v[130:131], v[130:131], v[134:135]
	v_add_f64 v[134:135], v[142:143], v[136:137]
	v_fma_f64 v[136:137], v[138:139], v[168:169], -v[144:145]
	v_fma_f64 v[138:139], v[140:141], v[168:169], v[146:147]
	v_add_f64 v[1:2], v[130:131], v[1:2]
	v_add_f64 v[3:4], v[134:135], v[3:4]
	;; [unrolled: 1-line block ×4, first 2 shown]
	s_andn2_b32 exec_lo, exec_lo, s71
	s_cbranch_execnz .LBB124_277
; %bb.278:
	s_or_b32 exec_lo, exec_lo, s71
.LBB124_279:
	s_or_b32 exec_lo, exec_lo, s4
	v_and_b32_e32 v130, 7, v0
	s_mov_b32 s70, 0
	s_mov_b32 s4, exec_lo
	v_cmpx_ne_u32_e32 0, v130
	s_cbranch_execz .LBB124_283
; %bb.280:
	v_lshlrev_b32_e32 v131, 4, v129
	v_add_nc_u32_e32 v129, 0x3d0, v131
	.p2align	6
.LBB124_281:                            ; =>This Inner Loop Header: Depth=1
	s_clause 0x3
	buffer_load_dword v138, v131, s[0:3], 0 offen offset:8
	buffer_load_dword v139, v131, s[0:3], 0 offen offset:12
	buffer_load_dword v140, v131, s[0:3], 0 offen
	buffer_load_dword v141, v131, s[0:3], 0 offen offset:4
	ds_read_b128 v[134:137], v129
	v_add_nc_u32_e32 v130, -1, v130
	v_add_nc_u32_e32 v129, 16, v129
	v_add_nc_u32_e32 v131, 16, v131
	v_cmp_eq_u32_e32 vcc_lo, 0, v130
	s_or_b32 s70, vcc_lo, s70
	s_waitcnt vmcnt(2) lgkmcnt(0)
	v_mul_f64 v[142:143], v[136:137], v[138:139]
	v_mul_f64 v[138:139], v[134:135], v[138:139]
	s_waitcnt vmcnt(0)
	v_fma_f64 v[134:135], v[134:135], v[140:141], -v[142:143]
	v_fma_f64 v[136:137], v[136:137], v[140:141], v[138:139]
	v_add_f64 v[1:2], v[1:2], v[134:135]
	v_add_f64 v[3:4], v[3:4], v[136:137]
	s_andn2_b32 exec_lo, exec_lo, s70
	s_cbranch_execnz .LBB124_281
; %bb.282:
	s_or_b32 exec_lo, exec_lo, s70
.LBB124_283:
	s_or_b32 exec_lo, exec_lo, s4
.LBB124_284:
	s_or_b32 exec_lo, exec_lo, s8
	v_mov_b32_e32 v129, 0
	ds_read_b128 v[129:132], v129 offset:624
	s_waitcnt lgkmcnt(0)
	v_mul_f64 v[134:135], v[3:4], v[131:132]
	v_mul_f64 v[131:132], v[1:2], v[131:132]
	v_fma_f64 v[1:2], v[1:2], v[129:130], -v[134:135]
	v_fma_f64 v[3:4], v[3:4], v[129:130], v[131:132]
	buffer_store_dword v2, off, s[0:3], 0 offset:628
	buffer_store_dword v1, off, s[0:3], 0 offset:624
	;; [unrolled: 1-line block ×4, first 2 shown]
.LBB124_285:
	s_or_b32 exec_lo, exec_lo, s6
	v_mov_b32_e32 v4, s31
	v_cmp_lt_u32_e64 s4, 38, v0
	s_clause 0x3
	buffer_load_dword v1, v4, s[0:3], 0 offen
	buffer_load_dword v2, v4, s[0:3], 0 offen offset:4
	buffer_load_dword v3, v4, s[0:3], 0 offen offset:8
	;; [unrolled: 1-line block ×3, first 2 shown]
	s_waitcnt vmcnt(0)
	ds_write_b128 v128, v[1:4]
	s_waitcnt lgkmcnt(0)
	s_waitcnt_vscnt null, 0x0
	s_barrier
	buffer_gl0_inv
	s_and_saveexec_b32 s6, s4
	s_cbranch_execz .LBB124_299
; %bb.286:
	ds_read_b128 v[1:4], v128
	s_andn2_b32 vcc_lo, exec_lo, s7
	s_cbranch_vccnz .LBB124_288
; %bb.287:
	s_clause 0x3
	buffer_load_dword v129, v127, s[0:3], 0 offen offset:8
	buffer_load_dword v130, v127, s[0:3], 0 offen offset:12
	buffer_load_dword v131, v127, s[0:3], 0 offen
	buffer_load_dword v132, v127, s[0:3], 0 offen offset:4
	s_waitcnt vmcnt(2) lgkmcnt(0)
	v_mul_f64 v[134:135], v[3:4], v[129:130]
	v_mul_f64 v[129:130], v[1:2], v[129:130]
	s_waitcnt vmcnt(0)
	v_fma_f64 v[1:2], v[1:2], v[131:132], -v[134:135]
	v_fma_f64 v[3:4], v[3:4], v[131:132], v[129:130]
.LBB124_288:
	s_and_saveexec_b32 s8, s5
	s_cbranch_execz .LBB124_298
; %bb.289:
	v_subrev_nc_u32_e32 v130, 40, v0
	v_mov_b32_e32 v131, 39
	v_subrev_nc_u32_e32 v129, 39, v0
	s_mov_b32 s5, exec_lo
	v_cmpx_lt_u32_e32 6, v130
	s_cbranch_execz .LBB124_293
; %bb.290:
	v_and_b32_e32 v130, -8, v129
	s_movk_i32 s71, 0x640
	s_mov_b32 s70, 0
	s_mov_b32 s72, s30
	s_mov_b32 s73, 0
.LBB124_291:                            ; =>This Inner Loop Header: Depth=1
	v_mov_b32_e32 v134, s72
	v_mov_b32_e32 v180, s71
	s_add_i32 s74, s73, 8
	s_add_i32 s73, s73, 47
	v_cmp_eq_u32_e32 vcc_lo, s74, v130
	s_clause 0x1f
	buffer_load_dword v131, v134, s[0:3], 0 offen offset:8
	buffer_load_dword v132, v134, s[0:3], 0 offen offset:12
	buffer_load_dword v142, v134, s[0:3], 0 offen
	buffer_load_dword v143, v134, s[0:3], 0 offen offset:4
	buffer_load_dword v144, v134, s[0:3], 0 offen offset:24
	;; [unrolled: 1-line block ×29, first 2 shown]
	ds_read_b128 v[134:137], v180
	ds_read_b128 v[138:141], v180 offset:16
	s_addk_i32 s71, 0x80
	s_addk_i32 s72, 0x80
	s_or_b32 s70, vcc_lo, s70
	s_waitcnt vmcnt(30) lgkmcnt(1)
	v_mul_f64 v[172:173], v[136:137], v[131:132]
	v_mul_f64 v[131:132], v[134:135], v[131:132]
	s_waitcnt vmcnt(26) lgkmcnt(0)
	v_mul_f64 v[174:175], v[140:141], v[144:145]
	v_mul_f64 v[176:177], v[138:139], v[144:145]
	v_fma_f64 v[172:173], v[134:135], v[142:143], -v[172:173]
	v_fma_f64 v[131:132], v[136:137], v[142:143], v[131:132]
	ds_read_b128 v[134:137], v180 offset:32
	ds_read_b128 v[142:145], v180 offset:48
	s_waitcnt vmcnt(24)
	v_fma_f64 v[138:139], v[138:139], v[146:147], -v[174:175]
	v_fma_f64 v[140:141], v[140:141], v[146:147], v[176:177]
	s_waitcnt vmcnt(22) lgkmcnt(1)
	v_mul_f64 v[178:179], v[136:137], v[148:149]
	v_mul_f64 v[148:149], v[134:135], v[148:149]
	v_add_f64 v[1:2], v[1:2], v[172:173]
	v_add_f64 v[3:4], v[3:4], v[131:132]
	s_waitcnt vmcnt(18) lgkmcnt(0)
	v_mul_f64 v[131:132], v[144:145], v[152:153]
	v_mul_f64 v[146:147], v[142:143], v[152:153]
	v_fma_f64 v[152:153], v[134:135], v[150:151], -v[178:179]
	v_fma_f64 v[148:149], v[136:137], v[150:151], v[148:149]
	v_add_f64 v[138:139], v[1:2], v[138:139]
	v_add_f64 v[140:141], v[3:4], v[140:141]
	ds_read_b128 v[1:4], v180 offset:64
	ds_read_b128 v[134:137], v180 offset:80
	s_waitcnt vmcnt(16)
	v_fma_f64 v[131:132], v[142:143], v[154:155], -v[131:132]
	v_fma_f64 v[142:143], v[144:145], v[154:155], v[146:147]
	s_waitcnt vmcnt(12) lgkmcnt(1)
	v_mul_f64 v[150:151], v[3:4], v[156:157]
	v_mul_f64 v[156:157], v[1:2], v[156:157]
	v_add_f64 v[138:139], v[138:139], v[152:153]
	v_add_f64 v[140:141], v[140:141], v[148:149]
	s_waitcnt vmcnt(10) lgkmcnt(0)
	v_mul_f64 v[144:145], v[136:137], v[158:159]
	v_mul_f64 v[146:147], v[134:135], v[158:159]
	s_waitcnt vmcnt(8)
	v_fma_f64 v[148:149], v[1:2], v[162:163], -v[150:151]
	v_fma_f64 v[150:151], v[3:4], v[162:163], v[156:157]
	v_add_f64 v[131:132], v[138:139], v[131:132]
	v_add_f64 v[142:143], v[140:141], v[142:143]
	ds_read_b128 v[1:4], v180 offset:96
	ds_read_b128 v[138:141], v180 offset:112
	v_fma_f64 v[134:135], v[134:135], v[160:161], -v[144:145]
	v_fma_f64 v[136:137], v[136:137], v[160:161], v[146:147]
	s_waitcnt vmcnt(4) lgkmcnt(1)
	v_mul_f64 v[152:153], v[3:4], v[164:165]
	v_mul_f64 v[154:155], v[1:2], v[164:165]
	v_add_f64 v[131:132], v[131:132], v[148:149]
	v_add_f64 v[142:143], v[142:143], v[150:151]
	s_waitcnt vmcnt(2) lgkmcnt(0)
	v_mul_f64 v[144:145], v[140:141], v[166:167]
	v_mul_f64 v[146:147], v[138:139], v[166:167]
	s_waitcnt vmcnt(0)
	v_fma_f64 v[1:2], v[1:2], v[170:171], -v[152:153]
	v_fma_f64 v[3:4], v[3:4], v[170:171], v[154:155]
	v_add_f64 v[131:132], v[131:132], v[134:135]
	v_add_f64 v[134:135], v[142:143], v[136:137]
	v_fma_f64 v[136:137], v[138:139], v[168:169], -v[144:145]
	v_fma_f64 v[138:139], v[140:141], v[168:169], v[146:147]
	v_add_f64 v[1:2], v[131:132], v[1:2]
	v_add_f64 v[3:4], v[134:135], v[3:4]
	v_mov_b32_e32 v131, s73
	s_mov_b32 s73, s74
	v_add_f64 v[1:2], v[1:2], v[136:137]
	v_add_f64 v[3:4], v[3:4], v[138:139]
	s_andn2_b32 exec_lo, exec_lo, s70
	s_cbranch_execnz .LBB124_291
; %bb.292:
	s_or_b32 exec_lo, exec_lo, s70
.LBB124_293:
	s_or_b32 exec_lo, exec_lo, s5
	v_and_b32_e32 v129, 7, v129
	s_mov_b32 s70, 0
	s_mov_b32 s5, exec_lo
	v_cmpx_ne_u32_e32 0, v129
	s_cbranch_execz .LBB124_297
; %bb.294:
	v_lshlrev_b32_e32 v131, 4, v131
	v_add_nc_u32_e32 v130, 0x3d0, v131
	.p2align	6
.LBB124_295:                            ; =>This Inner Loop Header: Depth=1
	s_clause 0x3
	buffer_load_dword v138, v131, s[0:3], 0 offen offset:8
	buffer_load_dword v139, v131, s[0:3], 0 offen offset:12
	buffer_load_dword v140, v131, s[0:3], 0 offen
	buffer_load_dword v141, v131, s[0:3], 0 offen offset:4
	ds_read_b128 v[134:137], v130
	v_add_nc_u32_e32 v129, -1, v129
	v_add_nc_u32_e32 v130, 16, v130
	v_add_nc_u32_e32 v131, 16, v131
	v_cmp_eq_u32_e32 vcc_lo, 0, v129
	s_or_b32 s70, vcc_lo, s70
	s_waitcnt vmcnt(2) lgkmcnt(0)
	v_mul_f64 v[142:143], v[136:137], v[138:139]
	v_mul_f64 v[138:139], v[134:135], v[138:139]
	s_waitcnt vmcnt(0)
	v_fma_f64 v[134:135], v[134:135], v[140:141], -v[142:143]
	v_fma_f64 v[136:137], v[136:137], v[140:141], v[138:139]
	v_add_f64 v[1:2], v[1:2], v[134:135]
	v_add_f64 v[3:4], v[3:4], v[136:137]
	s_andn2_b32 exec_lo, exec_lo, s70
	s_cbranch_execnz .LBB124_295
; %bb.296:
	s_or_b32 exec_lo, exec_lo, s70
.LBB124_297:
	s_or_b32 exec_lo, exec_lo, s5
.LBB124_298:
	s_or_b32 exec_lo, exec_lo, s8
	v_mov_b32_e32 v129, 0
	ds_read_b128 v[129:132], v129 offset:608
	s_waitcnt lgkmcnt(0)
	v_mul_f64 v[134:135], v[3:4], v[131:132]
	v_mul_f64 v[131:132], v[1:2], v[131:132]
	v_fma_f64 v[1:2], v[1:2], v[129:130], -v[134:135]
	v_fma_f64 v[3:4], v[3:4], v[129:130], v[131:132]
	buffer_store_dword v2, off, s[0:3], 0 offset:612
	buffer_store_dword v1, off, s[0:3], 0 offset:608
	;; [unrolled: 1-line block ×4, first 2 shown]
.LBB124_299:
	s_or_b32 exec_lo, exec_lo, s6
	v_mov_b32_e32 v4, s33
	v_cmp_lt_u32_e64 s5, 37, v0
	s_clause 0x3
	buffer_load_dword v1, v4, s[0:3], 0 offen
	buffer_load_dword v2, v4, s[0:3], 0 offen offset:4
	buffer_load_dword v3, v4, s[0:3], 0 offen offset:8
	;; [unrolled: 1-line block ×3, first 2 shown]
	s_waitcnt vmcnt(0)
	ds_write_b128 v128, v[1:4]
	s_waitcnt lgkmcnt(0)
	s_waitcnt_vscnt null, 0x0
	s_barrier
	buffer_gl0_inv
	s_and_saveexec_b32 s6, s5
	s_cbranch_execz .LBB124_313
; %bb.300:
	ds_read_b128 v[1:4], v128
	s_andn2_b32 vcc_lo, exec_lo, s7
	s_cbranch_vccnz .LBB124_302
; %bb.301:
	s_clause 0x3
	buffer_load_dword v129, v127, s[0:3], 0 offen offset:8
	buffer_load_dword v130, v127, s[0:3], 0 offen offset:12
	buffer_load_dword v131, v127, s[0:3], 0 offen
	buffer_load_dword v132, v127, s[0:3], 0 offen offset:4
	s_waitcnt vmcnt(2) lgkmcnt(0)
	v_mul_f64 v[134:135], v[3:4], v[129:130]
	v_mul_f64 v[129:130], v[1:2], v[129:130]
	s_waitcnt vmcnt(0)
	v_fma_f64 v[1:2], v[1:2], v[131:132], -v[134:135]
	v_fma_f64 v[3:4], v[3:4], v[131:132], v[129:130]
.LBB124_302:
	s_and_saveexec_b32 s8, s4
	s_cbranch_execz .LBB124_312
; %bb.303:
	v_subrev_nc_u32_e32 v130, 39, v0
	v_mov_b32_e32 v131, 38
	v_subrev_nc_u32_e32 v129, 38, v0
	s_mov_b32 s4, exec_lo
	v_cmpx_lt_u32_e32 6, v130
	s_cbranch_execz .LBB124_307
; %bb.304:
	v_and_b32_e32 v130, -8, v129
	s_movk_i32 s71, 0x630
	s_mov_b32 s70, 0
	s_mov_b32 s72, s31
	;; [unrolled: 1-line block ×3, first 2 shown]
.LBB124_305:                            ; =>This Inner Loop Header: Depth=1
	v_mov_b32_e32 v134, s72
	v_mov_b32_e32 v180, s71
	s_add_i32 s74, s73, 8
	s_add_i32 s73, s73, 46
	v_cmp_eq_u32_e32 vcc_lo, s74, v130
	s_clause 0x1f
	buffer_load_dword v131, v134, s[0:3], 0 offen offset:8
	buffer_load_dword v132, v134, s[0:3], 0 offen offset:12
	buffer_load_dword v142, v134, s[0:3], 0 offen
	buffer_load_dword v143, v134, s[0:3], 0 offen offset:4
	buffer_load_dword v144, v134, s[0:3], 0 offen offset:24
	;; [unrolled: 1-line block ×29, first 2 shown]
	ds_read_b128 v[134:137], v180
	ds_read_b128 v[138:141], v180 offset:16
	s_addk_i32 s71, 0x80
	s_addk_i32 s72, 0x80
	s_or_b32 s70, vcc_lo, s70
	s_waitcnt vmcnt(30) lgkmcnt(1)
	v_mul_f64 v[172:173], v[136:137], v[131:132]
	v_mul_f64 v[131:132], v[134:135], v[131:132]
	s_waitcnt vmcnt(26) lgkmcnt(0)
	v_mul_f64 v[174:175], v[140:141], v[144:145]
	v_mul_f64 v[176:177], v[138:139], v[144:145]
	v_fma_f64 v[172:173], v[134:135], v[142:143], -v[172:173]
	v_fma_f64 v[131:132], v[136:137], v[142:143], v[131:132]
	ds_read_b128 v[134:137], v180 offset:32
	ds_read_b128 v[142:145], v180 offset:48
	s_waitcnt vmcnt(24)
	v_fma_f64 v[138:139], v[138:139], v[146:147], -v[174:175]
	v_fma_f64 v[140:141], v[140:141], v[146:147], v[176:177]
	s_waitcnt vmcnt(22) lgkmcnt(1)
	v_mul_f64 v[178:179], v[136:137], v[148:149]
	v_mul_f64 v[148:149], v[134:135], v[148:149]
	v_add_f64 v[1:2], v[1:2], v[172:173]
	v_add_f64 v[3:4], v[3:4], v[131:132]
	s_waitcnt vmcnt(18) lgkmcnt(0)
	v_mul_f64 v[131:132], v[144:145], v[152:153]
	v_mul_f64 v[146:147], v[142:143], v[152:153]
	v_fma_f64 v[152:153], v[134:135], v[150:151], -v[178:179]
	v_fma_f64 v[148:149], v[136:137], v[150:151], v[148:149]
	v_add_f64 v[138:139], v[1:2], v[138:139]
	v_add_f64 v[140:141], v[3:4], v[140:141]
	ds_read_b128 v[1:4], v180 offset:64
	ds_read_b128 v[134:137], v180 offset:80
	s_waitcnt vmcnt(16)
	v_fma_f64 v[131:132], v[142:143], v[154:155], -v[131:132]
	v_fma_f64 v[142:143], v[144:145], v[154:155], v[146:147]
	s_waitcnt vmcnt(12) lgkmcnt(1)
	v_mul_f64 v[150:151], v[3:4], v[156:157]
	v_mul_f64 v[156:157], v[1:2], v[156:157]
	v_add_f64 v[138:139], v[138:139], v[152:153]
	v_add_f64 v[140:141], v[140:141], v[148:149]
	s_waitcnt vmcnt(10) lgkmcnt(0)
	v_mul_f64 v[144:145], v[136:137], v[158:159]
	v_mul_f64 v[146:147], v[134:135], v[158:159]
	s_waitcnt vmcnt(8)
	v_fma_f64 v[148:149], v[1:2], v[162:163], -v[150:151]
	v_fma_f64 v[150:151], v[3:4], v[162:163], v[156:157]
	v_add_f64 v[131:132], v[138:139], v[131:132]
	v_add_f64 v[142:143], v[140:141], v[142:143]
	ds_read_b128 v[1:4], v180 offset:96
	ds_read_b128 v[138:141], v180 offset:112
	v_fma_f64 v[134:135], v[134:135], v[160:161], -v[144:145]
	v_fma_f64 v[136:137], v[136:137], v[160:161], v[146:147]
	s_waitcnt vmcnt(4) lgkmcnt(1)
	v_mul_f64 v[152:153], v[3:4], v[164:165]
	v_mul_f64 v[154:155], v[1:2], v[164:165]
	v_add_f64 v[131:132], v[131:132], v[148:149]
	v_add_f64 v[142:143], v[142:143], v[150:151]
	s_waitcnt vmcnt(2) lgkmcnt(0)
	v_mul_f64 v[144:145], v[140:141], v[166:167]
	v_mul_f64 v[146:147], v[138:139], v[166:167]
	s_waitcnt vmcnt(0)
	v_fma_f64 v[1:2], v[1:2], v[170:171], -v[152:153]
	v_fma_f64 v[3:4], v[3:4], v[170:171], v[154:155]
	v_add_f64 v[131:132], v[131:132], v[134:135]
	v_add_f64 v[134:135], v[142:143], v[136:137]
	v_fma_f64 v[136:137], v[138:139], v[168:169], -v[144:145]
	v_fma_f64 v[138:139], v[140:141], v[168:169], v[146:147]
	v_add_f64 v[1:2], v[131:132], v[1:2]
	v_add_f64 v[3:4], v[134:135], v[3:4]
	v_mov_b32_e32 v131, s73
	s_mov_b32 s73, s74
	v_add_f64 v[1:2], v[1:2], v[136:137]
	v_add_f64 v[3:4], v[3:4], v[138:139]
	s_andn2_b32 exec_lo, exec_lo, s70
	s_cbranch_execnz .LBB124_305
; %bb.306:
	s_or_b32 exec_lo, exec_lo, s70
.LBB124_307:
	s_or_b32 exec_lo, exec_lo, s4
	v_and_b32_e32 v129, 7, v129
	s_mov_b32 s70, 0
	s_mov_b32 s4, exec_lo
	v_cmpx_ne_u32_e32 0, v129
	s_cbranch_execz .LBB124_311
; %bb.308:
	v_lshlrev_b32_e32 v131, 4, v131
	v_add_nc_u32_e32 v130, 0x3d0, v131
	.p2align	6
.LBB124_309:                            ; =>This Inner Loop Header: Depth=1
	s_clause 0x3
	buffer_load_dword v138, v131, s[0:3], 0 offen offset:8
	buffer_load_dword v139, v131, s[0:3], 0 offen offset:12
	buffer_load_dword v140, v131, s[0:3], 0 offen
	buffer_load_dword v141, v131, s[0:3], 0 offen offset:4
	ds_read_b128 v[134:137], v130
	v_add_nc_u32_e32 v129, -1, v129
	v_add_nc_u32_e32 v130, 16, v130
	v_add_nc_u32_e32 v131, 16, v131
	v_cmp_eq_u32_e32 vcc_lo, 0, v129
	s_or_b32 s70, vcc_lo, s70
	s_waitcnt vmcnt(2) lgkmcnt(0)
	v_mul_f64 v[142:143], v[136:137], v[138:139]
	v_mul_f64 v[138:139], v[134:135], v[138:139]
	s_waitcnt vmcnt(0)
	v_fma_f64 v[134:135], v[134:135], v[140:141], -v[142:143]
	v_fma_f64 v[136:137], v[136:137], v[140:141], v[138:139]
	v_add_f64 v[1:2], v[1:2], v[134:135]
	v_add_f64 v[3:4], v[3:4], v[136:137]
	s_andn2_b32 exec_lo, exec_lo, s70
	s_cbranch_execnz .LBB124_309
; %bb.310:
	s_or_b32 exec_lo, exec_lo, s70
.LBB124_311:
	s_or_b32 exec_lo, exec_lo, s4
.LBB124_312:
	s_or_b32 exec_lo, exec_lo, s8
	v_mov_b32_e32 v129, 0
	ds_read_b128 v[129:132], v129 offset:592
	s_waitcnt lgkmcnt(0)
	v_mul_f64 v[134:135], v[3:4], v[131:132]
	v_mul_f64 v[131:132], v[1:2], v[131:132]
	v_fma_f64 v[1:2], v[1:2], v[129:130], -v[134:135]
	v_fma_f64 v[3:4], v[3:4], v[129:130], v[131:132]
	buffer_store_dword v2, off, s[0:3], 0 offset:596
	buffer_store_dword v1, off, s[0:3], 0 offset:592
	;; [unrolled: 1-line block ×4, first 2 shown]
.LBB124_313:
	s_or_b32 exec_lo, exec_lo, s6
	v_mov_b32_e32 v4, s34
	v_cmp_lt_u32_e64 s4, 36, v0
	s_clause 0x3
	buffer_load_dword v1, v4, s[0:3], 0 offen
	buffer_load_dword v2, v4, s[0:3], 0 offen offset:4
	buffer_load_dword v3, v4, s[0:3], 0 offen offset:8
	;; [unrolled: 1-line block ×3, first 2 shown]
	s_waitcnt vmcnt(0)
	ds_write_b128 v128, v[1:4]
	s_waitcnt lgkmcnt(0)
	s_waitcnt_vscnt null, 0x0
	s_barrier
	buffer_gl0_inv
	s_and_saveexec_b32 s6, s4
	s_cbranch_execz .LBB124_327
; %bb.314:
	ds_read_b128 v[1:4], v128
	s_andn2_b32 vcc_lo, exec_lo, s7
	s_cbranch_vccnz .LBB124_316
; %bb.315:
	s_clause 0x3
	buffer_load_dword v129, v127, s[0:3], 0 offen offset:8
	buffer_load_dword v130, v127, s[0:3], 0 offen offset:12
	buffer_load_dword v131, v127, s[0:3], 0 offen
	buffer_load_dword v132, v127, s[0:3], 0 offen offset:4
	s_waitcnt vmcnt(2) lgkmcnt(0)
	v_mul_f64 v[134:135], v[3:4], v[129:130]
	v_mul_f64 v[129:130], v[1:2], v[129:130]
	s_waitcnt vmcnt(0)
	v_fma_f64 v[1:2], v[1:2], v[131:132], -v[134:135]
	v_fma_f64 v[3:4], v[3:4], v[131:132], v[129:130]
.LBB124_316:
	s_and_saveexec_b32 s8, s5
	s_cbranch_execz .LBB124_326
; %bb.317:
	v_subrev_nc_u32_e32 v130, 38, v0
	v_mov_b32_e32 v131, 37
	v_subrev_nc_u32_e32 v129, 37, v0
	s_mov_b32 s5, exec_lo
	v_cmpx_lt_u32_e32 6, v130
	s_cbranch_execz .LBB124_321
; %bb.318:
	v_and_b32_e32 v130, -8, v129
	s_movk_i32 s71, 0x620
	s_mov_b32 s70, 0
	s_mov_b32 s72, s33
	;; [unrolled: 1-line block ×3, first 2 shown]
.LBB124_319:                            ; =>This Inner Loop Header: Depth=1
	v_mov_b32_e32 v134, s72
	v_mov_b32_e32 v180, s71
	s_add_i32 s74, s73, 8
	s_add_i32 s73, s73, 45
	v_cmp_eq_u32_e32 vcc_lo, s74, v130
	s_clause 0x1f
	buffer_load_dword v131, v134, s[0:3], 0 offen offset:8
	buffer_load_dword v132, v134, s[0:3], 0 offen offset:12
	buffer_load_dword v142, v134, s[0:3], 0 offen
	buffer_load_dword v143, v134, s[0:3], 0 offen offset:4
	buffer_load_dword v144, v134, s[0:3], 0 offen offset:24
	;; [unrolled: 1-line block ×29, first 2 shown]
	ds_read_b128 v[134:137], v180
	ds_read_b128 v[138:141], v180 offset:16
	s_addk_i32 s71, 0x80
	s_addk_i32 s72, 0x80
	s_or_b32 s70, vcc_lo, s70
	s_waitcnt vmcnt(30) lgkmcnt(1)
	v_mul_f64 v[172:173], v[136:137], v[131:132]
	v_mul_f64 v[131:132], v[134:135], v[131:132]
	s_waitcnt vmcnt(26) lgkmcnt(0)
	v_mul_f64 v[174:175], v[140:141], v[144:145]
	v_mul_f64 v[176:177], v[138:139], v[144:145]
	v_fma_f64 v[172:173], v[134:135], v[142:143], -v[172:173]
	v_fma_f64 v[131:132], v[136:137], v[142:143], v[131:132]
	ds_read_b128 v[134:137], v180 offset:32
	ds_read_b128 v[142:145], v180 offset:48
	s_waitcnt vmcnt(24)
	v_fma_f64 v[138:139], v[138:139], v[146:147], -v[174:175]
	v_fma_f64 v[140:141], v[140:141], v[146:147], v[176:177]
	s_waitcnt vmcnt(22) lgkmcnt(1)
	v_mul_f64 v[178:179], v[136:137], v[148:149]
	v_mul_f64 v[148:149], v[134:135], v[148:149]
	v_add_f64 v[1:2], v[1:2], v[172:173]
	v_add_f64 v[3:4], v[3:4], v[131:132]
	s_waitcnt vmcnt(18) lgkmcnt(0)
	v_mul_f64 v[131:132], v[144:145], v[152:153]
	v_mul_f64 v[146:147], v[142:143], v[152:153]
	v_fma_f64 v[152:153], v[134:135], v[150:151], -v[178:179]
	v_fma_f64 v[148:149], v[136:137], v[150:151], v[148:149]
	v_add_f64 v[138:139], v[1:2], v[138:139]
	v_add_f64 v[140:141], v[3:4], v[140:141]
	ds_read_b128 v[1:4], v180 offset:64
	ds_read_b128 v[134:137], v180 offset:80
	s_waitcnt vmcnt(16)
	v_fma_f64 v[131:132], v[142:143], v[154:155], -v[131:132]
	v_fma_f64 v[142:143], v[144:145], v[154:155], v[146:147]
	s_waitcnt vmcnt(12) lgkmcnt(1)
	v_mul_f64 v[150:151], v[3:4], v[156:157]
	v_mul_f64 v[156:157], v[1:2], v[156:157]
	v_add_f64 v[138:139], v[138:139], v[152:153]
	v_add_f64 v[140:141], v[140:141], v[148:149]
	s_waitcnt vmcnt(10) lgkmcnt(0)
	v_mul_f64 v[144:145], v[136:137], v[158:159]
	v_mul_f64 v[146:147], v[134:135], v[158:159]
	s_waitcnt vmcnt(8)
	v_fma_f64 v[148:149], v[1:2], v[162:163], -v[150:151]
	v_fma_f64 v[150:151], v[3:4], v[162:163], v[156:157]
	v_add_f64 v[131:132], v[138:139], v[131:132]
	v_add_f64 v[142:143], v[140:141], v[142:143]
	ds_read_b128 v[1:4], v180 offset:96
	ds_read_b128 v[138:141], v180 offset:112
	v_fma_f64 v[134:135], v[134:135], v[160:161], -v[144:145]
	v_fma_f64 v[136:137], v[136:137], v[160:161], v[146:147]
	s_waitcnt vmcnt(4) lgkmcnt(1)
	v_mul_f64 v[152:153], v[3:4], v[164:165]
	v_mul_f64 v[154:155], v[1:2], v[164:165]
	v_add_f64 v[131:132], v[131:132], v[148:149]
	v_add_f64 v[142:143], v[142:143], v[150:151]
	s_waitcnt vmcnt(2) lgkmcnt(0)
	v_mul_f64 v[144:145], v[140:141], v[166:167]
	v_mul_f64 v[146:147], v[138:139], v[166:167]
	s_waitcnt vmcnt(0)
	v_fma_f64 v[1:2], v[1:2], v[170:171], -v[152:153]
	v_fma_f64 v[3:4], v[3:4], v[170:171], v[154:155]
	v_add_f64 v[131:132], v[131:132], v[134:135]
	v_add_f64 v[134:135], v[142:143], v[136:137]
	v_fma_f64 v[136:137], v[138:139], v[168:169], -v[144:145]
	v_fma_f64 v[138:139], v[140:141], v[168:169], v[146:147]
	v_add_f64 v[1:2], v[131:132], v[1:2]
	v_add_f64 v[3:4], v[134:135], v[3:4]
	v_mov_b32_e32 v131, s73
	s_mov_b32 s73, s74
	v_add_f64 v[1:2], v[1:2], v[136:137]
	v_add_f64 v[3:4], v[3:4], v[138:139]
	s_andn2_b32 exec_lo, exec_lo, s70
	s_cbranch_execnz .LBB124_319
; %bb.320:
	s_or_b32 exec_lo, exec_lo, s70
.LBB124_321:
	s_or_b32 exec_lo, exec_lo, s5
	v_and_b32_e32 v129, 7, v129
	s_mov_b32 s70, 0
	s_mov_b32 s5, exec_lo
	v_cmpx_ne_u32_e32 0, v129
	s_cbranch_execz .LBB124_325
; %bb.322:
	v_lshlrev_b32_e32 v131, 4, v131
	v_add_nc_u32_e32 v130, 0x3d0, v131
	.p2align	6
.LBB124_323:                            ; =>This Inner Loop Header: Depth=1
	s_clause 0x3
	buffer_load_dword v138, v131, s[0:3], 0 offen offset:8
	buffer_load_dword v139, v131, s[0:3], 0 offen offset:12
	buffer_load_dword v140, v131, s[0:3], 0 offen
	buffer_load_dword v141, v131, s[0:3], 0 offen offset:4
	ds_read_b128 v[134:137], v130
	v_add_nc_u32_e32 v129, -1, v129
	v_add_nc_u32_e32 v130, 16, v130
	v_add_nc_u32_e32 v131, 16, v131
	v_cmp_eq_u32_e32 vcc_lo, 0, v129
	s_or_b32 s70, vcc_lo, s70
	s_waitcnt vmcnt(2) lgkmcnt(0)
	v_mul_f64 v[142:143], v[136:137], v[138:139]
	v_mul_f64 v[138:139], v[134:135], v[138:139]
	s_waitcnt vmcnt(0)
	v_fma_f64 v[134:135], v[134:135], v[140:141], -v[142:143]
	v_fma_f64 v[136:137], v[136:137], v[140:141], v[138:139]
	v_add_f64 v[1:2], v[1:2], v[134:135]
	v_add_f64 v[3:4], v[3:4], v[136:137]
	s_andn2_b32 exec_lo, exec_lo, s70
	s_cbranch_execnz .LBB124_323
; %bb.324:
	s_or_b32 exec_lo, exec_lo, s70
.LBB124_325:
	s_or_b32 exec_lo, exec_lo, s5
.LBB124_326:
	s_or_b32 exec_lo, exec_lo, s8
	v_mov_b32_e32 v129, 0
	ds_read_b128 v[129:132], v129 offset:576
	s_waitcnt lgkmcnt(0)
	v_mul_f64 v[134:135], v[3:4], v[131:132]
	v_mul_f64 v[131:132], v[1:2], v[131:132]
	v_fma_f64 v[1:2], v[1:2], v[129:130], -v[134:135]
	v_fma_f64 v[3:4], v[3:4], v[129:130], v[131:132]
	buffer_store_dword v2, off, s[0:3], 0 offset:580
	buffer_store_dword v1, off, s[0:3], 0 offset:576
	;; [unrolled: 1-line block ×4, first 2 shown]
.LBB124_327:
	s_or_b32 exec_lo, exec_lo, s6
	v_mov_b32_e32 v4, s35
	v_cmp_lt_u32_e64 s5, 35, v0
	s_clause 0x3
	buffer_load_dword v1, v4, s[0:3], 0 offen
	buffer_load_dword v2, v4, s[0:3], 0 offen offset:4
	buffer_load_dword v3, v4, s[0:3], 0 offen offset:8
	;; [unrolled: 1-line block ×3, first 2 shown]
	s_waitcnt vmcnt(0)
	ds_write_b128 v128, v[1:4]
	s_waitcnt lgkmcnt(0)
	s_waitcnt_vscnt null, 0x0
	s_barrier
	buffer_gl0_inv
	s_and_saveexec_b32 s6, s5
	s_cbranch_execz .LBB124_341
; %bb.328:
	ds_read_b128 v[1:4], v128
	s_andn2_b32 vcc_lo, exec_lo, s7
	s_cbranch_vccnz .LBB124_330
; %bb.329:
	s_clause 0x3
	buffer_load_dword v129, v127, s[0:3], 0 offen offset:8
	buffer_load_dword v130, v127, s[0:3], 0 offen offset:12
	buffer_load_dword v131, v127, s[0:3], 0 offen
	buffer_load_dword v132, v127, s[0:3], 0 offen offset:4
	s_waitcnt vmcnt(2) lgkmcnt(0)
	v_mul_f64 v[134:135], v[3:4], v[129:130]
	v_mul_f64 v[129:130], v[1:2], v[129:130]
	s_waitcnt vmcnt(0)
	v_fma_f64 v[1:2], v[1:2], v[131:132], -v[134:135]
	v_fma_f64 v[3:4], v[3:4], v[131:132], v[129:130]
.LBB124_330:
	s_and_saveexec_b32 s8, s4
	s_cbranch_execz .LBB124_340
; %bb.331:
	v_subrev_nc_u32_e32 v130, 37, v0
	v_mov_b32_e32 v131, 36
	v_subrev_nc_u32_e32 v129, 36, v0
	s_mov_b32 s4, exec_lo
	v_cmpx_lt_u32_e32 6, v130
	s_cbranch_execz .LBB124_335
; %bb.332:
	v_and_b32_e32 v130, -8, v129
	s_movk_i32 s71, 0x610
	s_mov_b32 s70, 0
	s_mov_b32 s72, s34
	;; [unrolled: 1-line block ×3, first 2 shown]
.LBB124_333:                            ; =>This Inner Loop Header: Depth=1
	v_mov_b32_e32 v134, s72
	v_mov_b32_e32 v180, s71
	s_add_i32 s74, s73, 8
	s_add_i32 s73, s73, 44
	v_cmp_eq_u32_e32 vcc_lo, s74, v130
	s_clause 0x1f
	buffer_load_dword v131, v134, s[0:3], 0 offen offset:8
	buffer_load_dword v132, v134, s[0:3], 0 offen offset:12
	buffer_load_dword v142, v134, s[0:3], 0 offen
	buffer_load_dword v143, v134, s[0:3], 0 offen offset:4
	buffer_load_dword v144, v134, s[0:3], 0 offen offset:24
	;; [unrolled: 1-line block ×29, first 2 shown]
	ds_read_b128 v[134:137], v180
	ds_read_b128 v[138:141], v180 offset:16
	s_addk_i32 s71, 0x80
	s_addk_i32 s72, 0x80
	s_or_b32 s70, vcc_lo, s70
	s_waitcnt vmcnt(30) lgkmcnt(1)
	v_mul_f64 v[172:173], v[136:137], v[131:132]
	v_mul_f64 v[131:132], v[134:135], v[131:132]
	s_waitcnt vmcnt(26) lgkmcnt(0)
	v_mul_f64 v[174:175], v[140:141], v[144:145]
	v_mul_f64 v[176:177], v[138:139], v[144:145]
	v_fma_f64 v[172:173], v[134:135], v[142:143], -v[172:173]
	v_fma_f64 v[131:132], v[136:137], v[142:143], v[131:132]
	ds_read_b128 v[134:137], v180 offset:32
	ds_read_b128 v[142:145], v180 offset:48
	s_waitcnt vmcnt(24)
	v_fma_f64 v[138:139], v[138:139], v[146:147], -v[174:175]
	v_fma_f64 v[140:141], v[140:141], v[146:147], v[176:177]
	s_waitcnt vmcnt(22) lgkmcnt(1)
	v_mul_f64 v[178:179], v[136:137], v[148:149]
	v_mul_f64 v[148:149], v[134:135], v[148:149]
	v_add_f64 v[1:2], v[1:2], v[172:173]
	v_add_f64 v[3:4], v[3:4], v[131:132]
	s_waitcnt vmcnt(18) lgkmcnt(0)
	v_mul_f64 v[131:132], v[144:145], v[152:153]
	v_mul_f64 v[146:147], v[142:143], v[152:153]
	v_fma_f64 v[152:153], v[134:135], v[150:151], -v[178:179]
	v_fma_f64 v[148:149], v[136:137], v[150:151], v[148:149]
	v_add_f64 v[138:139], v[1:2], v[138:139]
	v_add_f64 v[140:141], v[3:4], v[140:141]
	ds_read_b128 v[1:4], v180 offset:64
	ds_read_b128 v[134:137], v180 offset:80
	s_waitcnt vmcnt(16)
	v_fma_f64 v[131:132], v[142:143], v[154:155], -v[131:132]
	v_fma_f64 v[142:143], v[144:145], v[154:155], v[146:147]
	s_waitcnt vmcnt(12) lgkmcnt(1)
	v_mul_f64 v[150:151], v[3:4], v[156:157]
	v_mul_f64 v[156:157], v[1:2], v[156:157]
	v_add_f64 v[138:139], v[138:139], v[152:153]
	v_add_f64 v[140:141], v[140:141], v[148:149]
	s_waitcnt vmcnt(10) lgkmcnt(0)
	v_mul_f64 v[144:145], v[136:137], v[158:159]
	v_mul_f64 v[146:147], v[134:135], v[158:159]
	s_waitcnt vmcnt(8)
	v_fma_f64 v[148:149], v[1:2], v[162:163], -v[150:151]
	v_fma_f64 v[150:151], v[3:4], v[162:163], v[156:157]
	v_add_f64 v[131:132], v[138:139], v[131:132]
	v_add_f64 v[142:143], v[140:141], v[142:143]
	ds_read_b128 v[1:4], v180 offset:96
	ds_read_b128 v[138:141], v180 offset:112
	v_fma_f64 v[134:135], v[134:135], v[160:161], -v[144:145]
	v_fma_f64 v[136:137], v[136:137], v[160:161], v[146:147]
	s_waitcnt vmcnt(4) lgkmcnt(1)
	v_mul_f64 v[152:153], v[3:4], v[164:165]
	v_mul_f64 v[154:155], v[1:2], v[164:165]
	v_add_f64 v[131:132], v[131:132], v[148:149]
	v_add_f64 v[142:143], v[142:143], v[150:151]
	s_waitcnt vmcnt(2) lgkmcnt(0)
	v_mul_f64 v[144:145], v[140:141], v[166:167]
	v_mul_f64 v[146:147], v[138:139], v[166:167]
	s_waitcnt vmcnt(0)
	v_fma_f64 v[1:2], v[1:2], v[170:171], -v[152:153]
	v_fma_f64 v[3:4], v[3:4], v[170:171], v[154:155]
	v_add_f64 v[131:132], v[131:132], v[134:135]
	v_add_f64 v[134:135], v[142:143], v[136:137]
	v_fma_f64 v[136:137], v[138:139], v[168:169], -v[144:145]
	v_fma_f64 v[138:139], v[140:141], v[168:169], v[146:147]
	v_add_f64 v[1:2], v[131:132], v[1:2]
	v_add_f64 v[3:4], v[134:135], v[3:4]
	v_mov_b32_e32 v131, s73
	s_mov_b32 s73, s74
	v_add_f64 v[1:2], v[1:2], v[136:137]
	v_add_f64 v[3:4], v[3:4], v[138:139]
	s_andn2_b32 exec_lo, exec_lo, s70
	s_cbranch_execnz .LBB124_333
; %bb.334:
	s_or_b32 exec_lo, exec_lo, s70
.LBB124_335:
	s_or_b32 exec_lo, exec_lo, s4
	v_and_b32_e32 v129, 7, v129
	s_mov_b32 s70, 0
	s_mov_b32 s4, exec_lo
	v_cmpx_ne_u32_e32 0, v129
	s_cbranch_execz .LBB124_339
; %bb.336:
	v_lshlrev_b32_e32 v131, 4, v131
	v_add_nc_u32_e32 v130, 0x3d0, v131
	.p2align	6
.LBB124_337:                            ; =>This Inner Loop Header: Depth=1
	s_clause 0x3
	buffer_load_dword v138, v131, s[0:3], 0 offen offset:8
	buffer_load_dword v139, v131, s[0:3], 0 offen offset:12
	buffer_load_dword v140, v131, s[0:3], 0 offen
	buffer_load_dword v141, v131, s[0:3], 0 offen offset:4
	ds_read_b128 v[134:137], v130
	v_add_nc_u32_e32 v129, -1, v129
	v_add_nc_u32_e32 v130, 16, v130
	v_add_nc_u32_e32 v131, 16, v131
	v_cmp_eq_u32_e32 vcc_lo, 0, v129
	s_or_b32 s70, vcc_lo, s70
	s_waitcnt vmcnt(2) lgkmcnt(0)
	v_mul_f64 v[142:143], v[136:137], v[138:139]
	v_mul_f64 v[138:139], v[134:135], v[138:139]
	s_waitcnt vmcnt(0)
	v_fma_f64 v[134:135], v[134:135], v[140:141], -v[142:143]
	v_fma_f64 v[136:137], v[136:137], v[140:141], v[138:139]
	v_add_f64 v[1:2], v[1:2], v[134:135]
	v_add_f64 v[3:4], v[3:4], v[136:137]
	s_andn2_b32 exec_lo, exec_lo, s70
	s_cbranch_execnz .LBB124_337
; %bb.338:
	s_or_b32 exec_lo, exec_lo, s70
.LBB124_339:
	s_or_b32 exec_lo, exec_lo, s4
.LBB124_340:
	s_or_b32 exec_lo, exec_lo, s8
	v_mov_b32_e32 v129, 0
	ds_read_b128 v[129:132], v129 offset:560
	s_waitcnt lgkmcnt(0)
	v_mul_f64 v[134:135], v[3:4], v[131:132]
	v_mul_f64 v[131:132], v[1:2], v[131:132]
	v_fma_f64 v[1:2], v[1:2], v[129:130], -v[134:135]
	v_fma_f64 v[3:4], v[3:4], v[129:130], v[131:132]
	buffer_store_dword v2, off, s[0:3], 0 offset:564
	buffer_store_dword v1, off, s[0:3], 0 offset:560
	;; [unrolled: 1-line block ×4, first 2 shown]
.LBB124_341:
	s_or_b32 exec_lo, exec_lo, s6
	v_mov_b32_e32 v4, s36
	v_cmp_lt_u32_e64 s4, 34, v0
	s_clause 0x3
	buffer_load_dword v1, v4, s[0:3], 0 offen
	buffer_load_dword v2, v4, s[0:3], 0 offen offset:4
	buffer_load_dword v3, v4, s[0:3], 0 offen offset:8
	;; [unrolled: 1-line block ×3, first 2 shown]
	s_waitcnt vmcnt(0)
	ds_write_b128 v128, v[1:4]
	s_waitcnt lgkmcnt(0)
	s_waitcnt_vscnt null, 0x0
	s_barrier
	buffer_gl0_inv
	s_and_saveexec_b32 s6, s4
	s_cbranch_execz .LBB124_355
; %bb.342:
	ds_read_b128 v[1:4], v128
	s_andn2_b32 vcc_lo, exec_lo, s7
	s_cbranch_vccnz .LBB124_344
; %bb.343:
	s_clause 0x3
	buffer_load_dword v129, v127, s[0:3], 0 offen offset:8
	buffer_load_dword v130, v127, s[0:3], 0 offen offset:12
	buffer_load_dword v131, v127, s[0:3], 0 offen
	buffer_load_dword v132, v127, s[0:3], 0 offen offset:4
	s_waitcnt vmcnt(2) lgkmcnt(0)
	v_mul_f64 v[134:135], v[3:4], v[129:130]
	v_mul_f64 v[129:130], v[1:2], v[129:130]
	s_waitcnt vmcnt(0)
	v_fma_f64 v[1:2], v[1:2], v[131:132], -v[134:135]
	v_fma_f64 v[3:4], v[3:4], v[131:132], v[129:130]
.LBB124_344:
	s_and_saveexec_b32 s8, s5
	s_cbranch_execz .LBB124_354
; %bb.345:
	v_subrev_nc_u32_e32 v130, 36, v0
	v_mov_b32_e32 v131, 35
	v_subrev_nc_u32_e32 v129, 35, v0
	s_mov_b32 s5, exec_lo
	v_cmpx_lt_u32_e32 6, v130
	s_cbranch_execz .LBB124_349
; %bb.346:
	v_and_b32_e32 v130, -8, v129
	s_movk_i32 s71, 0x600
	s_mov_b32 s70, 0
	s_mov_b32 s72, s35
	;; [unrolled: 1-line block ×3, first 2 shown]
.LBB124_347:                            ; =>This Inner Loop Header: Depth=1
	v_mov_b32_e32 v134, s72
	v_mov_b32_e32 v180, s71
	s_add_i32 s74, s73, 8
	s_add_i32 s73, s73, 43
	v_cmp_eq_u32_e32 vcc_lo, s74, v130
	s_clause 0x1f
	buffer_load_dword v131, v134, s[0:3], 0 offen offset:8
	buffer_load_dword v132, v134, s[0:3], 0 offen offset:12
	buffer_load_dword v142, v134, s[0:3], 0 offen
	buffer_load_dword v143, v134, s[0:3], 0 offen offset:4
	buffer_load_dword v144, v134, s[0:3], 0 offen offset:24
	;; [unrolled: 1-line block ×29, first 2 shown]
	ds_read_b128 v[134:137], v180
	ds_read_b128 v[138:141], v180 offset:16
	s_addk_i32 s71, 0x80
	s_addk_i32 s72, 0x80
	s_or_b32 s70, vcc_lo, s70
	s_waitcnt vmcnt(30) lgkmcnt(1)
	v_mul_f64 v[172:173], v[136:137], v[131:132]
	v_mul_f64 v[131:132], v[134:135], v[131:132]
	s_waitcnt vmcnt(26) lgkmcnt(0)
	v_mul_f64 v[174:175], v[140:141], v[144:145]
	v_mul_f64 v[176:177], v[138:139], v[144:145]
	v_fma_f64 v[172:173], v[134:135], v[142:143], -v[172:173]
	v_fma_f64 v[131:132], v[136:137], v[142:143], v[131:132]
	ds_read_b128 v[134:137], v180 offset:32
	ds_read_b128 v[142:145], v180 offset:48
	s_waitcnt vmcnt(24)
	v_fma_f64 v[138:139], v[138:139], v[146:147], -v[174:175]
	v_fma_f64 v[140:141], v[140:141], v[146:147], v[176:177]
	s_waitcnt vmcnt(22) lgkmcnt(1)
	v_mul_f64 v[178:179], v[136:137], v[148:149]
	v_mul_f64 v[148:149], v[134:135], v[148:149]
	v_add_f64 v[1:2], v[1:2], v[172:173]
	v_add_f64 v[3:4], v[3:4], v[131:132]
	s_waitcnt vmcnt(18) lgkmcnt(0)
	v_mul_f64 v[131:132], v[144:145], v[152:153]
	v_mul_f64 v[146:147], v[142:143], v[152:153]
	v_fma_f64 v[152:153], v[134:135], v[150:151], -v[178:179]
	v_fma_f64 v[148:149], v[136:137], v[150:151], v[148:149]
	v_add_f64 v[138:139], v[1:2], v[138:139]
	v_add_f64 v[140:141], v[3:4], v[140:141]
	ds_read_b128 v[1:4], v180 offset:64
	ds_read_b128 v[134:137], v180 offset:80
	s_waitcnt vmcnt(16)
	v_fma_f64 v[131:132], v[142:143], v[154:155], -v[131:132]
	v_fma_f64 v[142:143], v[144:145], v[154:155], v[146:147]
	s_waitcnt vmcnt(12) lgkmcnt(1)
	v_mul_f64 v[150:151], v[3:4], v[156:157]
	v_mul_f64 v[156:157], v[1:2], v[156:157]
	v_add_f64 v[138:139], v[138:139], v[152:153]
	v_add_f64 v[140:141], v[140:141], v[148:149]
	s_waitcnt vmcnt(10) lgkmcnt(0)
	v_mul_f64 v[144:145], v[136:137], v[158:159]
	v_mul_f64 v[146:147], v[134:135], v[158:159]
	s_waitcnt vmcnt(8)
	v_fma_f64 v[148:149], v[1:2], v[162:163], -v[150:151]
	v_fma_f64 v[150:151], v[3:4], v[162:163], v[156:157]
	v_add_f64 v[131:132], v[138:139], v[131:132]
	v_add_f64 v[142:143], v[140:141], v[142:143]
	ds_read_b128 v[1:4], v180 offset:96
	ds_read_b128 v[138:141], v180 offset:112
	v_fma_f64 v[134:135], v[134:135], v[160:161], -v[144:145]
	v_fma_f64 v[136:137], v[136:137], v[160:161], v[146:147]
	s_waitcnt vmcnt(4) lgkmcnt(1)
	v_mul_f64 v[152:153], v[3:4], v[164:165]
	v_mul_f64 v[154:155], v[1:2], v[164:165]
	v_add_f64 v[131:132], v[131:132], v[148:149]
	v_add_f64 v[142:143], v[142:143], v[150:151]
	s_waitcnt vmcnt(2) lgkmcnt(0)
	v_mul_f64 v[144:145], v[140:141], v[166:167]
	v_mul_f64 v[146:147], v[138:139], v[166:167]
	s_waitcnt vmcnt(0)
	v_fma_f64 v[1:2], v[1:2], v[170:171], -v[152:153]
	v_fma_f64 v[3:4], v[3:4], v[170:171], v[154:155]
	v_add_f64 v[131:132], v[131:132], v[134:135]
	v_add_f64 v[134:135], v[142:143], v[136:137]
	v_fma_f64 v[136:137], v[138:139], v[168:169], -v[144:145]
	v_fma_f64 v[138:139], v[140:141], v[168:169], v[146:147]
	v_add_f64 v[1:2], v[131:132], v[1:2]
	v_add_f64 v[3:4], v[134:135], v[3:4]
	v_mov_b32_e32 v131, s73
	s_mov_b32 s73, s74
	v_add_f64 v[1:2], v[1:2], v[136:137]
	v_add_f64 v[3:4], v[3:4], v[138:139]
	s_andn2_b32 exec_lo, exec_lo, s70
	s_cbranch_execnz .LBB124_347
; %bb.348:
	s_or_b32 exec_lo, exec_lo, s70
.LBB124_349:
	s_or_b32 exec_lo, exec_lo, s5
	v_and_b32_e32 v129, 7, v129
	s_mov_b32 s70, 0
	s_mov_b32 s5, exec_lo
	v_cmpx_ne_u32_e32 0, v129
	s_cbranch_execz .LBB124_353
; %bb.350:
	v_lshlrev_b32_e32 v131, 4, v131
	v_add_nc_u32_e32 v130, 0x3d0, v131
	.p2align	6
.LBB124_351:                            ; =>This Inner Loop Header: Depth=1
	s_clause 0x3
	buffer_load_dword v138, v131, s[0:3], 0 offen offset:8
	buffer_load_dword v139, v131, s[0:3], 0 offen offset:12
	buffer_load_dword v140, v131, s[0:3], 0 offen
	buffer_load_dword v141, v131, s[0:3], 0 offen offset:4
	ds_read_b128 v[134:137], v130
	v_add_nc_u32_e32 v129, -1, v129
	v_add_nc_u32_e32 v130, 16, v130
	v_add_nc_u32_e32 v131, 16, v131
	v_cmp_eq_u32_e32 vcc_lo, 0, v129
	s_or_b32 s70, vcc_lo, s70
	s_waitcnt vmcnt(2) lgkmcnt(0)
	v_mul_f64 v[142:143], v[136:137], v[138:139]
	v_mul_f64 v[138:139], v[134:135], v[138:139]
	s_waitcnt vmcnt(0)
	v_fma_f64 v[134:135], v[134:135], v[140:141], -v[142:143]
	v_fma_f64 v[136:137], v[136:137], v[140:141], v[138:139]
	v_add_f64 v[1:2], v[1:2], v[134:135]
	v_add_f64 v[3:4], v[3:4], v[136:137]
	s_andn2_b32 exec_lo, exec_lo, s70
	s_cbranch_execnz .LBB124_351
; %bb.352:
	s_or_b32 exec_lo, exec_lo, s70
.LBB124_353:
	s_or_b32 exec_lo, exec_lo, s5
.LBB124_354:
	s_or_b32 exec_lo, exec_lo, s8
	v_mov_b32_e32 v129, 0
	ds_read_b128 v[129:132], v129 offset:544
	s_waitcnt lgkmcnt(0)
	v_mul_f64 v[134:135], v[3:4], v[131:132]
	v_mul_f64 v[131:132], v[1:2], v[131:132]
	v_fma_f64 v[1:2], v[1:2], v[129:130], -v[134:135]
	v_fma_f64 v[3:4], v[3:4], v[129:130], v[131:132]
	buffer_store_dword v2, off, s[0:3], 0 offset:548
	buffer_store_dword v1, off, s[0:3], 0 offset:544
	;; [unrolled: 1-line block ×4, first 2 shown]
.LBB124_355:
	s_or_b32 exec_lo, exec_lo, s6
	v_mov_b32_e32 v4, s37
	v_cmp_lt_u32_e64 s5, 33, v0
	s_clause 0x3
	buffer_load_dword v1, v4, s[0:3], 0 offen
	buffer_load_dword v2, v4, s[0:3], 0 offen offset:4
	buffer_load_dword v3, v4, s[0:3], 0 offen offset:8
	;; [unrolled: 1-line block ×3, first 2 shown]
	s_waitcnt vmcnt(0)
	ds_write_b128 v128, v[1:4]
	s_waitcnt lgkmcnt(0)
	s_waitcnt_vscnt null, 0x0
	s_barrier
	buffer_gl0_inv
	s_and_saveexec_b32 s6, s5
	s_cbranch_execz .LBB124_369
; %bb.356:
	ds_read_b128 v[1:4], v128
	s_andn2_b32 vcc_lo, exec_lo, s7
	s_cbranch_vccnz .LBB124_358
; %bb.357:
	s_clause 0x3
	buffer_load_dword v129, v127, s[0:3], 0 offen offset:8
	buffer_load_dword v130, v127, s[0:3], 0 offen offset:12
	buffer_load_dword v131, v127, s[0:3], 0 offen
	buffer_load_dword v132, v127, s[0:3], 0 offen offset:4
	s_waitcnt vmcnt(2) lgkmcnt(0)
	v_mul_f64 v[134:135], v[3:4], v[129:130]
	v_mul_f64 v[129:130], v[1:2], v[129:130]
	s_waitcnt vmcnt(0)
	v_fma_f64 v[1:2], v[1:2], v[131:132], -v[134:135]
	v_fma_f64 v[3:4], v[3:4], v[131:132], v[129:130]
.LBB124_358:
	s_and_saveexec_b32 s8, s4
	s_cbranch_execz .LBB124_368
; %bb.359:
	v_subrev_nc_u32_e32 v130, 35, v0
	v_mov_b32_e32 v131, 34
	v_subrev_nc_u32_e32 v129, 34, v0
	s_mov_b32 s4, exec_lo
	v_cmpx_lt_u32_e32 6, v130
	s_cbranch_execz .LBB124_363
; %bb.360:
	v_and_b32_e32 v130, -8, v129
	s_movk_i32 s71, 0x5f0
	s_mov_b32 s70, 0
	s_mov_b32 s72, s36
	;; [unrolled: 1-line block ×3, first 2 shown]
.LBB124_361:                            ; =>This Inner Loop Header: Depth=1
	v_mov_b32_e32 v134, s72
	v_mov_b32_e32 v180, s71
	s_add_i32 s74, s73, 8
	s_add_i32 s73, s73, 42
	v_cmp_eq_u32_e32 vcc_lo, s74, v130
	s_clause 0x1f
	buffer_load_dword v131, v134, s[0:3], 0 offen offset:8
	buffer_load_dword v132, v134, s[0:3], 0 offen offset:12
	buffer_load_dword v142, v134, s[0:3], 0 offen
	buffer_load_dword v143, v134, s[0:3], 0 offen offset:4
	buffer_load_dword v144, v134, s[0:3], 0 offen offset:24
	;; [unrolled: 1-line block ×29, first 2 shown]
	ds_read_b128 v[134:137], v180
	ds_read_b128 v[138:141], v180 offset:16
	s_addk_i32 s71, 0x80
	s_addk_i32 s72, 0x80
	s_or_b32 s70, vcc_lo, s70
	s_waitcnt vmcnt(30) lgkmcnt(1)
	v_mul_f64 v[172:173], v[136:137], v[131:132]
	v_mul_f64 v[131:132], v[134:135], v[131:132]
	s_waitcnt vmcnt(26) lgkmcnt(0)
	v_mul_f64 v[174:175], v[140:141], v[144:145]
	v_mul_f64 v[176:177], v[138:139], v[144:145]
	v_fma_f64 v[172:173], v[134:135], v[142:143], -v[172:173]
	v_fma_f64 v[131:132], v[136:137], v[142:143], v[131:132]
	ds_read_b128 v[134:137], v180 offset:32
	ds_read_b128 v[142:145], v180 offset:48
	s_waitcnt vmcnt(24)
	v_fma_f64 v[138:139], v[138:139], v[146:147], -v[174:175]
	v_fma_f64 v[140:141], v[140:141], v[146:147], v[176:177]
	s_waitcnt vmcnt(22) lgkmcnt(1)
	v_mul_f64 v[178:179], v[136:137], v[148:149]
	v_mul_f64 v[148:149], v[134:135], v[148:149]
	v_add_f64 v[1:2], v[1:2], v[172:173]
	v_add_f64 v[3:4], v[3:4], v[131:132]
	s_waitcnt vmcnt(18) lgkmcnt(0)
	v_mul_f64 v[131:132], v[144:145], v[152:153]
	v_mul_f64 v[146:147], v[142:143], v[152:153]
	v_fma_f64 v[152:153], v[134:135], v[150:151], -v[178:179]
	v_fma_f64 v[148:149], v[136:137], v[150:151], v[148:149]
	v_add_f64 v[138:139], v[1:2], v[138:139]
	v_add_f64 v[140:141], v[3:4], v[140:141]
	ds_read_b128 v[1:4], v180 offset:64
	ds_read_b128 v[134:137], v180 offset:80
	s_waitcnt vmcnt(16)
	v_fma_f64 v[131:132], v[142:143], v[154:155], -v[131:132]
	v_fma_f64 v[142:143], v[144:145], v[154:155], v[146:147]
	s_waitcnt vmcnt(12) lgkmcnt(1)
	v_mul_f64 v[150:151], v[3:4], v[156:157]
	v_mul_f64 v[156:157], v[1:2], v[156:157]
	v_add_f64 v[138:139], v[138:139], v[152:153]
	v_add_f64 v[140:141], v[140:141], v[148:149]
	s_waitcnt vmcnt(10) lgkmcnt(0)
	v_mul_f64 v[144:145], v[136:137], v[158:159]
	v_mul_f64 v[146:147], v[134:135], v[158:159]
	s_waitcnt vmcnt(8)
	v_fma_f64 v[148:149], v[1:2], v[162:163], -v[150:151]
	v_fma_f64 v[150:151], v[3:4], v[162:163], v[156:157]
	v_add_f64 v[131:132], v[138:139], v[131:132]
	v_add_f64 v[142:143], v[140:141], v[142:143]
	ds_read_b128 v[1:4], v180 offset:96
	ds_read_b128 v[138:141], v180 offset:112
	v_fma_f64 v[134:135], v[134:135], v[160:161], -v[144:145]
	v_fma_f64 v[136:137], v[136:137], v[160:161], v[146:147]
	s_waitcnt vmcnt(4) lgkmcnt(1)
	v_mul_f64 v[152:153], v[3:4], v[164:165]
	v_mul_f64 v[154:155], v[1:2], v[164:165]
	v_add_f64 v[131:132], v[131:132], v[148:149]
	v_add_f64 v[142:143], v[142:143], v[150:151]
	s_waitcnt vmcnt(2) lgkmcnt(0)
	v_mul_f64 v[144:145], v[140:141], v[166:167]
	v_mul_f64 v[146:147], v[138:139], v[166:167]
	s_waitcnt vmcnt(0)
	v_fma_f64 v[1:2], v[1:2], v[170:171], -v[152:153]
	v_fma_f64 v[3:4], v[3:4], v[170:171], v[154:155]
	v_add_f64 v[131:132], v[131:132], v[134:135]
	v_add_f64 v[134:135], v[142:143], v[136:137]
	v_fma_f64 v[136:137], v[138:139], v[168:169], -v[144:145]
	v_fma_f64 v[138:139], v[140:141], v[168:169], v[146:147]
	v_add_f64 v[1:2], v[131:132], v[1:2]
	v_add_f64 v[3:4], v[134:135], v[3:4]
	v_mov_b32_e32 v131, s73
	s_mov_b32 s73, s74
	v_add_f64 v[1:2], v[1:2], v[136:137]
	v_add_f64 v[3:4], v[3:4], v[138:139]
	s_andn2_b32 exec_lo, exec_lo, s70
	s_cbranch_execnz .LBB124_361
; %bb.362:
	s_or_b32 exec_lo, exec_lo, s70
.LBB124_363:
	s_or_b32 exec_lo, exec_lo, s4
	v_and_b32_e32 v129, 7, v129
	s_mov_b32 s70, 0
	s_mov_b32 s4, exec_lo
	v_cmpx_ne_u32_e32 0, v129
	s_cbranch_execz .LBB124_367
; %bb.364:
	v_lshlrev_b32_e32 v131, 4, v131
	v_add_nc_u32_e32 v130, 0x3d0, v131
	.p2align	6
.LBB124_365:                            ; =>This Inner Loop Header: Depth=1
	s_clause 0x3
	buffer_load_dword v138, v131, s[0:3], 0 offen offset:8
	buffer_load_dword v139, v131, s[0:3], 0 offen offset:12
	buffer_load_dword v140, v131, s[0:3], 0 offen
	buffer_load_dword v141, v131, s[0:3], 0 offen offset:4
	ds_read_b128 v[134:137], v130
	v_add_nc_u32_e32 v129, -1, v129
	v_add_nc_u32_e32 v130, 16, v130
	v_add_nc_u32_e32 v131, 16, v131
	v_cmp_eq_u32_e32 vcc_lo, 0, v129
	s_or_b32 s70, vcc_lo, s70
	s_waitcnt vmcnt(2) lgkmcnt(0)
	v_mul_f64 v[142:143], v[136:137], v[138:139]
	v_mul_f64 v[138:139], v[134:135], v[138:139]
	s_waitcnt vmcnt(0)
	v_fma_f64 v[134:135], v[134:135], v[140:141], -v[142:143]
	v_fma_f64 v[136:137], v[136:137], v[140:141], v[138:139]
	v_add_f64 v[1:2], v[1:2], v[134:135]
	v_add_f64 v[3:4], v[3:4], v[136:137]
	s_andn2_b32 exec_lo, exec_lo, s70
	s_cbranch_execnz .LBB124_365
; %bb.366:
	s_or_b32 exec_lo, exec_lo, s70
.LBB124_367:
	s_or_b32 exec_lo, exec_lo, s4
.LBB124_368:
	s_or_b32 exec_lo, exec_lo, s8
	v_mov_b32_e32 v129, 0
	ds_read_b128 v[129:132], v129 offset:528
	s_waitcnt lgkmcnt(0)
	v_mul_f64 v[134:135], v[3:4], v[131:132]
	v_mul_f64 v[131:132], v[1:2], v[131:132]
	v_fma_f64 v[1:2], v[1:2], v[129:130], -v[134:135]
	v_fma_f64 v[3:4], v[3:4], v[129:130], v[131:132]
	buffer_store_dword v2, off, s[0:3], 0 offset:532
	buffer_store_dword v1, off, s[0:3], 0 offset:528
	;; [unrolled: 1-line block ×4, first 2 shown]
.LBB124_369:
	s_or_b32 exec_lo, exec_lo, s6
	v_mov_b32_e32 v4, s38
	v_cmp_lt_u32_e64 s4, 32, v0
	s_clause 0x3
	buffer_load_dword v1, v4, s[0:3], 0 offen
	buffer_load_dword v2, v4, s[0:3], 0 offen offset:4
	buffer_load_dword v3, v4, s[0:3], 0 offen offset:8
	;; [unrolled: 1-line block ×3, first 2 shown]
	s_waitcnt vmcnt(0)
	ds_write_b128 v128, v[1:4]
	s_waitcnt lgkmcnt(0)
	s_waitcnt_vscnt null, 0x0
	s_barrier
	buffer_gl0_inv
	s_and_saveexec_b32 s6, s4
	s_cbranch_execz .LBB124_383
; %bb.370:
	ds_read_b128 v[1:4], v128
	s_andn2_b32 vcc_lo, exec_lo, s7
	s_cbranch_vccnz .LBB124_372
; %bb.371:
	s_clause 0x3
	buffer_load_dword v129, v127, s[0:3], 0 offen offset:8
	buffer_load_dword v130, v127, s[0:3], 0 offen offset:12
	buffer_load_dword v131, v127, s[0:3], 0 offen
	buffer_load_dword v132, v127, s[0:3], 0 offen offset:4
	s_waitcnt vmcnt(2) lgkmcnt(0)
	v_mul_f64 v[134:135], v[3:4], v[129:130]
	v_mul_f64 v[129:130], v[1:2], v[129:130]
	s_waitcnt vmcnt(0)
	v_fma_f64 v[1:2], v[1:2], v[131:132], -v[134:135]
	v_fma_f64 v[3:4], v[3:4], v[131:132], v[129:130]
.LBB124_372:
	s_and_saveexec_b32 s8, s5
	s_cbranch_execz .LBB124_382
; %bb.373:
	v_subrev_nc_u32_e32 v130, 34, v0
	v_mov_b32_e32 v131, 33
	v_subrev_nc_u32_e32 v129, 33, v0
	s_mov_b32 s5, exec_lo
	v_cmpx_lt_u32_e32 6, v130
	s_cbranch_execz .LBB124_377
; %bb.374:
	v_and_b32_e32 v130, -8, v129
	s_movk_i32 s71, 0x5e0
	s_mov_b32 s70, 0
	s_mov_b32 s72, s37
	;; [unrolled: 1-line block ×3, first 2 shown]
.LBB124_375:                            ; =>This Inner Loop Header: Depth=1
	v_mov_b32_e32 v134, s72
	v_mov_b32_e32 v180, s71
	s_add_i32 s74, s73, 8
	s_add_i32 s73, s73, 41
	v_cmp_eq_u32_e32 vcc_lo, s74, v130
	s_clause 0x1f
	buffer_load_dword v131, v134, s[0:3], 0 offen offset:8
	buffer_load_dword v132, v134, s[0:3], 0 offen offset:12
	buffer_load_dword v142, v134, s[0:3], 0 offen
	buffer_load_dword v143, v134, s[0:3], 0 offen offset:4
	buffer_load_dword v144, v134, s[0:3], 0 offen offset:24
	;; [unrolled: 1-line block ×29, first 2 shown]
	ds_read_b128 v[134:137], v180
	ds_read_b128 v[138:141], v180 offset:16
	s_addk_i32 s71, 0x80
	s_addk_i32 s72, 0x80
	s_or_b32 s70, vcc_lo, s70
	s_waitcnt vmcnt(30) lgkmcnt(1)
	v_mul_f64 v[172:173], v[136:137], v[131:132]
	v_mul_f64 v[131:132], v[134:135], v[131:132]
	s_waitcnt vmcnt(26) lgkmcnt(0)
	v_mul_f64 v[174:175], v[140:141], v[144:145]
	v_mul_f64 v[176:177], v[138:139], v[144:145]
	v_fma_f64 v[172:173], v[134:135], v[142:143], -v[172:173]
	v_fma_f64 v[131:132], v[136:137], v[142:143], v[131:132]
	ds_read_b128 v[134:137], v180 offset:32
	ds_read_b128 v[142:145], v180 offset:48
	s_waitcnt vmcnt(24)
	v_fma_f64 v[138:139], v[138:139], v[146:147], -v[174:175]
	v_fma_f64 v[140:141], v[140:141], v[146:147], v[176:177]
	s_waitcnt vmcnt(22) lgkmcnt(1)
	v_mul_f64 v[178:179], v[136:137], v[148:149]
	v_mul_f64 v[148:149], v[134:135], v[148:149]
	v_add_f64 v[1:2], v[1:2], v[172:173]
	v_add_f64 v[3:4], v[3:4], v[131:132]
	s_waitcnt vmcnt(18) lgkmcnt(0)
	v_mul_f64 v[131:132], v[144:145], v[152:153]
	v_mul_f64 v[146:147], v[142:143], v[152:153]
	v_fma_f64 v[152:153], v[134:135], v[150:151], -v[178:179]
	v_fma_f64 v[148:149], v[136:137], v[150:151], v[148:149]
	v_add_f64 v[138:139], v[1:2], v[138:139]
	v_add_f64 v[140:141], v[3:4], v[140:141]
	ds_read_b128 v[1:4], v180 offset:64
	ds_read_b128 v[134:137], v180 offset:80
	s_waitcnt vmcnt(16)
	v_fma_f64 v[131:132], v[142:143], v[154:155], -v[131:132]
	v_fma_f64 v[142:143], v[144:145], v[154:155], v[146:147]
	s_waitcnt vmcnt(12) lgkmcnt(1)
	v_mul_f64 v[150:151], v[3:4], v[156:157]
	v_mul_f64 v[156:157], v[1:2], v[156:157]
	v_add_f64 v[138:139], v[138:139], v[152:153]
	v_add_f64 v[140:141], v[140:141], v[148:149]
	s_waitcnt vmcnt(10) lgkmcnt(0)
	v_mul_f64 v[144:145], v[136:137], v[158:159]
	v_mul_f64 v[146:147], v[134:135], v[158:159]
	s_waitcnt vmcnt(8)
	v_fma_f64 v[148:149], v[1:2], v[162:163], -v[150:151]
	v_fma_f64 v[150:151], v[3:4], v[162:163], v[156:157]
	v_add_f64 v[131:132], v[138:139], v[131:132]
	v_add_f64 v[142:143], v[140:141], v[142:143]
	ds_read_b128 v[1:4], v180 offset:96
	ds_read_b128 v[138:141], v180 offset:112
	v_fma_f64 v[134:135], v[134:135], v[160:161], -v[144:145]
	v_fma_f64 v[136:137], v[136:137], v[160:161], v[146:147]
	s_waitcnt vmcnt(4) lgkmcnt(1)
	v_mul_f64 v[152:153], v[3:4], v[164:165]
	v_mul_f64 v[154:155], v[1:2], v[164:165]
	v_add_f64 v[131:132], v[131:132], v[148:149]
	v_add_f64 v[142:143], v[142:143], v[150:151]
	s_waitcnt vmcnt(2) lgkmcnt(0)
	v_mul_f64 v[144:145], v[140:141], v[166:167]
	v_mul_f64 v[146:147], v[138:139], v[166:167]
	s_waitcnt vmcnt(0)
	v_fma_f64 v[1:2], v[1:2], v[170:171], -v[152:153]
	v_fma_f64 v[3:4], v[3:4], v[170:171], v[154:155]
	v_add_f64 v[131:132], v[131:132], v[134:135]
	v_add_f64 v[134:135], v[142:143], v[136:137]
	v_fma_f64 v[136:137], v[138:139], v[168:169], -v[144:145]
	v_fma_f64 v[138:139], v[140:141], v[168:169], v[146:147]
	v_add_f64 v[1:2], v[131:132], v[1:2]
	v_add_f64 v[3:4], v[134:135], v[3:4]
	v_mov_b32_e32 v131, s73
	s_mov_b32 s73, s74
	v_add_f64 v[1:2], v[1:2], v[136:137]
	v_add_f64 v[3:4], v[3:4], v[138:139]
	s_andn2_b32 exec_lo, exec_lo, s70
	s_cbranch_execnz .LBB124_375
; %bb.376:
	s_or_b32 exec_lo, exec_lo, s70
.LBB124_377:
	s_or_b32 exec_lo, exec_lo, s5
	v_and_b32_e32 v129, 7, v129
	s_mov_b32 s70, 0
	s_mov_b32 s5, exec_lo
	v_cmpx_ne_u32_e32 0, v129
	s_cbranch_execz .LBB124_381
; %bb.378:
	v_lshlrev_b32_e32 v131, 4, v131
	v_add_nc_u32_e32 v130, 0x3d0, v131
	.p2align	6
.LBB124_379:                            ; =>This Inner Loop Header: Depth=1
	s_clause 0x3
	buffer_load_dword v138, v131, s[0:3], 0 offen offset:8
	buffer_load_dword v139, v131, s[0:3], 0 offen offset:12
	buffer_load_dword v140, v131, s[0:3], 0 offen
	buffer_load_dword v141, v131, s[0:3], 0 offen offset:4
	ds_read_b128 v[134:137], v130
	v_add_nc_u32_e32 v129, -1, v129
	v_add_nc_u32_e32 v130, 16, v130
	v_add_nc_u32_e32 v131, 16, v131
	v_cmp_eq_u32_e32 vcc_lo, 0, v129
	s_or_b32 s70, vcc_lo, s70
	s_waitcnt vmcnt(2) lgkmcnt(0)
	v_mul_f64 v[142:143], v[136:137], v[138:139]
	v_mul_f64 v[138:139], v[134:135], v[138:139]
	s_waitcnt vmcnt(0)
	v_fma_f64 v[134:135], v[134:135], v[140:141], -v[142:143]
	v_fma_f64 v[136:137], v[136:137], v[140:141], v[138:139]
	v_add_f64 v[1:2], v[1:2], v[134:135]
	v_add_f64 v[3:4], v[3:4], v[136:137]
	s_andn2_b32 exec_lo, exec_lo, s70
	s_cbranch_execnz .LBB124_379
; %bb.380:
	s_or_b32 exec_lo, exec_lo, s70
.LBB124_381:
	s_or_b32 exec_lo, exec_lo, s5
.LBB124_382:
	s_or_b32 exec_lo, exec_lo, s8
	v_mov_b32_e32 v129, 0
	ds_read_b128 v[129:132], v129 offset:512
	s_waitcnt lgkmcnt(0)
	v_mul_f64 v[134:135], v[3:4], v[131:132]
	v_mul_f64 v[131:132], v[1:2], v[131:132]
	v_fma_f64 v[1:2], v[1:2], v[129:130], -v[134:135]
	v_fma_f64 v[3:4], v[3:4], v[129:130], v[131:132]
	buffer_store_dword v2, off, s[0:3], 0 offset:516
	buffer_store_dword v1, off, s[0:3], 0 offset:512
	;; [unrolled: 1-line block ×4, first 2 shown]
.LBB124_383:
	s_or_b32 exec_lo, exec_lo, s6
	v_mov_b32_e32 v4, s39
	v_cmp_lt_u32_e64 s5, 31, v0
	s_clause 0x3
	buffer_load_dword v1, v4, s[0:3], 0 offen
	buffer_load_dword v2, v4, s[0:3], 0 offen offset:4
	buffer_load_dword v3, v4, s[0:3], 0 offen offset:8
	;; [unrolled: 1-line block ×3, first 2 shown]
	s_waitcnt vmcnt(0)
	ds_write_b128 v128, v[1:4]
	s_waitcnt lgkmcnt(0)
	s_waitcnt_vscnt null, 0x0
	s_barrier
	buffer_gl0_inv
	s_and_saveexec_b32 s6, s5
	s_cbranch_execz .LBB124_397
; %bb.384:
	ds_read_b128 v[1:4], v128
	s_andn2_b32 vcc_lo, exec_lo, s7
	s_cbranch_vccnz .LBB124_386
; %bb.385:
	s_clause 0x3
	buffer_load_dword v129, v127, s[0:3], 0 offen offset:8
	buffer_load_dword v130, v127, s[0:3], 0 offen offset:12
	buffer_load_dword v131, v127, s[0:3], 0 offen
	buffer_load_dword v132, v127, s[0:3], 0 offen offset:4
	s_waitcnt vmcnt(2) lgkmcnt(0)
	v_mul_f64 v[134:135], v[3:4], v[129:130]
	v_mul_f64 v[129:130], v[1:2], v[129:130]
	s_waitcnt vmcnt(0)
	v_fma_f64 v[1:2], v[1:2], v[131:132], -v[134:135]
	v_fma_f64 v[3:4], v[3:4], v[131:132], v[129:130]
.LBB124_386:
	s_and_saveexec_b32 s8, s4
	s_cbranch_execz .LBB124_396
; %bb.387:
	v_subrev_nc_u32_e32 v129, 33, v0
	v_cmp_lt_u32_e32 vcc_lo, 6, v129
	v_mov_b32_e32 v129, 32
	s_and_saveexec_b32 s4, vcc_lo
	s_cbranch_execz .LBB124_391
; %bb.388:
	v_and_b32_e32 v129, 56, v0
	s_mov_b32 s70, 32
	s_movk_i32 s72, 0x5d0
	s_mov_b32 s71, 0
	s_mov_b32 s73, s38
.LBB124_389:                            ; =>This Inner Loop Header: Depth=1
	v_mov_b32_e32 v132, s73
	s_add_i32 s70, s70, 8
	s_addk_i32 s73, 0x80
	v_cmp_eq_u32_e32 vcc_lo, s70, v129
	s_clause 0x1f
	buffer_load_dword v130, v132, s[0:3], 0 offen offset:8
	buffer_load_dword v131, v132, s[0:3], 0 offen offset:12
	buffer_load_dword v142, v132, s[0:3], 0 offen
	buffer_load_dword v143, v132, s[0:3], 0 offen offset:4
	buffer_load_dword v144, v132, s[0:3], 0 offen offset:24
	;; [unrolled: 1-line block ×29, first 2 shown]
	v_mov_b32_e32 v132, s72
	s_addk_i32 s72, 0x80
	s_or_b32 s71, vcc_lo, s71
	ds_read_b128 v[134:137], v132
	ds_read_b128 v[138:141], v132 offset:16
	s_waitcnt vmcnt(30) lgkmcnt(1)
	v_mul_f64 v[172:173], v[136:137], v[130:131]
	v_mul_f64 v[130:131], v[134:135], v[130:131]
	s_waitcnt vmcnt(26) lgkmcnt(0)
	v_mul_f64 v[174:175], v[140:141], v[144:145]
	v_mul_f64 v[176:177], v[138:139], v[144:145]
	v_fma_f64 v[172:173], v[134:135], v[142:143], -v[172:173]
	v_fma_f64 v[130:131], v[136:137], v[142:143], v[130:131]
	ds_read_b128 v[134:137], v132 offset:32
	ds_read_b128 v[142:145], v132 offset:48
	s_waitcnt vmcnt(24)
	v_fma_f64 v[138:139], v[138:139], v[146:147], -v[174:175]
	v_fma_f64 v[140:141], v[140:141], v[146:147], v[176:177]
	s_waitcnt vmcnt(22) lgkmcnt(1)
	v_mul_f64 v[178:179], v[136:137], v[148:149]
	v_mul_f64 v[148:149], v[134:135], v[148:149]
	v_add_f64 v[1:2], v[1:2], v[172:173]
	v_add_f64 v[3:4], v[3:4], v[130:131]
	s_waitcnt vmcnt(18) lgkmcnt(0)
	v_mul_f64 v[130:131], v[144:145], v[152:153]
	v_mul_f64 v[146:147], v[142:143], v[152:153]
	v_fma_f64 v[152:153], v[134:135], v[150:151], -v[178:179]
	v_fma_f64 v[148:149], v[136:137], v[150:151], v[148:149]
	v_add_f64 v[138:139], v[1:2], v[138:139]
	v_add_f64 v[140:141], v[3:4], v[140:141]
	ds_read_b128 v[1:4], v132 offset:64
	ds_read_b128 v[134:137], v132 offset:80
	s_waitcnt vmcnt(16)
	v_fma_f64 v[130:131], v[142:143], v[154:155], -v[130:131]
	v_fma_f64 v[142:143], v[144:145], v[154:155], v[146:147]
	s_waitcnt vmcnt(12) lgkmcnt(1)
	v_mul_f64 v[150:151], v[3:4], v[156:157]
	v_mul_f64 v[156:157], v[1:2], v[156:157]
	v_add_f64 v[138:139], v[138:139], v[152:153]
	v_add_f64 v[140:141], v[140:141], v[148:149]
	s_waitcnt vmcnt(10) lgkmcnt(0)
	v_mul_f64 v[144:145], v[136:137], v[158:159]
	v_mul_f64 v[146:147], v[134:135], v[158:159]
	s_waitcnt vmcnt(8)
	v_fma_f64 v[148:149], v[1:2], v[162:163], -v[150:151]
	v_fma_f64 v[150:151], v[3:4], v[162:163], v[156:157]
	v_add_f64 v[130:131], v[138:139], v[130:131]
	v_add_f64 v[142:143], v[140:141], v[142:143]
	ds_read_b128 v[1:4], v132 offset:96
	ds_read_b128 v[138:141], v132 offset:112
	v_fma_f64 v[134:135], v[134:135], v[160:161], -v[144:145]
	v_fma_f64 v[136:137], v[136:137], v[160:161], v[146:147]
	s_waitcnt vmcnt(4) lgkmcnt(1)
	v_mul_f64 v[152:153], v[3:4], v[164:165]
	v_mul_f64 v[154:155], v[1:2], v[164:165]
	v_add_f64 v[130:131], v[130:131], v[148:149]
	v_add_f64 v[142:143], v[142:143], v[150:151]
	s_waitcnt vmcnt(2) lgkmcnt(0)
	v_mul_f64 v[144:145], v[140:141], v[166:167]
	v_mul_f64 v[146:147], v[138:139], v[166:167]
	s_waitcnt vmcnt(0)
	v_fma_f64 v[1:2], v[1:2], v[170:171], -v[152:153]
	v_fma_f64 v[3:4], v[3:4], v[170:171], v[154:155]
	v_add_f64 v[130:131], v[130:131], v[134:135]
	v_add_f64 v[134:135], v[142:143], v[136:137]
	v_fma_f64 v[136:137], v[138:139], v[168:169], -v[144:145]
	v_fma_f64 v[138:139], v[140:141], v[168:169], v[146:147]
	v_add_f64 v[1:2], v[130:131], v[1:2]
	v_add_f64 v[3:4], v[134:135], v[3:4]
	;; [unrolled: 1-line block ×4, first 2 shown]
	s_andn2_b32 exec_lo, exec_lo, s71
	s_cbranch_execnz .LBB124_389
; %bb.390:
	s_or_b32 exec_lo, exec_lo, s71
.LBB124_391:
	s_or_b32 exec_lo, exec_lo, s4
	v_and_b32_e32 v130, 7, v0
	s_mov_b32 s70, 0
	s_mov_b32 s4, exec_lo
	v_cmpx_ne_u32_e32 0, v130
	s_cbranch_execz .LBB124_395
; %bb.392:
	v_lshlrev_b32_e32 v131, 4, v129
	v_add_nc_u32_e32 v129, 0x3d0, v131
	.p2align	6
.LBB124_393:                            ; =>This Inner Loop Header: Depth=1
	s_clause 0x3
	buffer_load_dword v138, v131, s[0:3], 0 offen offset:8
	buffer_load_dword v139, v131, s[0:3], 0 offen offset:12
	buffer_load_dword v140, v131, s[0:3], 0 offen
	buffer_load_dword v141, v131, s[0:3], 0 offen offset:4
	ds_read_b128 v[134:137], v129
	v_add_nc_u32_e32 v130, -1, v130
	v_add_nc_u32_e32 v129, 16, v129
	v_add_nc_u32_e32 v131, 16, v131
	v_cmp_eq_u32_e32 vcc_lo, 0, v130
	s_or_b32 s70, vcc_lo, s70
	s_waitcnt vmcnt(2) lgkmcnt(0)
	v_mul_f64 v[142:143], v[136:137], v[138:139]
	v_mul_f64 v[138:139], v[134:135], v[138:139]
	s_waitcnt vmcnt(0)
	v_fma_f64 v[134:135], v[134:135], v[140:141], -v[142:143]
	v_fma_f64 v[136:137], v[136:137], v[140:141], v[138:139]
	v_add_f64 v[1:2], v[1:2], v[134:135]
	v_add_f64 v[3:4], v[3:4], v[136:137]
	s_andn2_b32 exec_lo, exec_lo, s70
	s_cbranch_execnz .LBB124_393
; %bb.394:
	s_or_b32 exec_lo, exec_lo, s70
.LBB124_395:
	s_or_b32 exec_lo, exec_lo, s4
.LBB124_396:
	s_or_b32 exec_lo, exec_lo, s8
	v_mov_b32_e32 v129, 0
	ds_read_b128 v[129:132], v129 offset:496
	s_waitcnt lgkmcnt(0)
	v_mul_f64 v[134:135], v[3:4], v[131:132]
	v_mul_f64 v[131:132], v[1:2], v[131:132]
	v_fma_f64 v[1:2], v[1:2], v[129:130], -v[134:135]
	v_fma_f64 v[3:4], v[3:4], v[129:130], v[131:132]
	buffer_store_dword v2, off, s[0:3], 0 offset:500
	buffer_store_dword v1, off, s[0:3], 0 offset:496
	;; [unrolled: 1-line block ×4, first 2 shown]
.LBB124_397:
	s_or_b32 exec_lo, exec_lo, s6
	v_mov_b32_e32 v4, s40
	v_cmp_lt_u32_e64 s4, 30, v0
	s_clause 0x3
	buffer_load_dword v1, v4, s[0:3], 0 offen
	buffer_load_dword v2, v4, s[0:3], 0 offen offset:4
	buffer_load_dword v3, v4, s[0:3], 0 offen offset:8
	;; [unrolled: 1-line block ×3, first 2 shown]
	s_waitcnt vmcnt(0)
	ds_write_b128 v128, v[1:4]
	s_waitcnt lgkmcnt(0)
	s_waitcnt_vscnt null, 0x0
	s_barrier
	buffer_gl0_inv
	s_and_saveexec_b32 s6, s4
	s_cbranch_execz .LBB124_411
; %bb.398:
	ds_read_b128 v[1:4], v128
	s_andn2_b32 vcc_lo, exec_lo, s7
	s_cbranch_vccnz .LBB124_400
; %bb.399:
	s_clause 0x3
	buffer_load_dword v129, v127, s[0:3], 0 offen offset:8
	buffer_load_dword v130, v127, s[0:3], 0 offen offset:12
	buffer_load_dword v131, v127, s[0:3], 0 offen
	buffer_load_dword v132, v127, s[0:3], 0 offen offset:4
	s_waitcnt vmcnt(2) lgkmcnt(0)
	v_mul_f64 v[134:135], v[3:4], v[129:130]
	v_mul_f64 v[129:130], v[1:2], v[129:130]
	s_waitcnt vmcnt(0)
	v_fma_f64 v[1:2], v[1:2], v[131:132], -v[134:135]
	v_fma_f64 v[3:4], v[3:4], v[131:132], v[129:130]
.LBB124_400:
	s_and_saveexec_b32 s8, s5
	s_cbranch_execz .LBB124_410
; %bb.401:
	v_subrev_nc_u32_e32 v130, 32, v0
	v_mov_b32_e32 v131, 31
	v_subrev_nc_u32_e32 v129, 31, v0
	s_mov_b32 s5, exec_lo
	v_cmpx_lt_u32_e32 6, v130
	s_cbranch_execz .LBB124_405
; %bb.402:
	v_and_b32_e32 v130, -8, v129
	s_movk_i32 s71, 0x5c0
	s_mov_b32 s70, 0
	s_mov_b32 s72, s39
	;; [unrolled: 1-line block ×3, first 2 shown]
.LBB124_403:                            ; =>This Inner Loop Header: Depth=1
	v_mov_b32_e32 v134, s72
	v_mov_b32_e32 v180, s71
	s_add_i32 s74, s73, 8
	s_add_i32 s73, s73, 39
	v_cmp_eq_u32_e32 vcc_lo, s74, v130
	s_clause 0x1f
	buffer_load_dword v131, v134, s[0:3], 0 offen offset:8
	buffer_load_dword v132, v134, s[0:3], 0 offen offset:12
	buffer_load_dword v142, v134, s[0:3], 0 offen
	buffer_load_dword v143, v134, s[0:3], 0 offen offset:4
	buffer_load_dword v144, v134, s[0:3], 0 offen offset:24
	;; [unrolled: 1-line block ×29, first 2 shown]
	ds_read_b128 v[134:137], v180
	ds_read_b128 v[138:141], v180 offset:16
	s_addk_i32 s71, 0x80
	s_addk_i32 s72, 0x80
	s_or_b32 s70, vcc_lo, s70
	s_waitcnt vmcnt(30) lgkmcnt(1)
	v_mul_f64 v[172:173], v[136:137], v[131:132]
	v_mul_f64 v[131:132], v[134:135], v[131:132]
	s_waitcnt vmcnt(26) lgkmcnt(0)
	v_mul_f64 v[174:175], v[140:141], v[144:145]
	v_mul_f64 v[176:177], v[138:139], v[144:145]
	v_fma_f64 v[172:173], v[134:135], v[142:143], -v[172:173]
	v_fma_f64 v[131:132], v[136:137], v[142:143], v[131:132]
	ds_read_b128 v[134:137], v180 offset:32
	ds_read_b128 v[142:145], v180 offset:48
	s_waitcnt vmcnt(24)
	v_fma_f64 v[138:139], v[138:139], v[146:147], -v[174:175]
	v_fma_f64 v[140:141], v[140:141], v[146:147], v[176:177]
	s_waitcnt vmcnt(22) lgkmcnt(1)
	v_mul_f64 v[178:179], v[136:137], v[148:149]
	v_mul_f64 v[148:149], v[134:135], v[148:149]
	v_add_f64 v[1:2], v[1:2], v[172:173]
	v_add_f64 v[3:4], v[3:4], v[131:132]
	s_waitcnt vmcnt(18) lgkmcnt(0)
	v_mul_f64 v[131:132], v[144:145], v[152:153]
	v_mul_f64 v[146:147], v[142:143], v[152:153]
	v_fma_f64 v[152:153], v[134:135], v[150:151], -v[178:179]
	v_fma_f64 v[148:149], v[136:137], v[150:151], v[148:149]
	v_add_f64 v[138:139], v[1:2], v[138:139]
	v_add_f64 v[140:141], v[3:4], v[140:141]
	ds_read_b128 v[1:4], v180 offset:64
	ds_read_b128 v[134:137], v180 offset:80
	s_waitcnt vmcnt(16)
	v_fma_f64 v[131:132], v[142:143], v[154:155], -v[131:132]
	v_fma_f64 v[142:143], v[144:145], v[154:155], v[146:147]
	s_waitcnt vmcnt(12) lgkmcnt(1)
	v_mul_f64 v[150:151], v[3:4], v[156:157]
	v_mul_f64 v[156:157], v[1:2], v[156:157]
	v_add_f64 v[138:139], v[138:139], v[152:153]
	v_add_f64 v[140:141], v[140:141], v[148:149]
	s_waitcnt vmcnt(10) lgkmcnt(0)
	v_mul_f64 v[144:145], v[136:137], v[158:159]
	v_mul_f64 v[146:147], v[134:135], v[158:159]
	s_waitcnt vmcnt(8)
	v_fma_f64 v[148:149], v[1:2], v[162:163], -v[150:151]
	v_fma_f64 v[150:151], v[3:4], v[162:163], v[156:157]
	v_add_f64 v[131:132], v[138:139], v[131:132]
	v_add_f64 v[142:143], v[140:141], v[142:143]
	ds_read_b128 v[1:4], v180 offset:96
	ds_read_b128 v[138:141], v180 offset:112
	v_fma_f64 v[134:135], v[134:135], v[160:161], -v[144:145]
	v_fma_f64 v[136:137], v[136:137], v[160:161], v[146:147]
	s_waitcnt vmcnt(4) lgkmcnt(1)
	v_mul_f64 v[152:153], v[3:4], v[164:165]
	v_mul_f64 v[154:155], v[1:2], v[164:165]
	v_add_f64 v[131:132], v[131:132], v[148:149]
	v_add_f64 v[142:143], v[142:143], v[150:151]
	s_waitcnt vmcnt(2) lgkmcnt(0)
	v_mul_f64 v[144:145], v[140:141], v[166:167]
	v_mul_f64 v[146:147], v[138:139], v[166:167]
	s_waitcnt vmcnt(0)
	v_fma_f64 v[1:2], v[1:2], v[170:171], -v[152:153]
	v_fma_f64 v[3:4], v[3:4], v[170:171], v[154:155]
	v_add_f64 v[131:132], v[131:132], v[134:135]
	v_add_f64 v[134:135], v[142:143], v[136:137]
	v_fma_f64 v[136:137], v[138:139], v[168:169], -v[144:145]
	v_fma_f64 v[138:139], v[140:141], v[168:169], v[146:147]
	v_add_f64 v[1:2], v[131:132], v[1:2]
	v_add_f64 v[3:4], v[134:135], v[3:4]
	v_mov_b32_e32 v131, s73
	s_mov_b32 s73, s74
	v_add_f64 v[1:2], v[1:2], v[136:137]
	v_add_f64 v[3:4], v[3:4], v[138:139]
	s_andn2_b32 exec_lo, exec_lo, s70
	s_cbranch_execnz .LBB124_403
; %bb.404:
	s_or_b32 exec_lo, exec_lo, s70
.LBB124_405:
	s_or_b32 exec_lo, exec_lo, s5
	v_and_b32_e32 v129, 7, v129
	s_mov_b32 s70, 0
	s_mov_b32 s5, exec_lo
	v_cmpx_ne_u32_e32 0, v129
	s_cbranch_execz .LBB124_409
; %bb.406:
	v_lshlrev_b32_e32 v131, 4, v131
	v_add_nc_u32_e32 v130, 0x3d0, v131
	.p2align	6
.LBB124_407:                            ; =>This Inner Loop Header: Depth=1
	s_clause 0x3
	buffer_load_dword v138, v131, s[0:3], 0 offen offset:8
	buffer_load_dword v139, v131, s[0:3], 0 offen offset:12
	buffer_load_dword v140, v131, s[0:3], 0 offen
	buffer_load_dword v141, v131, s[0:3], 0 offen offset:4
	ds_read_b128 v[134:137], v130
	v_add_nc_u32_e32 v129, -1, v129
	v_add_nc_u32_e32 v130, 16, v130
	v_add_nc_u32_e32 v131, 16, v131
	v_cmp_eq_u32_e32 vcc_lo, 0, v129
	s_or_b32 s70, vcc_lo, s70
	s_waitcnt vmcnt(2) lgkmcnt(0)
	v_mul_f64 v[142:143], v[136:137], v[138:139]
	v_mul_f64 v[138:139], v[134:135], v[138:139]
	s_waitcnt vmcnt(0)
	v_fma_f64 v[134:135], v[134:135], v[140:141], -v[142:143]
	v_fma_f64 v[136:137], v[136:137], v[140:141], v[138:139]
	v_add_f64 v[1:2], v[1:2], v[134:135]
	v_add_f64 v[3:4], v[3:4], v[136:137]
	s_andn2_b32 exec_lo, exec_lo, s70
	s_cbranch_execnz .LBB124_407
; %bb.408:
	s_or_b32 exec_lo, exec_lo, s70
.LBB124_409:
	s_or_b32 exec_lo, exec_lo, s5
.LBB124_410:
	s_or_b32 exec_lo, exec_lo, s8
	v_mov_b32_e32 v129, 0
	ds_read_b128 v[129:132], v129 offset:480
	s_waitcnt lgkmcnt(0)
	v_mul_f64 v[134:135], v[3:4], v[131:132]
	v_mul_f64 v[131:132], v[1:2], v[131:132]
	v_fma_f64 v[1:2], v[1:2], v[129:130], -v[134:135]
	v_fma_f64 v[3:4], v[3:4], v[129:130], v[131:132]
	buffer_store_dword v2, off, s[0:3], 0 offset:484
	buffer_store_dword v1, off, s[0:3], 0 offset:480
	;; [unrolled: 1-line block ×4, first 2 shown]
.LBB124_411:
	s_or_b32 exec_lo, exec_lo, s6
	v_mov_b32_e32 v4, s41
	v_cmp_lt_u32_e64 s5, 29, v0
	s_clause 0x3
	buffer_load_dword v1, v4, s[0:3], 0 offen
	buffer_load_dword v2, v4, s[0:3], 0 offen offset:4
	buffer_load_dword v3, v4, s[0:3], 0 offen offset:8
	;; [unrolled: 1-line block ×3, first 2 shown]
	s_waitcnt vmcnt(0)
	ds_write_b128 v128, v[1:4]
	s_waitcnt lgkmcnt(0)
	s_waitcnt_vscnt null, 0x0
	s_barrier
	buffer_gl0_inv
	s_and_saveexec_b32 s6, s5
	s_cbranch_execz .LBB124_425
; %bb.412:
	ds_read_b128 v[1:4], v128
	s_andn2_b32 vcc_lo, exec_lo, s7
	s_cbranch_vccnz .LBB124_414
; %bb.413:
	s_clause 0x3
	buffer_load_dword v129, v127, s[0:3], 0 offen offset:8
	buffer_load_dword v130, v127, s[0:3], 0 offen offset:12
	buffer_load_dword v131, v127, s[0:3], 0 offen
	buffer_load_dword v132, v127, s[0:3], 0 offen offset:4
	s_waitcnt vmcnt(2) lgkmcnt(0)
	v_mul_f64 v[134:135], v[3:4], v[129:130]
	v_mul_f64 v[129:130], v[1:2], v[129:130]
	s_waitcnt vmcnt(0)
	v_fma_f64 v[1:2], v[1:2], v[131:132], -v[134:135]
	v_fma_f64 v[3:4], v[3:4], v[131:132], v[129:130]
.LBB124_414:
	s_and_saveexec_b32 s8, s4
	s_cbranch_execz .LBB124_424
; %bb.415:
	v_subrev_nc_u32_e32 v130, 31, v0
	v_mov_b32_e32 v131, 30
	v_subrev_nc_u32_e32 v129, 30, v0
	s_mov_b32 s4, exec_lo
	v_cmpx_lt_u32_e32 6, v130
	s_cbranch_execz .LBB124_419
; %bb.416:
	v_and_b32_e32 v130, -8, v129
	s_movk_i32 s71, 0x5b0
	s_mov_b32 s70, 0
	s_mov_b32 s72, s40
	;; [unrolled: 1-line block ×3, first 2 shown]
.LBB124_417:                            ; =>This Inner Loop Header: Depth=1
	v_mov_b32_e32 v134, s72
	v_mov_b32_e32 v180, s71
	s_add_i32 s74, s73, 8
	s_add_i32 s73, s73, 38
	v_cmp_eq_u32_e32 vcc_lo, s74, v130
	s_clause 0x1f
	buffer_load_dword v131, v134, s[0:3], 0 offen offset:8
	buffer_load_dword v132, v134, s[0:3], 0 offen offset:12
	buffer_load_dword v142, v134, s[0:3], 0 offen
	buffer_load_dword v143, v134, s[0:3], 0 offen offset:4
	buffer_load_dword v144, v134, s[0:3], 0 offen offset:24
	;; [unrolled: 1-line block ×29, first 2 shown]
	ds_read_b128 v[134:137], v180
	ds_read_b128 v[138:141], v180 offset:16
	s_addk_i32 s71, 0x80
	s_addk_i32 s72, 0x80
	s_or_b32 s70, vcc_lo, s70
	s_waitcnt vmcnt(30) lgkmcnt(1)
	v_mul_f64 v[172:173], v[136:137], v[131:132]
	v_mul_f64 v[131:132], v[134:135], v[131:132]
	s_waitcnt vmcnt(26) lgkmcnt(0)
	v_mul_f64 v[174:175], v[140:141], v[144:145]
	v_mul_f64 v[176:177], v[138:139], v[144:145]
	v_fma_f64 v[172:173], v[134:135], v[142:143], -v[172:173]
	v_fma_f64 v[131:132], v[136:137], v[142:143], v[131:132]
	ds_read_b128 v[134:137], v180 offset:32
	ds_read_b128 v[142:145], v180 offset:48
	s_waitcnt vmcnt(24)
	v_fma_f64 v[138:139], v[138:139], v[146:147], -v[174:175]
	v_fma_f64 v[140:141], v[140:141], v[146:147], v[176:177]
	s_waitcnt vmcnt(22) lgkmcnt(1)
	v_mul_f64 v[178:179], v[136:137], v[148:149]
	v_mul_f64 v[148:149], v[134:135], v[148:149]
	v_add_f64 v[1:2], v[1:2], v[172:173]
	v_add_f64 v[3:4], v[3:4], v[131:132]
	s_waitcnt vmcnt(18) lgkmcnt(0)
	v_mul_f64 v[131:132], v[144:145], v[152:153]
	v_mul_f64 v[146:147], v[142:143], v[152:153]
	v_fma_f64 v[152:153], v[134:135], v[150:151], -v[178:179]
	v_fma_f64 v[148:149], v[136:137], v[150:151], v[148:149]
	v_add_f64 v[138:139], v[1:2], v[138:139]
	v_add_f64 v[140:141], v[3:4], v[140:141]
	ds_read_b128 v[1:4], v180 offset:64
	ds_read_b128 v[134:137], v180 offset:80
	s_waitcnt vmcnt(16)
	v_fma_f64 v[131:132], v[142:143], v[154:155], -v[131:132]
	v_fma_f64 v[142:143], v[144:145], v[154:155], v[146:147]
	s_waitcnt vmcnt(12) lgkmcnt(1)
	v_mul_f64 v[150:151], v[3:4], v[156:157]
	v_mul_f64 v[156:157], v[1:2], v[156:157]
	v_add_f64 v[138:139], v[138:139], v[152:153]
	v_add_f64 v[140:141], v[140:141], v[148:149]
	s_waitcnt vmcnt(10) lgkmcnt(0)
	v_mul_f64 v[144:145], v[136:137], v[158:159]
	v_mul_f64 v[146:147], v[134:135], v[158:159]
	s_waitcnt vmcnt(8)
	v_fma_f64 v[148:149], v[1:2], v[162:163], -v[150:151]
	v_fma_f64 v[150:151], v[3:4], v[162:163], v[156:157]
	v_add_f64 v[131:132], v[138:139], v[131:132]
	v_add_f64 v[142:143], v[140:141], v[142:143]
	ds_read_b128 v[1:4], v180 offset:96
	ds_read_b128 v[138:141], v180 offset:112
	v_fma_f64 v[134:135], v[134:135], v[160:161], -v[144:145]
	v_fma_f64 v[136:137], v[136:137], v[160:161], v[146:147]
	s_waitcnt vmcnt(4) lgkmcnt(1)
	v_mul_f64 v[152:153], v[3:4], v[164:165]
	v_mul_f64 v[154:155], v[1:2], v[164:165]
	v_add_f64 v[131:132], v[131:132], v[148:149]
	v_add_f64 v[142:143], v[142:143], v[150:151]
	s_waitcnt vmcnt(2) lgkmcnt(0)
	v_mul_f64 v[144:145], v[140:141], v[166:167]
	v_mul_f64 v[146:147], v[138:139], v[166:167]
	s_waitcnt vmcnt(0)
	v_fma_f64 v[1:2], v[1:2], v[170:171], -v[152:153]
	v_fma_f64 v[3:4], v[3:4], v[170:171], v[154:155]
	v_add_f64 v[131:132], v[131:132], v[134:135]
	v_add_f64 v[134:135], v[142:143], v[136:137]
	v_fma_f64 v[136:137], v[138:139], v[168:169], -v[144:145]
	v_fma_f64 v[138:139], v[140:141], v[168:169], v[146:147]
	v_add_f64 v[1:2], v[131:132], v[1:2]
	v_add_f64 v[3:4], v[134:135], v[3:4]
	v_mov_b32_e32 v131, s73
	s_mov_b32 s73, s74
	v_add_f64 v[1:2], v[1:2], v[136:137]
	v_add_f64 v[3:4], v[3:4], v[138:139]
	s_andn2_b32 exec_lo, exec_lo, s70
	s_cbranch_execnz .LBB124_417
; %bb.418:
	s_or_b32 exec_lo, exec_lo, s70
.LBB124_419:
	s_or_b32 exec_lo, exec_lo, s4
	v_and_b32_e32 v129, 7, v129
	s_mov_b32 s70, 0
	s_mov_b32 s4, exec_lo
	v_cmpx_ne_u32_e32 0, v129
	s_cbranch_execz .LBB124_423
; %bb.420:
	v_lshlrev_b32_e32 v131, 4, v131
	v_add_nc_u32_e32 v130, 0x3d0, v131
	.p2align	6
.LBB124_421:                            ; =>This Inner Loop Header: Depth=1
	s_clause 0x3
	buffer_load_dword v138, v131, s[0:3], 0 offen offset:8
	buffer_load_dword v139, v131, s[0:3], 0 offen offset:12
	buffer_load_dword v140, v131, s[0:3], 0 offen
	buffer_load_dword v141, v131, s[0:3], 0 offen offset:4
	ds_read_b128 v[134:137], v130
	v_add_nc_u32_e32 v129, -1, v129
	v_add_nc_u32_e32 v130, 16, v130
	v_add_nc_u32_e32 v131, 16, v131
	v_cmp_eq_u32_e32 vcc_lo, 0, v129
	s_or_b32 s70, vcc_lo, s70
	s_waitcnt vmcnt(2) lgkmcnt(0)
	v_mul_f64 v[142:143], v[136:137], v[138:139]
	v_mul_f64 v[138:139], v[134:135], v[138:139]
	s_waitcnt vmcnt(0)
	v_fma_f64 v[134:135], v[134:135], v[140:141], -v[142:143]
	v_fma_f64 v[136:137], v[136:137], v[140:141], v[138:139]
	v_add_f64 v[1:2], v[1:2], v[134:135]
	v_add_f64 v[3:4], v[3:4], v[136:137]
	s_andn2_b32 exec_lo, exec_lo, s70
	s_cbranch_execnz .LBB124_421
; %bb.422:
	s_or_b32 exec_lo, exec_lo, s70
.LBB124_423:
	s_or_b32 exec_lo, exec_lo, s4
.LBB124_424:
	s_or_b32 exec_lo, exec_lo, s8
	v_mov_b32_e32 v129, 0
	ds_read_b128 v[129:132], v129 offset:464
	s_waitcnt lgkmcnt(0)
	v_mul_f64 v[134:135], v[3:4], v[131:132]
	v_mul_f64 v[131:132], v[1:2], v[131:132]
	v_fma_f64 v[1:2], v[1:2], v[129:130], -v[134:135]
	v_fma_f64 v[3:4], v[3:4], v[129:130], v[131:132]
	buffer_store_dword v2, off, s[0:3], 0 offset:468
	buffer_store_dword v1, off, s[0:3], 0 offset:464
	;; [unrolled: 1-line block ×4, first 2 shown]
.LBB124_425:
	s_or_b32 exec_lo, exec_lo, s6
	v_mov_b32_e32 v4, s42
	v_cmp_lt_u32_e64 s4, 28, v0
	s_clause 0x3
	buffer_load_dword v1, v4, s[0:3], 0 offen
	buffer_load_dword v2, v4, s[0:3], 0 offen offset:4
	buffer_load_dword v3, v4, s[0:3], 0 offen offset:8
	;; [unrolled: 1-line block ×3, first 2 shown]
	s_waitcnt vmcnt(0)
	ds_write_b128 v128, v[1:4]
	s_waitcnt lgkmcnt(0)
	s_waitcnt_vscnt null, 0x0
	s_barrier
	buffer_gl0_inv
	s_and_saveexec_b32 s6, s4
	s_cbranch_execz .LBB124_439
; %bb.426:
	ds_read_b128 v[1:4], v128
	s_andn2_b32 vcc_lo, exec_lo, s7
	s_cbranch_vccnz .LBB124_428
; %bb.427:
	s_clause 0x3
	buffer_load_dword v129, v127, s[0:3], 0 offen offset:8
	buffer_load_dword v130, v127, s[0:3], 0 offen offset:12
	buffer_load_dword v131, v127, s[0:3], 0 offen
	buffer_load_dword v132, v127, s[0:3], 0 offen offset:4
	s_waitcnt vmcnt(2) lgkmcnt(0)
	v_mul_f64 v[134:135], v[3:4], v[129:130]
	v_mul_f64 v[129:130], v[1:2], v[129:130]
	s_waitcnt vmcnt(0)
	v_fma_f64 v[1:2], v[1:2], v[131:132], -v[134:135]
	v_fma_f64 v[3:4], v[3:4], v[131:132], v[129:130]
.LBB124_428:
	s_and_saveexec_b32 s8, s5
	s_cbranch_execz .LBB124_438
; %bb.429:
	v_subrev_nc_u32_e32 v130, 30, v0
	v_mov_b32_e32 v131, 29
	v_subrev_nc_u32_e32 v129, 29, v0
	s_mov_b32 s5, exec_lo
	v_cmpx_lt_u32_e32 6, v130
	s_cbranch_execz .LBB124_433
; %bb.430:
	v_and_b32_e32 v130, -8, v129
	s_movk_i32 s71, 0x5a0
	s_mov_b32 s70, 0
	s_mov_b32 s72, s41
	s_mov_b32 s73, 0
.LBB124_431:                            ; =>This Inner Loop Header: Depth=1
	v_mov_b32_e32 v134, s72
	v_mov_b32_e32 v180, s71
	s_add_i32 s74, s73, 8
	s_add_i32 s73, s73, 37
	v_cmp_eq_u32_e32 vcc_lo, s74, v130
	s_clause 0x1f
	buffer_load_dword v131, v134, s[0:3], 0 offen offset:8
	buffer_load_dword v132, v134, s[0:3], 0 offen offset:12
	buffer_load_dword v142, v134, s[0:3], 0 offen
	buffer_load_dword v143, v134, s[0:3], 0 offen offset:4
	buffer_load_dword v144, v134, s[0:3], 0 offen offset:24
	;; [unrolled: 1-line block ×29, first 2 shown]
	ds_read_b128 v[134:137], v180
	ds_read_b128 v[138:141], v180 offset:16
	s_addk_i32 s71, 0x80
	s_addk_i32 s72, 0x80
	s_or_b32 s70, vcc_lo, s70
	s_waitcnt vmcnt(30) lgkmcnt(1)
	v_mul_f64 v[172:173], v[136:137], v[131:132]
	v_mul_f64 v[131:132], v[134:135], v[131:132]
	s_waitcnt vmcnt(26) lgkmcnt(0)
	v_mul_f64 v[174:175], v[140:141], v[144:145]
	v_mul_f64 v[176:177], v[138:139], v[144:145]
	v_fma_f64 v[172:173], v[134:135], v[142:143], -v[172:173]
	v_fma_f64 v[131:132], v[136:137], v[142:143], v[131:132]
	ds_read_b128 v[134:137], v180 offset:32
	ds_read_b128 v[142:145], v180 offset:48
	s_waitcnt vmcnt(24)
	v_fma_f64 v[138:139], v[138:139], v[146:147], -v[174:175]
	v_fma_f64 v[140:141], v[140:141], v[146:147], v[176:177]
	s_waitcnt vmcnt(22) lgkmcnt(1)
	v_mul_f64 v[178:179], v[136:137], v[148:149]
	v_mul_f64 v[148:149], v[134:135], v[148:149]
	v_add_f64 v[1:2], v[1:2], v[172:173]
	v_add_f64 v[3:4], v[3:4], v[131:132]
	s_waitcnt vmcnt(18) lgkmcnt(0)
	v_mul_f64 v[131:132], v[144:145], v[152:153]
	v_mul_f64 v[146:147], v[142:143], v[152:153]
	v_fma_f64 v[152:153], v[134:135], v[150:151], -v[178:179]
	v_fma_f64 v[148:149], v[136:137], v[150:151], v[148:149]
	v_add_f64 v[138:139], v[1:2], v[138:139]
	v_add_f64 v[140:141], v[3:4], v[140:141]
	ds_read_b128 v[1:4], v180 offset:64
	ds_read_b128 v[134:137], v180 offset:80
	s_waitcnt vmcnt(16)
	v_fma_f64 v[131:132], v[142:143], v[154:155], -v[131:132]
	v_fma_f64 v[142:143], v[144:145], v[154:155], v[146:147]
	s_waitcnt vmcnt(12) lgkmcnt(1)
	v_mul_f64 v[150:151], v[3:4], v[156:157]
	v_mul_f64 v[156:157], v[1:2], v[156:157]
	v_add_f64 v[138:139], v[138:139], v[152:153]
	v_add_f64 v[140:141], v[140:141], v[148:149]
	s_waitcnt vmcnt(10) lgkmcnt(0)
	v_mul_f64 v[144:145], v[136:137], v[158:159]
	v_mul_f64 v[146:147], v[134:135], v[158:159]
	s_waitcnt vmcnt(8)
	v_fma_f64 v[148:149], v[1:2], v[162:163], -v[150:151]
	v_fma_f64 v[150:151], v[3:4], v[162:163], v[156:157]
	v_add_f64 v[131:132], v[138:139], v[131:132]
	v_add_f64 v[142:143], v[140:141], v[142:143]
	ds_read_b128 v[1:4], v180 offset:96
	ds_read_b128 v[138:141], v180 offset:112
	v_fma_f64 v[134:135], v[134:135], v[160:161], -v[144:145]
	v_fma_f64 v[136:137], v[136:137], v[160:161], v[146:147]
	s_waitcnt vmcnt(4) lgkmcnt(1)
	v_mul_f64 v[152:153], v[3:4], v[164:165]
	v_mul_f64 v[154:155], v[1:2], v[164:165]
	v_add_f64 v[131:132], v[131:132], v[148:149]
	v_add_f64 v[142:143], v[142:143], v[150:151]
	s_waitcnt vmcnt(2) lgkmcnt(0)
	v_mul_f64 v[144:145], v[140:141], v[166:167]
	v_mul_f64 v[146:147], v[138:139], v[166:167]
	s_waitcnt vmcnt(0)
	v_fma_f64 v[1:2], v[1:2], v[170:171], -v[152:153]
	v_fma_f64 v[3:4], v[3:4], v[170:171], v[154:155]
	v_add_f64 v[131:132], v[131:132], v[134:135]
	v_add_f64 v[134:135], v[142:143], v[136:137]
	v_fma_f64 v[136:137], v[138:139], v[168:169], -v[144:145]
	v_fma_f64 v[138:139], v[140:141], v[168:169], v[146:147]
	v_add_f64 v[1:2], v[131:132], v[1:2]
	v_add_f64 v[3:4], v[134:135], v[3:4]
	v_mov_b32_e32 v131, s73
	s_mov_b32 s73, s74
	v_add_f64 v[1:2], v[1:2], v[136:137]
	v_add_f64 v[3:4], v[3:4], v[138:139]
	s_andn2_b32 exec_lo, exec_lo, s70
	s_cbranch_execnz .LBB124_431
; %bb.432:
	s_or_b32 exec_lo, exec_lo, s70
.LBB124_433:
	s_or_b32 exec_lo, exec_lo, s5
	v_and_b32_e32 v129, 7, v129
	s_mov_b32 s70, 0
	s_mov_b32 s5, exec_lo
	v_cmpx_ne_u32_e32 0, v129
	s_cbranch_execz .LBB124_437
; %bb.434:
	v_lshlrev_b32_e32 v131, 4, v131
	v_add_nc_u32_e32 v130, 0x3d0, v131
	.p2align	6
.LBB124_435:                            ; =>This Inner Loop Header: Depth=1
	s_clause 0x3
	buffer_load_dword v138, v131, s[0:3], 0 offen offset:8
	buffer_load_dword v139, v131, s[0:3], 0 offen offset:12
	buffer_load_dword v140, v131, s[0:3], 0 offen
	buffer_load_dword v141, v131, s[0:3], 0 offen offset:4
	ds_read_b128 v[134:137], v130
	v_add_nc_u32_e32 v129, -1, v129
	v_add_nc_u32_e32 v130, 16, v130
	v_add_nc_u32_e32 v131, 16, v131
	v_cmp_eq_u32_e32 vcc_lo, 0, v129
	s_or_b32 s70, vcc_lo, s70
	s_waitcnt vmcnt(2) lgkmcnt(0)
	v_mul_f64 v[142:143], v[136:137], v[138:139]
	v_mul_f64 v[138:139], v[134:135], v[138:139]
	s_waitcnt vmcnt(0)
	v_fma_f64 v[134:135], v[134:135], v[140:141], -v[142:143]
	v_fma_f64 v[136:137], v[136:137], v[140:141], v[138:139]
	v_add_f64 v[1:2], v[1:2], v[134:135]
	v_add_f64 v[3:4], v[3:4], v[136:137]
	s_andn2_b32 exec_lo, exec_lo, s70
	s_cbranch_execnz .LBB124_435
; %bb.436:
	s_or_b32 exec_lo, exec_lo, s70
.LBB124_437:
	s_or_b32 exec_lo, exec_lo, s5
.LBB124_438:
	s_or_b32 exec_lo, exec_lo, s8
	v_mov_b32_e32 v129, 0
	ds_read_b128 v[129:132], v129 offset:448
	s_waitcnt lgkmcnt(0)
	v_mul_f64 v[134:135], v[3:4], v[131:132]
	v_mul_f64 v[131:132], v[1:2], v[131:132]
	v_fma_f64 v[1:2], v[1:2], v[129:130], -v[134:135]
	v_fma_f64 v[3:4], v[3:4], v[129:130], v[131:132]
	buffer_store_dword v2, off, s[0:3], 0 offset:452
	buffer_store_dword v1, off, s[0:3], 0 offset:448
	;; [unrolled: 1-line block ×4, first 2 shown]
.LBB124_439:
	s_or_b32 exec_lo, exec_lo, s6
	v_mov_b32_e32 v4, s43
	v_cmp_lt_u32_e64 s5, 27, v0
	s_clause 0x3
	buffer_load_dword v1, v4, s[0:3], 0 offen
	buffer_load_dword v2, v4, s[0:3], 0 offen offset:4
	buffer_load_dword v3, v4, s[0:3], 0 offen offset:8
	;; [unrolled: 1-line block ×3, first 2 shown]
	s_waitcnt vmcnt(0)
	ds_write_b128 v128, v[1:4]
	s_waitcnt lgkmcnt(0)
	s_waitcnt_vscnt null, 0x0
	s_barrier
	buffer_gl0_inv
	s_and_saveexec_b32 s6, s5
	s_cbranch_execz .LBB124_453
; %bb.440:
	ds_read_b128 v[1:4], v128
	s_andn2_b32 vcc_lo, exec_lo, s7
	s_cbranch_vccnz .LBB124_442
; %bb.441:
	s_clause 0x3
	buffer_load_dword v129, v127, s[0:3], 0 offen offset:8
	buffer_load_dword v130, v127, s[0:3], 0 offen offset:12
	buffer_load_dword v131, v127, s[0:3], 0 offen
	buffer_load_dword v132, v127, s[0:3], 0 offen offset:4
	s_waitcnt vmcnt(2) lgkmcnt(0)
	v_mul_f64 v[134:135], v[3:4], v[129:130]
	v_mul_f64 v[129:130], v[1:2], v[129:130]
	s_waitcnt vmcnt(0)
	v_fma_f64 v[1:2], v[1:2], v[131:132], -v[134:135]
	v_fma_f64 v[3:4], v[3:4], v[131:132], v[129:130]
.LBB124_442:
	s_and_saveexec_b32 s8, s4
	s_cbranch_execz .LBB124_452
; %bb.443:
	v_subrev_nc_u32_e32 v130, 29, v0
	v_mov_b32_e32 v131, 28
	v_subrev_nc_u32_e32 v129, 28, v0
	s_mov_b32 s4, exec_lo
	v_cmpx_lt_u32_e32 6, v130
	s_cbranch_execz .LBB124_447
; %bb.444:
	v_and_b32_e32 v130, -8, v129
	s_movk_i32 s71, 0x590
	s_mov_b32 s70, 0
	s_mov_b32 s72, s42
	;; [unrolled: 1-line block ×3, first 2 shown]
.LBB124_445:                            ; =>This Inner Loop Header: Depth=1
	v_mov_b32_e32 v134, s72
	v_mov_b32_e32 v180, s71
	s_add_i32 s74, s73, 8
	s_add_i32 s73, s73, 36
	v_cmp_eq_u32_e32 vcc_lo, s74, v130
	s_clause 0x1f
	buffer_load_dword v131, v134, s[0:3], 0 offen offset:8
	buffer_load_dword v132, v134, s[0:3], 0 offen offset:12
	buffer_load_dword v142, v134, s[0:3], 0 offen
	buffer_load_dword v143, v134, s[0:3], 0 offen offset:4
	buffer_load_dword v144, v134, s[0:3], 0 offen offset:24
	;; [unrolled: 1-line block ×29, first 2 shown]
	ds_read_b128 v[134:137], v180
	ds_read_b128 v[138:141], v180 offset:16
	s_addk_i32 s71, 0x80
	s_addk_i32 s72, 0x80
	s_or_b32 s70, vcc_lo, s70
	s_waitcnt vmcnt(30) lgkmcnt(1)
	v_mul_f64 v[172:173], v[136:137], v[131:132]
	v_mul_f64 v[131:132], v[134:135], v[131:132]
	s_waitcnt vmcnt(26) lgkmcnt(0)
	v_mul_f64 v[174:175], v[140:141], v[144:145]
	v_mul_f64 v[176:177], v[138:139], v[144:145]
	v_fma_f64 v[172:173], v[134:135], v[142:143], -v[172:173]
	v_fma_f64 v[131:132], v[136:137], v[142:143], v[131:132]
	ds_read_b128 v[134:137], v180 offset:32
	ds_read_b128 v[142:145], v180 offset:48
	s_waitcnt vmcnt(24)
	v_fma_f64 v[138:139], v[138:139], v[146:147], -v[174:175]
	v_fma_f64 v[140:141], v[140:141], v[146:147], v[176:177]
	s_waitcnt vmcnt(22) lgkmcnt(1)
	v_mul_f64 v[178:179], v[136:137], v[148:149]
	v_mul_f64 v[148:149], v[134:135], v[148:149]
	v_add_f64 v[1:2], v[1:2], v[172:173]
	v_add_f64 v[3:4], v[3:4], v[131:132]
	s_waitcnt vmcnt(18) lgkmcnt(0)
	v_mul_f64 v[131:132], v[144:145], v[152:153]
	v_mul_f64 v[146:147], v[142:143], v[152:153]
	v_fma_f64 v[152:153], v[134:135], v[150:151], -v[178:179]
	v_fma_f64 v[148:149], v[136:137], v[150:151], v[148:149]
	v_add_f64 v[138:139], v[1:2], v[138:139]
	v_add_f64 v[140:141], v[3:4], v[140:141]
	ds_read_b128 v[1:4], v180 offset:64
	ds_read_b128 v[134:137], v180 offset:80
	s_waitcnt vmcnt(16)
	v_fma_f64 v[131:132], v[142:143], v[154:155], -v[131:132]
	v_fma_f64 v[142:143], v[144:145], v[154:155], v[146:147]
	s_waitcnt vmcnt(12) lgkmcnt(1)
	v_mul_f64 v[150:151], v[3:4], v[156:157]
	v_mul_f64 v[156:157], v[1:2], v[156:157]
	v_add_f64 v[138:139], v[138:139], v[152:153]
	v_add_f64 v[140:141], v[140:141], v[148:149]
	s_waitcnt vmcnt(10) lgkmcnt(0)
	v_mul_f64 v[144:145], v[136:137], v[158:159]
	v_mul_f64 v[146:147], v[134:135], v[158:159]
	s_waitcnt vmcnt(8)
	v_fma_f64 v[148:149], v[1:2], v[162:163], -v[150:151]
	v_fma_f64 v[150:151], v[3:4], v[162:163], v[156:157]
	v_add_f64 v[131:132], v[138:139], v[131:132]
	v_add_f64 v[142:143], v[140:141], v[142:143]
	ds_read_b128 v[1:4], v180 offset:96
	ds_read_b128 v[138:141], v180 offset:112
	v_fma_f64 v[134:135], v[134:135], v[160:161], -v[144:145]
	v_fma_f64 v[136:137], v[136:137], v[160:161], v[146:147]
	s_waitcnt vmcnt(4) lgkmcnt(1)
	v_mul_f64 v[152:153], v[3:4], v[164:165]
	v_mul_f64 v[154:155], v[1:2], v[164:165]
	v_add_f64 v[131:132], v[131:132], v[148:149]
	v_add_f64 v[142:143], v[142:143], v[150:151]
	s_waitcnt vmcnt(2) lgkmcnt(0)
	v_mul_f64 v[144:145], v[140:141], v[166:167]
	v_mul_f64 v[146:147], v[138:139], v[166:167]
	s_waitcnt vmcnt(0)
	v_fma_f64 v[1:2], v[1:2], v[170:171], -v[152:153]
	v_fma_f64 v[3:4], v[3:4], v[170:171], v[154:155]
	v_add_f64 v[131:132], v[131:132], v[134:135]
	v_add_f64 v[134:135], v[142:143], v[136:137]
	v_fma_f64 v[136:137], v[138:139], v[168:169], -v[144:145]
	v_fma_f64 v[138:139], v[140:141], v[168:169], v[146:147]
	v_add_f64 v[1:2], v[131:132], v[1:2]
	v_add_f64 v[3:4], v[134:135], v[3:4]
	v_mov_b32_e32 v131, s73
	s_mov_b32 s73, s74
	v_add_f64 v[1:2], v[1:2], v[136:137]
	v_add_f64 v[3:4], v[3:4], v[138:139]
	s_andn2_b32 exec_lo, exec_lo, s70
	s_cbranch_execnz .LBB124_445
; %bb.446:
	s_or_b32 exec_lo, exec_lo, s70
.LBB124_447:
	s_or_b32 exec_lo, exec_lo, s4
	v_and_b32_e32 v129, 7, v129
	s_mov_b32 s70, 0
	s_mov_b32 s4, exec_lo
	v_cmpx_ne_u32_e32 0, v129
	s_cbranch_execz .LBB124_451
; %bb.448:
	v_lshlrev_b32_e32 v131, 4, v131
	v_add_nc_u32_e32 v130, 0x3d0, v131
	.p2align	6
.LBB124_449:                            ; =>This Inner Loop Header: Depth=1
	s_clause 0x3
	buffer_load_dword v138, v131, s[0:3], 0 offen offset:8
	buffer_load_dword v139, v131, s[0:3], 0 offen offset:12
	buffer_load_dword v140, v131, s[0:3], 0 offen
	buffer_load_dword v141, v131, s[0:3], 0 offen offset:4
	ds_read_b128 v[134:137], v130
	v_add_nc_u32_e32 v129, -1, v129
	v_add_nc_u32_e32 v130, 16, v130
	v_add_nc_u32_e32 v131, 16, v131
	v_cmp_eq_u32_e32 vcc_lo, 0, v129
	s_or_b32 s70, vcc_lo, s70
	s_waitcnt vmcnt(2) lgkmcnt(0)
	v_mul_f64 v[142:143], v[136:137], v[138:139]
	v_mul_f64 v[138:139], v[134:135], v[138:139]
	s_waitcnt vmcnt(0)
	v_fma_f64 v[134:135], v[134:135], v[140:141], -v[142:143]
	v_fma_f64 v[136:137], v[136:137], v[140:141], v[138:139]
	v_add_f64 v[1:2], v[1:2], v[134:135]
	v_add_f64 v[3:4], v[3:4], v[136:137]
	s_andn2_b32 exec_lo, exec_lo, s70
	s_cbranch_execnz .LBB124_449
; %bb.450:
	s_or_b32 exec_lo, exec_lo, s70
.LBB124_451:
	s_or_b32 exec_lo, exec_lo, s4
.LBB124_452:
	s_or_b32 exec_lo, exec_lo, s8
	v_mov_b32_e32 v129, 0
	ds_read_b128 v[129:132], v129 offset:432
	s_waitcnt lgkmcnt(0)
	v_mul_f64 v[134:135], v[3:4], v[131:132]
	v_mul_f64 v[131:132], v[1:2], v[131:132]
	v_fma_f64 v[1:2], v[1:2], v[129:130], -v[134:135]
	v_fma_f64 v[3:4], v[3:4], v[129:130], v[131:132]
	buffer_store_dword v2, off, s[0:3], 0 offset:436
	buffer_store_dword v1, off, s[0:3], 0 offset:432
	;; [unrolled: 1-line block ×4, first 2 shown]
.LBB124_453:
	s_or_b32 exec_lo, exec_lo, s6
	v_mov_b32_e32 v4, s44
	v_cmp_lt_u32_e64 s4, 26, v0
	s_clause 0x3
	buffer_load_dword v1, v4, s[0:3], 0 offen
	buffer_load_dword v2, v4, s[0:3], 0 offen offset:4
	buffer_load_dword v3, v4, s[0:3], 0 offen offset:8
	;; [unrolled: 1-line block ×3, first 2 shown]
	s_waitcnt vmcnt(0)
	ds_write_b128 v128, v[1:4]
	s_waitcnt lgkmcnt(0)
	s_waitcnt_vscnt null, 0x0
	s_barrier
	buffer_gl0_inv
	s_and_saveexec_b32 s6, s4
	s_cbranch_execz .LBB124_467
; %bb.454:
	ds_read_b128 v[1:4], v128
	s_andn2_b32 vcc_lo, exec_lo, s7
	s_cbranch_vccnz .LBB124_456
; %bb.455:
	s_clause 0x3
	buffer_load_dword v129, v127, s[0:3], 0 offen offset:8
	buffer_load_dword v130, v127, s[0:3], 0 offen offset:12
	buffer_load_dword v131, v127, s[0:3], 0 offen
	buffer_load_dword v132, v127, s[0:3], 0 offen offset:4
	s_waitcnt vmcnt(2) lgkmcnt(0)
	v_mul_f64 v[134:135], v[3:4], v[129:130]
	v_mul_f64 v[129:130], v[1:2], v[129:130]
	s_waitcnt vmcnt(0)
	v_fma_f64 v[1:2], v[1:2], v[131:132], -v[134:135]
	v_fma_f64 v[3:4], v[3:4], v[131:132], v[129:130]
.LBB124_456:
	s_and_saveexec_b32 s8, s5
	s_cbranch_execz .LBB124_466
; %bb.457:
	v_subrev_nc_u32_e32 v130, 28, v0
	v_mov_b32_e32 v131, 27
	v_subrev_nc_u32_e32 v129, 27, v0
	s_mov_b32 s5, exec_lo
	v_cmpx_lt_u32_e32 6, v130
	s_cbranch_execz .LBB124_461
; %bb.458:
	v_and_b32_e32 v130, -8, v129
	s_movk_i32 s71, 0x580
	s_mov_b32 s70, 0
	s_mov_b32 s72, s43
	;; [unrolled: 1-line block ×3, first 2 shown]
.LBB124_459:                            ; =>This Inner Loop Header: Depth=1
	v_mov_b32_e32 v134, s72
	v_mov_b32_e32 v180, s71
	s_add_i32 s74, s73, 8
	s_add_i32 s73, s73, 35
	v_cmp_eq_u32_e32 vcc_lo, s74, v130
	s_clause 0x1f
	buffer_load_dword v131, v134, s[0:3], 0 offen offset:8
	buffer_load_dword v132, v134, s[0:3], 0 offen offset:12
	buffer_load_dword v142, v134, s[0:3], 0 offen
	buffer_load_dword v143, v134, s[0:3], 0 offen offset:4
	buffer_load_dword v144, v134, s[0:3], 0 offen offset:24
	;; [unrolled: 1-line block ×29, first 2 shown]
	ds_read_b128 v[134:137], v180
	ds_read_b128 v[138:141], v180 offset:16
	s_addk_i32 s71, 0x80
	s_addk_i32 s72, 0x80
	s_or_b32 s70, vcc_lo, s70
	s_waitcnt vmcnt(30) lgkmcnt(1)
	v_mul_f64 v[172:173], v[136:137], v[131:132]
	v_mul_f64 v[131:132], v[134:135], v[131:132]
	s_waitcnt vmcnt(26) lgkmcnt(0)
	v_mul_f64 v[174:175], v[140:141], v[144:145]
	v_mul_f64 v[176:177], v[138:139], v[144:145]
	v_fma_f64 v[172:173], v[134:135], v[142:143], -v[172:173]
	v_fma_f64 v[131:132], v[136:137], v[142:143], v[131:132]
	ds_read_b128 v[134:137], v180 offset:32
	ds_read_b128 v[142:145], v180 offset:48
	s_waitcnt vmcnt(24)
	v_fma_f64 v[138:139], v[138:139], v[146:147], -v[174:175]
	v_fma_f64 v[140:141], v[140:141], v[146:147], v[176:177]
	s_waitcnt vmcnt(22) lgkmcnt(1)
	v_mul_f64 v[178:179], v[136:137], v[148:149]
	v_mul_f64 v[148:149], v[134:135], v[148:149]
	v_add_f64 v[1:2], v[1:2], v[172:173]
	v_add_f64 v[3:4], v[3:4], v[131:132]
	s_waitcnt vmcnt(18) lgkmcnt(0)
	v_mul_f64 v[131:132], v[144:145], v[152:153]
	v_mul_f64 v[146:147], v[142:143], v[152:153]
	v_fma_f64 v[152:153], v[134:135], v[150:151], -v[178:179]
	v_fma_f64 v[148:149], v[136:137], v[150:151], v[148:149]
	v_add_f64 v[138:139], v[1:2], v[138:139]
	v_add_f64 v[140:141], v[3:4], v[140:141]
	ds_read_b128 v[1:4], v180 offset:64
	ds_read_b128 v[134:137], v180 offset:80
	s_waitcnt vmcnt(16)
	v_fma_f64 v[131:132], v[142:143], v[154:155], -v[131:132]
	v_fma_f64 v[142:143], v[144:145], v[154:155], v[146:147]
	s_waitcnt vmcnt(12) lgkmcnt(1)
	v_mul_f64 v[150:151], v[3:4], v[156:157]
	v_mul_f64 v[156:157], v[1:2], v[156:157]
	v_add_f64 v[138:139], v[138:139], v[152:153]
	v_add_f64 v[140:141], v[140:141], v[148:149]
	s_waitcnt vmcnt(10) lgkmcnt(0)
	v_mul_f64 v[144:145], v[136:137], v[158:159]
	v_mul_f64 v[146:147], v[134:135], v[158:159]
	s_waitcnt vmcnt(8)
	v_fma_f64 v[148:149], v[1:2], v[162:163], -v[150:151]
	v_fma_f64 v[150:151], v[3:4], v[162:163], v[156:157]
	v_add_f64 v[131:132], v[138:139], v[131:132]
	v_add_f64 v[142:143], v[140:141], v[142:143]
	ds_read_b128 v[1:4], v180 offset:96
	ds_read_b128 v[138:141], v180 offset:112
	v_fma_f64 v[134:135], v[134:135], v[160:161], -v[144:145]
	v_fma_f64 v[136:137], v[136:137], v[160:161], v[146:147]
	s_waitcnt vmcnt(4) lgkmcnt(1)
	v_mul_f64 v[152:153], v[3:4], v[164:165]
	v_mul_f64 v[154:155], v[1:2], v[164:165]
	v_add_f64 v[131:132], v[131:132], v[148:149]
	v_add_f64 v[142:143], v[142:143], v[150:151]
	s_waitcnt vmcnt(2) lgkmcnt(0)
	v_mul_f64 v[144:145], v[140:141], v[166:167]
	v_mul_f64 v[146:147], v[138:139], v[166:167]
	s_waitcnt vmcnt(0)
	v_fma_f64 v[1:2], v[1:2], v[170:171], -v[152:153]
	v_fma_f64 v[3:4], v[3:4], v[170:171], v[154:155]
	v_add_f64 v[131:132], v[131:132], v[134:135]
	v_add_f64 v[134:135], v[142:143], v[136:137]
	v_fma_f64 v[136:137], v[138:139], v[168:169], -v[144:145]
	v_fma_f64 v[138:139], v[140:141], v[168:169], v[146:147]
	v_add_f64 v[1:2], v[131:132], v[1:2]
	v_add_f64 v[3:4], v[134:135], v[3:4]
	v_mov_b32_e32 v131, s73
	s_mov_b32 s73, s74
	v_add_f64 v[1:2], v[1:2], v[136:137]
	v_add_f64 v[3:4], v[3:4], v[138:139]
	s_andn2_b32 exec_lo, exec_lo, s70
	s_cbranch_execnz .LBB124_459
; %bb.460:
	s_or_b32 exec_lo, exec_lo, s70
.LBB124_461:
	s_or_b32 exec_lo, exec_lo, s5
	v_and_b32_e32 v129, 7, v129
	s_mov_b32 s70, 0
	s_mov_b32 s5, exec_lo
	v_cmpx_ne_u32_e32 0, v129
	s_cbranch_execz .LBB124_465
; %bb.462:
	v_lshlrev_b32_e32 v131, 4, v131
	v_add_nc_u32_e32 v130, 0x3d0, v131
	.p2align	6
.LBB124_463:                            ; =>This Inner Loop Header: Depth=1
	s_clause 0x3
	buffer_load_dword v138, v131, s[0:3], 0 offen offset:8
	buffer_load_dword v139, v131, s[0:3], 0 offen offset:12
	buffer_load_dword v140, v131, s[0:3], 0 offen
	buffer_load_dword v141, v131, s[0:3], 0 offen offset:4
	ds_read_b128 v[134:137], v130
	v_add_nc_u32_e32 v129, -1, v129
	v_add_nc_u32_e32 v130, 16, v130
	v_add_nc_u32_e32 v131, 16, v131
	v_cmp_eq_u32_e32 vcc_lo, 0, v129
	s_or_b32 s70, vcc_lo, s70
	s_waitcnt vmcnt(2) lgkmcnt(0)
	v_mul_f64 v[142:143], v[136:137], v[138:139]
	v_mul_f64 v[138:139], v[134:135], v[138:139]
	s_waitcnt vmcnt(0)
	v_fma_f64 v[134:135], v[134:135], v[140:141], -v[142:143]
	v_fma_f64 v[136:137], v[136:137], v[140:141], v[138:139]
	v_add_f64 v[1:2], v[1:2], v[134:135]
	v_add_f64 v[3:4], v[3:4], v[136:137]
	s_andn2_b32 exec_lo, exec_lo, s70
	s_cbranch_execnz .LBB124_463
; %bb.464:
	s_or_b32 exec_lo, exec_lo, s70
.LBB124_465:
	s_or_b32 exec_lo, exec_lo, s5
.LBB124_466:
	s_or_b32 exec_lo, exec_lo, s8
	v_mov_b32_e32 v129, 0
	ds_read_b128 v[129:132], v129 offset:416
	s_waitcnt lgkmcnt(0)
	v_mul_f64 v[134:135], v[3:4], v[131:132]
	v_mul_f64 v[131:132], v[1:2], v[131:132]
	v_fma_f64 v[1:2], v[1:2], v[129:130], -v[134:135]
	v_fma_f64 v[3:4], v[3:4], v[129:130], v[131:132]
	buffer_store_dword v2, off, s[0:3], 0 offset:420
	buffer_store_dword v1, off, s[0:3], 0 offset:416
	;; [unrolled: 1-line block ×4, first 2 shown]
.LBB124_467:
	s_or_b32 exec_lo, exec_lo, s6
	v_mov_b32_e32 v4, s45
	v_cmp_lt_u32_e64 s5, 25, v0
	s_clause 0x3
	buffer_load_dword v1, v4, s[0:3], 0 offen
	buffer_load_dword v2, v4, s[0:3], 0 offen offset:4
	buffer_load_dword v3, v4, s[0:3], 0 offen offset:8
	;; [unrolled: 1-line block ×3, first 2 shown]
	s_waitcnt vmcnt(0)
	ds_write_b128 v128, v[1:4]
	s_waitcnt lgkmcnt(0)
	s_waitcnt_vscnt null, 0x0
	s_barrier
	buffer_gl0_inv
	s_and_saveexec_b32 s6, s5
	s_cbranch_execz .LBB124_481
; %bb.468:
	ds_read_b128 v[1:4], v128
	s_andn2_b32 vcc_lo, exec_lo, s7
	s_cbranch_vccnz .LBB124_470
; %bb.469:
	s_clause 0x3
	buffer_load_dword v129, v127, s[0:3], 0 offen offset:8
	buffer_load_dword v130, v127, s[0:3], 0 offen offset:12
	buffer_load_dword v131, v127, s[0:3], 0 offen
	buffer_load_dword v132, v127, s[0:3], 0 offen offset:4
	s_waitcnt vmcnt(2) lgkmcnt(0)
	v_mul_f64 v[134:135], v[3:4], v[129:130]
	v_mul_f64 v[129:130], v[1:2], v[129:130]
	s_waitcnt vmcnt(0)
	v_fma_f64 v[1:2], v[1:2], v[131:132], -v[134:135]
	v_fma_f64 v[3:4], v[3:4], v[131:132], v[129:130]
.LBB124_470:
	s_and_saveexec_b32 s8, s4
	s_cbranch_execz .LBB124_480
; %bb.471:
	v_subrev_nc_u32_e32 v130, 27, v0
	v_mov_b32_e32 v131, 26
	v_subrev_nc_u32_e32 v129, 26, v0
	s_mov_b32 s4, exec_lo
	v_cmpx_lt_u32_e32 6, v130
	s_cbranch_execz .LBB124_475
; %bb.472:
	v_and_b32_e32 v130, -8, v129
	s_movk_i32 s71, 0x570
	s_mov_b32 s70, 0
	s_mov_b32 s72, s44
	;; [unrolled: 1-line block ×3, first 2 shown]
.LBB124_473:                            ; =>This Inner Loop Header: Depth=1
	v_mov_b32_e32 v134, s72
	v_mov_b32_e32 v180, s71
	s_add_i32 s74, s73, 8
	s_add_i32 s73, s73, 34
	v_cmp_eq_u32_e32 vcc_lo, s74, v130
	s_clause 0x1f
	buffer_load_dword v131, v134, s[0:3], 0 offen offset:8
	buffer_load_dword v132, v134, s[0:3], 0 offen offset:12
	buffer_load_dword v142, v134, s[0:3], 0 offen
	buffer_load_dword v143, v134, s[0:3], 0 offen offset:4
	buffer_load_dword v144, v134, s[0:3], 0 offen offset:24
	;; [unrolled: 1-line block ×29, first 2 shown]
	ds_read_b128 v[134:137], v180
	ds_read_b128 v[138:141], v180 offset:16
	s_addk_i32 s71, 0x80
	s_addk_i32 s72, 0x80
	s_or_b32 s70, vcc_lo, s70
	s_waitcnt vmcnt(30) lgkmcnt(1)
	v_mul_f64 v[172:173], v[136:137], v[131:132]
	v_mul_f64 v[131:132], v[134:135], v[131:132]
	s_waitcnt vmcnt(26) lgkmcnt(0)
	v_mul_f64 v[174:175], v[140:141], v[144:145]
	v_mul_f64 v[176:177], v[138:139], v[144:145]
	v_fma_f64 v[172:173], v[134:135], v[142:143], -v[172:173]
	v_fma_f64 v[131:132], v[136:137], v[142:143], v[131:132]
	ds_read_b128 v[134:137], v180 offset:32
	ds_read_b128 v[142:145], v180 offset:48
	s_waitcnt vmcnt(24)
	v_fma_f64 v[138:139], v[138:139], v[146:147], -v[174:175]
	v_fma_f64 v[140:141], v[140:141], v[146:147], v[176:177]
	s_waitcnt vmcnt(22) lgkmcnt(1)
	v_mul_f64 v[178:179], v[136:137], v[148:149]
	v_mul_f64 v[148:149], v[134:135], v[148:149]
	v_add_f64 v[1:2], v[1:2], v[172:173]
	v_add_f64 v[3:4], v[3:4], v[131:132]
	s_waitcnt vmcnt(18) lgkmcnt(0)
	v_mul_f64 v[131:132], v[144:145], v[152:153]
	v_mul_f64 v[146:147], v[142:143], v[152:153]
	v_fma_f64 v[152:153], v[134:135], v[150:151], -v[178:179]
	v_fma_f64 v[148:149], v[136:137], v[150:151], v[148:149]
	v_add_f64 v[138:139], v[1:2], v[138:139]
	v_add_f64 v[140:141], v[3:4], v[140:141]
	ds_read_b128 v[1:4], v180 offset:64
	ds_read_b128 v[134:137], v180 offset:80
	s_waitcnt vmcnt(16)
	v_fma_f64 v[131:132], v[142:143], v[154:155], -v[131:132]
	v_fma_f64 v[142:143], v[144:145], v[154:155], v[146:147]
	s_waitcnt vmcnt(12) lgkmcnt(1)
	v_mul_f64 v[150:151], v[3:4], v[156:157]
	v_mul_f64 v[156:157], v[1:2], v[156:157]
	v_add_f64 v[138:139], v[138:139], v[152:153]
	v_add_f64 v[140:141], v[140:141], v[148:149]
	s_waitcnt vmcnt(10) lgkmcnt(0)
	v_mul_f64 v[144:145], v[136:137], v[158:159]
	v_mul_f64 v[146:147], v[134:135], v[158:159]
	s_waitcnt vmcnt(8)
	v_fma_f64 v[148:149], v[1:2], v[162:163], -v[150:151]
	v_fma_f64 v[150:151], v[3:4], v[162:163], v[156:157]
	v_add_f64 v[131:132], v[138:139], v[131:132]
	v_add_f64 v[142:143], v[140:141], v[142:143]
	ds_read_b128 v[1:4], v180 offset:96
	ds_read_b128 v[138:141], v180 offset:112
	v_fma_f64 v[134:135], v[134:135], v[160:161], -v[144:145]
	v_fma_f64 v[136:137], v[136:137], v[160:161], v[146:147]
	s_waitcnt vmcnt(4) lgkmcnt(1)
	v_mul_f64 v[152:153], v[3:4], v[164:165]
	v_mul_f64 v[154:155], v[1:2], v[164:165]
	v_add_f64 v[131:132], v[131:132], v[148:149]
	v_add_f64 v[142:143], v[142:143], v[150:151]
	s_waitcnt vmcnt(2) lgkmcnt(0)
	v_mul_f64 v[144:145], v[140:141], v[166:167]
	v_mul_f64 v[146:147], v[138:139], v[166:167]
	s_waitcnt vmcnt(0)
	v_fma_f64 v[1:2], v[1:2], v[170:171], -v[152:153]
	v_fma_f64 v[3:4], v[3:4], v[170:171], v[154:155]
	v_add_f64 v[131:132], v[131:132], v[134:135]
	v_add_f64 v[134:135], v[142:143], v[136:137]
	v_fma_f64 v[136:137], v[138:139], v[168:169], -v[144:145]
	v_fma_f64 v[138:139], v[140:141], v[168:169], v[146:147]
	v_add_f64 v[1:2], v[131:132], v[1:2]
	v_add_f64 v[3:4], v[134:135], v[3:4]
	v_mov_b32_e32 v131, s73
	s_mov_b32 s73, s74
	v_add_f64 v[1:2], v[1:2], v[136:137]
	v_add_f64 v[3:4], v[3:4], v[138:139]
	s_andn2_b32 exec_lo, exec_lo, s70
	s_cbranch_execnz .LBB124_473
; %bb.474:
	s_or_b32 exec_lo, exec_lo, s70
.LBB124_475:
	s_or_b32 exec_lo, exec_lo, s4
	v_and_b32_e32 v129, 7, v129
	s_mov_b32 s70, 0
	s_mov_b32 s4, exec_lo
	v_cmpx_ne_u32_e32 0, v129
	s_cbranch_execz .LBB124_479
; %bb.476:
	v_lshlrev_b32_e32 v131, 4, v131
	v_add_nc_u32_e32 v130, 0x3d0, v131
	.p2align	6
.LBB124_477:                            ; =>This Inner Loop Header: Depth=1
	s_clause 0x3
	buffer_load_dword v138, v131, s[0:3], 0 offen offset:8
	buffer_load_dword v139, v131, s[0:3], 0 offen offset:12
	buffer_load_dword v140, v131, s[0:3], 0 offen
	buffer_load_dword v141, v131, s[0:3], 0 offen offset:4
	ds_read_b128 v[134:137], v130
	v_add_nc_u32_e32 v129, -1, v129
	v_add_nc_u32_e32 v130, 16, v130
	v_add_nc_u32_e32 v131, 16, v131
	v_cmp_eq_u32_e32 vcc_lo, 0, v129
	s_or_b32 s70, vcc_lo, s70
	s_waitcnt vmcnt(2) lgkmcnt(0)
	v_mul_f64 v[142:143], v[136:137], v[138:139]
	v_mul_f64 v[138:139], v[134:135], v[138:139]
	s_waitcnt vmcnt(0)
	v_fma_f64 v[134:135], v[134:135], v[140:141], -v[142:143]
	v_fma_f64 v[136:137], v[136:137], v[140:141], v[138:139]
	v_add_f64 v[1:2], v[1:2], v[134:135]
	v_add_f64 v[3:4], v[3:4], v[136:137]
	s_andn2_b32 exec_lo, exec_lo, s70
	s_cbranch_execnz .LBB124_477
; %bb.478:
	s_or_b32 exec_lo, exec_lo, s70
.LBB124_479:
	s_or_b32 exec_lo, exec_lo, s4
.LBB124_480:
	s_or_b32 exec_lo, exec_lo, s8
	v_mov_b32_e32 v129, 0
	ds_read_b128 v[129:132], v129 offset:400
	s_waitcnt lgkmcnt(0)
	v_mul_f64 v[134:135], v[3:4], v[131:132]
	v_mul_f64 v[131:132], v[1:2], v[131:132]
	v_fma_f64 v[1:2], v[1:2], v[129:130], -v[134:135]
	v_fma_f64 v[3:4], v[3:4], v[129:130], v[131:132]
	buffer_store_dword v2, off, s[0:3], 0 offset:404
	buffer_store_dword v1, off, s[0:3], 0 offset:400
	;; [unrolled: 1-line block ×4, first 2 shown]
.LBB124_481:
	s_or_b32 exec_lo, exec_lo, s6
	v_mov_b32_e32 v4, s46
	v_cmp_lt_u32_e64 s4, 24, v0
	s_clause 0x3
	buffer_load_dword v1, v4, s[0:3], 0 offen
	buffer_load_dword v2, v4, s[0:3], 0 offen offset:4
	buffer_load_dword v3, v4, s[0:3], 0 offen offset:8
	;; [unrolled: 1-line block ×3, first 2 shown]
	s_waitcnt vmcnt(0)
	ds_write_b128 v128, v[1:4]
	s_waitcnt lgkmcnt(0)
	s_waitcnt_vscnt null, 0x0
	s_barrier
	buffer_gl0_inv
	s_and_saveexec_b32 s6, s4
	s_cbranch_execz .LBB124_495
; %bb.482:
	ds_read_b128 v[1:4], v128
	s_andn2_b32 vcc_lo, exec_lo, s7
	s_cbranch_vccnz .LBB124_484
; %bb.483:
	s_clause 0x3
	buffer_load_dword v129, v127, s[0:3], 0 offen offset:8
	buffer_load_dword v130, v127, s[0:3], 0 offen offset:12
	buffer_load_dword v131, v127, s[0:3], 0 offen
	buffer_load_dword v132, v127, s[0:3], 0 offen offset:4
	s_waitcnt vmcnt(2) lgkmcnt(0)
	v_mul_f64 v[134:135], v[3:4], v[129:130]
	v_mul_f64 v[129:130], v[1:2], v[129:130]
	s_waitcnt vmcnt(0)
	v_fma_f64 v[1:2], v[1:2], v[131:132], -v[134:135]
	v_fma_f64 v[3:4], v[3:4], v[131:132], v[129:130]
.LBB124_484:
	s_and_saveexec_b32 s8, s5
	s_cbranch_execz .LBB124_494
; %bb.485:
	v_subrev_nc_u32_e32 v130, 26, v0
	v_mov_b32_e32 v131, 25
	v_subrev_nc_u32_e32 v129, 25, v0
	s_mov_b32 s5, exec_lo
	v_cmpx_lt_u32_e32 6, v130
	s_cbranch_execz .LBB124_489
; %bb.486:
	v_and_b32_e32 v130, -8, v129
	s_movk_i32 s71, 0x560
	s_mov_b32 s70, 0
	s_mov_b32 s72, s45
	;; [unrolled: 1-line block ×3, first 2 shown]
.LBB124_487:                            ; =>This Inner Loop Header: Depth=1
	v_mov_b32_e32 v134, s72
	v_mov_b32_e32 v180, s71
	s_add_i32 s74, s73, 8
	s_add_i32 s73, s73, 33
	v_cmp_eq_u32_e32 vcc_lo, s74, v130
	s_clause 0x1f
	buffer_load_dword v131, v134, s[0:3], 0 offen offset:8
	buffer_load_dword v132, v134, s[0:3], 0 offen offset:12
	buffer_load_dword v142, v134, s[0:3], 0 offen
	buffer_load_dword v143, v134, s[0:3], 0 offen offset:4
	buffer_load_dword v144, v134, s[0:3], 0 offen offset:24
	;; [unrolled: 1-line block ×29, first 2 shown]
	ds_read_b128 v[134:137], v180
	ds_read_b128 v[138:141], v180 offset:16
	s_addk_i32 s71, 0x80
	s_addk_i32 s72, 0x80
	s_or_b32 s70, vcc_lo, s70
	s_waitcnt vmcnt(30) lgkmcnt(1)
	v_mul_f64 v[172:173], v[136:137], v[131:132]
	v_mul_f64 v[131:132], v[134:135], v[131:132]
	s_waitcnt vmcnt(26) lgkmcnt(0)
	v_mul_f64 v[174:175], v[140:141], v[144:145]
	v_mul_f64 v[176:177], v[138:139], v[144:145]
	v_fma_f64 v[172:173], v[134:135], v[142:143], -v[172:173]
	v_fma_f64 v[131:132], v[136:137], v[142:143], v[131:132]
	ds_read_b128 v[134:137], v180 offset:32
	ds_read_b128 v[142:145], v180 offset:48
	s_waitcnt vmcnt(24)
	v_fma_f64 v[138:139], v[138:139], v[146:147], -v[174:175]
	v_fma_f64 v[140:141], v[140:141], v[146:147], v[176:177]
	s_waitcnt vmcnt(22) lgkmcnt(1)
	v_mul_f64 v[178:179], v[136:137], v[148:149]
	v_mul_f64 v[148:149], v[134:135], v[148:149]
	v_add_f64 v[1:2], v[1:2], v[172:173]
	v_add_f64 v[3:4], v[3:4], v[131:132]
	s_waitcnt vmcnt(18) lgkmcnt(0)
	v_mul_f64 v[131:132], v[144:145], v[152:153]
	v_mul_f64 v[146:147], v[142:143], v[152:153]
	v_fma_f64 v[152:153], v[134:135], v[150:151], -v[178:179]
	v_fma_f64 v[148:149], v[136:137], v[150:151], v[148:149]
	v_add_f64 v[138:139], v[1:2], v[138:139]
	v_add_f64 v[140:141], v[3:4], v[140:141]
	ds_read_b128 v[1:4], v180 offset:64
	ds_read_b128 v[134:137], v180 offset:80
	s_waitcnt vmcnt(16)
	v_fma_f64 v[131:132], v[142:143], v[154:155], -v[131:132]
	v_fma_f64 v[142:143], v[144:145], v[154:155], v[146:147]
	s_waitcnt vmcnt(12) lgkmcnt(1)
	v_mul_f64 v[150:151], v[3:4], v[156:157]
	v_mul_f64 v[156:157], v[1:2], v[156:157]
	v_add_f64 v[138:139], v[138:139], v[152:153]
	v_add_f64 v[140:141], v[140:141], v[148:149]
	s_waitcnt vmcnt(10) lgkmcnt(0)
	v_mul_f64 v[144:145], v[136:137], v[158:159]
	v_mul_f64 v[146:147], v[134:135], v[158:159]
	s_waitcnt vmcnt(8)
	v_fma_f64 v[148:149], v[1:2], v[162:163], -v[150:151]
	v_fma_f64 v[150:151], v[3:4], v[162:163], v[156:157]
	v_add_f64 v[131:132], v[138:139], v[131:132]
	v_add_f64 v[142:143], v[140:141], v[142:143]
	ds_read_b128 v[1:4], v180 offset:96
	ds_read_b128 v[138:141], v180 offset:112
	v_fma_f64 v[134:135], v[134:135], v[160:161], -v[144:145]
	v_fma_f64 v[136:137], v[136:137], v[160:161], v[146:147]
	s_waitcnt vmcnt(4) lgkmcnt(1)
	v_mul_f64 v[152:153], v[3:4], v[164:165]
	v_mul_f64 v[154:155], v[1:2], v[164:165]
	v_add_f64 v[131:132], v[131:132], v[148:149]
	v_add_f64 v[142:143], v[142:143], v[150:151]
	s_waitcnt vmcnt(2) lgkmcnt(0)
	v_mul_f64 v[144:145], v[140:141], v[166:167]
	v_mul_f64 v[146:147], v[138:139], v[166:167]
	s_waitcnt vmcnt(0)
	v_fma_f64 v[1:2], v[1:2], v[170:171], -v[152:153]
	v_fma_f64 v[3:4], v[3:4], v[170:171], v[154:155]
	v_add_f64 v[131:132], v[131:132], v[134:135]
	v_add_f64 v[134:135], v[142:143], v[136:137]
	v_fma_f64 v[136:137], v[138:139], v[168:169], -v[144:145]
	v_fma_f64 v[138:139], v[140:141], v[168:169], v[146:147]
	v_add_f64 v[1:2], v[131:132], v[1:2]
	v_add_f64 v[3:4], v[134:135], v[3:4]
	v_mov_b32_e32 v131, s73
	s_mov_b32 s73, s74
	v_add_f64 v[1:2], v[1:2], v[136:137]
	v_add_f64 v[3:4], v[3:4], v[138:139]
	s_andn2_b32 exec_lo, exec_lo, s70
	s_cbranch_execnz .LBB124_487
; %bb.488:
	s_or_b32 exec_lo, exec_lo, s70
.LBB124_489:
	s_or_b32 exec_lo, exec_lo, s5
	v_and_b32_e32 v129, 7, v129
	s_mov_b32 s70, 0
	s_mov_b32 s5, exec_lo
	v_cmpx_ne_u32_e32 0, v129
	s_cbranch_execz .LBB124_493
; %bb.490:
	v_lshlrev_b32_e32 v131, 4, v131
	v_add_nc_u32_e32 v130, 0x3d0, v131
	.p2align	6
.LBB124_491:                            ; =>This Inner Loop Header: Depth=1
	s_clause 0x3
	buffer_load_dword v138, v131, s[0:3], 0 offen offset:8
	buffer_load_dword v139, v131, s[0:3], 0 offen offset:12
	buffer_load_dword v140, v131, s[0:3], 0 offen
	buffer_load_dword v141, v131, s[0:3], 0 offen offset:4
	ds_read_b128 v[134:137], v130
	v_add_nc_u32_e32 v129, -1, v129
	v_add_nc_u32_e32 v130, 16, v130
	v_add_nc_u32_e32 v131, 16, v131
	v_cmp_eq_u32_e32 vcc_lo, 0, v129
	s_or_b32 s70, vcc_lo, s70
	s_waitcnt vmcnt(2) lgkmcnt(0)
	v_mul_f64 v[142:143], v[136:137], v[138:139]
	v_mul_f64 v[138:139], v[134:135], v[138:139]
	s_waitcnt vmcnt(0)
	v_fma_f64 v[134:135], v[134:135], v[140:141], -v[142:143]
	v_fma_f64 v[136:137], v[136:137], v[140:141], v[138:139]
	v_add_f64 v[1:2], v[1:2], v[134:135]
	v_add_f64 v[3:4], v[3:4], v[136:137]
	s_andn2_b32 exec_lo, exec_lo, s70
	s_cbranch_execnz .LBB124_491
; %bb.492:
	s_or_b32 exec_lo, exec_lo, s70
.LBB124_493:
	s_or_b32 exec_lo, exec_lo, s5
.LBB124_494:
	s_or_b32 exec_lo, exec_lo, s8
	v_mov_b32_e32 v129, 0
	ds_read_b128 v[129:132], v129 offset:384
	s_waitcnt lgkmcnt(0)
	v_mul_f64 v[134:135], v[3:4], v[131:132]
	v_mul_f64 v[131:132], v[1:2], v[131:132]
	v_fma_f64 v[1:2], v[1:2], v[129:130], -v[134:135]
	v_fma_f64 v[3:4], v[3:4], v[129:130], v[131:132]
	buffer_store_dword v2, off, s[0:3], 0 offset:388
	buffer_store_dword v1, off, s[0:3], 0 offset:384
	;; [unrolled: 1-line block ×4, first 2 shown]
.LBB124_495:
	s_or_b32 exec_lo, exec_lo, s6
	v_mov_b32_e32 v4, s47
	v_cmp_lt_u32_e64 s5, 23, v0
	s_clause 0x3
	buffer_load_dword v1, v4, s[0:3], 0 offen
	buffer_load_dword v2, v4, s[0:3], 0 offen offset:4
	buffer_load_dword v3, v4, s[0:3], 0 offen offset:8
	;; [unrolled: 1-line block ×3, first 2 shown]
	s_waitcnt vmcnt(0)
	ds_write_b128 v128, v[1:4]
	s_waitcnt lgkmcnt(0)
	s_waitcnt_vscnt null, 0x0
	s_barrier
	buffer_gl0_inv
	s_and_saveexec_b32 s6, s5
	s_cbranch_execz .LBB124_509
; %bb.496:
	ds_read_b128 v[1:4], v128
	s_andn2_b32 vcc_lo, exec_lo, s7
	s_cbranch_vccnz .LBB124_498
; %bb.497:
	s_clause 0x3
	buffer_load_dword v129, v127, s[0:3], 0 offen offset:8
	buffer_load_dword v130, v127, s[0:3], 0 offen offset:12
	buffer_load_dword v131, v127, s[0:3], 0 offen
	buffer_load_dword v132, v127, s[0:3], 0 offen offset:4
	s_waitcnt vmcnt(2) lgkmcnt(0)
	v_mul_f64 v[134:135], v[3:4], v[129:130]
	v_mul_f64 v[129:130], v[1:2], v[129:130]
	s_waitcnt vmcnt(0)
	v_fma_f64 v[1:2], v[1:2], v[131:132], -v[134:135]
	v_fma_f64 v[3:4], v[3:4], v[131:132], v[129:130]
.LBB124_498:
	s_and_saveexec_b32 s8, s4
	s_cbranch_execz .LBB124_508
; %bb.499:
	v_subrev_nc_u32_e32 v129, 25, v0
	v_cmp_lt_u32_e32 vcc_lo, 6, v129
	v_mov_b32_e32 v129, 24
	s_and_saveexec_b32 s4, vcc_lo
	s_cbranch_execz .LBB124_503
; %bb.500:
	v_and_b32_e32 v129, 56, v0
	s_mov_b32 s70, 24
	s_movk_i32 s72, 0x550
	s_mov_b32 s71, 0
	s_mov_b32 s73, s46
.LBB124_501:                            ; =>This Inner Loop Header: Depth=1
	v_mov_b32_e32 v132, s73
	s_add_i32 s70, s70, 8
	s_addk_i32 s73, 0x80
	v_cmp_eq_u32_e32 vcc_lo, s70, v129
	s_clause 0x1f
	buffer_load_dword v130, v132, s[0:3], 0 offen offset:8
	buffer_load_dword v131, v132, s[0:3], 0 offen offset:12
	buffer_load_dword v142, v132, s[0:3], 0 offen
	buffer_load_dword v143, v132, s[0:3], 0 offen offset:4
	buffer_load_dword v144, v132, s[0:3], 0 offen offset:24
	;; [unrolled: 1-line block ×29, first 2 shown]
	v_mov_b32_e32 v132, s72
	s_addk_i32 s72, 0x80
	s_or_b32 s71, vcc_lo, s71
	ds_read_b128 v[134:137], v132
	ds_read_b128 v[138:141], v132 offset:16
	s_waitcnt vmcnt(30) lgkmcnt(1)
	v_mul_f64 v[172:173], v[136:137], v[130:131]
	v_mul_f64 v[130:131], v[134:135], v[130:131]
	s_waitcnt vmcnt(26) lgkmcnt(0)
	v_mul_f64 v[174:175], v[140:141], v[144:145]
	v_mul_f64 v[176:177], v[138:139], v[144:145]
	v_fma_f64 v[172:173], v[134:135], v[142:143], -v[172:173]
	v_fma_f64 v[130:131], v[136:137], v[142:143], v[130:131]
	ds_read_b128 v[134:137], v132 offset:32
	ds_read_b128 v[142:145], v132 offset:48
	s_waitcnt vmcnt(24)
	v_fma_f64 v[138:139], v[138:139], v[146:147], -v[174:175]
	v_fma_f64 v[140:141], v[140:141], v[146:147], v[176:177]
	s_waitcnt vmcnt(22) lgkmcnt(1)
	v_mul_f64 v[178:179], v[136:137], v[148:149]
	v_mul_f64 v[148:149], v[134:135], v[148:149]
	v_add_f64 v[1:2], v[1:2], v[172:173]
	v_add_f64 v[3:4], v[3:4], v[130:131]
	s_waitcnt vmcnt(18) lgkmcnt(0)
	v_mul_f64 v[130:131], v[144:145], v[152:153]
	v_mul_f64 v[146:147], v[142:143], v[152:153]
	v_fma_f64 v[152:153], v[134:135], v[150:151], -v[178:179]
	v_fma_f64 v[148:149], v[136:137], v[150:151], v[148:149]
	v_add_f64 v[138:139], v[1:2], v[138:139]
	v_add_f64 v[140:141], v[3:4], v[140:141]
	ds_read_b128 v[1:4], v132 offset:64
	ds_read_b128 v[134:137], v132 offset:80
	s_waitcnt vmcnt(16)
	v_fma_f64 v[130:131], v[142:143], v[154:155], -v[130:131]
	v_fma_f64 v[142:143], v[144:145], v[154:155], v[146:147]
	s_waitcnt vmcnt(12) lgkmcnt(1)
	v_mul_f64 v[150:151], v[3:4], v[156:157]
	v_mul_f64 v[156:157], v[1:2], v[156:157]
	v_add_f64 v[138:139], v[138:139], v[152:153]
	v_add_f64 v[140:141], v[140:141], v[148:149]
	s_waitcnt vmcnt(10) lgkmcnt(0)
	v_mul_f64 v[144:145], v[136:137], v[158:159]
	v_mul_f64 v[146:147], v[134:135], v[158:159]
	s_waitcnt vmcnt(8)
	v_fma_f64 v[148:149], v[1:2], v[162:163], -v[150:151]
	v_fma_f64 v[150:151], v[3:4], v[162:163], v[156:157]
	v_add_f64 v[130:131], v[138:139], v[130:131]
	v_add_f64 v[142:143], v[140:141], v[142:143]
	ds_read_b128 v[1:4], v132 offset:96
	ds_read_b128 v[138:141], v132 offset:112
	v_fma_f64 v[134:135], v[134:135], v[160:161], -v[144:145]
	v_fma_f64 v[136:137], v[136:137], v[160:161], v[146:147]
	s_waitcnt vmcnt(4) lgkmcnt(1)
	v_mul_f64 v[152:153], v[3:4], v[164:165]
	v_mul_f64 v[154:155], v[1:2], v[164:165]
	v_add_f64 v[130:131], v[130:131], v[148:149]
	v_add_f64 v[142:143], v[142:143], v[150:151]
	s_waitcnt vmcnt(2) lgkmcnt(0)
	v_mul_f64 v[144:145], v[140:141], v[166:167]
	v_mul_f64 v[146:147], v[138:139], v[166:167]
	s_waitcnt vmcnt(0)
	v_fma_f64 v[1:2], v[1:2], v[170:171], -v[152:153]
	v_fma_f64 v[3:4], v[3:4], v[170:171], v[154:155]
	v_add_f64 v[130:131], v[130:131], v[134:135]
	v_add_f64 v[134:135], v[142:143], v[136:137]
	v_fma_f64 v[136:137], v[138:139], v[168:169], -v[144:145]
	v_fma_f64 v[138:139], v[140:141], v[168:169], v[146:147]
	v_add_f64 v[1:2], v[130:131], v[1:2]
	v_add_f64 v[3:4], v[134:135], v[3:4]
	;; [unrolled: 1-line block ×4, first 2 shown]
	s_andn2_b32 exec_lo, exec_lo, s71
	s_cbranch_execnz .LBB124_501
; %bb.502:
	s_or_b32 exec_lo, exec_lo, s71
.LBB124_503:
	s_or_b32 exec_lo, exec_lo, s4
	v_and_b32_e32 v130, 7, v0
	s_mov_b32 s70, 0
	s_mov_b32 s4, exec_lo
	v_cmpx_ne_u32_e32 0, v130
	s_cbranch_execz .LBB124_507
; %bb.504:
	v_lshlrev_b32_e32 v131, 4, v129
	v_add_nc_u32_e32 v129, 0x3d0, v131
	.p2align	6
.LBB124_505:                            ; =>This Inner Loop Header: Depth=1
	s_clause 0x3
	buffer_load_dword v138, v131, s[0:3], 0 offen offset:8
	buffer_load_dword v139, v131, s[0:3], 0 offen offset:12
	buffer_load_dword v140, v131, s[0:3], 0 offen
	buffer_load_dword v141, v131, s[0:3], 0 offen offset:4
	ds_read_b128 v[134:137], v129
	v_add_nc_u32_e32 v130, -1, v130
	v_add_nc_u32_e32 v129, 16, v129
	v_add_nc_u32_e32 v131, 16, v131
	v_cmp_eq_u32_e32 vcc_lo, 0, v130
	s_or_b32 s70, vcc_lo, s70
	s_waitcnt vmcnt(2) lgkmcnt(0)
	v_mul_f64 v[142:143], v[136:137], v[138:139]
	v_mul_f64 v[138:139], v[134:135], v[138:139]
	s_waitcnt vmcnt(0)
	v_fma_f64 v[134:135], v[134:135], v[140:141], -v[142:143]
	v_fma_f64 v[136:137], v[136:137], v[140:141], v[138:139]
	v_add_f64 v[1:2], v[1:2], v[134:135]
	v_add_f64 v[3:4], v[3:4], v[136:137]
	s_andn2_b32 exec_lo, exec_lo, s70
	s_cbranch_execnz .LBB124_505
; %bb.506:
	s_or_b32 exec_lo, exec_lo, s70
.LBB124_507:
	s_or_b32 exec_lo, exec_lo, s4
.LBB124_508:
	s_or_b32 exec_lo, exec_lo, s8
	v_mov_b32_e32 v129, 0
	ds_read_b128 v[129:132], v129 offset:368
	s_waitcnt lgkmcnt(0)
	v_mul_f64 v[134:135], v[3:4], v[131:132]
	v_mul_f64 v[131:132], v[1:2], v[131:132]
	v_fma_f64 v[1:2], v[1:2], v[129:130], -v[134:135]
	v_fma_f64 v[3:4], v[3:4], v[129:130], v[131:132]
	buffer_store_dword v2, off, s[0:3], 0 offset:372
	buffer_store_dword v1, off, s[0:3], 0 offset:368
	;; [unrolled: 1-line block ×4, first 2 shown]
.LBB124_509:
	s_or_b32 exec_lo, exec_lo, s6
	v_mov_b32_e32 v4, s48
	v_cmp_lt_u32_e64 s4, 22, v0
	s_clause 0x3
	buffer_load_dword v1, v4, s[0:3], 0 offen
	buffer_load_dword v2, v4, s[0:3], 0 offen offset:4
	buffer_load_dword v3, v4, s[0:3], 0 offen offset:8
	;; [unrolled: 1-line block ×3, first 2 shown]
	s_waitcnt vmcnt(0)
	ds_write_b128 v128, v[1:4]
	s_waitcnt lgkmcnt(0)
	s_waitcnt_vscnt null, 0x0
	s_barrier
	buffer_gl0_inv
	s_and_saveexec_b32 s6, s4
	s_cbranch_execz .LBB124_523
; %bb.510:
	ds_read_b128 v[1:4], v128
	s_andn2_b32 vcc_lo, exec_lo, s7
	s_cbranch_vccnz .LBB124_512
; %bb.511:
	s_clause 0x3
	buffer_load_dword v129, v127, s[0:3], 0 offen offset:8
	buffer_load_dword v130, v127, s[0:3], 0 offen offset:12
	buffer_load_dword v131, v127, s[0:3], 0 offen
	buffer_load_dword v132, v127, s[0:3], 0 offen offset:4
	s_waitcnt vmcnt(2) lgkmcnt(0)
	v_mul_f64 v[134:135], v[3:4], v[129:130]
	v_mul_f64 v[129:130], v[1:2], v[129:130]
	s_waitcnt vmcnt(0)
	v_fma_f64 v[1:2], v[1:2], v[131:132], -v[134:135]
	v_fma_f64 v[3:4], v[3:4], v[131:132], v[129:130]
.LBB124_512:
	s_and_saveexec_b32 s8, s5
	s_cbranch_execz .LBB124_522
; %bb.513:
	v_subrev_nc_u32_e32 v130, 24, v0
	v_mov_b32_e32 v131, 23
	v_subrev_nc_u32_e32 v129, 23, v0
	s_mov_b32 s5, exec_lo
	v_cmpx_lt_u32_e32 6, v130
	s_cbranch_execz .LBB124_517
; %bb.514:
	v_and_b32_e32 v130, -8, v129
	s_movk_i32 s71, 0x540
	s_mov_b32 s70, 0
	s_mov_b32 s72, s47
	;; [unrolled: 1-line block ×3, first 2 shown]
.LBB124_515:                            ; =>This Inner Loop Header: Depth=1
	v_mov_b32_e32 v134, s72
	v_mov_b32_e32 v180, s71
	s_add_i32 s74, s73, 8
	s_add_i32 s73, s73, 31
	v_cmp_eq_u32_e32 vcc_lo, s74, v130
	s_clause 0x1f
	buffer_load_dword v131, v134, s[0:3], 0 offen offset:8
	buffer_load_dword v132, v134, s[0:3], 0 offen offset:12
	buffer_load_dword v142, v134, s[0:3], 0 offen
	buffer_load_dword v143, v134, s[0:3], 0 offen offset:4
	buffer_load_dword v144, v134, s[0:3], 0 offen offset:24
	;; [unrolled: 1-line block ×29, first 2 shown]
	ds_read_b128 v[134:137], v180
	ds_read_b128 v[138:141], v180 offset:16
	s_addk_i32 s71, 0x80
	s_addk_i32 s72, 0x80
	s_or_b32 s70, vcc_lo, s70
	s_waitcnt vmcnt(30) lgkmcnt(1)
	v_mul_f64 v[172:173], v[136:137], v[131:132]
	v_mul_f64 v[131:132], v[134:135], v[131:132]
	s_waitcnt vmcnt(26) lgkmcnt(0)
	v_mul_f64 v[174:175], v[140:141], v[144:145]
	v_mul_f64 v[176:177], v[138:139], v[144:145]
	v_fma_f64 v[172:173], v[134:135], v[142:143], -v[172:173]
	v_fma_f64 v[131:132], v[136:137], v[142:143], v[131:132]
	ds_read_b128 v[134:137], v180 offset:32
	ds_read_b128 v[142:145], v180 offset:48
	s_waitcnt vmcnt(24)
	v_fma_f64 v[138:139], v[138:139], v[146:147], -v[174:175]
	v_fma_f64 v[140:141], v[140:141], v[146:147], v[176:177]
	s_waitcnt vmcnt(22) lgkmcnt(1)
	v_mul_f64 v[178:179], v[136:137], v[148:149]
	v_mul_f64 v[148:149], v[134:135], v[148:149]
	v_add_f64 v[1:2], v[1:2], v[172:173]
	v_add_f64 v[3:4], v[3:4], v[131:132]
	s_waitcnt vmcnt(18) lgkmcnt(0)
	v_mul_f64 v[131:132], v[144:145], v[152:153]
	v_mul_f64 v[146:147], v[142:143], v[152:153]
	v_fma_f64 v[152:153], v[134:135], v[150:151], -v[178:179]
	v_fma_f64 v[148:149], v[136:137], v[150:151], v[148:149]
	v_add_f64 v[138:139], v[1:2], v[138:139]
	v_add_f64 v[140:141], v[3:4], v[140:141]
	ds_read_b128 v[1:4], v180 offset:64
	ds_read_b128 v[134:137], v180 offset:80
	s_waitcnt vmcnt(16)
	v_fma_f64 v[131:132], v[142:143], v[154:155], -v[131:132]
	v_fma_f64 v[142:143], v[144:145], v[154:155], v[146:147]
	s_waitcnt vmcnt(12) lgkmcnt(1)
	v_mul_f64 v[150:151], v[3:4], v[156:157]
	v_mul_f64 v[156:157], v[1:2], v[156:157]
	v_add_f64 v[138:139], v[138:139], v[152:153]
	v_add_f64 v[140:141], v[140:141], v[148:149]
	s_waitcnt vmcnt(10) lgkmcnt(0)
	v_mul_f64 v[144:145], v[136:137], v[158:159]
	v_mul_f64 v[146:147], v[134:135], v[158:159]
	s_waitcnt vmcnt(8)
	v_fma_f64 v[148:149], v[1:2], v[162:163], -v[150:151]
	v_fma_f64 v[150:151], v[3:4], v[162:163], v[156:157]
	v_add_f64 v[131:132], v[138:139], v[131:132]
	v_add_f64 v[142:143], v[140:141], v[142:143]
	ds_read_b128 v[1:4], v180 offset:96
	ds_read_b128 v[138:141], v180 offset:112
	v_fma_f64 v[134:135], v[134:135], v[160:161], -v[144:145]
	v_fma_f64 v[136:137], v[136:137], v[160:161], v[146:147]
	s_waitcnt vmcnt(4) lgkmcnt(1)
	v_mul_f64 v[152:153], v[3:4], v[164:165]
	v_mul_f64 v[154:155], v[1:2], v[164:165]
	v_add_f64 v[131:132], v[131:132], v[148:149]
	v_add_f64 v[142:143], v[142:143], v[150:151]
	s_waitcnt vmcnt(2) lgkmcnt(0)
	v_mul_f64 v[144:145], v[140:141], v[166:167]
	v_mul_f64 v[146:147], v[138:139], v[166:167]
	s_waitcnt vmcnt(0)
	v_fma_f64 v[1:2], v[1:2], v[170:171], -v[152:153]
	v_fma_f64 v[3:4], v[3:4], v[170:171], v[154:155]
	v_add_f64 v[131:132], v[131:132], v[134:135]
	v_add_f64 v[134:135], v[142:143], v[136:137]
	v_fma_f64 v[136:137], v[138:139], v[168:169], -v[144:145]
	v_fma_f64 v[138:139], v[140:141], v[168:169], v[146:147]
	v_add_f64 v[1:2], v[131:132], v[1:2]
	v_add_f64 v[3:4], v[134:135], v[3:4]
	v_mov_b32_e32 v131, s73
	s_mov_b32 s73, s74
	v_add_f64 v[1:2], v[1:2], v[136:137]
	v_add_f64 v[3:4], v[3:4], v[138:139]
	s_andn2_b32 exec_lo, exec_lo, s70
	s_cbranch_execnz .LBB124_515
; %bb.516:
	s_or_b32 exec_lo, exec_lo, s70
.LBB124_517:
	s_or_b32 exec_lo, exec_lo, s5
	v_and_b32_e32 v129, 7, v129
	s_mov_b32 s70, 0
	s_mov_b32 s5, exec_lo
	v_cmpx_ne_u32_e32 0, v129
	s_cbranch_execz .LBB124_521
; %bb.518:
	v_lshlrev_b32_e32 v131, 4, v131
	v_add_nc_u32_e32 v130, 0x3d0, v131
	.p2align	6
.LBB124_519:                            ; =>This Inner Loop Header: Depth=1
	s_clause 0x3
	buffer_load_dword v138, v131, s[0:3], 0 offen offset:8
	buffer_load_dword v139, v131, s[0:3], 0 offen offset:12
	buffer_load_dword v140, v131, s[0:3], 0 offen
	buffer_load_dword v141, v131, s[0:3], 0 offen offset:4
	ds_read_b128 v[134:137], v130
	v_add_nc_u32_e32 v129, -1, v129
	v_add_nc_u32_e32 v130, 16, v130
	v_add_nc_u32_e32 v131, 16, v131
	v_cmp_eq_u32_e32 vcc_lo, 0, v129
	s_or_b32 s70, vcc_lo, s70
	s_waitcnt vmcnt(2) lgkmcnt(0)
	v_mul_f64 v[142:143], v[136:137], v[138:139]
	v_mul_f64 v[138:139], v[134:135], v[138:139]
	s_waitcnt vmcnt(0)
	v_fma_f64 v[134:135], v[134:135], v[140:141], -v[142:143]
	v_fma_f64 v[136:137], v[136:137], v[140:141], v[138:139]
	v_add_f64 v[1:2], v[1:2], v[134:135]
	v_add_f64 v[3:4], v[3:4], v[136:137]
	s_andn2_b32 exec_lo, exec_lo, s70
	s_cbranch_execnz .LBB124_519
; %bb.520:
	s_or_b32 exec_lo, exec_lo, s70
.LBB124_521:
	s_or_b32 exec_lo, exec_lo, s5
.LBB124_522:
	s_or_b32 exec_lo, exec_lo, s8
	v_mov_b32_e32 v129, 0
	ds_read_b128 v[129:132], v129 offset:352
	s_waitcnt lgkmcnt(0)
	v_mul_f64 v[134:135], v[3:4], v[131:132]
	v_mul_f64 v[131:132], v[1:2], v[131:132]
	v_fma_f64 v[1:2], v[1:2], v[129:130], -v[134:135]
	v_fma_f64 v[3:4], v[3:4], v[129:130], v[131:132]
	buffer_store_dword v2, off, s[0:3], 0 offset:356
	buffer_store_dword v1, off, s[0:3], 0 offset:352
	;; [unrolled: 1-line block ×4, first 2 shown]
.LBB124_523:
	s_or_b32 exec_lo, exec_lo, s6
	v_mov_b32_e32 v4, s49
	v_cmp_lt_u32_e64 s5, 21, v0
	s_clause 0x3
	buffer_load_dword v1, v4, s[0:3], 0 offen
	buffer_load_dword v2, v4, s[0:3], 0 offen offset:4
	buffer_load_dword v3, v4, s[0:3], 0 offen offset:8
	;; [unrolled: 1-line block ×3, first 2 shown]
	s_waitcnt vmcnt(0)
	ds_write_b128 v128, v[1:4]
	s_waitcnt lgkmcnt(0)
	s_waitcnt_vscnt null, 0x0
	s_barrier
	buffer_gl0_inv
	s_and_saveexec_b32 s6, s5
	s_cbranch_execz .LBB124_537
; %bb.524:
	ds_read_b128 v[1:4], v128
	s_andn2_b32 vcc_lo, exec_lo, s7
	s_cbranch_vccnz .LBB124_526
; %bb.525:
	s_clause 0x3
	buffer_load_dword v129, v127, s[0:3], 0 offen offset:8
	buffer_load_dword v130, v127, s[0:3], 0 offen offset:12
	buffer_load_dword v131, v127, s[0:3], 0 offen
	buffer_load_dword v132, v127, s[0:3], 0 offen offset:4
	s_waitcnt vmcnt(2) lgkmcnt(0)
	v_mul_f64 v[134:135], v[3:4], v[129:130]
	v_mul_f64 v[129:130], v[1:2], v[129:130]
	s_waitcnt vmcnt(0)
	v_fma_f64 v[1:2], v[1:2], v[131:132], -v[134:135]
	v_fma_f64 v[3:4], v[3:4], v[131:132], v[129:130]
.LBB124_526:
	s_and_saveexec_b32 s8, s4
	s_cbranch_execz .LBB124_536
; %bb.527:
	v_subrev_nc_u32_e32 v130, 23, v0
	v_mov_b32_e32 v131, 22
	v_subrev_nc_u32_e32 v129, 22, v0
	s_mov_b32 s4, exec_lo
	v_cmpx_lt_u32_e32 6, v130
	s_cbranch_execz .LBB124_531
; %bb.528:
	v_and_b32_e32 v130, -8, v129
	s_movk_i32 s71, 0x530
	s_mov_b32 s70, 0
	s_mov_b32 s72, s48
	;; [unrolled: 1-line block ×3, first 2 shown]
.LBB124_529:                            ; =>This Inner Loop Header: Depth=1
	v_mov_b32_e32 v134, s72
	v_mov_b32_e32 v180, s71
	s_add_i32 s74, s73, 8
	s_add_i32 s73, s73, 30
	v_cmp_eq_u32_e32 vcc_lo, s74, v130
	s_clause 0x1f
	buffer_load_dword v131, v134, s[0:3], 0 offen offset:8
	buffer_load_dword v132, v134, s[0:3], 0 offen offset:12
	buffer_load_dword v142, v134, s[0:3], 0 offen
	buffer_load_dword v143, v134, s[0:3], 0 offen offset:4
	buffer_load_dword v144, v134, s[0:3], 0 offen offset:24
	;; [unrolled: 1-line block ×29, first 2 shown]
	ds_read_b128 v[134:137], v180
	ds_read_b128 v[138:141], v180 offset:16
	s_addk_i32 s71, 0x80
	s_addk_i32 s72, 0x80
	s_or_b32 s70, vcc_lo, s70
	s_waitcnt vmcnt(30) lgkmcnt(1)
	v_mul_f64 v[172:173], v[136:137], v[131:132]
	v_mul_f64 v[131:132], v[134:135], v[131:132]
	s_waitcnt vmcnt(26) lgkmcnt(0)
	v_mul_f64 v[174:175], v[140:141], v[144:145]
	v_mul_f64 v[176:177], v[138:139], v[144:145]
	v_fma_f64 v[172:173], v[134:135], v[142:143], -v[172:173]
	v_fma_f64 v[131:132], v[136:137], v[142:143], v[131:132]
	ds_read_b128 v[134:137], v180 offset:32
	ds_read_b128 v[142:145], v180 offset:48
	s_waitcnt vmcnt(24)
	v_fma_f64 v[138:139], v[138:139], v[146:147], -v[174:175]
	v_fma_f64 v[140:141], v[140:141], v[146:147], v[176:177]
	s_waitcnt vmcnt(22) lgkmcnt(1)
	v_mul_f64 v[178:179], v[136:137], v[148:149]
	v_mul_f64 v[148:149], v[134:135], v[148:149]
	v_add_f64 v[1:2], v[1:2], v[172:173]
	v_add_f64 v[3:4], v[3:4], v[131:132]
	s_waitcnt vmcnt(18) lgkmcnt(0)
	v_mul_f64 v[131:132], v[144:145], v[152:153]
	v_mul_f64 v[146:147], v[142:143], v[152:153]
	v_fma_f64 v[152:153], v[134:135], v[150:151], -v[178:179]
	v_fma_f64 v[148:149], v[136:137], v[150:151], v[148:149]
	v_add_f64 v[138:139], v[1:2], v[138:139]
	v_add_f64 v[140:141], v[3:4], v[140:141]
	ds_read_b128 v[1:4], v180 offset:64
	ds_read_b128 v[134:137], v180 offset:80
	s_waitcnt vmcnt(16)
	v_fma_f64 v[131:132], v[142:143], v[154:155], -v[131:132]
	v_fma_f64 v[142:143], v[144:145], v[154:155], v[146:147]
	s_waitcnt vmcnt(12) lgkmcnt(1)
	v_mul_f64 v[150:151], v[3:4], v[156:157]
	v_mul_f64 v[156:157], v[1:2], v[156:157]
	v_add_f64 v[138:139], v[138:139], v[152:153]
	v_add_f64 v[140:141], v[140:141], v[148:149]
	s_waitcnt vmcnt(10) lgkmcnt(0)
	v_mul_f64 v[144:145], v[136:137], v[158:159]
	v_mul_f64 v[146:147], v[134:135], v[158:159]
	s_waitcnt vmcnt(8)
	v_fma_f64 v[148:149], v[1:2], v[162:163], -v[150:151]
	v_fma_f64 v[150:151], v[3:4], v[162:163], v[156:157]
	v_add_f64 v[131:132], v[138:139], v[131:132]
	v_add_f64 v[142:143], v[140:141], v[142:143]
	ds_read_b128 v[1:4], v180 offset:96
	ds_read_b128 v[138:141], v180 offset:112
	v_fma_f64 v[134:135], v[134:135], v[160:161], -v[144:145]
	v_fma_f64 v[136:137], v[136:137], v[160:161], v[146:147]
	s_waitcnt vmcnt(4) lgkmcnt(1)
	v_mul_f64 v[152:153], v[3:4], v[164:165]
	v_mul_f64 v[154:155], v[1:2], v[164:165]
	v_add_f64 v[131:132], v[131:132], v[148:149]
	v_add_f64 v[142:143], v[142:143], v[150:151]
	s_waitcnt vmcnt(2) lgkmcnt(0)
	v_mul_f64 v[144:145], v[140:141], v[166:167]
	v_mul_f64 v[146:147], v[138:139], v[166:167]
	s_waitcnt vmcnt(0)
	v_fma_f64 v[1:2], v[1:2], v[170:171], -v[152:153]
	v_fma_f64 v[3:4], v[3:4], v[170:171], v[154:155]
	v_add_f64 v[131:132], v[131:132], v[134:135]
	v_add_f64 v[134:135], v[142:143], v[136:137]
	v_fma_f64 v[136:137], v[138:139], v[168:169], -v[144:145]
	v_fma_f64 v[138:139], v[140:141], v[168:169], v[146:147]
	v_add_f64 v[1:2], v[131:132], v[1:2]
	v_add_f64 v[3:4], v[134:135], v[3:4]
	v_mov_b32_e32 v131, s73
	s_mov_b32 s73, s74
	v_add_f64 v[1:2], v[1:2], v[136:137]
	v_add_f64 v[3:4], v[3:4], v[138:139]
	s_andn2_b32 exec_lo, exec_lo, s70
	s_cbranch_execnz .LBB124_529
; %bb.530:
	s_or_b32 exec_lo, exec_lo, s70
.LBB124_531:
	s_or_b32 exec_lo, exec_lo, s4
	v_and_b32_e32 v129, 7, v129
	s_mov_b32 s70, 0
	s_mov_b32 s4, exec_lo
	v_cmpx_ne_u32_e32 0, v129
	s_cbranch_execz .LBB124_535
; %bb.532:
	v_lshlrev_b32_e32 v131, 4, v131
	v_add_nc_u32_e32 v130, 0x3d0, v131
	.p2align	6
.LBB124_533:                            ; =>This Inner Loop Header: Depth=1
	s_clause 0x3
	buffer_load_dword v138, v131, s[0:3], 0 offen offset:8
	buffer_load_dword v139, v131, s[0:3], 0 offen offset:12
	buffer_load_dword v140, v131, s[0:3], 0 offen
	buffer_load_dword v141, v131, s[0:3], 0 offen offset:4
	ds_read_b128 v[134:137], v130
	v_add_nc_u32_e32 v129, -1, v129
	v_add_nc_u32_e32 v130, 16, v130
	v_add_nc_u32_e32 v131, 16, v131
	v_cmp_eq_u32_e32 vcc_lo, 0, v129
	s_or_b32 s70, vcc_lo, s70
	s_waitcnt vmcnt(2) lgkmcnt(0)
	v_mul_f64 v[142:143], v[136:137], v[138:139]
	v_mul_f64 v[138:139], v[134:135], v[138:139]
	s_waitcnt vmcnt(0)
	v_fma_f64 v[134:135], v[134:135], v[140:141], -v[142:143]
	v_fma_f64 v[136:137], v[136:137], v[140:141], v[138:139]
	v_add_f64 v[1:2], v[1:2], v[134:135]
	v_add_f64 v[3:4], v[3:4], v[136:137]
	s_andn2_b32 exec_lo, exec_lo, s70
	s_cbranch_execnz .LBB124_533
; %bb.534:
	s_or_b32 exec_lo, exec_lo, s70
.LBB124_535:
	s_or_b32 exec_lo, exec_lo, s4
.LBB124_536:
	s_or_b32 exec_lo, exec_lo, s8
	v_mov_b32_e32 v129, 0
	ds_read_b128 v[129:132], v129 offset:336
	s_waitcnt lgkmcnt(0)
	v_mul_f64 v[134:135], v[3:4], v[131:132]
	v_mul_f64 v[131:132], v[1:2], v[131:132]
	v_fma_f64 v[1:2], v[1:2], v[129:130], -v[134:135]
	v_fma_f64 v[3:4], v[3:4], v[129:130], v[131:132]
	buffer_store_dword v2, off, s[0:3], 0 offset:340
	buffer_store_dword v1, off, s[0:3], 0 offset:336
	;; [unrolled: 1-line block ×4, first 2 shown]
.LBB124_537:
	s_or_b32 exec_lo, exec_lo, s6
	v_mov_b32_e32 v4, s50
	v_cmp_lt_u32_e64 s4, 20, v0
	s_clause 0x3
	buffer_load_dword v1, v4, s[0:3], 0 offen
	buffer_load_dword v2, v4, s[0:3], 0 offen offset:4
	buffer_load_dword v3, v4, s[0:3], 0 offen offset:8
	;; [unrolled: 1-line block ×3, first 2 shown]
	s_waitcnt vmcnt(0)
	ds_write_b128 v128, v[1:4]
	s_waitcnt lgkmcnt(0)
	s_waitcnt_vscnt null, 0x0
	s_barrier
	buffer_gl0_inv
	s_and_saveexec_b32 s6, s4
	s_cbranch_execz .LBB124_551
; %bb.538:
	ds_read_b128 v[1:4], v128
	s_andn2_b32 vcc_lo, exec_lo, s7
	s_cbranch_vccnz .LBB124_540
; %bb.539:
	s_clause 0x3
	buffer_load_dword v129, v127, s[0:3], 0 offen offset:8
	buffer_load_dword v130, v127, s[0:3], 0 offen offset:12
	buffer_load_dword v131, v127, s[0:3], 0 offen
	buffer_load_dword v132, v127, s[0:3], 0 offen offset:4
	s_waitcnt vmcnt(2) lgkmcnt(0)
	v_mul_f64 v[134:135], v[3:4], v[129:130]
	v_mul_f64 v[129:130], v[1:2], v[129:130]
	s_waitcnt vmcnt(0)
	v_fma_f64 v[1:2], v[1:2], v[131:132], -v[134:135]
	v_fma_f64 v[3:4], v[3:4], v[131:132], v[129:130]
.LBB124_540:
	s_and_saveexec_b32 s8, s5
	s_cbranch_execz .LBB124_550
; %bb.541:
	v_subrev_nc_u32_e32 v130, 22, v0
	v_mov_b32_e32 v131, 21
	v_subrev_nc_u32_e32 v129, 21, v0
	s_mov_b32 s5, exec_lo
	v_cmpx_lt_u32_e32 6, v130
	s_cbranch_execz .LBB124_545
; %bb.542:
	v_and_b32_e32 v130, -8, v129
	s_movk_i32 s71, 0x520
	s_mov_b32 s70, 0
	s_mov_b32 s72, s49
	;; [unrolled: 1-line block ×3, first 2 shown]
.LBB124_543:                            ; =>This Inner Loop Header: Depth=1
	v_mov_b32_e32 v134, s72
	v_mov_b32_e32 v180, s71
	s_add_i32 s74, s73, 8
	s_add_i32 s73, s73, 29
	v_cmp_eq_u32_e32 vcc_lo, s74, v130
	s_clause 0x1f
	buffer_load_dword v131, v134, s[0:3], 0 offen offset:8
	buffer_load_dword v132, v134, s[0:3], 0 offen offset:12
	buffer_load_dword v142, v134, s[0:3], 0 offen
	buffer_load_dword v143, v134, s[0:3], 0 offen offset:4
	buffer_load_dword v144, v134, s[0:3], 0 offen offset:24
	buffer_load_dword v145, v134, s[0:3], 0 offen offset:28
	buffer_load_dword v146, v134, s[0:3], 0 offen offset:16
	buffer_load_dword v147, v134, s[0:3], 0 offen offset:20
	buffer_load_dword v148, v134, s[0:3], 0 offen offset:40
	buffer_load_dword v149, v134, s[0:3], 0 offen offset:44
	buffer_load_dword v150, v134, s[0:3], 0 offen offset:32
	buffer_load_dword v151, v134, s[0:3], 0 offen offset:36
	buffer_load_dword v152, v134, s[0:3], 0 offen offset:56
	buffer_load_dword v153, v134, s[0:3], 0 offen offset:60
	buffer_load_dword v154, v134, s[0:3], 0 offen offset:48
	buffer_load_dword v155, v134, s[0:3], 0 offen offset:52
	buffer_load_dword v157, v134, s[0:3], 0 offen offset:76
	buffer_load_dword v158, v134, s[0:3], 0 offen offset:88
	buffer_load_dword v160, v134, s[0:3], 0 offen offset:80
	buffer_load_dword v156, v134, s[0:3], 0 offen offset:72
	buffer_load_dword v161, v134, s[0:3], 0 offen offset:84
	buffer_load_dword v159, v134, s[0:3], 0 offen offset:92
	buffer_load_dword v163, v134, s[0:3], 0 offen offset:68
	buffer_load_dword v162, v134, s[0:3], 0 offen offset:64
	buffer_load_dword v165, v134, s[0:3], 0 offen offset:108
	buffer_load_dword v166, v134, s[0:3], 0 offen offset:120
	buffer_load_dword v168, v134, s[0:3], 0 offen offset:112
	buffer_load_dword v164, v134, s[0:3], 0 offen offset:104
	buffer_load_dword v169, v134, s[0:3], 0 offen offset:116
	buffer_load_dword v167, v134, s[0:3], 0 offen offset:124
	buffer_load_dword v171, v134, s[0:3], 0 offen offset:100
	buffer_load_dword v170, v134, s[0:3], 0 offen offset:96
	ds_read_b128 v[134:137], v180
	ds_read_b128 v[138:141], v180 offset:16
	s_addk_i32 s71, 0x80
	s_addk_i32 s72, 0x80
	s_or_b32 s70, vcc_lo, s70
	s_waitcnt vmcnt(30) lgkmcnt(1)
	v_mul_f64 v[172:173], v[136:137], v[131:132]
	v_mul_f64 v[131:132], v[134:135], v[131:132]
	s_waitcnt vmcnt(26) lgkmcnt(0)
	v_mul_f64 v[174:175], v[140:141], v[144:145]
	v_mul_f64 v[176:177], v[138:139], v[144:145]
	v_fma_f64 v[172:173], v[134:135], v[142:143], -v[172:173]
	v_fma_f64 v[131:132], v[136:137], v[142:143], v[131:132]
	ds_read_b128 v[134:137], v180 offset:32
	ds_read_b128 v[142:145], v180 offset:48
	s_waitcnt vmcnt(24)
	v_fma_f64 v[138:139], v[138:139], v[146:147], -v[174:175]
	v_fma_f64 v[140:141], v[140:141], v[146:147], v[176:177]
	s_waitcnt vmcnt(22) lgkmcnt(1)
	v_mul_f64 v[178:179], v[136:137], v[148:149]
	v_mul_f64 v[148:149], v[134:135], v[148:149]
	v_add_f64 v[1:2], v[1:2], v[172:173]
	v_add_f64 v[3:4], v[3:4], v[131:132]
	s_waitcnt vmcnt(18) lgkmcnt(0)
	v_mul_f64 v[131:132], v[144:145], v[152:153]
	v_mul_f64 v[146:147], v[142:143], v[152:153]
	v_fma_f64 v[152:153], v[134:135], v[150:151], -v[178:179]
	v_fma_f64 v[148:149], v[136:137], v[150:151], v[148:149]
	v_add_f64 v[138:139], v[1:2], v[138:139]
	v_add_f64 v[140:141], v[3:4], v[140:141]
	ds_read_b128 v[1:4], v180 offset:64
	ds_read_b128 v[134:137], v180 offset:80
	s_waitcnt vmcnt(16)
	v_fma_f64 v[131:132], v[142:143], v[154:155], -v[131:132]
	v_fma_f64 v[142:143], v[144:145], v[154:155], v[146:147]
	s_waitcnt vmcnt(12) lgkmcnt(1)
	v_mul_f64 v[150:151], v[3:4], v[156:157]
	v_mul_f64 v[156:157], v[1:2], v[156:157]
	v_add_f64 v[138:139], v[138:139], v[152:153]
	v_add_f64 v[140:141], v[140:141], v[148:149]
	s_waitcnt vmcnt(10) lgkmcnt(0)
	v_mul_f64 v[144:145], v[136:137], v[158:159]
	v_mul_f64 v[146:147], v[134:135], v[158:159]
	s_waitcnt vmcnt(8)
	v_fma_f64 v[148:149], v[1:2], v[162:163], -v[150:151]
	v_fma_f64 v[150:151], v[3:4], v[162:163], v[156:157]
	v_add_f64 v[131:132], v[138:139], v[131:132]
	v_add_f64 v[142:143], v[140:141], v[142:143]
	ds_read_b128 v[1:4], v180 offset:96
	ds_read_b128 v[138:141], v180 offset:112
	v_fma_f64 v[134:135], v[134:135], v[160:161], -v[144:145]
	v_fma_f64 v[136:137], v[136:137], v[160:161], v[146:147]
	s_waitcnt vmcnt(4) lgkmcnt(1)
	v_mul_f64 v[152:153], v[3:4], v[164:165]
	v_mul_f64 v[154:155], v[1:2], v[164:165]
	v_add_f64 v[131:132], v[131:132], v[148:149]
	v_add_f64 v[142:143], v[142:143], v[150:151]
	s_waitcnt vmcnt(2) lgkmcnt(0)
	v_mul_f64 v[144:145], v[140:141], v[166:167]
	v_mul_f64 v[146:147], v[138:139], v[166:167]
	s_waitcnt vmcnt(0)
	v_fma_f64 v[1:2], v[1:2], v[170:171], -v[152:153]
	v_fma_f64 v[3:4], v[3:4], v[170:171], v[154:155]
	v_add_f64 v[131:132], v[131:132], v[134:135]
	v_add_f64 v[134:135], v[142:143], v[136:137]
	v_fma_f64 v[136:137], v[138:139], v[168:169], -v[144:145]
	v_fma_f64 v[138:139], v[140:141], v[168:169], v[146:147]
	v_add_f64 v[1:2], v[131:132], v[1:2]
	v_add_f64 v[3:4], v[134:135], v[3:4]
	v_mov_b32_e32 v131, s73
	s_mov_b32 s73, s74
	v_add_f64 v[1:2], v[1:2], v[136:137]
	v_add_f64 v[3:4], v[3:4], v[138:139]
	s_andn2_b32 exec_lo, exec_lo, s70
	s_cbranch_execnz .LBB124_543
; %bb.544:
	s_or_b32 exec_lo, exec_lo, s70
.LBB124_545:
	s_or_b32 exec_lo, exec_lo, s5
	v_and_b32_e32 v129, 7, v129
	s_mov_b32 s70, 0
	s_mov_b32 s5, exec_lo
	v_cmpx_ne_u32_e32 0, v129
	s_cbranch_execz .LBB124_549
; %bb.546:
	v_lshlrev_b32_e32 v131, 4, v131
	v_add_nc_u32_e32 v130, 0x3d0, v131
	.p2align	6
.LBB124_547:                            ; =>This Inner Loop Header: Depth=1
	s_clause 0x3
	buffer_load_dword v138, v131, s[0:3], 0 offen offset:8
	buffer_load_dword v139, v131, s[0:3], 0 offen offset:12
	buffer_load_dword v140, v131, s[0:3], 0 offen
	buffer_load_dword v141, v131, s[0:3], 0 offen offset:4
	ds_read_b128 v[134:137], v130
	v_add_nc_u32_e32 v129, -1, v129
	v_add_nc_u32_e32 v130, 16, v130
	v_add_nc_u32_e32 v131, 16, v131
	v_cmp_eq_u32_e32 vcc_lo, 0, v129
	s_or_b32 s70, vcc_lo, s70
	s_waitcnt vmcnt(2) lgkmcnt(0)
	v_mul_f64 v[142:143], v[136:137], v[138:139]
	v_mul_f64 v[138:139], v[134:135], v[138:139]
	s_waitcnt vmcnt(0)
	v_fma_f64 v[134:135], v[134:135], v[140:141], -v[142:143]
	v_fma_f64 v[136:137], v[136:137], v[140:141], v[138:139]
	v_add_f64 v[1:2], v[1:2], v[134:135]
	v_add_f64 v[3:4], v[3:4], v[136:137]
	s_andn2_b32 exec_lo, exec_lo, s70
	s_cbranch_execnz .LBB124_547
; %bb.548:
	s_or_b32 exec_lo, exec_lo, s70
.LBB124_549:
	s_or_b32 exec_lo, exec_lo, s5
.LBB124_550:
	s_or_b32 exec_lo, exec_lo, s8
	v_mov_b32_e32 v129, 0
	ds_read_b128 v[129:132], v129 offset:320
	s_waitcnt lgkmcnt(0)
	v_mul_f64 v[134:135], v[3:4], v[131:132]
	v_mul_f64 v[131:132], v[1:2], v[131:132]
	v_fma_f64 v[1:2], v[1:2], v[129:130], -v[134:135]
	v_fma_f64 v[3:4], v[3:4], v[129:130], v[131:132]
	buffer_store_dword v2, off, s[0:3], 0 offset:324
	buffer_store_dword v1, off, s[0:3], 0 offset:320
	;; [unrolled: 1-line block ×4, first 2 shown]
.LBB124_551:
	s_or_b32 exec_lo, exec_lo, s6
	v_mov_b32_e32 v4, s51
	v_cmp_lt_u32_e64 s5, 19, v0
	s_clause 0x3
	buffer_load_dword v1, v4, s[0:3], 0 offen
	buffer_load_dword v2, v4, s[0:3], 0 offen offset:4
	buffer_load_dword v3, v4, s[0:3], 0 offen offset:8
	;; [unrolled: 1-line block ×3, first 2 shown]
	s_waitcnt vmcnt(0)
	ds_write_b128 v128, v[1:4]
	s_waitcnt lgkmcnt(0)
	s_waitcnt_vscnt null, 0x0
	s_barrier
	buffer_gl0_inv
	s_and_saveexec_b32 s6, s5
	s_cbranch_execz .LBB124_565
; %bb.552:
	ds_read_b128 v[1:4], v128
	s_andn2_b32 vcc_lo, exec_lo, s7
	s_cbranch_vccnz .LBB124_554
; %bb.553:
	s_clause 0x3
	buffer_load_dword v129, v127, s[0:3], 0 offen offset:8
	buffer_load_dword v130, v127, s[0:3], 0 offen offset:12
	buffer_load_dword v131, v127, s[0:3], 0 offen
	buffer_load_dword v132, v127, s[0:3], 0 offen offset:4
	s_waitcnt vmcnt(2) lgkmcnt(0)
	v_mul_f64 v[134:135], v[3:4], v[129:130]
	v_mul_f64 v[129:130], v[1:2], v[129:130]
	s_waitcnt vmcnt(0)
	v_fma_f64 v[1:2], v[1:2], v[131:132], -v[134:135]
	v_fma_f64 v[3:4], v[3:4], v[131:132], v[129:130]
.LBB124_554:
	s_and_saveexec_b32 s8, s4
	s_cbranch_execz .LBB124_564
; %bb.555:
	v_subrev_nc_u32_e32 v130, 21, v0
	v_mov_b32_e32 v131, 20
	v_subrev_nc_u32_e32 v129, 20, v0
	s_mov_b32 s4, exec_lo
	v_cmpx_lt_u32_e32 6, v130
	s_cbranch_execz .LBB124_559
; %bb.556:
	v_and_b32_e32 v130, -8, v129
	s_movk_i32 s71, 0x510
	s_mov_b32 s70, 0
	s_mov_b32 s72, s50
	;; [unrolled: 1-line block ×3, first 2 shown]
.LBB124_557:                            ; =>This Inner Loop Header: Depth=1
	v_mov_b32_e32 v134, s72
	v_mov_b32_e32 v180, s71
	s_add_i32 s74, s73, 8
	s_add_i32 s73, s73, 28
	v_cmp_eq_u32_e32 vcc_lo, s74, v130
	s_clause 0x1f
	buffer_load_dword v131, v134, s[0:3], 0 offen offset:8
	buffer_load_dword v132, v134, s[0:3], 0 offen offset:12
	buffer_load_dword v142, v134, s[0:3], 0 offen
	buffer_load_dword v143, v134, s[0:3], 0 offen offset:4
	buffer_load_dword v144, v134, s[0:3], 0 offen offset:24
	;; [unrolled: 1-line block ×29, first 2 shown]
	ds_read_b128 v[134:137], v180
	ds_read_b128 v[138:141], v180 offset:16
	s_addk_i32 s71, 0x80
	s_addk_i32 s72, 0x80
	s_or_b32 s70, vcc_lo, s70
	s_waitcnt vmcnt(30) lgkmcnt(1)
	v_mul_f64 v[172:173], v[136:137], v[131:132]
	v_mul_f64 v[131:132], v[134:135], v[131:132]
	s_waitcnt vmcnt(26) lgkmcnt(0)
	v_mul_f64 v[174:175], v[140:141], v[144:145]
	v_mul_f64 v[176:177], v[138:139], v[144:145]
	v_fma_f64 v[172:173], v[134:135], v[142:143], -v[172:173]
	v_fma_f64 v[131:132], v[136:137], v[142:143], v[131:132]
	ds_read_b128 v[134:137], v180 offset:32
	ds_read_b128 v[142:145], v180 offset:48
	s_waitcnt vmcnt(24)
	v_fma_f64 v[138:139], v[138:139], v[146:147], -v[174:175]
	v_fma_f64 v[140:141], v[140:141], v[146:147], v[176:177]
	s_waitcnt vmcnt(22) lgkmcnt(1)
	v_mul_f64 v[178:179], v[136:137], v[148:149]
	v_mul_f64 v[148:149], v[134:135], v[148:149]
	v_add_f64 v[1:2], v[1:2], v[172:173]
	v_add_f64 v[3:4], v[3:4], v[131:132]
	s_waitcnt vmcnt(18) lgkmcnt(0)
	v_mul_f64 v[131:132], v[144:145], v[152:153]
	v_mul_f64 v[146:147], v[142:143], v[152:153]
	v_fma_f64 v[152:153], v[134:135], v[150:151], -v[178:179]
	v_fma_f64 v[148:149], v[136:137], v[150:151], v[148:149]
	v_add_f64 v[138:139], v[1:2], v[138:139]
	v_add_f64 v[140:141], v[3:4], v[140:141]
	ds_read_b128 v[1:4], v180 offset:64
	ds_read_b128 v[134:137], v180 offset:80
	s_waitcnt vmcnt(16)
	v_fma_f64 v[131:132], v[142:143], v[154:155], -v[131:132]
	v_fma_f64 v[142:143], v[144:145], v[154:155], v[146:147]
	s_waitcnt vmcnt(12) lgkmcnt(1)
	v_mul_f64 v[150:151], v[3:4], v[156:157]
	v_mul_f64 v[156:157], v[1:2], v[156:157]
	v_add_f64 v[138:139], v[138:139], v[152:153]
	v_add_f64 v[140:141], v[140:141], v[148:149]
	s_waitcnt vmcnt(10) lgkmcnt(0)
	v_mul_f64 v[144:145], v[136:137], v[158:159]
	v_mul_f64 v[146:147], v[134:135], v[158:159]
	s_waitcnt vmcnt(8)
	v_fma_f64 v[148:149], v[1:2], v[162:163], -v[150:151]
	v_fma_f64 v[150:151], v[3:4], v[162:163], v[156:157]
	v_add_f64 v[131:132], v[138:139], v[131:132]
	v_add_f64 v[142:143], v[140:141], v[142:143]
	ds_read_b128 v[1:4], v180 offset:96
	ds_read_b128 v[138:141], v180 offset:112
	v_fma_f64 v[134:135], v[134:135], v[160:161], -v[144:145]
	v_fma_f64 v[136:137], v[136:137], v[160:161], v[146:147]
	s_waitcnt vmcnt(4) lgkmcnt(1)
	v_mul_f64 v[152:153], v[3:4], v[164:165]
	v_mul_f64 v[154:155], v[1:2], v[164:165]
	v_add_f64 v[131:132], v[131:132], v[148:149]
	v_add_f64 v[142:143], v[142:143], v[150:151]
	s_waitcnt vmcnt(2) lgkmcnt(0)
	v_mul_f64 v[144:145], v[140:141], v[166:167]
	v_mul_f64 v[146:147], v[138:139], v[166:167]
	s_waitcnt vmcnt(0)
	v_fma_f64 v[1:2], v[1:2], v[170:171], -v[152:153]
	v_fma_f64 v[3:4], v[3:4], v[170:171], v[154:155]
	v_add_f64 v[131:132], v[131:132], v[134:135]
	v_add_f64 v[134:135], v[142:143], v[136:137]
	v_fma_f64 v[136:137], v[138:139], v[168:169], -v[144:145]
	v_fma_f64 v[138:139], v[140:141], v[168:169], v[146:147]
	v_add_f64 v[1:2], v[131:132], v[1:2]
	v_add_f64 v[3:4], v[134:135], v[3:4]
	v_mov_b32_e32 v131, s73
	s_mov_b32 s73, s74
	v_add_f64 v[1:2], v[1:2], v[136:137]
	v_add_f64 v[3:4], v[3:4], v[138:139]
	s_andn2_b32 exec_lo, exec_lo, s70
	s_cbranch_execnz .LBB124_557
; %bb.558:
	s_or_b32 exec_lo, exec_lo, s70
.LBB124_559:
	s_or_b32 exec_lo, exec_lo, s4
	v_and_b32_e32 v129, 7, v129
	s_mov_b32 s70, 0
	s_mov_b32 s4, exec_lo
	v_cmpx_ne_u32_e32 0, v129
	s_cbranch_execz .LBB124_563
; %bb.560:
	v_lshlrev_b32_e32 v131, 4, v131
	v_add_nc_u32_e32 v130, 0x3d0, v131
	.p2align	6
.LBB124_561:                            ; =>This Inner Loop Header: Depth=1
	s_clause 0x3
	buffer_load_dword v138, v131, s[0:3], 0 offen offset:8
	buffer_load_dword v139, v131, s[0:3], 0 offen offset:12
	buffer_load_dword v140, v131, s[0:3], 0 offen
	buffer_load_dword v141, v131, s[0:3], 0 offen offset:4
	ds_read_b128 v[134:137], v130
	v_add_nc_u32_e32 v129, -1, v129
	v_add_nc_u32_e32 v130, 16, v130
	v_add_nc_u32_e32 v131, 16, v131
	v_cmp_eq_u32_e32 vcc_lo, 0, v129
	s_or_b32 s70, vcc_lo, s70
	s_waitcnt vmcnt(2) lgkmcnt(0)
	v_mul_f64 v[142:143], v[136:137], v[138:139]
	v_mul_f64 v[138:139], v[134:135], v[138:139]
	s_waitcnt vmcnt(0)
	v_fma_f64 v[134:135], v[134:135], v[140:141], -v[142:143]
	v_fma_f64 v[136:137], v[136:137], v[140:141], v[138:139]
	v_add_f64 v[1:2], v[1:2], v[134:135]
	v_add_f64 v[3:4], v[3:4], v[136:137]
	s_andn2_b32 exec_lo, exec_lo, s70
	s_cbranch_execnz .LBB124_561
; %bb.562:
	s_or_b32 exec_lo, exec_lo, s70
.LBB124_563:
	s_or_b32 exec_lo, exec_lo, s4
.LBB124_564:
	s_or_b32 exec_lo, exec_lo, s8
	v_mov_b32_e32 v129, 0
	ds_read_b128 v[129:132], v129 offset:304
	s_waitcnt lgkmcnt(0)
	v_mul_f64 v[134:135], v[3:4], v[131:132]
	v_mul_f64 v[131:132], v[1:2], v[131:132]
	v_fma_f64 v[1:2], v[1:2], v[129:130], -v[134:135]
	v_fma_f64 v[3:4], v[3:4], v[129:130], v[131:132]
	buffer_store_dword v2, off, s[0:3], 0 offset:308
	buffer_store_dword v1, off, s[0:3], 0 offset:304
	buffer_store_dword v4, off, s[0:3], 0 offset:316
	buffer_store_dword v3, off, s[0:3], 0 offset:312
.LBB124_565:
	s_or_b32 exec_lo, exec_lo, s6
	v_mov_b32_e32 v4, s52
	v_cmp_lt_u32_e64 s4, 18, v0
	s_clause 0x3
	buffer_load_dword v1, v4, s[0:3], 0 offen
	buffer_load_dword v2, v4, s[0:3], 0 offen offset:4
	buffer_load_dword v3, v4, s[0:3], 0 offen offset:8
	;; [unrolled: 1-line block ×3, first 2 shown]
	s_waitcnt vmcnt(0)
	ds_write_b128 v128, v[1:4]
	s_waitcnt lgkmcnt(0)
	s_waitcnt_vscnt null, 0x0
	s_barrier
	buffer_gl0_inv
	s_and_saveexec_b32 s6, s4
	s_cbranch_execz .LBB124_579
; %bb.566:
	ds_read_b128 v[1:4], v128
	s_andn2_b32 vcc_lo, exec_lo, s7
	s_cbranch_vccnz .LBB124_568
; %bb.567:
	s_clause 0x3
	buffer_load_dword v129, v127, s[0:3], 0 offen offset:8
	buffer_load_dword v130, v127, s[0:3], 0 offen offset:12
	buffer_load_dword v131, v127, s[0:3], 0 offen
	buffer_load_dword v132, v127, s[0:3], 0 offen offset:4
	s_waitcnt vmcnt(2) lgkmcnt(0)
	v_mul_f64 v[134:135], v[3:4], v[129:130]
	v_mul_f64 v[129:130], v[1:2], v[129:130]
	s_waitcnt vmcnt(0)
	v_fma_f64 v[1:2], v[1:2], v[131:132], -v[134:135]
	v_fma_f64 v[3:4], v[3:4], v[131:132], v[129:130]
.LBB124_568:
	s_and_saveexec_b32 s8, s5
	s_cbranch_execz .LBB124_578
; %bb.569:
	v_subrev_nc_u32_e32 v130, 20, v0
	v_mov_b32_e32 v131, 19
	v_subrev_nc_u32_e32 v129, 19, v0
	s_mov_b32 s5, exec_lo
	v_cmpx_lt_u32_e32 6, v130
	s_cbranch_execz .LBB124_573
; %bb.570:
	v_and_b32_e32 v130, -8, v129
	s_movk_i32 s71, 0x500
	s_mov_b32 s70, 0
	s_mov_b32 s72, s51
	;; [unrolled: 1-line block ×3, first 2 shown]
.LBB124_571:                            ; =>This Inner Loop Header: Depth=1
	v_mov_b32_e32 v134, s72
	v_mov_b32_e32 v180, s71
	s_add_i32 s74, s73, 8
	s_add_i32 s73, s73, 27
	v_cmp_eq_u32_e32 vcc_lo, s74, v130
	s_clause 0x1f
	buffer_load_dword v131, v134, s[0:3], 0 offen offset:8
	buffer_load_dword v132, v134, s[0:3], 0 offen offset:12
	buffer_load_dword v142, v134, s[0:3], 0 offen
	buffer_load_dword v143, v134, s[0:3], 0 offen offset:4
	buffer_load_dword v144, v134, s[0:3], 0 offen offset:24
	;; [unrolled: 1-line block ×29, first 2 shown]
	ds_read_b128 v[134:137], v180
	ds_read_b128 v[138:141], v180 offset:16
	s_addk_i32 s71, 0x80
	s_addk_i32 s72, 0x80
	s_or_b32 s70, vcc_lo, s70
	s_waitcnt vmcnt(30) lgkmcnt(1)
	v_mul_f64 v[172:173], v[136:137], v[131:132]
	v_mul_f64 v[131:132], v[134:135], v[131:132]
	s_waitcnt vmcnt(26) lgkmcnt(0)
	v_mul_f64 v[174:175], v[140:141], v[144:145]
	v_mul_f64 v[176:177], v[138:139], v[144:145]
	v_fma_f64 v[172:173], v[134:135], v[142:143], -v[172:173]
	v_fma_f64 v[131:132], v[136:137], v[142:143], v[131:132]
	ds_read_b128 v[134:137], v180 offset:32
	ds_read_b128 v[142:145], v180 offset:48
	s_waitcnt vmcnt(24)
	v_fma_f64 v[138:139], v[138:139], v[146:147], -v[174:175]
	v_fma_f64 v[140:141], v[140:141], v[146:147], v[176:177]
	s_waitcnt vmcnt(22) lgkmcnt(1)
	v_mul_f64 v[178:179], v[136:137], v[148:149]
	v_mul_f64 v[148:149], v[134:135], v[148:149]
	v_add_f64 v[1:2], v[1:2], v[172:173]
	v_add_f64 v[3:4], v[3:4], v[131:132]
	s_waitcnt vmcnt(18) lgkmcnt(0)
	v_mul_f64 v[131:132], v[144:145], v[152:153]
	v_mul_f64 v[146:147], v[142:143], v[152:153]
	v_fma_f64 v[152:153], v[134:135], v[150:151], -v[178:179]
	v_fma_f64 v[148:149], v[136:137], v[150:151], v[148:149]
	v_add_f64 v[138:139], v[1:2], v[138:139]
	v_add_f64 v[140:141], v[3:4], v[140:141]
	ds_read_b128 v[1:4], v180 offset:64
	ds_read_b128 v[134:137], v180 offset:80
	s_waitcnt vmcnt(16)
	v_fma_f64 v[131:132], v[142:143], v[154:155], -v[131:132]
	v_fma_f64 v[142:143], v[144:145], v[154:155], v[146:147]
	s_waitcnt vmcnt(12) lgkmcnt(1)
	v_mul_f64 v[150:151], v[3:4], v[156:157]
	v_mul_f64 v[156:157], v[1:2], v[156:157]
	v_add_f64 v[138:139], v[138:139], v[152:153]
	v_add_f64 v[140:141], v[140:141], v[148:149]
	s_waitcnt vmcnt(10) lgkmcnt(0)
	v_mul_f64 v[144:145], v[136:137], v[158:159]
	v_mul_f64 v[146:147], v[134:135], v[158:159]
	s_waitcnt vmcnt(8)
	v_fma_f64 v[148:149], v[1:2], v[162:163], -v[150:151]
	v_fma_f64 v[150:151], v[3:4], v[162:163], v[156:157]
	v_add_f64 v[131:132], v[138:139], v[131:132]
	v_add_f64 v[142:143], v[140:141], v[142:143]
	ds_read_b128 v[1:4], v180 offset:96
	ds_read_b128 v[138:141], v180 offset:112
	v_fma_f64 v[134:135], v[134:135], v[160:161], -v[144:145]
	v_fma_f64 v[136:137], v[136:137], v[160:161], v[146:147]
	s_waitcnt vmcnt(4) lgkmcnt(1)
	v_mul_f64 v[152:153], v[3:4], v[164:165]
	v_mul_f64 v[154:155], v[1:2], v[164:165]
	v_add_f64 v[131:132], v[131:132], v[148:149]
	v_add_f64 v[142:143], v[142:143], v[150:151]
	s_waitcnt vmcnt(2) lgkmcnt(0)
	v_mul_f64 v[144:145], v[140:141], v[166:167]
	v_mul_f64 v[146:147], v[138:139], v[166:167]
	s_waitcnt vmcnt(0)
	v_fma_f64 v[1:2], v[1:2], v[170:171], -v[152:153]
	v_fma_f64 v[3:4], v[3:4], v[170:171], v[154:155]
	v_add_f64 v[131:132], v[131:132], v[134:135]
	v_add_f64 v[134:135], v[142:143], v[136:137]
	v_fma_f64 v[136:137], v[138:139], v[168:169], -v[144:145]
	v_fma_f64 v[138:139], v[140:141], v[168:169], v[146:147]
	v_add_f64 v[1:2], v[131:132], v[1:2]
	v_add_f64 v[3:4], v[134:135], v[3:4]
	v_mov_b32_e32 v131, s73
	s_mov_b32 s73, s74
	v_add_f64 v[1:2], v[1:2], v[136:137]
	v_add_f64 v[3:4], v[3:4], v[138:139]
	s_andn2_b32 exec_lo, exec_lo, s70
	s_cbranch_execnz .LBB124_571
; %bb.572:
	s_or_b32 exec_lo, exec_lo, s70
.LBB124_573:
	s_or_b32 exec_lo, exec_lo, s5
	v_and_b32_e32 v129, 7, v129
	s_mov_b32 s70, 0
	s_mov_b32 s5, exec_lo
	v_cmpx_ne_u32_e32 0, v129
	s_cbranch_execz .LBB124_577
; %bb.574:
	v_lshlrev_b32_e32 v131, 4, v131
	v_add_nc_u32_e32 v130, 0x3d0, v131
	.p2align	6
.LBB124_575:                            ; =>This Inner Loop Header: Depth=1
	s_clause 0x3
	buffer_load_dword v138, v131, s[0:3], 0 offen offset:8
	buffer_load_dword v139, v131, s[0:3], 0 offen offset:12
	buffer_load_dword v140, v131, s[0:3], 0 offen
	buffer_load_dword v141, v131, s[0:3], 0 offen offset:4
	ds_read_b128 v[134:137], v130
	v_add_nc_u32_e32 v129, -1, v129
	v_add_nc_u32_e32 v130, 16, v130
	v_add_nc_u32_e32 v131, 16, v131
	v_cmp_eq_u32_e32 vcc_lo, 0, v129
	s_or_b32 s70, vcc_lo, s70
	s_waitcnt vmcnt(2) lgkmcnt(0)
	v_mul_f64 v[142:143], v[136:137], v[138:139]
	v_mul_f64 v[138:139], v[134:135], v[138:139]
	s_waitcnt vmcnt(0)
	v_fma_f64 v[134:135], v[134:135], v[140:141], -v[142:143]
	v_fma_f64 v[136:137], v[136:137], v[140:141], v[138:139]
	v_add_f64 v[1:2], v[1:2], v[134:135]
	v_add_f64 v[3:4], v[3:4], v[136:137]
	s_andn2_b32 exec_lo, exec_lo, s70
	s_cbranch_execnz .LBB124_575
; %bb.576:
	s_or_b32 exec_lo, exec_lo, s70
.LBB124_577:
	s_or_b32 exec_lo, exec_lo, s5
.LBB124_578:
	s_or_b32 exec_lo, exec_lo, s8
	v_mov_b32_e32 v129, 0
	ds_read_b128 v[129:132], v129 offset:288
	s_waitcnt lgkmcnt(0)
	v_mul_f64 v[134:135], v[3:4], v[131:132]
	v_mul_f64 v[131:132], v[1:2], v[131:132]
	v_fma_f64 v[1:2], v[1:2], v[129:130], -v[134:135]
	v_fma_f64 v[3:4], v[3:4], v[129:130], v[131:132]
	buffer_store_dword v2, off, s[0:3], 0 offset:292
	buffer_store_dword v1, off, s[0:3], 0 offset:288
	buffer_store_dword v4, off, s[0:3], 0 offset:300
	buffer_store_dword v3, off, s[0:3], 0 offset:296
.LBB124_579:
	s_or_b32 exec_lo, exec_lo, s6
	v_mov_b32_e32 v4, s53
	v_cmp_lt_u32_e64 s5, 17, v0
	s_clause 0x3
	buffer_load_dword v1, v4, s[0:3], 0 offen
	buffer_load_dword v2, v4, s[0:3], 0 offen offset:4
	buffer_load_dword v3, v4, s[0:3], 0 offen offset:8
	buffer_load_dword v4, v4, s[0:3], 0 offen offset:12
	s_waitcnt vmcnt(0)
	ds_write_b128 v128, v[1:4]
	s_waitcnt lgkmcnt(0)
	s_waitcnt_vscnt null, 0x0
	s_barrier
	buffer_gl0_inv
	s_and_saveexec_b32 s6, s5
	s_cbranch_execz .LBB124_593
; %bb.580:
	ds_read_b128 v[1:4], v128
	s_andn2_b32 vcc_lo, exec_lo, s7
	s_cbranch_vccnz .LBB124_582
; %bb.581:
	s_clause 0x3
	buffer_load_dword v129, v127, s[0:3], 0 offen offset:8
	buffer_load_dword v130, v127, s[0:3], 0 offen offset:12
	buffer_load_dword v131, v127, s[0:3], 0 offen
	buffer_load_dword v132, v127, s[0:3], 0 offen offset:4
	s_waitcnt vmcnt(2) lgkmcnt(0)
	v_mul_f64 v[134:135], v[3:4], v[129:130]
	v_mul_f64 v[129:130], v[1:2], v[129:130]
	s_waitcnt vmcnt(0)
	v_fma_f64 v[1:2], v[1:2], v[131:132], -v[134:135]
	v_fma_f64 v[3:4], v[3:4], v[131:132], v[129:130]
.LBB124_582:
	s_and_saveexec_b32 s8, s4
	s_cbranch_execz .LBB124_592
; %bb.583:
	v_subrev_nc_u32_e32 v130, 19, v0
	v_mov_b32_e32 v131, 18
	v_subrev_nc_u32_e32 v129, 18, v0
	s_mov_b32 s4, exec_lo
	v_cmpx_lt_u32_e32 6, v130
	s_cbranch_execz .LBB124_587
; %bb.584:
	v_and_b32_e32 v130, -8, v129
	s_movk_i32 s71, 0x4f0
	s_mov_b32 s70, 0
	s_mov_b32 s72, s52
	;; [unrolled: 1-line block ×3, first 2 shown]
.LBB124_585:                            ; =>This Inner Loop Header: Depth=1
	v_mov_b32_e32 v134, s72
	v_mov_b32_e32 v180, s71
	s_add_i32 s74, s73, 8
	s_add_i32 s73, s73, 26
	v_cmp_eq_u32_e32 vcc_lo, s74, v130
	s_clause 0x1f
	buffer_load_dword v131, v134, s[0:3], 0 offen offset:8
	buffer_load_dword v132, v134, s[0:3], 0 offen offset:12
	buffer_load_dword v142, v134, s[0:3], 0 offen
	buffer_load_dword v143, v134, s[0:3], 0 offen offset:4
	buffer_load_dword v144, v134, s[0:3], 0 offen offset:24
	;; [unrolled: 1-line block ×29, first 2 shown]
	ds_read_b128 v[134:137], v180
	ds_read_b128 v[138:141], v180 offset:16
	s_addk_i32 s71, 0x80
	s_addk_i32 s72, 0x80
	s_or_b32 s70, vcc_lo, s70
	s_waitcnt vmcnt(30) lgkmcnt(1)
	v_mul_f64 v[172:173], v[136:137], v[131:132]
	v_mul_f64 v[131:132], v[134:135], v[131:132]
	s_waitcnt vmcnt(26) lgkmcnt(0)
	v_mul_f64 v[174:175], v[140:141], v[144:145]
	v_mul_f64 v[176:177], v[138:139], v[144:145]
	v_fma_f64 v[172:173], v[134:135], v[142:143], -v[172:173]
	v_fma_f64 v[131:132], v[136:137], v[142:143], v[131:132]
	ds_read_b128 v[134:137], v180 offset:32
	ds_read_b128 v[142:145], v180 offset:48
	s_waitcnt vmcnt(24)
	v_fma_f64 v[138:139], v[138:139], v[146:147], -v[174:175]
	v_fma_f64 v[140:141], v[140:141], v[146:147], v[176:177]
	s_waitcnt vmcnt(22) lgkmcnt(1)
	v_mul_f64 v[178:179], v[136:137], v[148:149]
	v_mul_f64 v[148:149], v[134:135], v[148:149]
	v_add_f64 v[1:2], v[1:2], v[172:173]
	v_add_f64 v[3:4], v[3:4], v[131:132]
	s_waitcnt vmcnt(18) lgkmcnt(0)
	v_mul_f64 v[131:132], v[144:145], v[152:153]
	v_mul_f64 v[146:147], v[142:143], v[152:153]
	v_fma_f64 v[152:153], v[134:135], v[150:151], -v[178:179]
	v_fma_f64 v[148:149], v[136:137], v[150:151], v[148:149]
	v_add_f64 v[138:139], v[1:2], v[138:139]
	v_add_f64 v[140:141], v[3:4], v[140:141]
	ds_read_b128 v[1:4], v180 offset:64
	ds_read_b128 v[134:137], v180 offset:80
	s_waitcnt vmcnt(16)
	v_fma_f64 v[131:132], v[142:143], v[154:155], -v[131:132]
	v_fma_f64 v[142:143], v[144:145], v[154:155], v[146:147]
	s_waitcnt vmcnt(12) lgkmcnt(1)
	v_mul_f64 v[150:151], v[3:4], v[156:157]
	v_mul_f64 v[156:157], v[1:2], v[156:157]
	v_add_f64 v[138:139], v[138:139], v[152:153]
	v_add_f64 v[140:141], v[140:141], v[148:149]
	s_waitcnt vmcnt(10) lgkmcnt(0)
	v_mul_f64 v[144:145], v[136:137], v[158:159]
	v_mul_f64 v[146:147], v[134:135], v[158:159]
	s_waitcnt vmcnt(8)
	v_fma_f64 v[148:149], v[1:2], v[162:163], -v[150:151]
	v_fma_f64 v[150:151], v[3:4], v[162:163], v[156:157]
	v_add_f64 v[131:132], v[138:139], v[131:132]
	v_add_f64 v[142:143], v[140:141], v[142:143]
	ds_read_b128 v[1:4], v180 offset:96
	ds_read_b128 v[138:141], v180 offset:112
	v_fma_f64 v[134:135], v[134:135], v[160:161], -v[144:145]
	v_fma_f64 v[136:137], v[136:137], v[160:161], v[146:147]
	s_waitcnt vmcnt(4) lgkmcnt(1)
	v_mul_f64 v[152:153], v[3:4], v[164:165]
	v_mul_f64 v[154:155], v[1:2], v[164:165]
	v_add_f64 v[131:132], v[131:132], v[148:149]
	v_add_f64 v[142:143], v[142:143], v[150:151]
	s_waitcnt vmcnt(2) lgkmcnt(0)
	v_mul_f64 v[144:145], v[140:141], v[166:167]
	v_mul_f64 v[146:147], v[138:139], v[166:167]
	s_waitcnt vmcnt(0)
	v_fma_f64 v[1:2], v[1:2], v[170:171], -v[152:153]
	v_fma_f64 v[3:4], v[3:4], v[170:171], v[154:155]
	v_add_f64 v[131:132], v[131:132], v[134:135]
	v_add_f64 v[134:135], v[142:143], v[136:137]
	v_fma_f64 v[136:137], v[138:139], v[168:169], -v[144:145]
	v_fma_f64 v[138:139], v[140:141], v[168:169], v[146:147]
	v_add_f64 v[1:2], v[131:132], v[1:2]
	v_add_f64 v[3:4], v[134:135], v[3:4]
	v_mov_b32_e32 v131, s73
	s_mov_b32 s73, s74
	v_add_f64 v[1:2], v[1:2], v[136:137]
	v_add_f64 v[3:4], v[3:4], v[138:139]
	s_andn2_b32 exec_lo, exec_lo, s70
	s_cbranch_execnz .LBB124_585
; %bb.586:
	s_or_b32 exec_lo, exec_lo, s70
.LBB124_587:
	s_or_b32 exec_lo, exec_lo, s4
	v_and_b32_e32 v129, 7, v129
	s_mov_b32 s70, 0
	s_mov_b32 s4, exec_lo
	v_cmpx_ne_u32_e32 0, v129
	s_cbranch_execz .LBB124_591
; %bb.588:
	v_lshlrev_b32_e32 v131, 4, v131
	v_add_nc_u32_e32 v130, 0x3d0, v131
	.p2align	6
.LBB124_589:                            ; =>This Inner Loop Header: Depth=1
	s_clause 0x3
	buffer_load_dword v138, v131, s[0:3], 0 offen offset:8
	buffer_load_dword v139, v131, s[0:3], 0 offen offset:12
	buffer_load_dword v140, v131, s[0:3], 0 offen
	buffer_load_dword v141, v131, s[0:3], 0 offen offset:4
	ds_read_b128 v[134:137], v130
	v_add_nc_u32_e32 v129, -1, v129
	v_add_nc_u32_e32 v130, 16, v130
	v_add_nc_u32_e32 v131, 16, v131
	v_cmp_eq_u32_e32 vcc_lo, 0, v129
	s_or_b32 s70, vcc_lo, s70
	s_waitcnt vmcnt(2) lgkmcnt(0)
	v_mul_f64 v[142:143], v[136:137], v[138:139]
	v_mul_f64 v[138:139], v[134:135], v[138:139]
	s_waitcnt vmcnt(0)
	v_fma_f64 v[134:135], v[134:135], v[140:141], -v[142:143]
	v_fma_f64 v[136:137], v[136:137], v[140:141], v[138:139]
	v_add_f64 v[1:2], v[1:2], v[134:135]
	v_add_f64 v[3:4], v[3:4], v[136:137]
	s_andn2_b32 exec_lo, exec_lo, s70
	s_cbranch_execnz .LBB124_589
; %bb.590:
	s_or_b32 exec_lo, exec_lo, s70
.LBB124_591:
	s_or_b32 exec_lo, exec_lo, s4
.LBB124_592:
	s_or_b32 exec_lo, exec_lo, s8
	v_mov_b32_e32 v129, 0
	ds_read_b128 v[129:132], v129 offset:272
	s_waitcnt lgkmcnt(0)
	v_mul_f64 v[134:135], v[3:4], v[131:132]
	v_mul_f64 v[131:132], v[1:2], v[131:132]
	v_fma_f64 v[1:2], v[1:2], v[129:130], -v[134:135]
	v_fma_f64 v[3:4], v[3:4], v[129:130], v[131:132]
	buffer_store_dword v2, off, s[0:3], 0 offset:276
	buffer_store_dword v1, off, s[0:3], 0 offset:272
	;; [unrolled: 1-line block ×4, first 2 shown]
.LBB124_593:
	s_or_b32 exec_lo, exec_lo, s6
	v_mov_b32_e32 v4, s54
	v_cmp_lt_u32_e64 s4, 16, v0
	s_clause 0x3
	buffer_load_dword v1, v4, s[0:3], 0 offen
	buffer_load_dword v2, v4, s[0:3], 0 offen offset:4
	buffer_load_dword v3, v4, s[0:3], 0 offen offset:8
	;; [unrolled: 1-line block ×3, first 2 shown]
	s_waitcnt vmcnt(0)
	ds_write_b128 v128, v[1:4]
	s_waitcnt lgkmcnt(0)
	s_waitcnt_vscnt null, 0x0
	s_barrier
	buffer_gl0_inv
	s_and_saveexec_b32 s6, s4
	s_cbranch_execz .LBB124_607
; %bb.594:
	ds_read_b128 v[1:4], v128
	s_andn2_b32 vcc_lo, exec_lo, s7
	s_cbranch_vccnz .LBB124_596
; %bb.595:
	s_clause 0x3
	buffer_load_dword v129, v127, s[0:3], 0 offen offset:8
	buffer_load_dword v130, v127, s[0:3], 0 offen offset:12
	buffer_load_dword v131, v127, s[0:3], 0 offen
	buffer_load_dword v132, v127, s[0:3], 0 offen offset:4
	s_waitcnt vmcnt(2) lgkmcnt(0)
	v_mul_f64 v[134:135], v[3:4], v[129:130]
	v_mul_f64 v[129:130], v[1:2], v[129:130]
	s_waitcnt vmcnt(0)
	v_fma_f64 v[1:2], v[1:2], v[131:132], -v[134:135]
	v_fma_f64 v[3:4], v[3:4], v[131:132], v[129:130]
.LBB124_596:
	s_and_saveexec_b32 s8, s5
	s_cbranch_execz .LBB124_606
; %bb.597:
	v_subrev_nc_u32_e32 v130, 18, v0
	v_mov_b32_e32 v131, 17
	v_subrev_nc_u32_e32 v129, 17, v0
	s_mov_b32 s5, exec_lo
	v_cmpx_lt_u32_e32 6, v130
	s_cbranch_execz .LBB124_601
; %bb.598:
	v_and_b32_e32 v130, -8, v129
	s_movk_i32 s71, 0x4e0
	s_mov_b32 s70, 0
	s_mov_b32 s72, s53
	;; [unrolled: 1-line block ×3, first 2 shown]
.LBB124_599:                            ; =>This Inner Loop Header: Depth=1
	v_mov_b32_e32 v134, s72
	v_mov_b32_e32 v180, s71
	s_add_i32 s74, s73, 8
	s_add_i32 s73, s73, 25
	v_cmp_eq_u32_e32 vcc_lo, s74, v130
	s_clause 0x1f
	buffer_load_dword v131, v134, s[0:3], 0 offen offset:8
	buffer_load_dword v132, v134, s[0:3], 0 offen offset:12
	buffer_load_dword v142, v134, s[0:3], 0 offen
	buffer_load_dword v143, v134, s[0:3], 0 offen offset:4
	buffer_load_dword v144, v134, s[0:3], 0 offen offset:24
	;; [unrolled: 1-line block ×29, first 2 shown]
	ds_read_b128 v[134:137], v180
	ds_read_b128 v[138:141], v180 offset:16
	s_addk_i32 s71, 0x80
	s_addk_i32 s72, 0x80
	s_or_b32 s70, vcc_lo, s70
	s_waitcnt vmcnt(30) lgkmcnt(1)
	v_mul_f64 v[172:173], v[136:137], v[131:132]
	v_mul_f64 v[131:132], v[134:135], v[131:132]
	s_waitcnt vmcnt(26) lgkmcnt(0)
	v_mul_f64 v[174:175], v[140:141], v[144:145]
	v_mul_f64 v[176:177], v[138:139], v[144:145]
	v_fma_f64 v[172:173], v[134:135], v[142:143], -v[172:173]
	v_fma_f64 v[131:132], v[136:137], v[142:143], v[131:132]
	ds_read_b128 v[134:137], v180 offset:32
	ds_read_b128 v[142:145], v180 offset:48
	s_waitcnt vmcnt(24)
	v_fma_f64 v[138:139], v[138:139], v[146:147], -v[174:175]
	v_fma_f64 v[140:141], v[140:141], v[146:147], v[176:177]
	s_waitcnt vmcnt(22) lgkmcnt(1)
	v_mul_f64 v[178:179], v[136:137], v[148:149]
	v_mul_f64 v[148:149], v[134:135], v[148:149]
	v_add_f64 v[1:2], v[1:2], v[172:173]
	v_add_f64 v[3:4], v[3:4], v[131:132]
	s_waitcnt vmcnt(18) lgkmcnt(0)
	v_mul_f64 v[131:132], v[144:145], v[152:153]
	v_mul_f64 v[146:147], v[142:143], v[152:153]
	v_fma_f64 v[152:153], v[134:135], v[150:151], -v[178:179]
	v_fma_f64 v[148:149], v[136:137], v[150:151], v[148:149]
	v_add_f64 v[138:139], v[1:2], v[138:139]
	v_add_f64 v[140:141], v[3:4], v[140:141]
	ds_read_b128 v[1:4], v180 offset:64
	ds_read_b128 v[134:137], v180 offset:80
	s_waitcnt vmcnt(16)
	v_fma_f64 v[131:132], v[142:143], v[154:155], -v[131:132]
	v_fma_f64 v[142:143], v[144:145], v[154:155], v[146:147]
	s_waitcnt vmcnt(12) lgkmcnt(1)
	v_mul_f64 v[150:151], v[3:4], v[156:157]
	v_mul_f64 v[156:157], v[1:2], v[156:157]
	v_add_f64 v[138:139], v[138:139], v[152:153]
	v_add_f64 v[140:141], v[140:141], v[148:149]
	s_waitcnt vmcnt(10) lgkmcnt(0)
	v_mul_f64 v[144:145], v[136:137], v[158:159]
	v_mul_f64 v[146:147], v[134:135], v[158:159]
	s_waitcnt vmcnt(8)
	v_fma_f64 v[148:149], v[1:2], v[162:163], -v[150:151]
	v_fma_f64 v[150:151], v[3:4], v[162:163], v[156:157]
	v_add_f64 v[131:132], v[138:139], v[131:132]
	v_add_f64 v[142:143], v[140:141], v[142:143]
	ds_read_b128 v[1:4], v180 offset:96
	ds_read_b128 v[138:141], v180 offset:112
	v_fma_f64 v[134:135], v[134:135], v[160:161], -v[144:145]
	v_fma_f64 v[136:137], v[136:137], v[160:161], v[146:147]
	s_waitcnt vmcnt(4) lgkmcnt(1)
	v_mul_f64 v[152:153], v[3:4], v[164:165]
	v_mul_f64 v[154:155], v[1:2], v[164:165]
	v_add_f64 v[131:132], v[131:132], v[148:149]
	v_add_f64 v[142:143], v[142:143], v[150:151]
	s_waitcnt vmcnt(2) lgkmcnt(0)
	v_mul_f64 v[144:145], v[140:141], v[166:167]
	v_mul_f64 v[146:147], v[138:139], v[166:167]
	s_waitcnt vmcnt(0)
	v_fma_f64 v[1:2], v[1:2], v[170:171], -v[152:153]
	v_fma_f64 v[3:4], v[3:4], v[170:171], v[154:155]
	v_add_f64 v[131:132], v[131:132], v[134:135]
	v_add_f64 v[134:135], v[142:143], v[136:137]
	v_fma_f64 v[136:137], v[138:139], v[168:169], -v[144:145]
	v_fma_f64 v[138:139], v[140:141], v[168:169], v[146:147]
	v_add_f64 v[1:2], v[131:132], v[1:2]
	v_add_f64 v[3:4], v[134:135], v[3:4]
	v_mov_b32_e32 v131, s73
	s_mov_b32 s73, s74
	v_add_f64 v[1:2], v[1:2], v[136:137]
	v_add_f64 v[3:4], v[3:4], v[138:139]
	s_andn2_b32 exec_lo, exec_lo, s70
	s_cbranch_execnz .LBB124_599
; %bb.600:
	s_or_b32 exec_lo, exec_lo, s70
.LBB124_601:
	s_or_b32 exec_lo, exec_lo, s5
	v_and_b32_e32 v129, 7, v129
	s_mov_b32 s70, 0
	s_mov_b32 s5, exec_lo
	v_cmpx_ne_u32_e32 0, v129
	s_cbranch_execz .LBB124_605
; %bb.602:
	v_lshlrev_b32_e32 v131, 4, v131
	v_add_nc_u32_e32 v130, 0x3d0, v131
	.p2align	6
.LBB124_603:                            ; =>This Inner Loop Header: Depth=1
	s_clause 0x3
	buffer_load_dword v138, v131, s[0:3], 0 offen offset:8
	buffer_load_dword v139, v131, s[0:3], 0 offen offset:12
	buffer_load_dword v140, v131, s[0:3], 0 offen
	buffer_load_dword v141, v131, s[0:3], 0 offen offset:4
	ds_read_b128 v[134:137], v130
	v_add_nc_u32_e32 v129, -1, v129
	v_add_nc_u32_e32 v130, 16, v130
	v_add_nc_u32_e32 v131, 16, v131
	v_cmp_eq_u32_e32 vcc_lo, 0, v129
	s_or_b32 s70, vcc_lo, s70
	s_waitcnt vmcnt(2) lgkmcnt(0)
	v_mul_f64 v[142:143], v[136:137], v[138:139]
	v_mul_f64 v[138:139], v[134:135], v[138:139]
	s_waitcnt vmcnt(0)
	v_fma_f64 v[134:135], v[134:135], v[140:141], -v[142:143]
	v_fma_f64 v[136:137], v[136:137], v[140:141], v[138:139]
	v_add_f64 v[1:2], v[1:2], v[134:135]
	v_add_f64 v[3:4], v[3:4], v[136:137]
	s_andn2_b32 exec_lo, exec_lo, s70
	s_cbranch_execnz .LBB124_603
; %bb.604:
	s_or_b32 exec_lo, exec_lo, s70
.LBB124_605:
	s_or_b32 exec_lo, exec_lo, s5
.LBB124_606:
	s_or_b32 exec_lo, exec_lo, s8
	v_mov_b32_e32 v129, 0
	ds_read_b128 v[129:132], v129 offset:256
	s_waitcnt lgkmcnt(0)
	v_mul_f64 v[134:135], v[3:4], v[131:132]
	v_mul_f64 v[131:132], v[1:2], v[131:132]
	v_fma_f64 v[1:2], v[1:2], v[129:130], -v[134:135]
	v_fma_f64 v[3:4], v[3:4], v[129:130], v[131:132]
	buffer_store_dword v2, off, s[0:3], 0 offset:260
	buffer_store_dword v1, off, s[0:3], 0 offset:256
	;; [unrolled: 1-line block ×4, first 2 shown]
.LBB124_607:
	s_or_b32 exec_lo, exec_lo, s6
	v_mov_b32_e32 v4, s55
	v_cmp_lt_u32_e64 s5, 15, v0
	s_clause 0x3
	buffer_load_dword v1, v4, s[0:3], 0 offen
	buffer_load_dword v2, v4, s[0:3], 0 offen offset:4
	buffer_load_dword v3, v4, s[0:3], 0 offen offset:8
	;; [unrolled: 1-line block ×3, first 2 shown]
	s_waitcnt vmcnt(0)
	ds_write_b128 v128, v[1:4]
	s_waitcnt lgkmcnt(0)
	s_waitcnt_vscnt null, 0x0
	s_barrier
	buffer_gl0_inv
	s_and_saveexec_b32 s6, s5
	s_cbranch_execz .LBB124_621
; %bb.608:
	ds_read_b128 v[1:4], v128
	s_andn2_b32 vcc_lo, exec_lo, s7
	s_cbranch_vccnz .LBB124_610
; %bb.609:
	s_clause 0x3
	buffer_load_dword v129, v127, s[0:3], 0 offen offset:8
	buffer_load_dword v130, v127, s[0:3], 0 offen offset:12
	buffer_load_dword v131, v127, s[0:3], 0 offen
	buffer_load_dword v132, v127, s[0:3], 0 offen offset:4
	s_waitcnt vmcnt(2) lgkmcnt(0)
	v_mul_f64 v[134:135], v[3:4], v[129:130]
	v_mul_f64 v[129:130], v[1:2], v[129:130]
	s_waitcnt vmcnt(0)
	v_fma_f64 v[1:2], v[1:2], v[131:132], -v[134:135]
	v_fma_f64 v[3:4], v[3:4], v[131:132], v[129:130]
.LBB124_610:
	s_and_saveexec_b32 s8, s4
	s_cbranch_execz .LBB124_620
; %bb.611:
	v_subrev_nc_u32_e32 v129, 17, v0
	v_cmp_lt_u32_e32 vcc_lo, 6, v129
	v_mov_b32_e32 v129, 16
	s_and_saveexec_b32 s4, vcc_lo
	s_cbranch_execz .LBB124_615
; %bb.612:
	v_and_b32_e32 v129, 56, v0
	s_mov_b32 s70, 16
	s_movk_i32 s72, 0x4d0
	s_mov_b32 s71, 0
	s_mov_b32 s73, s54
.LBB124_613:                            ; =>This Inner Loop Header: Depth=1
	v_mov_b32_e32 v132, s73
	s_add_i32 s70, s70, 8
	s_addk_i32 s73, 0x80
	v_cmp_eq_u32_e32 vcc_lo, s70, v129
	s_clause 0x1f
	buffer_load_dword v130, v132, s[0:3], 0 offen offset:8
	buffer_load_dword v131, v132, s[0:3], 0 offen offset:12
	buffer_load_dword v142, v132, s[0:3], 0 offen
	buffer_load_dword v143, v132, s[0:3], 0 offen offset:4
	buffer_load_dword v144, v132, s[0:3], 0 offen offset:24
	;; [unrolled: 1-line block ×29, first 2 shown]
	v_mov_b32_e32 v132, s72
	s_addk_i32 s72, 0x80
	s_or_b32 s71, vcc_lo, s71
	ds_read_b128 v[134:137], v132
	ds_read_b128 v[138:141], v132 offset:16
	s_waitcnt vmcnt(30) lgkmcnt(1)
	v_mul_f64 v[172:173], v[136:137], v[130:131]
	v_mul_f64 v[130:131], v[134:135], v[130:131]
	s_waitcnt vmcnt(26) lgkmcnt(0)
	v_mul_f64 v[174:175], v[140:141], v[144:145]
	v_mul_f64 v[176:177], v[138:139], v[144:145]
	v_fma_f64 v[172:173], v[134:135], v[142:143], -v[172:173]
	v_fma_f64 v[130:131], v[136:137], v[142:143], v[130:131]
	ds_read_b128 v[134:137], v132 offset:32
	ds_read_b128 v[142:145], v132 offset:48
	s_waitcnt vmcnt(24)
	v_fma_f64 v[138:139], v[138:139], v[146:147], -v[174:175]
	v_fma_f64 v[140:141], v[140:141], v[146:147], v[176:177]
	s_waitcnt vmcnt(22) lgkmcnt(1)
	v_mul_f64 v[178:179], v[136:137], v[148:149]
	v_mul_f64 v[148:149], v[134:135], v[148:149]
	v_add_f64 v[1:2], v[1:2], v[172:173]
	v_add_f64 v[3:4], v[3:4], v[130:131]
	s_waitcnt vmcnt(18) lgkmcnt(0)
	v_mul_f64 v[130:131], v[144:145], v[152:153]
	v_mul_f64 v[146:147], v[142:143], v[152:153]
	v_fma_f64 v[152:153], v[134:135], v[150:151], -v[178:179]
	v_fma_f64 v[148:149], v[136:137], v[150:151], v[148:149]
	v_add_f64 v[138:139], v[1:2], v[138:139]
	v_add_f64 v[140:141], v[3:4], v[140:141]
	ds_read_b128 v[1:4], v132 offset:64
	ds_read_b128 v[134:137], v132 offset:80
	s_waitcnt vmcnt(16)
	v_fma_f64 v[130:131], v[142:143], v[154:155], -v[130:131]
	v_fma_f64 v[142:143], v[144:145], v[154:155], v[146:147]
	s_waitcnt vmcnt(12) lgkmcnt(1)
	v_mul_f64 v[150:151], v[3:4], v[156:157]
	v_mul_f64 v[156:157], v[1:2], v[156:157]
	v_add_f64 v[138:139], v[138:139], v[152:153]
	v_add_f64 v[140:141], v[140:141], v[148:149]
	s_waitcnt vmcnt(10) lgkmcnt(0)
	v_mul_f64 v[144:145], v[136:137], v[158:159]
	v_mul_f64 v[146:147], v[134:135], v[158:159]
	s_waitcnt vmcnt(8)
	v_fma_f64 v[148:149], v[1:2], v[162:163], -v[150:151]
	v_fma_f64 v[150:151], v[3:4], v[162:163], v[156:157]
	v_add_f64 v[130:131], v[138:139], v[130:131]
	v_add_f64 v[142:143], v[140:141], v[142:143]
	ds_read_b128 v[1:4], v132 offset:96
	ds_read_b128 v[138:141], v132 offset:112
	v_fma_f64 v[134:135], v[134:135], v[160:161], -v[144:145]
	v_fma_f64 v[136:137], v[136:137], v[160:161], v[146:147]
	s_waitcnt vmcnt(4) lgkmcnt(1)
	v_mul_f64 v[152:153], v[3:4], v[164:165]
	v_mul_f64 v[154:155], v[1:2], v[164:165]
	v_add_f64 v[130:131], v[130:131], v[148:149]
	v_add_f64 v[142:143], v[142:143], v[150:151]
	s_waitcnt vmcnt(2) lgkmcnt(0)
	v_mul_f64 v[144:145], v[140:141], v[166:167]
	v_mul_f64 v[146:147], v[138:139], v[166:167]
	s_waitcnt vmcnt(0)
	v_fma_f64 v[1:2], v[1:2], v[170:171], -v[152:153]
	v_fma_f64 v[3:4], v[3:4], v[170:171], v[154:155]
	v_add_f64 v[130:131], v[130:131], v[134:135]
	v_add_f64 v[134:135], v[142:143], v[136:137]
	v_fma_f64 v[136:137], v[138:139], v[168:169], -v[144:145]
	v_fma_f64 v[138:139], v[140:141], v[168:169], v[146:147]
	v_add_f64 v[1:2], v[130:131], v[1:2]
	v_add_f64 v[3:4], v[134:135], v[3:4]
	;; [unrolled: 1-line block ×4, first 2 shown]
	s_andn2_b32 exec_lo, exec_lo, s71
	s_cbranch_execnz .LBB124_613
; %bb.614:
	s_or_b32 exec_lo, exec_lo, s71
.LBB124_615:
	s_or_b32 exec_lo, exec_lo, s4
	v_and_b32_e32 v130, 7, v0
	s_mov_b32 s70, 0
	s_mov_b32 s4, exec_lo
	v_cmpx_ne_u32_e32 0, v130
	s_cbranch_execz .LBB124_619
; %bb.616:
	v_lshlrev_b32_e32 v131, 4, v129
	v_add_nc_u32_e32 v129, 0x3d0, v131
	.p2align	6
.LBB124_617:                            ; =>This Inner Loop Header: Depth=1
	s_clause 0x3
	buffer_load_dword v138, v131, s[0:3], 0 offen offset:8
	buffer_load_dword v139, v131, s[0:3], 0 offen offset:12
	buffer_load_dword v140, v131, s[0:3], 0 offen
	buffer_load_dword v141, v131, s[0:3], 0 offen offset:4
	ds_read_b128 v[134:137], v129
	v_add_nc_u32_e32 v130, -1, v130
	v_add_nc_u32_e32 v129, 16, v129
	v_add_nc_u32_e32 v131, 16, v131
	v_cmp_eq_u32_e32 vcc_lo, 0, v130
	s_or_b32 s70, vcc_lo, s70
	s_waitcnt vmcnt(2) lgkmcnt(0)
	v_mul_f64 v[142:143], v[136:137], v[138:139]
	v_mul_f64 v[138:139], v[134:135], v[138:139]
	s_waitcnt vmcnt(0)
	v_fma_f64 v[134:135], v[134:135], v[140:141], -v[142:143]
	v_fma_f64 v[136:137], v[136:137], v[140:141], v[138:139]
	v_add_f64 v[1:2], v[1:2], v[134:135]
	v_add_f64 v[3:4], v[3:4], v[136:137]
	s_andn2_b32 exec_lo, exec_lo, s70
	s_cbranch_execnz .LBB124_617
; %bb.618:
	s_or_b32 exec_lo, exec_lo, s70
.LBB124_619:
	s_or_b32 exec_lo, exec_lo, s4
.LBB124_620:
	s_or_b32 exec_lo, exec_lo, s8
	v_mov_b32_e32 v129, 0
	ds_read_b128 v[129:132], v129 offset:240
	s_waitcnt lgkmcnt(0)
	v_mul_f64 v[134:135], v[3:4], v[131:132]
	v_mul_f64 v[131:132], v[1:2], v[131:132]
	v_fma_f64 v[1:2], v[1:2], v[129:130], -v[134:135]
	v_fma_f64 v[3:4], v[3:4], v[129:130], v[131:132]
	buffer_store_dword v2, off, s[0:3], 0 offset:244
	buffer_store_dword v1, off, s[0:3], 0 offset:240
	;; [unrolled: 1-line block ×4, first 2 shown]
.LBB124_621:
	s_or_b32 exec_lo, exec_lo, s6
	v_mov_b32_e32 v4, s56
	v_cmp_lt_u32_e64 s4, 14, v0
	s_clause 0x3
	buffer_load_dword v1, v4, s[0:3], 0 offen
	buffer_load_dword v2, v4, s[0:3], 0 offen offset:4
	buffer_load_dword v3, v4, s[0:3], 0 offen offset:8
	;; [unrolled: 1-line block ×3, first 2 shown]
	s_waitcnt vmcnt(0)
	ds_write_b128 v128, v[1:4]
	s_waitcnt lgkmcnt(0)
	s_waitcnt_vscnt null, 0x0
	s_barrier
	buffer_gl0_inv
	s_and_saveexec_b32 s6, s4
	s_cbranch_execz .LBB124_635
; %bb.622:
	ds_read_b128 v[1:4], v128
	s_andn2_b32 vcc_lo, exec_lo, s7
	s_cbranch_vccnz .LBB124_624
; %bb.623:
	s_clause 0x3
	buffer_load_dword v129, v127, s[0:3], 0 offen offset:8
	buffer_load_dword v130, v127, s[0:3], 0 offen offset:12
	buffer_load_dword v131, v127, s[0:3], 0 offen
	buffer_load_dword v132, v127, s[0:3], 0 offen offset:4
	s_waitcnt vmcnt(2) lgkmcnt(0)
	v_mul_f64 v[134:135], v[3:4], v[129:130]
	v_mul_f64 v[129:130], v[1:2], v[129:130]
	s_waitcnt vmcnt(0)
	v_fma_f64 v[1:2], v[1:2], v[131:132], -v[134:135]
	v_fma_f64 v[3:4], v[3:4], v[131:132], v[129:130]
.LBB124_624:
	s_and_saveexec_b32 s8, s5
	s_cbranch_execz .LBB124_634
; %bb.625:
	v_add_nc_u32_e32 v130, -16, v0
	v_add_nc_u32_e32 v129, -15, v0
	v_mov_b32_e32 v131, 15
	s_mov_b32 s5, exec_lo
	v_cmpx_lt_u32_e32 6, v130
	s_cbranch_execz .LBB124_629
; %bb.626:
	v_and_b32_e32 v130, -8, v129
	s_movk_i32 s71, 0x4c0
	s_mov_b32 s70, 0
	s_mov_b32 s72, s55
	;; [unrolled: 1-line block ×3, first 2 shown]
.LBB124_627:                            ; =>This Inner Loop Header: Depth=1
	v_mov_b32_e32 v134, s72
	v_mov_b32_e32 v180, s71
	s_add_i32 s74, s73, 8
	s_add_i32 s73, s73, 23
	v_cmp_eq_u32_e32 vcc_lo, s74, v130
	s_clause 0x1f
	buffer_load_dword v131, v134, s[0:3], 0 offen offset:8
	buffer_load_dword v132, v134, s[0:3], 0 offen offset:12
	buffer_load_dword v142, v134, s[0:3], 0 offen
	buffer_load_dword v143, v134, s[0:3], 0 offen offset:4
	buffer_load_dword v144, v134, s[0:3], 0 offen offset:24
	;; [unrolled: 1-line block ×29, first 2 shown]
	ds_read_b128 v[134:137], v180
	ds_read_b128 v[138:141], v180 offset:16
	s_addk_i32 s71, 0x80
	s_addk_i32 s72, 0x80
	s_or_b32 s70, vcc_lo, s70
	s_waitcnt vmcnt(30) lgkmcnt(1)
	v_mul_f64 v[172:173], v[136:137], v[131:132]
	v_mul_f64 v[131:132], v[134:135], v[131:132]
	s_waitcnt vmcnt(26) lgkmcnt(0)
	v_mul_f64 v[174:175], v[140:141], v[144:145]
	v_mul_f64 v[176:177], v[138:139], v[144:145]
	v_fma_f64 v[172:173], v[134:135], v[142:143], -v[172:173]
	v_fma_f64 v[131:132], v[136:137], v[142:143], v[131:132]
	ds_read_b128 v[134:137], v180 offset:32
	ds_read_b128 v[142:145], v180 offset:48
	s_waitcnt vmcnt(24)
	v_fma_f64 v[138:139], v[138:139], v[146:147], -v[174:175]
	v_fma_f64 v[140:141], v[140:141], v[146:147], v[176:177]
	s_waitcnt vmcnt(22) lgkmcnt(1)
	v_mul_f64 v[178:179], v[136:137], v[148:149]
	v_mul_f64 v[148:149], v[134:135], v[148:149]
	v_add_f64 v[1:2], v[1:2], v[172:173]
	v_add_f64 v[3:4], v[3:4], v[131:132]
	s_waitcnt vmcnt(18) lgkmcnt(0)
	v_mul_f64 v[131:132], v[144:145], v[152:153]
	v_mul_f64 v[146:147], v[142:143], v[152:153]
	v_fma_f64 v[152:153], v[134:135], v[150:151], -v[178:179]
	v_fma_f64 v[148:149], v[136:137], v[150:151], v[148:149]
	v_add_f64 v[138:139], v[1:2], v[138:139]
	v_add_f64 v[140:141], v[3:4], v[140:141]
	ds_read_b128 v[1:4], v180 offset:64
	ds_read_b128 v[134:137], v180 offset:80
	s_waitcnt vmcnt(16)
	v_fma_f64 v[131:132], v[142:143], v[154:155], -v[131:132]
	v_fma_f64 v[142:143], v[144:145], v[154:155], v[146:147]
	s_waitcnt vmcnt(12) lgkmcnt(1)
	v_mul_f64 v[150:151], v[3:4], v[156:157]
	v_mul_f64 v[156:157], v[1:2], v[156:157]
	v_add_f64 v[138:139], v[138:139], v[152:153]
	v_add_f64 v[140:141], v[140:141], v[148:149]
	s_waitcnt vmcnt(10) lgkmcnt(0)
	v_mul_f64 v[144:145], v[136:137], v[158:159]
	v_mul_f64 v[146:147], v[134:135], v[158:159]
	s_waitcnt vmcnt(8)
	v_fma_f64 v[148:149], v[1:2], v[162:163], -v[150:151]
	v_fma_f64 v[150:151], v[3:4], v[162:163], v[156:157]
	v_add_f64 v[131:132], v[138:139], v[131:132]
	v_add_f64 v[142:143], v[140:141], v[142:143]
	ds_read_b128 v[1:4], v180 offset:96
	ds_read_b128 v[138:141], v180 offset:112
	v_fma_f64 v[134:135], v[134:135], v[160:161], -v[144:145]
	v_fma_f64 v[136:137], v[136:137], v[160:161], v[146:147]
	s_waitcnt vmcnt(4) lgkmcnt(1)
	v_mul_f64 v[152:153], v[3:4], v[164:165]
	v_mul_f64 v[154:155], v[1:2], v[164:165]
	v_add_f64 v[131:132], v[131:132], v[148:149]
	v_add_f64 v[142:143], v[142:143], v[150:151]
	s_waitcnt vmcnt(2) lgkmcnt(0)
	v_mul_f64 v[144:145], v[140:141], v[166:167]
	v_mul_f64 v[146:147], v[138:139], v[166:167]
	s_waitcnt vmcnt(0)
	v_fma_f64 v[1:2], v[1:2], v[170:171], -v[152:153]
	v_fma_f64 v[3:4], v[3:4], v[170:171], v[154:155]
	v_add_f64 v[131:132], v[131:132], v[134:135]
	v_add_f64 v[134:135], v[142:143], v[136:137]
	v_fma_f64 v[136:137], v[138:139], v[168:169], -v[144:145]
	v_fma_f64 v[138:139], v[140:141], v[168:169], v[146:147]
	v_add_f64 v[1:2], v[131:132], v[1:2]
	v_add_f64 v[3:4], v[134:135], v[3:4]
	v_mov_b32_e32 v131, s73
	s_mov_b32 s73, s74
	v_add_f64 v[1:2], v[1:2], v[136:137]
	v_add_f64 v[3:4], v[3:4], v[138:139]
	s_andn2_b32 exec_lo, exec_lo, s70
	s_cbranch_execnz .LBB124_627
; %bb.628:
	s_or_b32 exec_lo, exec_lo, s70
.LBB124_629:
	s_or_b32 exec_lo, exec_lo, s5
	v_and_b32_e32 v129, 7, v129
	s_mov_b32 s70, 0
	s_mov_b32 s5, exec_lo
	v_cmpx_ne_u32_e32 0, v129
	s_cbranch_execz .LBB124_633
; %bb.630:
	v_lshlrev_b32_e32 v131, 4, v131
	v_add_nc_u32_e32 v130, 0x3d0, v131
	.p2align	6
.LBB124_631:                            ; =>This Inner Loop Header: Depth=1
	s_clause 0x3
	buffer_load_dword v138, v131, s[0:3], 0 offen offset:8
	buffer_load_dword v139, v131, s[0:3], 0 offen offset:12
	buffer_load_dword v140, v131, s[0:3], 0 offen
	buffer_load_dword v141, v131, s[0:3], 0 offen offset:4
	ds_read_b128 v[134:137], v130
	v_add_nc_u32_e32 v129, -1, v129
	v_add_nc_u32_e32 v130, 16, v130
	v_add_nc_u32_e32 v131, 16, v131
	v_cmp_eq_u32_e32 vcc_lo, 0, v129
	s_or_b32 s70, vcc_lo, s70
	s_waitcnt vmcnt(2) lgkmcnt(0)
	v_mul_f64 v[142:143], v[136:137], v[138:139]
	v_mul_f64 v[138:139], v[134:135], v[138:139]
	s_waitcnt vmcnt(0)
	v_fma_f64 v[134:135], v[134:135], v[140:141], -v[142:143]
	v_fma_f64 v[136:137], v[136:137], v[140:141], v[138:139]
	v_add_f64 v[1:2], v[1:2], v[134:135]
	v_add_f64 v[3:4], v[3:4], v[136:137]
	s_andn2_b32 exec_lo, exec_lo, s70
	s_cbranch_execnz .LBB124_631
; %bb.632:
	s_or_b32 exec_lo, exec_lo, s70
.LBB124_633:
	s_or_b32 exec_lo, exec_lo, s5
.LBB124_634:
	s_or_b32 exec_lo, exec_lo, s8
	v_mov_b32_e32 v129, 0
	ds_read_b128 v[129:132], v129 offset:224
	s_waitcnt lgkmcnt(0)
	v_mul_f64 v[134:135], v[3:4], v[131:132]
	v_mul_f64 v[131:132], v[1:2], v[131:132]
	v_fma_f64 v[1:2], v[1:2], v[129:130], -v[134:135]
	v_fma_f64 v[3:4], v[3:4], v[129:130], v[131:132]
	buffer_store_dword v2, off, s[0:3], 0 offset:228
	buffer_store_dword v1, off, s[0:3], 0 offset:224
	;; [unrolled: 1-line block ×4, first 2 shown]
.LBB124_635:
	s_or_b32 exec_lo, exec_lo, s6
	v_mov_b32_e32 v4, s57
	v_cmp_lt_u32_e64 s5, 13, v0
	s_clause 0x3
	buffer_load_dword v1, v4, s[0:3], 0 offen
	buffer_load_dword v2, v4, s[0:3], 0 offen offset:4
	buffer_load_dword v3, v4, s[0:3], 0 offen offset:8
	;; [unrolled: 1-line block ×3, first 2 shown]
	s_waitcnt vmcnt(0)
	ds_write_b128 v128, v[1:4]
	s_waitcnt lgkmcnt(0)
	s_waitcnt_vscnt null, 0x0
	s_barrier
	buffer_gl0_inv
	s_and_saveexec_b32 s6, s5
	s_cbranch_execz .LBB124_649
; %bb.636:
	ds_read_b128 v[1:4], v128
	s_andn2_b32 vcc_lo, exec_lo, s7
	s_cbranch_vccnz .LBB124_638
; %bb.637:
	s_clause 0x3
	buffer_load_dword v129, v127, s[0:3], 0 offen offset:8
	buffer_load_dword v130, v127, s[0:3], 0 offen offset:12
	buffer_load_dword v131, v127, s[0:3], 0 offen
	buffer_load_dword v132, v127, s[0:3], 0 offen offset:4
	s_waitcnt vmcnt(2) lgkmcnt(0)
	v_mul_f64 v[134:135], v[3:4], v[129:130]
	v_mul_f64 v[129:130], v[1:2], v[129:130]
	s_waitcnt vmcnt(0)
	v_fma_f64 v[1:2], v[1:2], v[131:132], -v[134:135]
	v_fma_f64 v[3:4], v[3:4], v[131:132], v[129:130]
.LBB124_638:
	s_and_saveexec_b32 s8, s4
	s_cbranch_execz .LBB124_648
; %bb.639:
	v_add_nc_u32_e32 v130, -15, v0
	v_add_nc_u32_e32 v129, -14, v0
	v_mov_b32_e32 v131, 14
	s_mov_b32 s4, exec_lo
	v_cmpx_lt_u32_e32 6, v130
	s_cbranch_execz .LBB124_643
; %bb.640:
	v_and_b32_e32 v130, -8, v129
	s_movk_i32 s71, 0x4b0
	s_mov_b32 s70, 0
	s_mov_b32 s72, s56
	;; [unrolled: 1-line block ×3, first 2 shown]
.LBB124_641:                            ; =>This Inner Loop Header: Depth=1
	v_mov_b32_e32 v134, s72
	v_mov_b32_e32 v180, s71
	s_add_i32 s74, s73, 8
	s_add_i32 s73, s73, 22
	v_cmp_eq_u32_e32 vcc_lo, s74, v130
	s_clause 0x1f
	buffer_load_dword v131, v134, s[0:3], 0 offen offset:8
	buffer_load_dword v132, v134, s[0:3], 0 offen offset:12
	buffer_load_dword v142, v134, s[0:3], 0 offen
	buffer_load_dword v143, v134, s[0:3], 0 offen offset:4
	buffer_load_dword v144, v134, s[0:3], 0 offen offset:24
	;; [unrolled: 1-line block ×29, first 2 shown]
	ds_read_b128 v[134:137], v180
	ds_read_b128 v[138:141], v180 offset:16
	s_addk_i32 s71, 0x80
	s_addk_i32 s72, 0x80
	s_or_b32 s70, vcc_lo, s70
	s_waitcnt vmcnt(30) lgkmcnt(1)
	v_mul_f64 v[172:173], v[136:137], v[131:132]
	v_mul_f64 v[131:132], v[134:135], v[131:132]
	s_waitcnt vmcnt(26) lgkmcnt(0)
	v_mul_f64 v[174:175], v[140:141], v[144:145]
	v_mul_f64 v[176:177], v[138:139], v[144:145]
	v_fma_f64 v[172:173], v[134:135], v[142:143], -v[172:173]
	v_fma_f64 v[131:132], v[136:137], v[142:143], v[131:132]
	ds_read_b128 v[134:137], v180 offset:32
	ds_read_b128 v[142:145], v180 offset:48
	s_waitcnt vmcnt(24)
	v_fma_f64 v[138:139], v[138:139], v[146:147], -v[174:175]
	v_fma_f64 v[140:141], v[140:141], v[146:147], v[176:177]
	s_waitcnt vmcnt(22) lgkmcnt(1)
	v_mul_f64 v[178:179], v[136:137], v[148:149]
	v_mul_f64 v[148:149], v[134:135], v[148:149]
	v_add_f64 v[1:2], v[1:2], v[172:173]
	v_add_f64 v[3:4], v[3:4], v[131:132]
	s_waitcnt vmcnt(18) lgkmcnt(0)
	v_mul_f64 v[131:132], v[144:145], v[152:153]
	v_mul_f64 v[146:147], v[142:143], v[152:153]
	v_fma_f64 v[152:153], v[134:135], v[150:151], -v[178:179]
	v_fma_f64 v[148:149], v[136:137], v[150:151], v[148:149]
	v_add_f64 v[138:139], v[1:2], v[138:139]
	v_add_f64 v[140:141], v[3:4], v[140:141]
	ds_read_b128 v[1:4], v180 offset:64
	ds_read_b128 v[134:137], v180 offset:80
	s_waitcnt vmcnt(16)
	v_fma_f64 v[131:132], v[142:143], v[154:155], -v[131:132]
	v_fma_f64 v[142:143], v[144:145], v[154:155], v[146:147]
	s_waitcnt vmcnt(12) lgkmcnt(1)
	v_mul_f64 v[150:151], v[3:4], v[156:157]
	v_mul_f64 v[156:157], v[1:2], v[156:157]
	v_add_f64 v[138:139], v[138:139], v[152:153]
	v_add_f64 v[140:141], v[140:141], v[148:149]
	s_waitcnt vmcnt(10) lgkmcnt(0)
	v_mul_f64 v[144:145], v[136:137], v[158:159]
	v_mul_f64 v[146:147], v[134:135], v[158:159]
	s_waitcnt vmcnt(8)
	v_fma_f64 v[148:149], v[1:2], v[162:163], -v[150:151]
	v_fma_f64 v[150:151], v[3:4], v[162:163], v[156:157]
	v_add_f64 v[131:132], v[138:139], v[131:132]
	v_add_f64 v[142:143], v[140:141], v[142:143]
	ds_read_b128 v[1:4], v180 offset:96
	ds_read_b128 v[138:141], v180 offset:112
	v_fma_f64 v[134:135], v[134:135], v[160:161], -v[144:145]
	v_fma_f64 v[136:137], v[136:137], v[160:161], v[146:147]
	s_waitcnt vmcnt(4) lgkmcnt(1)
	v_mul_f64 v[152:153], v[3:4], v[164:165]
	v_mul_f64 v[154:155], v[1:2], v[164:165]
	v_add_f64 v[131:132], v[131:132], v[148:149]
	v_add_f64 v[142:143], v[142:143], v[150:151]
	s_waitcnt vmcnt(2) lgkmcnt(0)
	v_mul_f64 v[144:145], v[140:141], v[166:167]
	v_mul_f64 v[146:147], v[138:139], v[166:167]
	s_waitcnt vmcnt(0)
	v_fma_f64 v[1:2], v[1:2], v[170:171], -v[152:153]
	v_fma_f64 v[3:4], v[3:4], v[170:171], v[154:155]
	v_add_f64 v[131:132], v[131:132], v[134:135]
	v_add_f64 v[134:135], v[142:143], v[136:137]
	v_fma_f64 v[136:137], v[138:139], v[168:169], -v[144:145]
	v_fma_f64 v[138:139], v[140:141], v[168:169], v[146:147]
	v_add_f64 v[1:2], v[131:132], v[1:2]
	v_add_f64 v[3:4], v[134:135], v[3:4]
	v_mov_b32_e32 v131, s73
	s_mov_b32 s73, s74
	v_add_f64 v[1:2], v[1:2], v[136:137]
	v_add_f64 v[3:4], v[3:4], v[138:139]
	s_andn2_b32 exec_lo, exec_lo, s70
	s_cbranch_execnz .LBB124_641
; %bb.642:
	s_or_b32 exec_lo, exec_lo, s70
.LBB124_643:
	s_or_b32 exec_lo, exec_lo, s4
	v_and_b32_e32 v129, 7, v129
	s_mov_b32 s70, 0
	s_mov_b32 s4, exec_lo
	v_cmpx_ne_u32_e32 0, v129
	s_cbranch_execz .LBB124_647
; %bb.644:
	v_lshlrev_b32_e32 v131, 4, v131
	v_add_nc_u32_e32 v130, 0x3d0, v131
	.p2align	6
.LBB124_645:                            ; =>This Inner Loop Header: Depth=1
	s_clause 0x3
	buffer_load_dword v138, v131, s[0:3], 0 offen offset:8
	buffer_load_dword v139, v131, s[0:3], 0 offen offset:12
	buffer_load_dword v140, v131, s[0:3], 0 offen
	buffer_load_dword v141, v131, s[0:3], 0 offen offset:4
	ds_read_b128 v[134:137], v130
	v_add_nc_u32_e32 v129, -1, v129
	v_add_nc_u32_e32 v130, 16, v130
	v_add_nc_u32_e32 v131, 16, v131
	v_cmp_eq_u32_e32 vcc_lo, 0, v129
	s_or_b32 s70, vcc_lo, s70
	s_waitcnt vmcnt(2) lgkmcnt(0)
	v_mul_f64 v[142:143], v[136:137], v[138:139]
	v_mul_f64 v[138:139], v[134:135], v[138:139]
	s_waitcnt vmcnt(0)
	v_fma_f64 v[134:135], v[134:135], v[140:141], -v[142:143]
	v_fma_f64 v[136:137], v[136:137], v[140:141], v[138:139]
	v_add_f64 v[1:2], v[1:2], v[134:135]
	v_add_f64 v[3:4], v[3:4], v[136:137]
	s_andn2_b32 exec_lo, exec_lo, s70
	s_cbranch_execnz .LBB124_645
; %bb.646:
	s_or_b32 exec_lo, exec_lo, s70
.LBB124_647:
	s_or_b32 exec_lo, exec_lo, s4
.LBB124_648:
	s_or_b32 exec_lo, exec_lo, s8
	v_mov_b32_e32 v129, 0
	ds_read_b128 v[129:132], v129 offset:208
	s_waitcnt lgkmcnt(0)
	v_mul_f64 v[134:135], v[3:4], v[131:132]
	v_mul_f64 v[131:132], v[1:2], v[131:132]
	v_fma_f64 v[1:2], v[1:2], v[129:130], -v[134:135]
	v_fma_f64 v[3:4], v[3:4], v[129:130], v[131:132]
	buffer_store_dword v2, off, s[0:3], 0 offset:212
	buffer_store_dword v1, off, s[0:3], 0 offset:208
	;; [unrolled: 1-line block ×4, first 2 shown]
.LBB124_649:
	s_or_b32 exec_lo, exec_lo, s6
	v_mov_b32_e32 v4, s58
	v_cmp_lt_u32_e64 s4, 12, v0
	s_clause 0x3
	buffer_load_dword v1, v4, s[0:3], 0 offen
	buffer_load_dword v2, v4, s[0:3], 0 offen offset:4
	buffer_load_dword v3, v4, s[0:3], 0 offen offset:8
	;; [unrolled: 1-line block ×3, first 2 shown]
	s_waitcnt vmcnt(0)
	ds_write_b128 v128, v[1:4]
	s_waitcnt lgkmcnt(0)
	s_waitcnt_vscnt null, 0x0
	s_barrier
	buffer_gl0_inv
	s_and_saveexec_b32 s6, s4
	s_cbranch_execz .LBB124_663
; %bb.650:
	ds_read_b128 v[1:4], v128
	s_andn2_b32 vcc_lo, exec_lo, s7
	s_cbranch_vccnz .LBB124_652
; %bb.651:
	s_clause 0x3
	buffer_load_dword v129, v127, s[0:3], 0 offen offset:8
	buffer_load_dword v130, v127, s[0:3], 0 offen offset:12
	buffer_load_dword v131, v127, s[0:3], 0 offen
	buffer_load_dword v132, v127, s[0:3], 0 offen offset:4
	s_waitcnt vmcnt(2) lgkmcnt(0)
	v_mul_f64 v[134:135], v[3:4], v[129:130]
	v_mul_f64 v[129:130], v[1:2], v[129:130]
	s_waitcnt vmcnt(0)
	v_fma_f64 v[1:2], v[1:2], v[131:132], -v[134:135]
	v_fma_f64 v[3:4], v[3:4], v[131:132], v[129:130]
.LBB124_652:
	s_and_saveexec_b32 s8, s5
	s_cbranch_execz .LBB124_662
; %bb.653:
	v_add_nc_u32_e32 v130, -14, v0
	v_add_nc_u32_e32 v129, -13, v0
	v_mov_b32_e32 v131, 13
	s_mov_b32 s5, exec_lo
	v_cmpx_lt_u32_e32 6, v130
	s_cbranch_execz .LBB124_657
; %bb.654:
	v_and_b32_e32 v130, -8, v129
	s_movk_i32 s71, 0x4a0
	s_mov_b32 s70, 0
	s_mov_b32 s72, s57
	;; [unrolled: 1-line block ×3, first 2 shown]
.LBB124_655:                            ; =>This Inner Loop Header: Depth=1
	v_mov_b32_e32 v134, s72
	v_mov_b32_e32 v180, s71
	s_add_i32 s74, s73, 8
	s_add_i32 s73, s73, 21
	v_cmp_eq_u32_e32 vcc_lo, s74, v130
	s_clause 0x1f
	buffer_load_dword v131, v134, s[0:3], 0 offen offset:8
	buffer_load_dword v132, v134, s[0:3], 0 offen offset:12
	buffer_load_dword v142, v134, s[0:3], 0 offen
	buffer_load_dword v143, v134, s[0:3], 0 offen offset:4
	buffer_load_dword v144, v134, s[0:3], 0 offen offset:24
	;; [unrolled: 1-line block ×29, first 2 shown]
	ds_read_b128 v[134:137], v180
	ds_read_b128 v[138:141], v180 offset:16
	s_addk_i32 s71, 0x80
	s_addk_i32 s72, 0x80
	s_or_b32 s70, vcc_lo, s70
	s_waitcnt vmcnt(30) lgkmcnt(1)
	v_mul_f64 v[172:173], v[136:137], v[131:132]
	v_mul_f64 v[131:132], v[134:135], v[131:132]
	s_waitcnt vmcnt(26) lgkmcnt(0)
	v_mul_f64 v[174:175], v[140:141], v[144:145]
	v_mul_f64 v[176:177], v[138:139], v[144:145]
	v_fma_f64 v[172:173], v[134:135], v[142:143], -v[172:173]
	v_fma_f64 v[131:132], v[136:137], v[142:143], v[131:132]
	ds_read_b128 v[134:137], v180 offset:32
	ds_read_b128 v[142:145], v180 offset:48
	s_waitcnt vmcnt(24)
	v_fma_f64 v[138:139], v[138:139], v[146:147], -v[174:175]
	v_fma_f64 v[140:141], v[140:141], v[146:147], v[176:177]
	s_waitcnt vmcnt(22) lgkmcnt(1)
	v_mul_f64 v[178:179], v[136:137], v[148:149]
	v_mul_f64 v[148:149], v[134:135], v[148:149]
	v_add_f64 v[1:2], v[1:2], v[172:173]
	v_add_f64 v[3:4], v[3:4], v[131:132]
	s_waitcnt vmcnt(18) lgkmcnt(0)
	v_mul_f64 v[131:132], v[144:145], v[152:153]
	v_mul_f64 v[146:147], v[142:143], v[152:153]
	v_fma_f64 v[152:153], v[134:135], v[150:151], -v[178:179]
	v_fma_f64 v[148:149], v[136:137], v[150:151], v[148:149]
	v_add_f64 v[138:139], v[1:2], v[138:139]
	v_add_f64 v[140:141], v[3:4], v[140:141]
	ds_read_b128 v[1:4], v180 offset:64
	ds_read_b128 v[134:137], v180 offset:80
	s_waitcnt vmcnt(16)
	v_fma_f64 v[131:132], v[142:143], v[154:155], -v[131:132]
	v_fma_f64 v[142:143], v[144:145], v[154:155], v[146:147]
	s_waitcnt vmcnt(12) lgkmcnt(1)
	v_mul_f64 v[150:151], v[3:4], v[156:157]
	v_mul_f64 v[156:157], v[1:2], v[156:157]
	v_add_f64 v[138:139], v[138:139], v[152:153]
	v_add_f64 v[140:141], v[140:141], v[148:149]
	s_waitcnt vmcnt(10) lgkmcnt(0)
	v_mul_f64 v[144:145], v[136:137], v[158:159]
	v_mul_f64 v[146:147], v[134:135], v[158:159]
	s_waitcnt vmcnt(8)
	v_fma_f64 v[148:149], v[1:2], v[162:163], -v[150:151]
	v_fma_f64 v[150:151], v[3:4], v[162:163], v[156:157]
	v_add_f64 v[131:132], v[138:139], v[131:132]
	v_add_f64 v[142:143], v[140:141], v[142:143]
	ds_read_b128 v[1:4], v180 offset:96
	ds_read_b128 v[138:141], v180 offset:112
	v_fma_f64 v[134:135], v[134:135], v[160:161], -v[144:145]
	v_fma_f64 v[136:137], v[136:137], v[160:161], v[146:147]
	s_waitcnt vmcnt(4) lgkmcnt(1)
	v_mul_f64 v[152:153], v[3:4], v[164:165]
	v_mul_f64 v[154:155], v[1:2], v[164:165]
	v_add_f64 v[131:132], v[131:132], v[148:149]
	v_add_f64 v[142:143], v[142:143], v[150:151]
	s_waitcnt vmcnt(2) lgkmcnt(0)
	v_mul_f64 v[144:145], v[140:141], v[166:167]
	v_mul_f64 v[146:147], v[138:139], v[166:167]
	s_waitcnt vmcnt(0)
	v_fma_f64 v[1:2], v[1:2], v[170:171], -v[152:153]
	v_fma_f64 v[3:4], v[3:4], v[170:171], v[154:155]
	v_add_f64 v[131:132], v[131:132], v[134:135]
	v_add_f64 v[134:135], v[142:143], v[136:137]
	v_fma_f64 v[136:137], v[138:139], v[168:169], -v[144:145]
	v_fma_f64 v[138:139], v[140:141], v[168:169], v[146:147]
	v_add_f64 v[1:2], v[131:132], v[1:2]
	v_add_f64 v[3:4], v[134:135], v[3:4]
	v_mov_b32_e32 v131, s73
	s_mov_b32 s73, s74
	v_add_f64 v[1:2], v[1:2], v[136:137]
	v_add_f64 v[3:4], v[3:4], v[138:139]
	s_andn2_b32 exec_lo, exec_lo, s70
	s_cbranch_execnz .LBB124_655
; %bb.656:
	s_or_b32 exec_lo, exec_lo, s70
.LBB124_657:
	s_or_b32 exec_lo, exec_lo, s5
	v_and_b32_e32 v129, 7, v129
	s_mov_b32 s70, 0
	s_mov_b32 s5, exec_lo
	v_cmpx_ne_u32_e32 0, v129
	s_cbranch_execz .LBB124_661
; %bb.658:
	v_lshlrev_b32_e32 v131, 4, v131
	v_add_nc_u32_e32 v130, 0x3d0, v131
	.p2align	6
.LBB124_659:                            ; =>This Inner Loop Header: Depth=1
	s_clause 0x3
	buffer_load_dword v138, v131, s[0:3], 0 offen offset:8
	buffer_load_dword v139, v131, s[0:3], 0 offen offset:12
	buffer_load_dword v140, v131, s[0:3], 0 offen
	buffer_load_dword v141, v131, s[0:3], 0 offen offset:4
	ds_read_b128 v[134:137], v130
	v_add_nc_u32_e32 v129, -1, v129
	v_add_nc_u32_e32 v130, 16, v130
	v_add_nc_u32_e32 v131, 16, v131
	v_cmp_eq_u32_e32 vcc_lo, 0, v129
	s_or_b32 s70, vcc_lo, s70
	s_waitcnt vmcnt(2) lgkmcnt(0)
	v_mul_f64 v[142:143], v[136:137], v[138:139]
	v_mul_f64 v[138:139], v[134:135], v[138:139]
	s_waitcnt vmcnt(0)
	v_fma_f64 v[134:135], v[134:135], v[140:141], -v[142:143]
	v_fma_f64 v[136:137], v[136:137], v[140:141], v[138:139]
	v_add_f64 v[1:2], v[1:2], v[134:135]
	v_add_f64 v[3:4], v[3:4], v[136:137]
	s_andn2_b32 exec_lo, exec_lo, s70
	s_cbranch_execnz .LBB124_659
; %bb.660:
	s_or_b32 exec_lo, exec_lo, s70
.LBB124_661:
	s_or_b32 exec_lo, exec_lo, s5
.LBB124_662:
	s_or_b32 exec_lo, exec_lo, s8
	v_mov_b32_e32 v129, 0
	ds_read_b128 v[129:132], v129 offset:192
	s_waitcnt lgkmcnt(0)
	v_mul_f64 v[134:135], v[3:4], v[131:132]
	v_mul_f64 v[131:132], v[1:2], v[131:132]
	v_fma_f64 v[1:2], v[1:2], v[129:130], -v[134:135]
	v_fma_f64 v[3:4], v[3:4], v[129:130], v[131:132]
	buffer_store_dword v2, off, s[0:3], 0 offset:196
	buffer_store_dword v1, off, s[0:3], 0 offset:192
	;; [unrolled: 1-line block ×4, first 2 shown]
.LBB124_663:
	s_or_b32 exec_lo, exec_lo, s6
	v_mov_b32_e32 v4, s59
	v_cmp_lt_u32_e64 s5, 11, v0
	s_clause 0x3
	buffer_load_dword v1, v4, s[0:3], 0 offen
	buffer_load_dword v2, v4, s[0:3], 0 offen offset:4
	buffer_load_dword v3, v4, s[0:3], 0 offen offset:8
	;; [unrolled: 1-line block ×3, first 2 shown]
	s_waitcnt vmcnt(0)
	ds_write_b128 v128, v[1:4]
	s_waitcnt lgkmcnt(0)
	s_waitcnt_vscnt null, 0x0
	s_barrier
	buffer_gl0_inv
	s_and_saveexec_b32 s6, s5
	s_cbranch_execz .LBB124_677
; %bb.664:
	ds_read_b128 v[1:4], v128
	s_andn2_b32 vcc_lo, exec_lo, s7
	s_cbranch_vccnz .LBB124_666
; %bb.665:
	s_clause 0x3
	buffer_load_dword v129, v127, s[0:3], 0 offen offset:8
	buffer_load_dword v130, v127, s[0:3], 0 offen offset:12
	buffer_load_dword v131, v127, s[0:3], 0 offen
	buffer_load_dword v132, v127, s[0:3], 0 offen offset:4
	s_waitcnt vmcnt(2) lgkmcnt(0)
	v_mul_f64 v[134:135], v[3:4], v[129:130]
	v_mul_f64 v[129:130], v[1:2], v[129:130]
	s_waitcnt vmcnt(0)
	v_fma_f64 v[1:2], v[1:2], v[131:132], -v[134:135]
	v_fma_f64 v[3:4], v[3:4], v[131:132], v[129:130]
.LBB124_666:
	s_and_saveexec_b32 s8, s4
	s_cbranch_execz .LBB124_676
; %bb.667:
	v_add_nc_u32_e32 v130, -13, v0
	v_add_nc_u32_e32 v129, -12, v0
	v_mov_b32_e32 v131, 12
	s_mov_b32 s4, exec_lo
	v_cmpx_lt_u32_e32 6, v130
	s_cbranch_execz .LBB124_671
; %bb.668:
	v_and_b32_e32 v130, -8, v129
	s_movk_i32 s71, 0x490
	s_mov_b32 s70, 0
	s_mov_b32 s72, s58
	;; [unrolled: 1-line block ×3, first 2 shown]
.LBB124_669:                            ; =>This Inner Loop Header: Depth=1
	v_mov_b32_e32 v134, s72
	v_mov_b32_e32 v180, s71
	s_add_i32 s74, s73, 8
	s_add_i32 s73, s73, 20
	v_cmp_eq_u32_e32 vcc_lo, s74, v130
	s_clause 0x1f
	buffer_load_dword v131, v134, s[0:3], 0 offen offset:8
	buffer_load_dword v132, v134, s[0:3], 0 offen offset:12
	buffer_load_dword v142, v134, s[0:3], 0 offen
	buffer_load_dword v143, v134, s[0:3], 0 offen offset:4
	buffer_load_dword v144, v134, s[0:3], 0 offen offset:24
	;; [unrolled: 1-line block ×29, first 2 shown]
	ds_read_b128 v[134:137], v180
	ds_read_b128 v[138:141], v180 offset:16
	s_addk_i32 s71, 0x80
	s_addk_i32 s72, 0x80
	s_or_b32 s70, vcc_lo, s70
	s_waitcnt vmcnt(30) lgkmcnt(1)
	v_mul_f64 v[172:173], v[136:137], v[131:132]
	v_mul_f64 v[131:132], v[134:135], v[131:132]
	s_waitcnt vmcnt(26) lgkmcnt(0)
	v_mul_f64 v[174:175], v[140:141], v[144:145]
	v_mul_f64 v[176:177], v[138:139], v[144:145]
	v_fma_f64 v[172:173], v[134:135], v[142:143], -v[172:173]
	v_fma_f64 v[131:132], v[136:137], v[142:143], v[131:132]
	ds_read_b128 v[134:137], v180 offset:32
	ds_read_b128 v[142:145], v180 offset:48
	s_waitcnt vmcnt(24)
	v_fma_f64 v[138:139], v[138:139], v[146:147], -v[174:175]
	v_fma_f64 v[140:141], v[140:141], v[146:147], v[176:177]
	s_waitcnt vmcnt(22) lgkmcnt(1)
	v_mul_f64 v[178:179], v[136:137], v[148:149]
	v_mul_f64 v[148:149], v[134:135], v[148:149]
	v_add_f64 v[1:2], v[1:2], v[172:173]
	v_add_f64 v[3:4], v[3:4], v[131:132]
	s_waitcnt vmcnt(18) lgkmcnt(0)
	v_mul_f64 v[131:132], v[144:145], v[152:153]
	v_mul_f64 v[146:147], v[142:143], v[152:153]
	v_fma_f64 v[152:153], v[134:135], v[150:151], -v[178:179]
	v_fma_f64 v[148:149], v[136:137], v[150:151], v[148:149]
	v_add_f64 v[138:139], v[1:2], v[138:139]
	v_add_f64 v[140:141], v[3:4], v[140:141]
	ds_read_b128 v[1:4], v180 offset:64
	ds_read_b128 v[134:137], v180 offset:80
	s_waitcnt vmcnt(16)
	v_fma_f64 v[131:132], v[142:143], v[154:155], -v[131:132]
	v_fma_f64 v[142:143], v[144:145], v[154:155], v[146:147]
	s_waitcnt vmcnt(12) lgkmcnt(1)
	v_mul_f64 v[150:151], v[3:4], v[156:157]
	v_mul_f64 v[156:157], v[1:2], v[156:157]
	v_add_f64 v[138:139], v[138:139], v[152:153]
	v_add_f64 v[140:141], v[140:141], v[148:149]
	s_waitcnt vmcnt(10) lgkmcnt(0)
	v_mul_f64 v[144:145], v[136:137], v[158:159]
	v_mul_f64 v[146:147], v[134:135], v[158:159]
	s_waitcnt vmcnt(8)
	v_fma_f64 v[148:149], v[1:2], v[162:163], -v[150:151]
	v_fma_f64 v[150:151], v[3:4], v[162:163], v[156:157]
	v_add_f64 v[131:132], v[138:139], v[131:132]
	v_add_f64 v[142:143], v[140:141], v[142:143]
	ds_read_b128 v[1:4], v180 offset:96
	ds_read_b128 v[138:141], v180 offset:112
	v_fma_f64 v[134:135], v[134:135], v[160:161], -v[144:145]
	v_fma_f64 v[136:137], v[136:137], v[160:161], v[146:147]
	s_waitcnt vmcnt(4) lgkmcnt(1)
	v_mul_f64 v[152:153], v[3:4], v[164:165]
	v_mul_f64 v[154:155], v[1:2], v[164:165]
	v_add_f64 v[131:132], v[131:132], v[148:149]
	v_add_f64 v[142:143], v[142:143], v[150:151]
	s_waitcnt vmcnt(2) lgkmcnt(0)
	v_mul_f64 v[144:145], v[140:141], v[166:167]
	v_mul_f64 v[146:147], v[138:139], v[166:167]
	s_waitcnt vmcnt(0)
	v_fma_f64 v[1:2], v[1:2], v[170:171], -v[152:153]
	v_fma_f64 v[3:4], v[3:4], v[170:171], v[154:155]
	v_add_f64 v[131:132], v[131:132], v[134:135]
	v_add_f64 v[134:135], v[142:143], v[136:137]
	v_fma_f64 v[136:137], v[138:139], v[168:169], -v[144:145]
	v_fma_f64 v[138:139], v[140:141], v[168:169], v[146:147]
	v_add_f64 v[1:2], v[131:132], v[1:2]
	v_add_f64 v[3:4], v[134:135], v[3:4]
	v_mov_b32_e32 v131, s73
	s_mov_b32 s73, s74
	v_add_f64 v[1:2], v[1:2], v[136:137]
	v_add_f64 v[3:4], v[3:4], v[138:139]
	s_andn2_b32 exec_lo, exec_lo, s70
	s_cbranch_execnz .LBB124_669
; %bb.670:
	s_or_b32 exec_lo, exec_lo, s70
.LBB124_671:
	s_or_b32 exec_lo, exec_lo, s4
	v_and_b32_e32 v129, 7, v129
	s_mov_b32 s70, 0
	s_mov_b32 s4, exec_lo
	v_cmpx_ne_u32_e32 0, v129
	s_cbranch_execz .LBB124_675
; %bb.672:
	v_lshlrev_b32_e32 v131, 4, v131
	v_add_nc_u32_e32 v130, 0x3d0, v131
	.p2align	6
.LBB124_673:                            ; =>This Inner Loop Header: Depth=1
	s_clause 0x3
	buffer_load_dword v138, v131, s[0:3], 0 offen offset:8
	buffer_load_dword v139, v131, s[0:3], 0 offen offset:12
	buffer_load_dword v140, v131, s[0:3], 0 offen
	buffer_load_dword v141, v131, s[0:3], 0 offen offset:4
	ds_read_b128 v[134:137], v130
	v_add_nc_u32_e32 v129, -1, v129
	v_add_nc_u32_e32 v130, 16, v130
	v_add_nc_u32_e32 v131, 16, v131
	v_cmp_eq_u32_e32 vcc_lo, 0, v129
	s_or_b32 s70, vcc_lo, s70
	s_waitcnt vmcnt(2) lgkmcnt(0)
	v_mul_f64 v[142:143], v[136:137], v[138:139]
	v_mul_f64 v[138:139], v[134:135], v[138:139]
	s_waitcnt vmcnt(0)
	v_fma_f64 v[134:135], v[134:135], v[140:141], -v[142:143]
	v_fma_f64 v[136:137], v[136:137], v[140:141], v[138:139]
	v_add_f64 v[1:2], v[1:2], v[134:135]
	v_add_f64 v[3:4], v[3:4], v[136:137]
	s_andn2_b32 exec_lo, exec_lo, s70
	s_cbranch_execnz .LBB124_673
; %bb.674:
	s_or_b32 exec_lo, exec_lo, s70
.LBB124_675:
	s_or_b32 exec_lo, exec_lo, s4
.LBB124_676:
	s_or_b32 exec_lo, exec_lo, s8
	v_mov_b32_e32 v129, 0
	ds_read_b128 v[129:132], v129 offset:176
	s_waitcnt lgkmcnt(0)
	v_mul_f64 v[134:135], v[3:4], v[131:132]
	v_mul_f64 v[131:132], v[1:2], v[131:132]
	v_fma_f64 v[1:2], v[1:2], v[129:130], -v[134:135]
	v_fma_f64 v[3:4], v[3:4], v[129:130], v[131:132]
	buffer_store_dword v2, off, s[0:3], 0 offset:180
	buffer_store_dword v1, off, s[0:3], 0 offset:176
	buffer_store_dword v4, off, s[0:3], 0 offset:188
	buffer_store_dword v3, off, s[0:3], 0 offset:184
.LBB124_677:
	s_or_b32 exec_lo, exec_lo, s6
	v_mov_b32_e32 v4, s60
	v_cmp_lt_u32_e64 s4, 10, v0
	s_clause 0x3
	buffer_load_dword v1, v4, s[0:3], 0 offen
	buffer_load_dword v2, v4, s[0:3], 0 offen offset:4
	buffer_load_dword v3, v4, s[0:3], 0 offen offset:8
	;; [unrolled: 1-line block ×3, first 2 shown]
	s_waitcnt vmcnt(0)
	ds_write_b128 v128, v[1:4]
	s_waitcnt lgkmcnt(0)
	s_waitcnt_vscnt null, 0x0
	s_barrier
	buffer_gl0_inv
	s_and_saveexec_b32 s6, s4
	s_cbranch_execz .LBB124_691
; %bb.678:
	ds_read_b128 v[1:4], v128
	s_andn2_b32 vcc_lo, exec_lo, s7
	s_cbranch_vccnz .LBB124_680
; %bb.679:
	s_clause 0x3
	buffer_load_dword v129, v127, s[0:3], 0 offen offset:8
	buffer_load_dword v130, v127, s[0:3], 0 offen offset:12
	buffer_load_dword v131, v127, s[0:3], 0 offen
	buffer_load_dword v132, v127, s[0:3], 0 offen offset:4
	s_waitcnt vmcnt(2) lgkmcnt(0)
	v_mul_f64 v[134:135], v[3:4], v[129:130]
	v_mul_f64 v[129:130], v[1:2], v[129:130]
	s_waitcnt vmcnt(0)
	v_fma_f64 v[1:2], v[1:2], v[131:132], -v[134:135]
	v_fma_f64 v[3:4], v[3:4], v[131:132], v[129:130]
.LBB124_680:
	s_and_saveexec_b32 s8, s5
	s_cbranch_execz .LBB124_690
; %bb.681:
	v_add_nc_u32_e32 v130, -12, v0
	v_add_nc_u32_e32 v129, -11, v0
	v_mov_b32_e32 v131, 11
	s_mov_b32 s5, exec_lo
	v_cmpx_lt_u32_e32 6, v130
	s_cbranch_execz .LBB124_685
; %bb.682:
	v_and_b32_e32 v130, -8, v129
	s_movk_i32 s71, 0x480
	s_mov_b32 s70, 0
	s_mov_b32 s72, s59
	;; [unrolled: 1-line block ×3, first 2 shown]
.LBB124_683:                            ; =>This Inner Loop Header: Depth=1
	v_mov_b32_e32 v134, s72
	v_mov_b32_e32 v180, s71
	s_add_i32 s74, s73, 8
	s_add_i32 s73, s73, 19
	v_cmp_eq_u32_e32 vcc_lo, s74, v130
	s_clause 0x1f
	buffer_load_dword v131, v134, s[0:3], 0 offen offset:8
	buffer_load_dword v132, v134, s[0:3], 0 offen offset:12
	buffer_load_dword v142, v134, s[0:3], 0 offen
	buffer_load_dword v143, v134, s[0:3], 0 offen offset:4
	buffer_load_dword v144, v134, s[0:3], 0 offen offset:24
	buffer_load_dword v145, v134, s[0:3], 0 offen offset:28
	buffer_load_dword v146, v134, s[0:3], 0 offen offset:16
	buffer_load_dword v147, v134, s[0:3], 0 offen offset:20
	buffer_load_dword v148, v134, s[0:3], 0 offen offset:40
	buffer_load_dword v149, v134, s[0:3], 0 offen offset:44
	buffer_load_dword v150, v134, s[0:3], 0 offen offset:32
	buffer_load_dword v151, v134, s[0:3], 0 offen offset:36
	buffer_load_dword v152, v134, s[0:3], 0 offen offset:56
	buffer_load_dword v153, v134, s[0:3], 0 offen offset:60
	buffer_load_dword v154, v134, s[0:3], 0 offen offset:48
	buffer_load_dword v155, v134, s[0:3], 0 offen offset:52
	buffer_load_dword v157, v134, s[0:3], 0 offen offset:76
	buffer_load_dword v158, v134, s[0:3], 0 offen offset:88
	buffer_load_dword v160, v134, s[0:3], 0 offen offset:80
	buffer_load_dword v156, v134, s[0:3], 0 offen offset:72
	buffer_load_dword v161, v134, s[0:3], 0 offen offset:84
	buffer_load_dword v159, v134, s[0:3], 0 offen offset:92
	buffer_load_dword v163, v134, s[0:3], 0 offen offset:68
	buffer_load_dword v162, v134, s[0:3], 0 offen offset:64
	buffer_load_dword v165, v134, s[0:3], 0 offen offset:108
	buffer_load_dword v166, v134, s[0:3], 0 offen offset:120
	buffer_load_dword v168, v134, s[0:3], 0 offen offset:112
	buffer_load_dword v164, v134, s[0:3], 0 offen offset:104
	buffer_load_dword v169, v134, s[0:3], 0 offen offset:116
	buffer_load_dword v167, v134, s[0:3], 0 offen offset:124
	buffer_load_dword v171, v134, s[0:3], 0 offen offset:100
	buffer_load_dword v170, v134, s[0:3], 0 offen offset:96
	ds_read_b128 v[134:137], v180
	ds_read_b128 v[138:141], v180 offset:16
	s_addk_i32 s71, 0x80
	s_addk_i32 s72, 0x80
	s_or_b32 s70, vcc_lo, s70
	s_waitcnt vmcnt(30) lgkmcnt(1)
	v_mul_f64 v[172:173], v[136:137], v[131:132]
	v_mul_f64 v[131:132], v[134:135], v[131:132]
	s_waitcnt vmcnt(26) lgkmcnt(0)
	v_mul_f64 v[174:175], v[140:141], v[144:145]
	v_mul_f64 v[176:177], v[138:139], v[144:145]
	v_fma_f64 v[172:173], v[134:135], v[142:143], -v[172:173]
	v_fma_f64 v[131:132], v[136:137], v[142:143], v[131:132]
	ds_read_b128 v[134:137], v180 offset:32
	ds_read_b128 v[142:145], v180 offset:48
	s_waitcnt vmcnt(24)
	v_fma_f64 v[138:139], v[138:139], v[146:147], -v[174:175]
	v_fma_f64 v[140:141], v[140:141], v[146:147], v[176:177]
	s_waitcnt vmcnt(22) lgkmcnt(1)
	v_mul_f64 v[178:179], v[136:137], v[148:149]
	v_mul_f64 v[148:149], v[134:135], v[148:149]
	v_add_f64 v[1:2], v[1:2], v[172:173]
	v_add_f64 v[3:4], v[3:4], v[131:132]
	s_waitcnt vmcnt(18) lgkmcnt(0)
	v_mul_f64 v[131:132], v[144:145], v[152:153]
	v_mul_f64 v[146:147], v[142:143], v[152:153]
	v_fma_f64 v[152:153], v[134:135], v[150:151], -v[178:179]
	v_fma_f64 v[148:149], v[136:137], v[150:151], v[148:149]
	v_add_f64 v[138:139], v[1:2], v[138:139]
	v_add_f64 v[140:141], v[3:4], v[140:141]
	ds_read_b128 v[1:4], v180 offset:64
	ds_read_b128 v[134:137], v180 offset:80
	s_waitcnt vmcnt(16)
	v_fma_f64 v[131:132], v[142:143], v[154:155], -v[131:132]
	v_fma_f64 v[142:143], v[144:145], v[154:155], v[146:147]
	s_waitcnt vmcnt(12) lgkmcnt(1)
	v_mul_f64 v[150:151], v[3:4], v[156:157]
	v_mul_f64 v[156:157], v[1:2], v[156:157]
	v_add_f64 v[138:139], v[138:139], v[152:153]
	v_add_f64 v[140:141], v[140:141], v[148:149]
	s_waitcnt vmcnt(10) lgkmcnt(0)
	v_mul_f64 v[144:145], v[136:137], v[158:159]
	v_mul_f64 v[146:147], v[134:135], v[158:159]
	s_waitcnt vmcnt(8)
	v_fma_f64 v[148:149], v[1:2], v[162:163], -v[150:151]
	v_fma_f64 v[150:151], v[3:4], v[162:163], v[156:157]
	v_add_f64 v[131:132], v[138:139], v[131:132]
	v_add_f64 v[142:143], v[140:141], v[142:143]
	ds_read_b128 v[1:4], v180 offset:96
	ds_read_b128 v[138:141], v180 offset:112
	v_fma_f64 v[134:135], v[134:135], v[160:161], -v[144:145]
	v_fma_f64 v[136:137], v[136:137], v[160:161], v[146:147]
	s_waitcnt vmcnt(4) lgkmcnt(1)
	v_mul_f64 v[152:153], v[3:4], v[164:165]
	v_mul_f64 v[154:155], v[1:2], v[164:165]
	v_add_f64 v[131:132], v[131:132], v[148:149]
	v_add_f64 v[142:143], v[142:143], v[150:151]
	s_waitcnt vmcnt(2) lgkmcnt(0)
	v_mul_f64 v[144:145], v[140:141], v[166:167]
	v_mul_f64 v[146:147], v[138:139], v[166:167]
	s_waitcnt vmcnt(0)
	v_fma_f64 v[1:2], v[1:2], v[170:171], -v[152:153]
	v_fma_f64 v[3:4], v[3:4], v[170:171], v[154:155]
	v_add_f64 v[131:132], v[131:132], v[134:135]
	v_add_f64 v[134:135], v[142:143], v[136:137]
	v_fma_f64 v[136:137], v[138:139], v[168:169], -v[144:145]
	v_fma_f64 v[138:139], v[140:141], v[168:169], v[146:147]
	v_add_f64 v[1:2], v[131:132], v[1:2]
	v_add_f64 v[3:4], v[134:135], v[3:4]
	v_mov_b32_e32 v131, s73
	s_mov_b32 s73, s74
	v_add_f64 v[1:2], v[1:2], v[136:137]
	v_add_f64 v[3:4], v[3:4], v[138:139]
	s_andn2_b32 exec_lo, exec_lo, s70
	s_cbranch_execnz .LBB124_683
; %bb.684:
	s_or_b32 exec_lo, exec_lo, s70
.LBB124_685:
	s_or_b32 exec_lo, exec_lo, s5
	v_and_b32_e32 v129, 7, v129
	s_mov_b32 s70, 0
	s_mov_b32 s5, exec_lo
	v_cmpx_ne_u32_e32 0, v129
	s_cbranch_execz .LBB124_689
; %bb.686:
	v_lshlrev_b32_e32 v131, 4, v131
	v_add_nc_u32_e32 v130, 0x3d0, v131
	.p2align	6
.LBB124_687:                            ; =>This Inner Loop Header: Depth=1
	s_clause 0x3
	buffer_load_dword v138, v131, s[0:3], 0 offen offset:8
	buffer_load_dword v139, v131, s[0:3], 0 offen offset:12
	buffer_load_dword v140, v131, s[0:3], 0 offen
	buffer_load_dword v141, v131, s[0:3], 0 offen offset:4
	ds_read_b128 v[134:137], v130
	v_add_nc_u32_e32 v129, -1, v129
	v_add_nc_u32_e32 v130, 16, v130
	v_add_nc_u32_e32 v131, 16, v131
	v_cmp_eq_u32_e32 vcc_lo, 0, v129
	s_or_b32 s70, vcc_lo, s70
	s_waitcnt vmcnt(2) lgkmcnt(0)
	v_mul_f64 v[142:143], v[136:137], v[138:139]
	v_mul_f64 v[138:139], v[134:135], v[138:139]
	s_waitcnt vmcnt(0)
	v_fma_f64 v[134:135], v[134:135], v[140:141], -v[142:143]
	v_fma_f64 v[136:137], v[136:137], v[140:141], v[138:139]
	v_add_f64 v[1:2], v[1:2], v[134:135]
	v_add_f64 v[3:4], v[3:4], v[136:137]
	s_andn2_b32 exec_lo, exec_lo, s70
	s_cbranch_execnz .LBB124_687
; %bb.688:
	s_or_b32 exec_lo, exec_lo, s70
.LBB124_689:
	s_or_b32 exec_lo, exec_lo, s5
.LBB124_690:
	s_or_b32 exec_lo, exec_lo, s8
	v_mov_b32_e32 v129, 0
	ds_read_b128 v[129:132], v129 offset:160
	s_waitcnt lgkmcnt(0)
	v_mul_f64 v[134:135], v[3:4], v[131:132]
	v_mul_f64 v[131:132], v[1:2], v[131:132]
	v_fma_f64 v[1:2], v[1:2], v[129:130], -v[134:135]
	v_fma_f64 v[3:4], v[3:4], v[129:130], v[131:132]
	buffer_store_dword v2, off, s[0:3], 0 offset:164
	buffer_store_dword v1, off, s[0:3], 0 offset:160
	;; [unrolled: 1-line block ×4, first 2 shown]
.LBB124_691:
	s_or_b32 exec_lo, exec_lo, s6
	v_mov_b32_e32 v4, s61
	v_cmp_lt_u32_e64 s5, 9, v0
	s_clause 0x3
	buffer_load_dword v1, v4, s[0:3], 0 offen
	buffer_load_dword v2, v4, s[0:3], 0 offen offset:4
	buffer_load_dword v3, v4, s[0:3], 0 offen offset:8
	;; [unrolled: 1-line block ×3, first 2 shown]
	s_waitcnt vmcnt(0)
	ds_write_b128 v128, v[1:4]
	s_waitcnt lgkmcnt(0)
	s_waitcnt_vscnt null, 0x0
	s_barrier
	buffer_gl0_inv
	s_and_saveexec_b32 s6, s5
	s_cbranch_execz .LBB124_705
; %bb.692:
	ds_read_b128 v[1:4], v128
	s_andn2_b32 vcc_lo, exec_lo, s7
	s_cbranch_vccnz .LBB124_694
; %bb.693:
	s_clause 0x3
	buffer_load_dword v129, v127, s[0:3], 0 offen offset:8
	buffer_load_dword v130, v127, s[0:3], 0 offen offset:12
	buffer_load_dword v131, v127, s[0:3], 0 offen
	buffer_load_dword v132, v127, s[0:3], 0 offen offset:4
	s_waitcnt vmcnt(2) lgkmcnt(0)
	v_mul_f64 v[134:135], v[3:4], v[129:130]
	v_mul_f64 v[129:130], v[1:2], v[129:130]
	s_waitcnt vmcnt(0)
	v_fma_f64 v[1:2], v[1:2], v[131:132], -v[134:135]
	v_fma_f64 v[3:4], v[3:4], v[131:132], v[129:130]
.LBB124_694:
	s_and_saveexec_b32 s8, s4
	s_cbranch_execz .LBB124_704
; %bb.695:
	v_add_nc_u32_e32 v130, -11, v0
	v_add_nc_u32_e32 v129, -10, v0
	v_mov_b32_e32 v131, 10
	s_mov_b32 s4, exec_lo
	v_cmpx_lt_u32_e32 6, v130
	s_cbranch_execz .LBB124_699
; %bb.696:
	v_and_b32_e32 v130, -8, v129
	s_movk_i32 s71, 0x470
	s_mov_b32 s70, 0
	s_mov_b32 s72, s60
	;; [unrolled: 1-line block ×3, first 2 shown]
.LBB124_697:                            ; =>This Inner Loop Header: Depth=1
	v_mov_b32_e32 v134, s72
	v_mov_b32_e32 v180, s71
	s_add_i32 s74, s73, 8
	s_add_i32 s73, s73, 18
	v_cmp_eq_u32_e32 vcc_lo, s74, v130
	s_clause 0x1f
	buffer_load_dword v131, v134, s[0:3], 0 offen offset:8
	buffer_load_dword v132, v134, s[0:3], 0 offen offset:12
	buffer_load_dword v142, v134, s[0:3], 0 offen
	buffer_load_dword v143, v134, s[0:3], 0 offen offset:4
	buffer_load_dword v144, v134, s[0:3], 0 offen offset:24
	;; [unrolled: 1-line block ×29, first 2 shown]
	ds_read_b128 v[134:137], v180
	ds_read_b128 v[138:141], v180 offset:16
	s_addk_i32 s71, 0x80
	s_addk_i32 s72, 0x80
	s_or_b32 s70, vcc_lo, s70
	s_waitcnt vmcnt(30) lgkmcnt(1)
	v_mul_f64 v[172:173], v[136:137], v[131:132]
	v_mul_f64 v[131:132], v[134:135], v[131:132]
	s_waitcnt vmcnt(26) lgkmcnt(0)
	v_mul_f64 v[174:175], v[140:141], v[144:145]
	v_mul_f64 v[176:177], v[138:139], v[144:145]
	v_fma_f64 v[172:173], v[134:135], v[142:143], -v[172:173]
	v_fma_f64 v[131:132], v[136:137], v[142:143], v[131:132]
	ds_read_b128 v[134:137], v180 offset:32
	ds_read_b128 v[142:145], v180 offset:48
	s_waitcnt vmcnt(24)
	v_fma_f64 v[138:139], v[138:139], v[146:147], -v[174:175]
	v_fma_f64 v[140:141], v[140:141], v[146:147], v[176:177]
	s_waitcnt vmcnt(22) lgkmcnt(1)
	v_mul_f64 v[178:179], v[136:137], v[148:149]
	v_mul_f64 v[148:149], v[134:135], v[148:149]
	v_add_f64 v[1:2], v[1:2], v[172:173]
	v_add_f64 v[3:4], v[3:4], v[131:132]
	s_waitcnt vmcnt(18) lgkmcnt(0)
	v_mul_f64 v[131:132], v[144:145], v[152:153]
	v_mul_f64 v[146:147], v[142:143], v[152:153]
	v_fma_f64 v[152:153], v[134:135], v[150:151], -v[178:179]
	v_fma_f64 v[148:149], v[136:137], v[150:151], v[148:149]
	v_add_f64 v[138:139], v[1:2], v[138:139]
	v_add_f64 v[140:141], v[3:4], v[140:141]
	ds_read_b128 v[1:4], v180 offset:64
	ds_read_b128 v[134:137], v180 offset:80
	s_waitcnt vmcnt(16)
	v_fma_f64 v[131:132], v[142:143], v[154:155], -v[131:132]
	v_fma_f64 v[142:143], v[144:145], v[154:155], v[146:147]
	s_waitcnt vmcnt(12) lgkmcnt(1)
	v_mul_f64 v[150:151], v[3:4], v[156:157]
	v_mul_f64 v[156:157], v[1:2], v[156:157]
	v_add_f64 v[138:139], v[138:139], v[152:153]
	v_add_f64 v[140:141], v[140:141], v[148:149]
	s_waitcnt vmcnt(10) lgkmcnt(0)
	v_mul_f64 v[144:145], v[136:137], v[158:159]
	v_mul_f64 v[146:147], v[134:135], v[158:159]
	s_waitcnt vmcnt(8)
	v_fma_f64 v[148:149], v[1:2], v[162:163], -v[150:151]
	v_fma_f64 v[150:151], v[3:4], v[162:163], v[156:157]
	v_add_f64 v[131:132], v[138:139], v[131:132]
	v_add_f64 v[142:143], v[140:141], v[142:143]
	ds_read_b128 v[1:4], v180 offset:96
	ds_read_b128 v[138:141], v180 offset:112
	v_fma_f64 v[134:135], v[134:135], v[160:161], -v[144:145]
	v_fma_f64 v[136:137], v[136:137], v[160:161], v[146:147]
	s_waitcnt vmcnt(4) lgkmcnt(1)
	v_mul_f64 v[152:153], v[3:4], v[164:165]
	v_mul_f64 v[154:155], v[1:2], v[164:165]
	v_add_f64 v[131:132], v[131:132], v[148:149]
	v_add_f64 v[142:143], v[142:143], v[150:151]
	s_waitcnt vmcnt(2) lgkmcnt(0)
	v_mul_f64 v[144:145], v[140:141], v[166:167]
	v_mul_f64 v[146:147], v[138:139], v[166:167]
	s_waitcnt vmcnt(0)
	v_fma_f64 v[1:2], v[1:2], v[170:171], -v[152:153]
	v_fma_f64 v[3:4], v[3:4], v[170:171], v[154:155]
	v_add_f64 v[131:132], v[131:132], v[134:135]
	v_add_f64 v[134:135], v[142:143], v[136:137]
	v_fma_f64 v[136:137], v[138:139], v[168:169], -v[144:145]
	v_fma_f64 v[138:139], v[140:141], v[168:169], v[146:147]
	v_add_f64 v[1:2], v[131:132], v[1:2]
	v_add_f64 v[3:4], v[134:135], v[3:4]
	v_mov_b32_e32 v131, s73
	s_mov_b32 s73, s74
	v_add_f64 v[1:2], v[1:2], v[136:137]
	v_add_f64 v[3:4], v[3:4], v[138:139]
	s_andn2_b32 exec_lo, exec_lo, s70
	s_cbranch_execnz .LBB124_697
; %bb.698:
	s_or_b32 exec_lo, exec_lo, s70
.LBB124_699:
	s_or_b32 exec_lo, exec_lo, s4
	v_and_b32_e32 v129, 7, v129
	s_mov_b32 s70, 0
	s_mov_b32 s4, exec_lo
	v_cmpx_ne_u32_e32 0, v129
	s_cbranch_execz .LBB124_703
; %bb.700:
	v_lshlrev_b32_e32 v131, 4, v131
	v_add_nc_u32_e32 v130, 0x3d0, v131
	.p2align	6
.LBB124_701:                            ; =>This Inner Loop Header: Depth=1
	s_clause 0x3
	buffer_load_dword v138, v131, s[0:3], 0 offen offset:8
	buffer_load_dword v139, v131, s[0:3], 0 offen offset:12
	buffer_load_dword v140, v131, s[0:3], 0 offen
	buffer_load_dword v141, v131, s[0:3], 0 offen offset:4
	ds_read_b128 v[134:137], v130
	v_add_nc_u32_e32 v129, -1, v129
	v_add_nc_u32_e32 v130, 16, v130
	v_add_nc_u32_e32 v131, 16, v131
	v_cmp_eq_u32_e32 vcc_lo, 0, v129
	s_or_b32 s70, vcc_lo, s70
	s_waitcnt vmcnt(2) lgkmcnt(0)
	v_mul_f64 v[142:143], v[136:137], v[138:139]
	v_mul_f64 v[138:139], v[134:135], v[138:139]
	s_waitcnt vmcnt(0)
	v_fma_f64 v[134:135], v[134:135], v[140:141], -v[142:143]
	v_fma_f64 v[136:137], v[136:137], v[140:141], v[138:139]
	v_add_f64 v[1:2], v[1:2], v[134:135]
	v_add_f64 v[3:4], v[3:4], v[136:137]
	s_andn2_b32 exec_lo, exec_lo, s70
	s_cbranch_execnz .LBB124_701
; %bb.702:
	s_or_b32 exec_lo, exec_lo, s70
.LBB124_703:
	s_or_b32 exec_lo, exec_lo, s4
.LBB124_704:
	s_or_b32 exec_lo, exec_lo, s8
	v_mov_b32_e32 v129, 0
	ds_read_b128 v[129:132], v129 offset:144
	s_waitcnt lgkmcnt(0)
	v_mul_f64 v[134:135], v[3:4], v[131:132]
	v_mul_f64 v[131:132], v[1:2], v[131:132]
	v_fma_f64 v[1:2], v[1:2], v[129:130], -v[134:135]
	v_fma_f64 v[3:4], v[3:4], v[129:130], v[131:132]
	buffer_store_dword v2, off, s[0:3], 0 offset:148
	buffer_store_dword v1, off, s[0:3], 0 offset:144
	;; [unrolled: 1-line block ×4, first 2 shown]
.LBB124_705:
	s_or_b32 exec_lo, exec_lo, s6
	v_mov_b32_e32 v4, s62
	v_cmp_lt_u32_e64 s4, 8, v0
	s_clause 0x3
	buffer_load_dword v1, v4, s[0:3], 0 offen
	buffer_load_dword v2, v4, s[0:3], 0 offen offset:4
	buffer_load_dword v3, v4, s[0:3], 0 offen offset:8
	;; [unrolled: 1-line block ×3, first 2 shown]
	s_waitcnt vmcnt(0)
	ds_write_b128 v128, v[1:4]
	s_waitcnt lgkmcnt(0)
	s_waitcnt_vscnt null, 0x0
	s_barrier
	buffer_gl0_inv
	s_and_saveexec_b32 s6, s4
	s_cbranch_execz .LBB124_719
; %bb.706:
	ds_read_b128 v[1:4], v128
	s_andn2_b32 vcc_lo, exec_lo, s7
	s_cbranch_vccnz .LBB124_708
; %bb.707:
	s_clause 0x3
	buffer_load_dword v129, v127, s[0:3], 0 offen offset:8
	buffer_load_dword v130, v127, s[0:3], 0 offen offset:12
	buffer_load_dword v131, v127, s[0:3], 0 offen
	buffer_load_dword v132, v127, s[0:3], 0 offen offset:4
	s_waitcnt vmcnt(2) lgkmcnt(0)
	v_mul_f64 v[134:135], v[3:4], v[129:130]
	v_mul_f64 v[129:130], v[1:2], v[129:130]
	s_waitcnt vmcnt(0)
	v_fma_f64 v[1:2], v[1:2], v[131:132], -v[134:135]
	v_fma_f64 v[3:4], v[3:4], v[131:132], v[129:130]
.LBB124_708:
	s_and_saveexec_b32 s8, s5
	s_cbranch_execz .LBB124_718
; %bb.709:
	v_add_nc_u32_e32 v130, -10, v0
	v_add_nc_u32_e32 v129, -9, v0
	v_mov_b32_e32 v131, 9
	s_mov_b32 s5, exec_lo
	v_cmpx_lt_u32_e32 6, v130
	s_cbranch_execz .LBB124_713
; %bb.710:
	v_and_b32_e32 v130, -8, v129
	s_movk_i32 s71, 0x460
	s_mov_b32 s70, 0
	s_mov_b32 s72, s61
	;; [unrolled: 1-line block ×3, first 2 shown]
.LBB124_711:                            ; =>This Inner Loop Header: Depth=1
	v_mov_b32_e32 v134, s72
	v_mov_b32_e32 v180, s71
	s_add_i32 s74, s73, 8
	s_add_i32 s73, s73, 17
	v_cmp_eq_u32_e32 vcc_lo, s74, v130
	s_clause 0x1f
	buffer_load_dword v131, v134, s[0:3], 0 offen offset:8
	buffer_load_dword v132, v134, s[0:3], 0 offen offset:12
	buffer_load_dword v142, v134, s[0:3], 0 offen
	buffer_load_dword v143, v134, s[0:3], 0 offen offset:4
	buffer_load_dword v144, v134, s[0:3], 0 offen offset:24
	;; [unrolled: 1-line block ×29, first 2 shown]
	ds_read_b128 v[134:137], v180
	ds_read_b128 v[138:141], v180 offset:16
	s_addk_i32 s71, 0x80
	s_addk_i32 s72, 0x80
	s_or_b32 s70, vcc_lo, s70
	s_waitcnt vmcnt(30) lgkmcnt(1)
	v_mul_f64 v[172:173], v[136:137], v[131:132]
	v_mul_f64 v[131:132], v[134:135], v[131:132]
	s_waitcnt vmcnt(26) lgkmcnt(0)
	v_mul_f64 v[174:175], v[140:141], v[144:145]
	v_mul_f64 v[176:177], v[138:139], v[144:145]
	v_fma_f64 v[172:173], v[134:135], v[142:143], -v[172:173]
	v_fma_f64 v[131:132], v[136:137], v[142:143], v[131:132]
	ds_read_b128 v[134:137], v180 offset:32
	ds_read_b128 v[142:145], v180 offset:48
	s_waitcnt vmcnt(24)
	v_fma_f64 v[138:139], v[138:139], v[146:147], -v[174:175]
	v_fma_f64 v[140:141], v[140:141], v[146:147], v[176:177]
	s_waitcnt vmcnt(22) lgkmcnt(1)
	v_mul_f64 v[178:179], v[136:137], v[148:149]
	v_mul_f64 v[148:149], v[134:135], v[148:149]
	v_add_f64 v[1:2], v[1:2], v[172:173]
	v_add_f64 v[3:4], v[3:4], v[131:132]
	s_waitcnt vmcnt(18) lgkmcnt(0)
	v_mul_f64 v[131:132], v[144:145], v[152:153]
	v_mul_f64 v[146:147], v[142:143], v[152:153]
	v_fma_f64 v[152:153], v[134:135], v[150:151], -v[178:179]
	v_fma_f64 v[148:149], v[136:137], v[150:151], v[148:149]
	v_add_f64 v[138:139], v[1:2], v[138:139]
	v_add_f64 v[140:141], v[3:4], v[140:141]
	ds_read_b128 v[1:4], v180 offset:64
	ds_read_b128 v[134:137], v180 offset:80
	s_waitcnt vmcnt(16)
	v_fma_f64 v[131:132], v[142:143], v[154:155], -v[131:132]
	v_fma_f64 v[142:143], v[144:145], v[154:155], v[146:147]
	s_waitcnt vmcnt(12) lgkmcnt(1)
	v_mul_f64 v[150:151], v[3:4], v[156:157]
	v_mul_f64 v[156:157], v[1:2], v[156:157]
	v_add_f64 v[138:139], v[138:139], v[152:153]
	v_add_f64 v[140:141], v[140:141], v[148:149]
	s_waitcnt vmcnt(10) lgkmcnt(0)
	v_mul_f64 v[144:145], v[136:137], v[158:159]
	v_mul_f64 v[146:147], v[134:135], v[158:159]
	s_waitcnt vmcnt(8)
	v_fma_f64 v[148:149], v[1:2], v[162:163], -v[150:151]
	v_fma_f64 v[150:151], v[3:4], v[162:163], v[156:157]
	v_add_f64 v[131:132], v[138:139], v[131:132]
	v_add_f64 v[142:143], v[140:141], v[142:143]
	ds_read_b128 v[1:4], v180 offset:96
	ds_read_b128 v[138:141], v180 offset:112
	v_fma_f64 v[134:135], v[134:135], v[160:161], -v[144:145]
	v_fma_f64 v[136:137], v[136:137], v[160:161], v[146:147]
	s_waitcnt vmcnt(4) lgkmcnt(1)
	v_mul_f64 v[152:153], v[3:4], v[164:165]
	v_mul_f64 v[154:155], v[1:2], v[164:165]
	v_add_f64 v[131:132], v[131:132], v[148:149]
	v_add_f64 v[142:143], v[142:143], v[150:151]
	s_waitcnt vmcnt(2) lgkmcnt(0)
	v_mul_f64 v[144:145], v[140:141], v[166:167]
	v_mul_f64 v[146:147], v[138:139], v[166:167]
	s_waitcnt vmcnt(0)
	v_fma_f64 v[1:2], v[1:2], v[170:171], -v[152:153]
	v_fma_f64 v[3:4], v[3:4], v[170:171], v[154:155]
	v_add_f64 v[131:132], v[131:132], v[134:135]
	v_add_f64 v[134:135], v[142:143], v[136:137]
	v_fma_f64 v[136:137], v[138:139], v[168:169], -v[144:145]
	v_fma_f64 v[138:139], v[140:141], v[168:169], v[146:147]
	v_add_f64 v[1:2], v[131:132], v[1:2]
	v_add_f64 v[3:4], v[134:135], v[3:4]
	v_mov_b32_e32 v131, s73
	s_mov_b32 s73, s74
	v_add_f64 v[1:2], v[1:2], v[136:137]
	v_add_f64 v[3:4], v[3:4], v[138:139]
	s_andn2_b32 exec_lo, exec_lo, s70
	s_cbranch_execnz .LBB124_711
; %bb.712:
	s_or_b32 exec_lo, exec_lo, s70
.LBB124_713:
	s_or_b32 exec_lo, exec_lo, s5
	v_and_b32_e32 v129, 7, v129
	s_mov_b32 s70, 0
	s_mov_b32 s5, exec_lo
	v_cmpx_ne_u32_e32 0, v129
	s_cbranch_execz .LBB124_717
; %bb.714:
	v_lshlrev_b32_e32 v131, 4, v131
	v_add_nc_u32_e32 v130, 0x3d0, v131
	.p2align	6
.LBB124_715:                            ; =>This Inner Loop Header: Depth=1
	s_clause 0x3
	buffer_load_dword v138, v131, s[0:3], 0 offen offset:8
	buffer_load_dword v139, v131, s[0:3], 0 offen offset:12
	buffer_load_dword v140, v131, s[0:3], 0 offen
	buffer_load_dword v141, v131, s[0:3], 0 offen offset:4
	ds_read_b128 v[134:137], v130
	v_add_nc_u32_e32 v129, -1, v129
	v_add_nc_u32_e32 v130, 16, v130
	v_add_nc_u32_e32 v131, 16, v131
	v_cmp_eq_u32_e32 vcc_lo, 0, v129
	s_or_b32 s70, vcc_lo, s70
	s_waitcnt vmcnt(2) lgkmcnt(0)
	v_mul_f64 v[142:143], v[136:137], v[138:139]
	v_mul_f64 v[138:139], v[134:135], v[138:139]
	s_waitcnt vmcnt(0)
	v_fma_f64 v[134:135], v[134:135], v[140:141], -v[142:143]
	v_fma_f64 v[136:137], v[136:137], v[140:141], v[138:139]
	v_add_f64 v[1:2], v[1:2], v[134:135]
	v_add_f64 v[3:4], v[3:4], v[136:137]
	s_andn2_b32 exec_lo, exec_lo, s70
	s_cbranch_execnz .LBB124_715
; %bb.716:
	s_or_b32 exec_lo, exec_lo, s70
.LBB124_717:
	s_or_b32 exec_lo, exec_lo, s5
.LBB124_718:
	s_or_b32 exec_lo, exec_lo, s8
	v_mov_b32_e32 v129, 0
	ds_read_b128 v[129:132], v129 offset:128
	s_waitcnt lgkmcnt(0)
	v_mul_f64 v[134:135], v[3:4], v[131:132]
	v_mul_f64 v[131:132], v[1:2], v[131:132]
	v_fma_f64 v[1:2], v[1:2], v[129:130], -v[134:135]
	v_fma_f64 v[3:4], v[3:4], v[129:130], v[131:132]
	buffer_store_dword v2, off, s[0:3], 0 offset:132
	buffer_store_dword v1, off, s[0:3], 0 offset:128
	;; [unrolled: 1-line block ×4, first 2 shown]
.LBB124_719:
	s_or_b32 exec_lo, exec_lo, s6
	v_mov_b32_e32 v4, s63
	v_cmp_lt_u32_e64 s5, 7, v0
	s_clause 0x3
	buffer_load_dword v1, v4, s[0:3], 0 offen
	buffer_load_dword v2, v4, s[0:3], 0 offen offset:4
	buffer_load_dword v3, v4, s[0:3], 0 offen offset:8
	;; [unrolled: 1-line block ×3, first 2 shown]
	s_waitcnt vmcnt(0)
	ds_write_b128 v128, v[1:4]
	s_waitcnt lgkmcnt(0)
	s_waitcnt_vscnt null, 0x0
	s_barrier
	buffer_gl0_inv
	s_and_saveexec_b32 s6, s5
	s_cbranch_execz .LBB124_733
; %bb.720:
	ds_read_b128 v[1:4], v128
	s_andn2_b32 vcc_lo, exec_lo, s7
	s_cbranch_vccnz .LBB124_722
; %bb.721:
	s_clause 0x3
	buffer_load_dword v129, v127, s[0:3], 0 offen offset:8
	buffer_load_dword v130, v127, s[0:3], 0 offen offset:12
	buffer_load_dword v131, v127, s[0:3], 0 offen
	buffer_load_dword v132, v127, s[0:3], 0 offen offset:4
	s_waitcnt vmcnt(2) lgkmcnt(0)
	v_mul_f64 v[134:135], v[3:4], v[129:130]
	v_mul_f64 v[129:130], v[1:2], v[129:130]
	s_waitcnt vmcnt(0)
	v_fma_f64 v[1:2], v[1:2], v[131:132], -v[134:135]
	v_fma_f64 v[3:4], v[3:4], v[131:132], v[129:130]
.LBB124_722:
	s_and_saveexec_b32 s8, s4
	s_cbranch_execz .LBB124_732
; %bb.723:
	v_add_nc_u32_e32 v129, -9, v0
	v_cmp_lt_u32_e32 vcc_lo, 6, v129
	v_mov_b32_e32 v129, 8
	s_and_saveexec_b32 s4, vcc_lo
	s_cbranch_execz .LBB124_727
; %bb.724:
	v_and_b32_e32 v129, 56, v0
	s_mov_b32 s70, 8
	s_movk_i32 s72, 0x450
	s_mov_b32 s71, 0
	s_mov_b32 s73, s62
.LBB124_725:                            ; =>This Inner Loop Header: Depth=1
	v_mov_b32_e32 v132, s73
	s_add_i32 s70, s70, 8
	s_addk_i32 s73, 0x80
	v_cmp_eq_u32_e32 vcc_lo, s70, v129
	s_clause 0x1f
	buffer_load_dword v130, v132, s[0:3], 0 offen offset:8
	buffer_load_dword v131, v132, s[0:3], 0 offen offset:12
	buffer_load_dword v142, v132, s[0:3], 0 offen
	buffer_load_dword v143, v132, s[0:3], 0 offen offset:4
	buffer_load_dword v144, v132, s[0:3], 0 offen offset:24
	;; [unrolled: 1-line block ×29, first 2 shown]
	v_mov_b32_e32 v132, s72
	s_addk_i32 s72, 0x80
	s_or_b32 s71, vcc_lo, s71
	ds_read_b128 v[134:137], v132
	ds_read_b128 v[138:141], v132 offset:16
	s_waitcnt vmcnt(30) lgkmcnt(1)
	v_mul_f64 v[172:173], v[136:137], v[130:131]
	v_mul_f64 v[130:131], v[134:135], v[130:131]
	s_waitcnt vmcnt(26) lgkmcnt(0)
	v_mul_f64 v[174:175], v[140:141], v[144:145]
	v_mul_f64 v[176:177], v[138:139], v[144:145]
	v_fma_f64 v[172:173], v[134:135], v[142:143], -v[172:173]
	v_fma_f64 v[130:131], v[136:137], v[142:143], v[130:131]
	ds_read_b128 v[134:137], v132 offset:32
	ds_read_b128 v[142:145], v132 offset:48
	s_waitcnt vmcnt(24)
	v_fma_f64 v[138:139], v[138:139], v[146:147], -v[174:175]
	v_fma_f64 v[140:141], v[140:141], v[146:147], v[176:177]
	s_waitcnt vmcnt(22) lgkmcnt(1)
	v_mul_f64 v[178:179], v[136:137], v[148:149]
	v_mul_f64 v[148:149], v[134:135], v[148:149]
	v_add_f64 v[1:2], v[1:2], v[172:173]
	v_add_f64 v[3:4], v[3:4], v[130:131]
	s_waitcnt vmcnt(18) lgkmcnt(0)
	v_mul_f64 v[130:131], v[144:145], v[152:153]
	v_mul_f64 v[146:147], v[142:143], v[152:153]
	v_fma_f64 v[152:153], v[134:135], v[150:151], -v[178:179]
	v_fma_f64 v[148:149], v[136:137], v[150:151], v[148:149]
	v_add_f64 v[138:139], v[1:2], v[138:139]
	v_add_f64 v[140:141], v[3:4], v[140:141]
	ds_read_b128 v[1:4], v132 offset:64
	ds_read_b128 v[134:137], v132 offset:80
	s_waitcnt vmcnt(16)
	v_fma_f64 v[130:131], v[142:143], v[154:155], -v[130:131]
	v_fma_f64 v[142:143], v[144:145], v[154:155], v[146:147]
	s_waitcnt vmcnt(12) lgkmcnt(1)
	v_mul_f64 v[150:151], v[3:4], v[156:157]
	v_mul_f64 v[156:157], v[1:2], v[156:157]
	v_add_f64 v[138:139], v[138:139], v[152:153]
	v_add_f64 v[140:141], v[140:141], v[148:149]
	s_waitcnt vmcnt(10) lgkmcnt(0)
	v_mul_f64 v[144:145], v[136:137], v[158:159]
	v_mul_f64 v[146:147], v[134:135], v[158:159]
	s_waitcnt vmcnt(8)
	v_fma_f64 v[148:149], v[1:2], v[162:163], -v[150:151]
	v_fma_f64 v[150:151], v[3:4], v[162:163], v[156:157]
	v_add_f64 v[130:131], v[138:139], v[130:131]
	v_add_f64 v[142:143], v[140:141], v[142:143]
	ds_read_b128 v[1:4], v132 offset:96
	ds_read_b128 v[138:141], v132 offset:112
	v_fma_f64 v[134:135], v[134:135], v[160:161], -v[144:145]
	v_fma_f64 v[136:137], v[136:137], v[160:161], v[146:147]
	s_waitcnt vmcnt(4) lgkmcnt(1)
	v_mul_f64 v[152:153], v[3:4], v[164:165]
	v_mul_f64 v[154:155], v[1:2], v[164:165]
	v_add_f64 v[130:131], v[130:131], v[148:149]
	v_add_f64 v[142:143], v[142:143], v[150:151]
	s_waitcnt vmcnt(2) lgkmcnt(0)
	v_mul_f64 v[144:145], v[140:141], v[166:167]
	v_mul_f64 v[146:147], v[138:139], v[166:167]
	s_waitcnt vmcnt(0)
	v_fma_f64 v[1:2], v[1:2], v[170:171], -v[152:153]
	v_fma_f64 v[3:4], v[3:4], v[170:171], v[154:155]
	v_add_f64 v[130:131], v[130:131], v[134:135]
	v_add_f64 v[134:135], v[142:143], v[136:137]
	v_fma_f64 v[136:137], v[138:139], v[168:169], -v[144:145]
	v_fma_f64 v[138:139], v[140:141], v[168:169], v[146:147]
	v_add_f64 v[1:2], v[130:131], v[1:2]
	v_add_f64 v[3:4], v[134:135], v[3:4]
	;; [unrolled: 1-line block ×4, first 2 shown]
	s_andn2_b32 exec_lo, exec_lo, s71
	s_cbranch_execnz .LBB124_725
; %bb.726:
	s_or_b32 exec_lo, exec_lo, s71
.LBB124_727:
	s_or_b32 exec_lo, exec_lo, s4
	v_and_b32_e32 v130, 7, v0
	s_mov_b32 s70, 0
	s_mov_b32 s4, exec_lo
	v_cmpx_ne_u32_e32 0, v130
	s_cbranch_execz .LBB124_731
; %bb.728:
	v_lshlrev_b32_e32 v131, 4, v129
	v_add_nc_u32_e32 v129, 0x3d0, v131
	.p2align	6
.LBB124_729:                            ; =>This Inner Loop Header: Depth=1
	s_clause 0x3
	buffer_load_dword v138, v131, s[0:3], 0 offen offset:8
	buffer_load_dword v139, v131, s[0:3], 0 offen offset:12
	buffer_load_dword v140, v131, s[0:3], 0 offen
	buffer_load_dword v141, v131, s[0:3], 0 offen offset:4
	ds_read_b128 v[134:137], v129
	v_add_nc_u32_e32 v130, -1, v130
	v_add_nc_u32_e32 v129, 16, v129
	v_add_nc_u32_e32 v131, 16, v131
	v_cmp_eq_u32_e32 vcc_lo, 0, v130
	s_or_b32 s70, vcc_lo, s70
	s_waitcnt vmcnt(2) lgkmcnt(0)
	v_mul_f64 v[142:143], v[136:137], v[138:139]
	v_mul_f64 v[138:139], v[134:135], v[138:139]
	s_waitcnt vmcnt(0)
	v_fma_f64 v[134:135], v[134:135], v[140:141], -v[142:143]
	v_fma_f64 v[136:137], v[136:137], v[140:141], v[138:139]
	v_add_f64 v[1:2], v[1:2], v[134:135]
	v_add_f64 v[3:4], v[3:4], v[136:137]
	s_andn2_b32 exec_lo, exec_lo, s70
	s_cbranch_execnz .LBB124_729
; %bb.730:
	s_or_b32 exec_lo, exec_lo, s70
.LBB124_731:
	s_or_b32 exec_lo, exec_lo, s4
.LBB124_732:
	s_or_b32 exec_lo, exec_lo, s8
	v_mov_b32_e32 v129, 0
	ds_read_b128 v[129:132], v129 offset:112
	s_waitcnt lgkmcnt(0)
	v_mul_f64 v[134:135], v[3:4], v[131:132]
	v_mul_f64 v[131:132], v[1:2], v[131:132]
	v_fma_f64 v[1:2], v[1:2], v[129:130], -v[134:135]
	v_fma_f64 v[3:4], v[3:4], v[129:130], v[131:132]
	buffer_store_dword v2, off, s[0:3], 0 offset:116
	buffer_store_dword v1, off, s[0:3], 0 offset:112
	;; [unrolled: 1-line block ×4, first 2 shown]
.LBB124_733:
	s_or_b32 exec_lo, exec_lo, s6
	v_mov_b32_e32 v4, s64
	v_cmp_lt_u32_e64 s4, 6, v0
	s_clause 0x3
	buffer_load_dword v1, v4, s[0:3], 0 offen
	buffer_load_dword v2, v4, s[0:3], 0 offen offset:4
	buffer_load_dword v3, v4, s[0:3], 0 offen offset:8
	;; [unrolled: 1-line block ×3, first 2 shown]
	s_waitcnt vmcnt(0)
	ds_write_b128 v128, v[1:4]
	s_waitcnt lgkmcnt(0)
	s_waitcnt_vscnt null, 0x0
	s_barrier
	buffer_gl0_inv
	s_and_saveexec_b32 s6, s4
	s_cbranch_execz .LBB124_747
; %bb.734:
	ds_read_b128 v[1:4], v128
	s_andn2_b32 vcc_lo, exec_lo, s7
	s_cbranch_vccnz .LBB124_736
; %bb.735:
	s_clause 0x3
	buffer_load_dword v129, v127, s[0:3], 0 offen offset:8
	buffer_load_dword v130, v127, s[0:3], 0 offen offset:12
	buffer_load_dword v131, v127, s[0:3], 0 offen
	buffer_load_dword v132, v127, s[0:3], 0 offen offset:4
	s_waitcnt vmcnt(2) lgkmcnt(0)
	v_mul_f64 v[134:135], v[3:4], v[129:130]
	v_mul_f64 v[129:130], v[1:2], v[129:130]
	s_waitcnt vmcnt(0)
	v_fma_f64 v[1:2], v[1:2], v[131:132], -v[134:135]
	v_fma_f64 v[3:4], v[3:4], v[131:132], v[129:130]
.LBB124_736:
	s_and_saveexec_b32 s8, s5
	s_cbranch_execz .LBB124_746
; %bb.737:
	v_add_nc_u32_e32 v130, -8, v0
	v_add_nc_u32_e32 v129, -7, v0
	v_mov_b32_e32 v131, 7
	s_mov_b32 s5, exec_lo
	v_cmpx_lt_u32_e32 6, v130
	s_cbranch_execz .LBB124_741
; %bb.738:
	v_and_b32_e32 v130, -8, v129
	s_movk_i32 s71, 0x440
	s_mov_b32 s70, 0
	s_mov_b32 s72, s63
	;; [unrolled: 1-line block ×3, first 2 shown]
.LBB124_739:                            ; =>This Inner Loop Header: Depth=1
	v_mov_b32_e32 v134, s72
	v_mov_b32_e32 v180, s71
	s_add_i32 s74, s73, 8
	s_add_i32 s73, s73, 15
	v_cmp_eq_u32_e32 vcc_lo, s74, v130
	s_clause 0x1f
	buffer_load_dword v131, v134, s[0:3], 0 offen offset:8
	buffer_load_dword v132, v134, s[0:3], 0 offen offset:12
	buffer_load_dword v142, v134, s[0:3], 0 offen
	buffer_load_dword v143, v134, s[0:3], 0 offen offset:4
	buffer_load_dword v144, v134, s[0:3], 0 offen offset:24
	;; [unrolled: 1-line block ×29, first 2 shown]
	ds_read_b128 v[134:137], v180
	ds_read_b128 v[138:141], v180 offset:16
	s_addk_i32 s71, 0x80
	s_addk_i32 s72, 0x80
	s_or_b32 s70, vcc_lo, s70
	s_waitcnt vmcnt(30) lgkmcnt(1)
	v_mul_f64 v[172:173], v[136:137], v[131:132]
	v_mul_f64 v[131:132], v[134:135], v[131:132]
	s_waitcnt vmcnt(26) lgkmcnt(0)
	v_mul_f64 v[174:175], v[140:141], v[144:145]
	v_mul_f64 v[176:177], v[138:139], v[144:145]
	v_fma_f64 v[172:173], v[134:135], v[142:143], -v[172:173]
	v_fma_f64 v[131:132], v[136:137], v[142:143], v[131:132]
	ds_read_b128 v[134:137], v180 offset:32
	ds_read_b128 v[142:145], v180 offset:48
	s_waitcnt vmcnt(24)
	v_fma_f64 v[138:139], v[138:139], v[146:147], -v[174:175]
	v_fma_f64 v[140:141], v[140:141], v[146:147], v[176:177]
	s_waitcnt vmcnt(22) lgkmcnt(1)
	v_mul_f64 v[178:179], v[136:137], v[148:149]
	v_mul_f64 v[148:149], v[134:135], v[148:149]
	v_add_f64 v[1:2], v[1:2], v[172:173]
	v_add_f64 v[3:4], v[3:4], v[131:132]
	s_waitcnt vmcnt(18) lgkmcnt(0)
	v_mul_f64 v[131:132], v[144:145], v[152:153]
	v_mul_f64 v[146:147], v[142:143], v[152:153]
	v_fma_f64 v[152:153], v[134:135], v[150:151], -v[178:179]
	v_fma_f64 v[148:149], v[136:137], v[150:151], v[148:149]
	v_add_f64 v[138:139], v[1:2], v[138:139]
	v_add_f64 v[140:141], v[3:4], v[140:141]
	ds_read_b128 v[1:4], v180 offset:64
	ds_read_b128 v[134:137], v180 offset:80
	s_waitcnt vmcnt(16)
	v_fma_f64 v[131:132], v[142:143], v[154:155], -v[131:132]
	v_fma_f64 v[142:143], v[144:145], v[154:155], v[146:147]
	s_waitcnt vmcnt(12) lgkmcnt(1)
	v_mul_f64 v[150:151], v[3:4], v[156:157]
	v_mul_f64 v[156:157], v[1:2], v[156:157]
	v_add_f64 v[138:139], v[138:139], v[152:153]
	v_add_f64 v[140:141], v[140:141], v[148:149]
	s_waitcnt vmcnt(10) lgkmcnt(0)
	v_mul_f64 v[144:145], v[136:137], v[158:159]
	v_mul_f64 v[146:147], v[134:135], v[158:159]
	s_waitcnt vmcnt(8)
	v_fma_f64 v[148:149], v[1:2], v[162:163], -v[150:151]
	v_fma_f64 v[150:151], v[3:4], v[162:163], v[156:157]
	v_add_f64 v[131:132], v[138:139], v[131:132]
	v_add_f64 v[142:143], v[140:141], v[142:143]
	ds_read_b128 v[1:4], v180 offset:96
	ds_read_b128 v[138:141], v180 offset:112
	v_fma_f64 v[134:135], v[134:135], v[160:161], -v[144:145]
	v_fma_f64 v[136:137], v[136:137], v[160:161], v[146:147]
	s_waitcnt vmcnt(4) lgkmcnt(1)
	v_mul_f64 v[152:153], v[3:4], v[164:165]
	v_mul_f64 v[154:155], v[1:2], v[164:165]
	v_add_f64 v[131:132], v[131:132], v[148:149]
	v_add_f64 v[142:143], v[142:143], v[150:151]
	s_waitcnt vmcnt(2) lgkmcnt(0)
	v_mul_f64 v[144:145], v[140:141], v[166:167]
	v_mul_f64 v[146:147], v[138:139], v[166:167]
	s_waitcnt vmcnt(0)
	v_fma_f64 v[1:2], v[1:2], v[170:171], -v[152:153]
	v_fma_f64 v[3:4], v[3:4], v[170:171], v[154:155]
	v_add_f64 v[131:132], v[131:132], v[134:135]
	v_add_f64 v[134:135], v[142:143], v[136:137]
	v_fma_f64 v[136:137], v[138:139], v[168:169], -v[144:145]
	v_fma_f64 v[138:139], v[140:141], v[168:169], v[146:147]
	v_add_f64 v[1:2], v[131:132], v[1:2]
	v_add_f64 v[3:4], v[134:135], v[3:4]
	v_mov_b32_e32 v131, s73
	s_mov_b32 s73, s74
	v_add_f64 v[1:2], v[1:2], v[136:137]
	v_add_f64 v[3:4], v[3:4], v[138:139]
	s_andn2_b32 exec_lo, exec_lo, s70
	s_cbranch_execnz .LBB124_739
; %bb.740:
	s_or_b32 exec_lo, exec_lo, s70
.LBB124_741:
	s_or_b32 exec_lo, exec_lo, s5
	v_and_b32_e32 v129, 7, v129
	s_mov_b32 s70, 0
	s_mov_b32 s5, exec_lo
	v_cmpx_ne_u32_e32 0, v129
	s_cbranch_execz .LBB124_745
; %bb.742:
	v_lshlrev_b32_e32 v131, 4, v131
	v_add_nc_u32_e32 v130, 0x3d0, v131
	.p2align	6
.LBB124_743:                            ; =>This Inner Loop Header: Depth=1
	s_clause 0x3
	buffer_load_dword v138, v131, s[0:3], 0 offen offset:8
	buffer_load_dword v139, v131, s[0:3], 0 offen offset:12
	buffer_load_dword v140, v131, s[0:3], 0 offen
	buffer_load_dword v141, v131, s[0:3], 0 offen offset:4
	ds_read_b128 v[134:137], v130
	v_add_nc_u32_e32 v129, -1, v129
	v_add_nc_u32_e32 v130, 16, v130
	v_add_nc_u32_e32 v131, 16, v131
	v_cmp_eq_u32_e32 vcc_lo, 0, v129
	s_or_b32 s70, vcc_lo, s70
	s_waitcnt vmcnt(2) lgkmcnt(0)
	v_mul_f64 v[142:143], v[136:137], v[138:139]
	v_mul_f64 v[138:139], v[134:135], v[138:139]
	s_waitcnt vmcnt(0)
	v_fma_f64 v[134:135], v[134:135], v[140:141], -v[142:143]
	v_fma_f64 v[136:137], v[136:137], v[140:141], v[138:139]
	v_add_f64 v[1:2], v[1:2], v[134:135]
	v_add_f64 v[3:4], v[3:4], v[136:137]
	s_andn2_b32 exec_lo, exec_lo, s70
	s_cbranch_execnz .LBB124_743
; %bb.744:
	s_or_b32 exec_lo, exec_lo, s70
.LBB124_745:
	s_or_b32 exec_lo, exec_lo, s5
.LBB124_746:
	s_or_b32 exec_lo, exec_lo, s8
	v_mov_b32_e32 v129, 0
	ds_read_b128 v[129:132], v129 offset:96
	s_waitcnt lgkmcnt(0)
	v_mul_f64 v[134:135], v[3:4], v[131:132]
	v_mul_f64 v[131:132], v[1:2], v[131:132]
	v_fma_f64 v[1:2], v[1:2], v[129:130], -v[134:135]
	v_fma_f64 v[3:4], v[3:4], v[129:130], v[131:132]
	buffer_store_dword v2, off, s[0:3], 0 offset:100
	buffer_store_dword v1, off, s[0:3], 0 offset:96
	;; [unrolled: 1-line block ×4, first 2 shown]
.LBB124_747:
	s_or_b32 exec_lo, exec_lo, s6
	v_mov_b32_e32 v4, s65
	v_cmp_lt_u32_e64 s5, 5, v0
	s_clause 0x3
	buffer_load_dword v1, v4, s[0:3], 0 offen
	buffer_load_dword v2, v4, s[0:3], 0 offen offset:4
	buffer_load_dword v3, v4, s[0:3], 0 offen offset:8
	;; [unrolled: 1-line block ×3, first 2 shown]
	s_waitcnt vmcnt(0)
	ds_write_b128 v128, v[1:4]
	s_waitcnt lgkmcnt(0)
	s_waitcnt_vscnt null, 0x0
	s_barrier
	buffer_gl0_inv
	s_and_saveexec_b32 s6, s5
	s_cbranch_execz .LBB124_761
; %bb.748:
	ds_read_b128 v[1:4], v128
	s_andn2_b32 vcc_lo, exec_lo, s7
	s_cbranch_vccnz .LBB124_750
; %bb.749:
	s_clause 0x3
	buffer_load_dword v129, v127, s[0:3], 0 offen offset:8
	buffer_load_dword v130, v127, s[0:3], 0 offen offset:12
	buffer_load_dword v131, v127, s[0:3], 0 offen
	buffer_load_dword v132, v127, s[0:3], 0 offen offset:4
	s_waitcnt vmcnt(2) lgkmcnt(0)
	v_mul_f64 v[134:135], v[3:4], v[129:130]
	v_mul_f64 v[129:130], v[1:2], v[129:130]
	s_waitcnt vmcnt(0)
	v_fma_f64 v[1:2], v[1:2], v[131:132], -v[134:135]
	v_fma_f64 v[3:4], v[3:4], v[131:132], v[129:130]
.LBB124_750:
	s_and_saveexec_b32 s8, s4
	s_cbranch_execz .LBB124_760
; %bb.751:
	v_add_nc_u32_e32 v130, -7, v0
	v_add_nc_u32_e32 v129, -6, v0
	v_mov_b32_e32 v131, 6
	s_mov_b32 s4, exec_lo
	v_cmpx_lt_u32_e32 6, v130
	s_cbranch_execz .LBB124_755
; %bb.752:
	v_and_b32_e32 v130, -8, v129
	s_movk_i32 s71, 0x430
	s_mov_b32 s70, 0
	s_mov_b32 s72, s64
	;; [unrolled: 1-line block ×3, first 2 shown]
.LBB124_753:                            ; =>This Inner Loop Header: Depth=1
	v_mov_b32_e32 v134, s72
	v_mov_b32_e32 v180, s71
	s_add_i32 s74, s73, 8
	s_add_i32 s73, s73, 14
	v_cmp_eq_u32_e32 vcc_lo, s74, v130
	s_clause 0x1f
	buffer_load_dword v131, v134, s[0:3], 0 offen offset:8
	buffer_load_dword v132, v134, s[0:3], 0 offen offset:12
	buffer_load_dword v142, v134, s[0:3], 0 offen
	buffer_load_dword v143, v134, s[0:3], 0 offen offset:4
	buffer_load_dword v144, v134, s[0:3], 0 offen offset:24
	;; [unrolled: 1-line block ×29, first 2 shown]
	ds_read_b128 v[134:137], v180
	ds_read_b128 v[138:141], v180 offset:16
	s_addk_i32 s71, 0x80
	s_addk_i32 s72, 0x80
	s_or_b32 s70, vcc_lo, s70
	s_waitcnt vmcnt(30) lgkmcnt(1)
	v_mul_f64 v[172:173], v[136:137], v[131:132]
	v_mul_f64 v[131:132], v[134:135], v[131:132]
	s_waitcnt vmcnt(26) lgkmcnt(0)
	v_mul_f64 v[174:175], v[140:141], v[144:145]
	v_mul_f64 v[176:177], v[138:139], v[144:145]
	v_fma_f64 v[172:173], v[134:135], v[142:143], -v[172:173]
	v_fma_f64 v[131:132], v[136:137], v[142:143], v[131:132]
	ds_read_b128 v[134:137], v180 offset:32
	ds_read_b128 v[142:145], v180 offset:48
	s_waitcnt vmcnt(24)
	v_fma_f64 v[138:139], v[138:139], v[146:147], -v[174:175]
	v_fma_f64 v[140:141], v[140:141], v[146:147], v[176:177]
	s_waitcnt vmcnt(22) lgkmcnt(1)
	v_mul_f64 v[178:179], v[136:137], v[148:149]
	v_mul_f64 v[148:149], v[134:135], v[148:149]
	v_add_f64 v[1:2], v[1:2], v[172:173]
	v_add_f64 v[3:4], v[3:4], v[131:132]
	s_waitcnt vmcnt(18) lgkmcnt(0)
	v_mul_f64 v[131:132], v[144:145], v[152:153]
	v_mul_f64 v[146:147], v[142:143], v[152:153]
	v_fma_f64 v[152:153], v[134:135], v[150:151], -v[178:179]
	v_fma_f64 v[148:149], v[136:137], v[150:151], v[148:149]
	v_add_f64 v[138:139], v[1:2], v[138:139]
	v_add_f64 v[140:141], v[3:4], v[140:141]
	ds_read_b128 v[1:4], v180 offset:64
	ds_read_b128 v[134:137], v180 offset:80
	s_waitcnt vmcnt(16)
	v_fma_f64 v[131:132], v[142:143], v[154:155], -v[131:132]
	v_fma_f64 v[142:143], v[144:145], v[154:155], v[146:147]
	s_waitcnt vmcnt(12) lgkmcnt(1)
	v_mul_f64 v[150:151], v[3:4], v[156:157]
	v_mul_f64 v[156:157], v[1:2], v[156:157]
	v_add_f64 v[138:139], v[138:139], v[152:153]
	v_add_f64 v[140:141], v[140:141], v[148:149]
	s_waitcnt vmcnt(10) lgkmcnt(0)
	v_mul_f64 v[144:145], v[136:137], v[158:159]
	v_mul_f64 v[146:147], v[134:135], v[158:159]
	s_waitcnt vmcnt(8)
	v_fma_f64 v[148:149], v[1:2], v[162:163], -v[150:151]
	v_fma_f64 v[150:151], v[3:4], v[162:163], v[156:157]
	v_add_f64 v[131:132], v[138:139], v[131:132]
	v_add_f64 v[142:143], v[140:141], v[142:143]
	ds_read_b128 v[1:4], v180 offset:96
	ds_read_b128 v[138:141], v180 offset:112
	v_fma_f64 v[134:135], v[134:135], v[160:161], -v[144:145]
	v_fma_f64 v[136:137], v[136:137], v[160:161], v[146:147]
	s_waitcnt vmcnt(4) lgkmcnt(1)
	v_mul_f64 v[152:153], v[3:4], v[164:165]
	v_mul_f64 v[154:155], v[1:2], v[164:165]
	v_add_f64 v[131:132], v[131:132], v[148:149]
	v_add_f64 v[142:143], v[142:143], v[150:151]
	s_waitcnt vmcnt(2) lgkmcnt(0)
	v_mul_f64 v[144:145], v[140:141], v[166:167]
	v_mul_f64 v[146:147], v[138:139], v[166:167]
	s_waitcnt vmcnt(0)
	v_fma_f64 v[1:2], v[1:2], v[170:171], -v[152:153]
	v_fma_f64 v[3:4], v[3:4], v[170:171], v[154:155]
	v_add_f64 v[131:132], v[131:132], v[134:135]
	v_add_f64 v[134:135], v[142:143], v[136:137]
	v_fma_f64 v[136:137], v[138:139], v[168:169], -v[144:145]
	v_fma_f64 v[138:139], v[140:141], v[168:169], v[146:147]
	v_add_f64 v[1:2], v[131:132], v[1:2]
	v_add_f64 v[3:4], v[134:135], v[3:4]
	v_mov_b32_e32 v131, s73
	s_mov_b32 s73, s74
	v_add_f64 v[1:2], v[1:2], v[136:137]
	v_add_f64 v[3:4], v[3:4], v[138:139]
	s_andn2_b32 exec_lo, exec_lo, s70
	s_cbranch_execnz .LBB124_753
; %bb.754:
	s_or_b32 exec_lo, exec_lo, s70
.LBB124_755:
	s_or_b32 exec_lo, exec_lo, s4
	v_and_b32_e32 v129, 7, v129
	s_mov_b32 s70, 0
	s_mov_b32 s4, exec_lo
	v_cmpx_ne_u32_e32 0, v129
	s_cbranch_execz .LBB124_759
; %bb.756:
	v_lshlrev_b32_e32 v131, 4, v131
	v_add_nc_u32_e32 v130, 0x3d0, v131
	.p2align	6
.LBB124_757:                            ; =>This Inner Loop Header: Depth=1
	s_clause 0x3
	buffer_load_dword v138, v131, s[0:3], 0 offen offset:8
	buffer_load_dword v139, v131, s[0:3], 0 offen offset:12
	buffer_load_dword v140, v131, s[0:3], 0 offen
	buffer_load_dword v141, v131, s[0:3], 0 offen offset:4
	ds_read_b128 v[134:137], v130
	v_add_nc_u32_e32 v129, -1, v129
	v_add_nc_u32_e32 v130, 16, v130
	v_add_nc_u32_e32 v131, 16, v131
	v_cmp_eq_u32_e32 vcc_lo, 0, v129
	s_or_b32 s70, vcc_lo, s70
	s_waitcnt vmcnt(2) lgkmcnt(0)
	v_mul_f64 v[142:143], v[136:137], v[138:139]
	v_mul_f64 v[138:139], v[134:135], v[138:139]
	s_waitcnt vmcnt(0)
	v_fma_f64 v[134:135], v[134:135], v[140:141], -v[142:143]
	v_fma_f64 v[136:137], v[136:137], v[140:141], v[138:139]
	v_add_f64 v[1:2], v[1:2], v[134:135]
	v_add_f64 v[3:4], v[3:4], v[136:137]
	s_andn2_b32 exec_lo, exec_lo, s70
	s_cbranch_execnz .LBB124_757
; %bb.758:
	s_or_b32 exec_lo, exec_lo, s70
.LBB124_759:
	s_or_b32 exec_lo, exec_lo, s4
.LBB124_760:
	s_or_b32 exec_lo, exec_lo, s8
	v_mov_b32_e32 v129, 0
	ds_read_b128 v[129:132], v129 offset:80
	s_waitcnt lgkmcnt(0)
	v_mul_f64 v[134:135], v[3:4], v[131:132]
	v_mul_f64 v[131:132], v[1:2], v[131:132]
	v_fma_f64 v[1:2], v[1:2], v[129:130], -v[134:135]
	v_fma_f64 v[3:4], v[3:4], v[129:130], v[131:132]
	buffer_store_dword v2, off, s[0:3], 0 offset:84
	buffer_store_dword v1, off, s[0:3], 0 offset:80
	;; [unrolled: 1-line block ×4, first 2 shown]
.LBB124_761:
	s_or_b32 exec_lo, exec_lo, s6
	v_mov_b32_e32 v4, s66
	v_cmp_lt_u32_e64 s4, 4, v0
	s_clause 0x3
	buffer_load_dword v1, v4, s[0:3], 0 offen
	buffer_load_dword v2, v4, s[0:3], 0 offen offset:4
	buffer_load_dword v3, v4, s[0:3], 0 offen offset:8
	;; [unrolled: 1-line block ×3, first 2 shown]
	s_waitcnt vmcnt(0)
	ds_write_b128 v128, v[1:4]
	s_waitcnt lgkmcnt(0)
	s_waitcnt_vscnt null, 0x0
	s_barrier
	buffer_gl0_inv
	s_and_saveexec_b32 s6, s4
	s_cbranch_execz .LBB124_775
; %bb.762:
	ds_read_b128 v[1:4], v128
	s_andn2_b32 vcc_lo, exec_lo, s7
	s_cbranch_vccnz .LBB124_764
; %bb.763:
	s_clause 0x3
	buffer_load_dword v129, v127, s[0:3], 0 offen offset:8
	buffer_load_dword v130, v127, s[0:3], 0 offen offset:12
	buffer_load_dword v131, v127, s[0:3], 0 offen
	buffer_load_dword v132, v127, s[0:3], 0 offen offset:4
	s_waitcnt vmcnt(2) lgkmcnt(0)
	v_mul_f64 v[134:135], v[3:4], v[129:130]
	v_mul_f64 v[129:130], v[1:2], v[129:130]
	s_waitcnt vmcnt(0)
	v_fma_f64 v[1:2], v[1:2], v[131:132], -v[134:135]
	v_fma_f64 v[3:4], v[3:4], v[131:132], v[129:130]
.LBB124_764:
	s_and_saveexec_b32 s8, s5
	s_cbranch_execz .LBB124_774
; %bb.765:
	v_add_nc_u32_e32 v130, -6, v0
	v_add_nc_u32_e32 v129, -5, v0
	v_mov_b32_e32 v131, 5
	s_mov_b32 s5, exec_lo
	v_cmpx_lt_u32_e32 6, v130
	s_cbranch_execz .LBB124_769
; %bb.766:
	v_and_b32_e32 v130, -8, v129
	s_movk_i32 s71, 0x420
	s_mov_b32 s70, 0
	s_mov_b32 s72, s65
	;; [unrolled: 1-line block ×3, first 2 shown]
.LBB124_767:                            ; =>This Inner Loop Header: Depth=1
	v_mov_b32_e32 v134, s72
	v_mov_b32_e32 v180, s71
	s_add_i32 s74, s73, 8
	s_add_i32 s73, s73, 13
	v_cmp_eq_u32_e32 vcc_lo, s74, v130
	s_clause 0x1f
	buffer_load_dword v131, v134, s[0:3], 0 offen offset:8
	buffer_load_dword v132, v134, s[0:3], 0 offen offset:12
	buffer_load_dword v142, v134, s[0:3], 0 offen
	buffer_load_dword v143, v134, s[0:3], 0 offen offset:4
	buffer_load_dword v144, v134, s[0:3], 0 offen offset:24
	;; [unrolled: 1-line block ×29, first 2 shown]
	ds_read_b128 v[134:137], v180
	ds_read_b128 v[138:141], v180 offset:16
	s_addk_i32 s71, 0x80
	s_addk_i32 s72, 0x80
	s_or_b32 s70, vcc_lo, s70
	s_waitcnt vmcnt(30) lgkmcnt(1)
	v_mul_f64 v[172:173], v[136:137], v[131:132]
	v_mul_f64 v[131:132], v[134:135], v[131:132]
	s_waitcnt vmcnt(26) lgkmcnt(0)
	v_mul_f64 v[174:175], v[140:141], v[144:145]
	v_mul_f64 v[176:177], v[138:139], v[144:145]
	v_fma_f64 v[172:173], v[134:135], v[142:143], -v[172:173]
	v_fma_f64 v[131:132], v[136:137], v[142:143], v[131:132]
	ds_read_b128 v[134:137], v180 offset:32
	ds_read_b128 v[142:145], v180 offset:48
	s_waitcnt vmcnt(24)
	v_fma_f64 v[138:139], v[138:139], v[146:147], -v[174:175]
	v_fma_f64 v[140:141], v[140:141], v[146:147], v[176:177]
	s_waitcnt vmcnt(22) lgkmcnt(1)
	v_mul_f64 v[178:179], v[136:137], v[148:149]
	v_mul_f64 v[148:149], v[134:135], v[148:149]
	v_add_f64 v[1:2], v[1:2], v[172:173]
	v_add_f64 v[3:4], v[3:4], v[131:132]
	s_waitcnt vmcnt(18) lgkmcnt(0)
	v_mul_f64 v[131:132], v[144:145], v[152:153]
	v_mul_f64 v[146:147], v[142:143], v[152:153]
	v_fma_f64 v[152:153], v[134:135], v[150:151], -v[178:179]
	v_fma_f64 v[148:149], v[136:137], v[150:151], v[148:149]
	v_add_f64 v[138:139], v[1:2], v[138:139]
	v_add_f64 v[140:141], v[3:4], v[140:141]
	ds_read_b128 v[1:4], v180 offset:64
	ds_read_b128 v[134:137], v180 offset:80
	s_waitcnt vmcnt(16)
	v_fma_f64 v[131:132], v[142:143], v[154:155], -v[131:132]
	v_fma_f64 v[142:143], v[144:145], v[154:155], v[146:147]
	s_waitcnt vmcnt(12) lgkmcnt(1)
	v_mul_f64 v[150:151], v[3:4], v[156:157]
	v_mul_f64 v[156:157], v[1:2], v[156:157]
	v_add_f64 v[138:139], v[138:139], v[152:153]
	v_add_f64 v[140:141], v[140:141], v[148:149]
	s_waitcnt vmcnt(10) lgkmcnt(0)
	v_mul_f64 v[144:145], v[136:137], v[158:159]
	v_mul_f64 v[146:147], v[134:135], v[158:159]
	s_waitcnt vmcnt(8)
	v_fma_f64 v[148:149], v[1:2], v[162:163], -v[150:151]
	v_fma_f64 v[150:151], v[3:4], v[162:163], v[156:157]
	v_add_f64 v[131:132], v[138:139], v[131:132]
	v_add_f64 v[142:143], v[140:141], v[142:143]
	ds_read_b128 v[1:4], v180 offset:96
	ds_read_b128 v[138:141], v180 offset:112
	v_fma_f64 v[134:135], v[134:135], v[160:161], -v[144:145]
	v_fma_f64 v[136:137], v[136:137], v[160:161], v[146:147]
	s_waitcnt vmcnt(4) lgkmcnt(1)
	v_mul_f64 v[152:153], v[3:4], v[164:165]
	v_mul_f64 v[154:155], v[1:2], v[164:165]
	v_add_f64 v[131:132], v[131:132], v[148:149]
	v_add_f64 v[142:143], v[142:143], v[150:151]
	s_waitcnt vmcnt(2) lgkmcnt(0)
	v_mul_f64 v[144:145], v[140:141], v[166:167]
	v_mul_f64 v[146:147], v[138:139], v[166:167]
	s_waitcnt vmcnt(0)
	v_fma_f64 v[1:2], v[1:2], v[170:171], -v[152:153]
	v_fma_f64 v[3:4], v[3:4], v[170:171], v[154:155]
	v_add_f64 v[131:132], v[131:132], v[134:135]
	v_add_f64 v[134:135], v[142:143], v[136:137]
	v_fma_f64 v[136:137], v[138:139], v[168:169], -v[144:145]
	v_fma_f64 v[138:139], v[140:141], v[168:169], v[146:147]
	v_add_f64 v[1:2], v[131:132], v[1:2]
	v_add_f64 v[3:4], v[134:135], v[3:4]
	v_mov_b32_e32 v131, s73
	s_mov_b32 s73, s74
	v_add_f64 v[1:2], v[1:2], v[136:137]
	v_add_f64 v[3:4], v[3:4], v[138:139]
	s_andn2_b32 exec_lo, exec_lo, s70
	s_cbranch_execnz .LBB124_767
; %bb.768:
	s_or_b32 exec_lo, exec_lo, s70
.LBB124_769:
	s_or_b32 exec_lo, exec_lo, s5
	v_and_b32_e32 v129, 7, v129
	s_mov_b32 s70, 0
	s_mov_b32 s5, exec_lo
	v_cmpx_ne_u32_e32 0, v129
	s_cbranch_execz .LBB124_773
; %bb.770:
	v_lshlrev_b32_e32 v131, 4, v131
	v_add_nc_u32_e32 v130, 0x3d0, v131
	.p2align	6
.LBB124_771:                            ; =>This Inner Loop Header: Depth=1
	s_clause 0x3
	buffer_load_dword v138, v131, s[0:3], 0 offen offset:8
	buffer_load_dword v139, v131, s[0:3], 0 offen offset:12
	buffer_load_dword v140, v131, s[0:3], 0 offen
	buffer_load_dword v141, v131, s[0:3], 0 offen offset:4
	ds_read_b128 v[134:137], v130
	v_add_nc_u32_e32 v129, -1, v129
	v_add_nc_u32_e32 v130, 16, v130
	v_add_nc_u32_e32 v131, 16, v131
	v_cmp_eq_u32_e32 vcc_lo, 0, v129
	s_or_b32 s70, vcc_lo, s70
	s_waitcnt vmcnt(2) lgkmcnt(0)
	v_mul_f64 v[142:143], v[136:137], v[138:139]
	v_mul_f64 v[138:139], v[134:135], v[138:139]
	s_waitcnt vmcnt(0)
	v_fma_f64 v[134:135], v[134:135], v[140:141], -v[142:143]
	v_fma_f64 v[136:137], v[136:137], v[140:141], v[138:139]
	v_add_f64 v[1:2], v[1:2], v[134:135]
	v_add_f64 v[3:4], v[3:4], v[136:137]
	s_andn2_b32 exec_lo, exec_lo, s70
	s_cbranch_execnz .LBB124_771
; %bb.772:
	s_or_b32 exec_lo, exec_lo, s70
.LBB124_773:
	s_or_b32 exec_lo, exec_lo, s5
.LBB124_774:
	s_or_b32 exec_lo, exec_lo, s8
	v_mov_b32_e32 v129, 0
	ds_read_b128 v[129:132], v129 offset:64
	s_waitcnt lgkmcnt(0)
	v_mul_f64 v[134:135], v[3:4], v[131:132]
	v_mul_f64 v[131:132], v[1:2], v[131:132]
	v_fma_f64 v[1:2], v[1:2], v[129:130], -v[134:135]
	v_fma_f64 v[3:4], v[3:4], v[129:130], v[131:132]
	buffer_store_dword v2, off, s[0:3], 0 offset:68
	buffer_store_dword v1, off, s[0:3], 0 offset:64
	;; [unrolled: 1-line block ×4, first 2 shown]
.LBB124_775:
	s_or_b32 exec_lo, exec_lo, s6
	v_mov_b32_e32 v4, s67
	v_cmp_lt_u32_e64 s5, 3, v0
	s_clause 0x3
	buffer_load_dword v1, v4, s[0:3], 0 offen
	buffer_load_dword v2, v4, s[0:3], 0 offen offset:4
	buffer_load_dword v3, v4, s[0:3], 0 offen offset:8
	;; [unrolled: 1-line block ×3, first 2 shown]
	s_waitcnt vmcnt(0)
	ds_write_b128 v128, v[1:4]
	s_waitcnt lgkmcnt(0)
	s_waitcnt_vscnt null, 0x0
	s_barrier
	buffer_gl0_inv
	s_and_saveexec_b32 s6, s5
	s_cbranch_execz .LBB124_789
; %bb.776:
	ds_read_b128 v[1:4], v128
	s_andn2_b32 vcc_lo, exec_lo, s7
	s_cbranch_vccnz .LBB124_778
; %bb.777:
	s_clause 0x3
	buffer_load_dword v129, v127, s[0:3], 0 offen offset:8
	buffer_load_dword v130, v127, s[0:3], 0 offen offset:12
	buffer_load_dword v131, v127, s[0:3], 0 offen
	buffer_load_dword v132, v127, s[0:3], 0 offen offset:4
	s_waitcnt vmcnt(2) lgkmcnt(0)
	v_mul_f64 v[134:135], v[3:4], v[129:130]
	v_mul_f64 v[129:130], v[1:2], v[129:130]
	s_waitcnt vmcnt(0)
	v_fma_f64 v[1:2], v[1:2], v[131:132], -v[134:135]
	v_fma_f64 v[3:4], v[3:4], v[131:132], v[129:130]
.LBB124_778:
	s_and_saveexec_b32 s8, s4
	s_cbranch_execz .LBB124_788
; %bb.779:
	v_add_nc_u32_e32 v130, -5, v0
	v_add_nc_u32_e32 v129, -4, v0
	v_mov_b32_e32 v131, 4
	s_mov_b32 s4, exec_lo
	v_cmpx_lt_u32_e32 6, v130
	s_cbranch_execz .LBB124_783
; %bb.780:
	v_and_b32_e32 v130, -8, v129
	s_movk_i32 s71, 0x410
	s_mov_b32 s70, 0
	s_mov_b32 s72, s66
	;; [unrolled: 1-line block ×3, first 2 shown]
.LBB124_781:                            ; =>This Inner Loop Header: Depth=1
	v_mov_b32_e32 v134, s72
	v_mov_b32_e32 v180, s71
	s_add_i32 s74, s73, 8
	s_add_i32 s73, s73, 12
	v_cmp_eq_u32_e32 vcc_lo, s74, v130
	s_clause 0x1f
	buffer_load_dword v131, v134, s[0:3], 0 offen offset:8
	buffer_load_dword v132, v134, s[0:3], 0 offen offset:12
	buffer_load_dword v142, v134, s[0:3], 0 offen
	buffer_load_dword v143, v134, s[0:3], 0 offen offset:4
	buffer_load_dword v144, v134, s[0:3], 0 offen offset:24
	;; [unrolled: 1-line block ×29, first 2 shown]
	ds_read_b128 v[134:137], v180
	ds_read_b128 v[138:141], v180 offset:16
	s_addk_i32 s71, 0x80
	s_addk_i32 s72, 0x80
	s_or_b32 s70, vcc_lo, s70
	s_waitcnt vmcnt(30) lgkmcnt(1)
	v_mul_f64 v[172:173], v[136:137], v[131:132]
	v_mul_f64 v[131:132], v[134:135], v[131:132]
	s_waitcnt vmcnt(26) lgkmcnt(0)
	v_mul_f64 v[174:175], v[140:141], v[144:145]
	v_mul_f64 v[176:177], v[138:139], v[144:145]
	v_fma_f64 v[172:173], v[134:135], v[142:143], -v[172:173]
	v_fma_f64 v[131:132], v[136:137], v[142:143], v[131:132]
	ds_read_b128 v[134:137], v180 offset:32
	ds_read_b128 v[142:145], v180 offset:48
	s_waitcnt vmcnt(24)
	v_fma_f64 v[138:139], v[138:139], v[146:147], -v[174:175]
	v_fma_f64 v[140:141], v[140:141], v[146:147], v[176:177]
	s_waitcnt vmcnt(22) lgkmcnt(1)
	v_mul_f64 v[178:179], v[136:137], v[148:149]
	v_mul_f64 v[148:149], v[134:135], v[148:149]
	v_add_f64 v[1:2], v[1:2], v[172:173]
	v_add_f64 v[3:4], v[3:4], v[131:132]
	s_waitcnt vmcnt(18) lgkmcnt(0)
	v_mul_f64 v[131:132], v[144:145], v[152:153]
	v_mul_f64 v[146:147], v[142:143], v[152:153]
	v_fma_f64 v[152:153], v[134:135], v[150:151], -v[178:179]
	v_fma_f64 v[148:149], v[136:137], v[150:151], v[148:149]
	v_add_f64 v[138:139], v[1:2], v[138:139]
	v_add_f64 v[140:141], v[3:4], v[140:141]
	ds_read_b128 v[1:4], v180 offset:64
	ds_read_b128 v[134:137], v180 offset:80
	s_waitcnt vmcnt(16)
	v_fma_f64 v[131:132], v[142:143], v[154:155], -v[131:132]
	v_fma_f64 v[142:143], v[144:145], v[154:155], v[146:147]
	s_waitcnt vmcnt(12) lgkmcnt(1)
	v_mul_f64 v[150:151], v[3:4], v[156:157]
	v_mul_f64 v[156:157], v[1:2], v[156:157]
	v_add_f64 v[138:139], v[138:139], v[152:153]
	v_add_f64 v[140:141], v[140:141], v[148:149]
	s_waitcnt vmcnt(10) lgkmcnt(0)
	v_mul_f64 v[144:145], v[136:137], v[158:159]
	v_mul_f64 v[146:147], v[134:135], v[158:159]
	s_waitcnt vmcnt(8)
	v_fma_f64 v[148:149], v[1:2], v[162:163], -v[150:151]
	v_fma_f64 v[150:151], v[3:4], v[162:163], v[156:157]
	v_add_f64 v[131:132], v[138:139], v[131:132]
	v_add_f64 v[142:143], v[140:141], v[142:143]
	ds_read_b128 v[1:4], v180 offset:96
	ds_read_b128 v[138:141], v180 offset:112
	v_fma_f64 v[134:135], v[134:135], v[160:161], -v[144:145]
	v_fma_f64 v[136:137], v[136:137], v[160:161], v[146:147]
	s_waitcnt vmcnt(4) lgkmcnt(1)
	v_mul_f64 v[152:153], v[3:4], v[164:165]
	v_mul_f64 v[154:155], v[1:2], v[164:165]
	v_add_f64 v[131:132], v[131:132], v[148:149]
	v_add_f64 v[142:143], v[142:143], v[150:151]
	s_waitcnt vmcnt(2) lgkmcnt(0)
	v_mul_f64 v[144:145], v[140:141], v[166:167]
	v_mul_f64 v[146:147], v[138:139], v[166:167]
	s_waitcnt vmcnt(0)
	v_fma_f64 v[1:2], v[1:2], v[170:171], -v[152:153]
	v_fma_f64 v[3:4], v[3:4], v[170:171], v[154:155]
	v_add_f64 v[131:132], v[131:132], v[134:135]
	v_add_f64 v[134:135], v[142:143], v[136:137]
	v_fma_f64 v[136:137], v[138:139], v[168:169], -v[144:145]
	v_fma_f64 v[138:139], v[140:141], v[168:169], v[146:147]
	v_add_f64 v[1:2], v[131:132], v[1:2]
	v_add_f64 v[3:4], v[134:135], v[3:4]
	v_mov_b32_e32 v131, s73
	s_mov_b32 s73, s74
	v_add_f64 v[1:2], v[1:2], v[136:137]
	v_add_f64 v[3:4], v[3:4], v[138:139]
	s_andn2_b32 exec_lo, exec_lo, s70
	s_cbranch_execnz .LBB124_781
; %bb.782:
	s_or_b32 exec_lo, exec_lo, s70
.LBB124_783:
	s_or_b32 exec_lo, exec_lo, s4
	v_and_b32_e32 v129, 7, v129
	s_mov_b32 s70, 0
	s_mov_b32 s4, exec_lo
	v_cmpx_ne_u32_e32 0, v129
	s_cbranch_execz .LBB124_787
; %bb.784:
	v_lshlrev_b32_e32 v131, 4, v131
	v_add_nc_u32_e32 v130, 0x3d0, v131
	.p2align	6
.LBB124_785:                            ; =>This Inner Loop Header: Depth=1
	s_clause 0x3
	buffer_load_dword v138, v131, s[0:3], 0 offen offset:8
	buffer_load_dword v139, v131, s[0:3], 0 offen offset:12
	buffer_load_dword v140, v131, s[0:3], 0 offen
	buffer_load_dword v141, v131, s[0:3], 0 offen offset:4
	ds_read_b128 v[134:137], v130
	v_add_nc_u32_e32 v129, -1, v129
	v_add_nc_u32_e32 v130, 16, v130
	v_add_nc_u32_e32 v131, 16, v131
	v_cmp_eq_u32_e32 vcc_lo, 0, v129
	s_or_b32 s70, vcc_lo, s70
	s_waitcnt vmcnt(2) lgkmcnt(0)
	v_mul_f64 v[142:143], v[136:137], v[138:139]
	v_mul_f64 v[138:139], v[134:135], v[138:139]
	s_waitcnt vmcnt(0)
	v_fma_f64 v[134:135], v[134:135], v[140:141], -v[142:143]
	v_fma_f64 v[136:137], v[136:137], v[140:141], v[138:139]
	v_add_f64 v[1:2], v[1:2], v[134:135]
	v_add_f64 v[3:4], v[3:4], v[136:137]
	s_andn2_b32 exec_lo, exec_lo, s70
	s_cbranch_execnz .LBB124_785
; %bb.786:
	s_or_b32 exec_lo, exec_lo, s70
.LBB124_787:
	s_or_b32 exec_lo, exec_lo, s4
.LBB124_788:
	s_or_b32 exec_lo, exec_lo, s8
	v_mov_b32_e32 v129, 0
	ds_read_b128 v[129:132], v129 offset:48
	s_waitcnt lgkmcnt(0)
	v_mul_f64 v[134:135], v[3:4], v[131:132]
	v_mul_f64 v[131:132], v[1:2], v[131:132]
	v_fma_f64 v[1:2], v[1:2], v[129:130], -v[134:135]
	v_fma_f64 v[3:4], v[3:4], v[129:130], v[131:132]
	buffer_store_dword v2, off, s[0:3], 0 offset:52
	buffer_store_dword v1, off, s[0:3], 0 offset:48
	;; [unrolled: 1-line block ×4, first 2 shown]
.LBB124_789:
	s_or_b32 exec_lo, exec_lo, s6
	v_mov_b32_e32 v4, s68
	v_cmp_lt_u32_e64 s6, 2, v0
	s_clause 0x3
	buffer_load_dword v1, v4, s[0:3], 0 offen
	buffer_load_dword v2, v4, s[0:3], 0 offen offset:4
	buffer_load_dword v3, v4, s[0:3], 0 offen offset:8
	;; [unrolled: 1-line block ×3, first 2 shown]
	s_waitcnt vmcnt(0)
	ds_write_b128 v128, v[1:4]
	s_waitcnt lgkmcnt(0)
	s_waitcnt_vscnt null, 0x0
	s_barrier
	buffer_gl0_inv
	s_and_saveexec_b32 s4, s6
	s_cbranch_execz .LBB124_803
; %bb.790:
	ds_read_b128 v[1:4], v128
	s_andn2_b32 vcc_lo, exec_lo, s7
	s_cbranch_vccnz .LBB124_792
; %bb.791:
	s_clause 0x3
	buffer_load_dword v129, v127, s[0:3], 0 offen offset:8
	buffer_load_dword v130, v127, s[0:3], 0 offen offset:12
	buffer_load_dword v131, v127, s[0:3], 0 offen
	buffer_load_dword v132, v127, s[0:3], 0 offen offset:4
	s_waitcnt vmcnt(2) lgkmcnt(0)
	v_mul_f64 v[134:135], v[3:4], v[129:130]
	v_mul_f64 v[129:130], v[1:2], v[129:130]
	s_waitcnt vmcnt(0)
	v_fma_f64 v[1:2], v[1:2], v[131:132], -v[134:135]
	v_fma_f64 v[3:4], v[3:4], v[131:132], v[129:130]
.LBB124_792:
	s_and_saveexec_b32 s8, s5
	s_cbranch_execz .LBB124_802
; %bb.793:
	v_add_nc_u32_e32 v130, -4, v0
	v_add_nc_u32_e32 v129, -3, v0
	v_mov_b32_e32 v131, 3
	s_mov_b32 s5, exec_lo
	v_cmpx_lt_u32_e32 6, v130
	s_cbranch_execz .LBB124_797
; %bb.794:
	v_and_b32_e32 v130, -8, v129
	s_movk_i32 s71, 0x400
	s_mov_b32 s70, 0
	s_mov_b32 s72, s67
	;; [unrolled: 1-line block ×3, first 2 shown]
.LBB124_795:                            ; =>This Inner Loop Header: Depth=1
	v_mov_b32_e32 v134, s72
	v_mov_b32_e32 v180, s71
	s_add_i32 s74, s73, 8
	s_add_i32 s73, s73, 11
	v_cmp_eq_u32_e32 vcc_lo, s74, v130
	s_clause 0x1f
	buffer_load_dword v131, v134, s[0:3], 0 offen offset:8
	buffer_load_dword v132, v134, s[0:3], 0 offen offset:12
	buffer_load_dword v142, v134, s[0:3], 0 offen
	buffer_load_dword v143, v134, s[0:3], 0 offen offset:4
	buffer_load_dword v144, v134, s[0:3], 0 offen offset:24
	;; [unrolled: 1-line block ×29, first 2 shown]
	ds_read_b128 v[134:137], v180
	ds_read_b128 v[138:141], v180 offset:16
	s_addk_i32 s71, 0x80
	s_addk_i32 s72, 0x80
	s_or_b32 s70, vcc_lo, s70
	s_waitcnt vmcnt(30) lgkmcnt(1)
	v_mul_f64 v[172:173], v[136:137], v[131:132]
	v_mul_f64 v[131:132], v[134:135], v[131:132]
	s_waitcnt vmcnt(26) lgkmcnt(0)
	v_mul_f64 v[174:175], v[140:141], v[144:145]
	v_mul_f64 v[176:177], v[138:139], v[144:145]
	v_fma_f64 v[172:173], v[134:135], v[142:143], -v[172:173]
	v_fma_f64 v[131:132], v[136:137], v[142:143], v[131:132]
	ds_read_b128 v[134:137], v180 offset:32
	ds_read_b128 v[142:145], v180 offset:48
	s_waitcnt vmcnt(24)
	v_fma_f64 v[138:139], v[138:139], v[146:147], -v[174:175]
	v_fma_f64 v[140:141], v[140:141], v[146:147], v[176:177]
	s_waitcnt vmcnt(22) lgkmcnt(1)
	v_mul_f64 v[178:179], v[136:137], v[148:149]
	v_mul_f64 v[148:149], v[134:135], v[148:149]
	v_add_f64 v[1:2], v[1:2], v[172:173]
	v_add_f64 v[3:4], v[3:4], v[131:132]
	s_waitcnt vmcnt(18) lgkmcnt(0)
	v_mul_f64 v[131:132], v[144:145], v[152:153]
	v_mul_f64 v[146:147], v[142:143], v[152:153]
	v_fma_f64 v[152:153], v[134:135], v[150:151], -v[178:179]
	v_fma_f64 v[148:149], v[136:137], v[150:151], v[148:149]
	v_add_f64 v[138:139], v[1:2], v[138:139]
	v_add_f64 v[140:141], v[3:4], v[140:141]
	ds_read_b128 v[1:4], v180 offset:64
	ds_read_b128 v[134:137], v180 offset:80
	s_waitcnt vmcnt(16)
	v_fma_f64 v[131:132], v[142:143], v[154:155], -v[131:132]
	v_fma_f64 v[142:143], v[144:145], v[154:155], v[146:147]
	s_waitcnt vmcnt(12) lgkmcnt(1)
	v_mul_f64 v[150:151], v[3:4], v[156:157]
	v_mul_f64 v[156:157], v[1:2], v[156:157]
	v_add_f64 v[138:139], v[138:139], v[152:153]
	v_add_f64 v[140:141], v[140:141], v[148:149]
	s_waitcnt vmcnt(10) lgkmcnt(0)
	v_mul_f64 v[144:145], v[136:137], v[158:159]
	v_mul_f64 v[146:147], v[134:135], v[158:159]
	s_waitcnt vmcnt(8)
	v_fma_f64 v[148:149], v[1:2], v[162:163], -v[150:151]
	v_fma_f64 v[150:151], v[3:4], v[162:163], v[156:157]
	v_add_f64 v[131:132], v[138:139], v[131:132]
	v_add_f64 v[142:143], v[140:141], v[142:143]
	ds_read_b128 v[1:4], v180 offset:96
	ds_read_b128 v[138:141], v180 offset:112
	v_fma_f64 v[134:135], v[134:135], v[160:161], -v[144:145]
	v_fma_f64 v[136:137], v[136:137], v[160:161], v[146:147]
	s_waitcnt vmcnt(4) lgkmcnt(1)
	v_mul_f64 v[152:153], v[3:4], v[164:165]
	v_mul_f64 v[154:155], v[1:2], v[164:165]
	v_add_f64 v[131:132], v[131:132], v[148:149]
	v_add_f64 v[142:143], v[142:143], v[150:151]
	s_waitcnt vmcnt(2) lgkmcnt(0)
	v_mul_f64 v[144:145], v[140:141], v[166:167]
	v_mul_f64 v[146:147], v[138:139], v[166:167]
	s_waitcnt vmcnt(0)
	v_fma_f64 v[1:2], v[1:2], v[170:171], -v[152:153]
	v_fma_f64 v[3:4], v[3:4], v[170:171], v[154:155]
	v_add_f64 v[131:132], v[131:132], v[134:135]
	v_add_f64 v[134:135], v[142:143], v[136:137]
	v_fma_f64 v[136:137], v[138:139], v[168:169], -v[144:145]
	v_fma_f64 v[138:139], v[140:141], v[168:169], v[146:147]
	v_add_f64 v[1:2], v[131:132], v[1:2]
	v_add_f64 v[3:4], v[134:135], v[3:4]
	v_mov_b32_e32 v131, s73
	s_mov_b32 s73, s74
	v_add_f64 v[1:2], v[1:2], v[136:137]
	v_add_f64 v[3:4], v[3:4], v[138:139]
	s_andn2_b32 exec_lo, exec_lo, s70
	s_cbranch_execnz .LBB124_795
; %bb.796:
	s_or_b32 exec_lo, exec_lo, s70
.LBB124_797:
	s_or_b32 exec_lo, exec_lo, s5
	v_and_b32_e32 v129, 7, v129
	s_mov_b32 s70, 0
	s_mov_b32 s5, exec_lo
	v_cmpx_ne_u32_e32 0, v129
	s_cbranch_execz .LBB124_801
; %bb.798:
	v_lshlrev_b32_e32 v131, 4, v131
	v_add_nc_u32_e32 v130, 0x3d0, v131
	.p2align	6
.LBB124_799:                            ; =>This Inner Loop Header: Depth=1
	s_clause 0x3
	buffer_load_dword v138, v131, s[0:3], 0 offen offset:8
	buffer_load_dword v139, v131, s[0:3], 0 offen offset:12
	buffer_load_dword v140, v131, s[0:3], 0 offen
	buffer_load_dword v141, v131, s[0:3], 0 offen offset:4
	ds_read_b128 v[134:137], v130
	v_add_nc_u32_e32 v129, -1, v129
	v_add_nc_u32_e32 v130, 16, v130
	v_add_nc_u32_e32 v131, 16, v131
	v_cmp_eq_u32_e32 vcc_lo, 0, v129
	s_or_b32 s70, vcc_lo, s70
	s_waitcnt vmcnt(2) lgkmcnt(0)
	v_mul_f64 v[142:143], v[136:137], v[138:139]
	v_mul_f64 v[138:139], v[134:135], v[138:139]
	s_waitcnt vmcnt(0)
	v_fma_f64 v[134:135], v[134:135], v[140:141], -v[142:143]
	v_fma_f64 v[136:137], v[136:137], v[140:141], v[138:139]
	v_add_f64 v[1:2], v[1:2], v[134:135]
	v_add_f64 v[3:4], v[3:4], v[136:137]
	s_andn2_b32 exec_lo, exec_lo, s70
	s_cbranch_execnz .LBB124_799
; %bb.800:
	s_or_b32 exec_lo, exec_lo, s70
.LBB124_801:
	s_or_b32 exec_lo, exec_lo, s5
.LBB124_802:
	s_or_b32 exec_lo, exec_lo, s8
	v_mov_b32_e32 v129, 0
	ds_read_b128 v[129:132], v129 offset:32
	s_waitcnt lgkmcnt(0)
	v_mul_f64 v[134:135], v[3:4], v[131:132]
	v_mul_f64 v[131:132], v[1:2], v[131:132]
	v_fma_f64 v[1:2], v[1:2], v[129:130], -v[134:135]
	v_fma_f64 v[3:4], v[3:4], v[129:130], v[131:132]
	buffer_store_dword v2, off, s[0:3], 0 offset:36
	buffer_store_dword v1, off, s[0:3], 0 offset:32
	;; [unrolled: 1-line block ×4, first 2 shown]
.LBB124_803:
	s_or_b32 exec_lo, exec_lo, s4
	v_mov_b32_e32 v4, s69
	v_cmp_lt_u32_e64 s4, 1, v0
	s_clause 0x3
	buffer_load_dword v1, v4, s[0:3], 0 offen
	buffer_load_dword v2, v4, s[0:3], 0 offen offset:4
	buffer_load_dword v3, v4, s[0:3], 0 offen offset:8
	;; [unrolled: 1-line block ×3, first 2 shown]
	s_waitcnt vmcnt(0)
	ds_write_b128 v128, v[1:4]
	s_waitcnt lgkmcnt(0)
	s_waitcnt_vscnt null, 0x0
	s_barrier
	buffer_gl0_inv
	s_and_saveexec_b32 s5, s4
	s_cbranch_execz .LBB124_817
; %bb.804:
	ds_read_b128 v[1:4], v128
	s_andn2_b32 vcc_lo, exec_lo, s7
	s_cbranch_vccnz .LBB124_806
; %bb.805:
	s_clause 0x3
	buffer_load_dword v129, v127, s[0:3], 0 offen offset:8
	buffer_load_dword v130, v127, s[0:3], 0 offen offset:12
	buffer_load_dword v131, v127, s[0:3], 0 offen
	buffer_load_dword v132, v127, s[0:3], 0 offen offset:4
	s_waitcnt vmcnt(2) lgkmcnt(0)
	v_mul_f64 v[134:135], v[3:4], v[129:130]
	v_mul_f64 v[129:130], v[1:2], v[129:130]
	s_waitcnt vmcnt(0)
	v_fma_f64 v[1:2], v[1:2], v[131:132], -v[134:135]
	v_fma_f64 v[3:4], v[3:4], v[131:132], v[129:130]
.LBB124_806:
	s_and_saveexec_b32 s8, s6
	s_cbranch_execz .LBB124_816
; %bb.807:
	v_add_nc_u32_e32 v130, -3, v0
	v_add_nc_u32_e32 v129, -2, v0
	v_mov_b32_e32 v131, 2
	s_mov_b32 s6, exec_lo
	v_cmpx_lt_u32_e32 6, v130
	s_cbranch_execz .LBB124_811
; %bb.808:
	v_and_b32_e32 v130, -8, v129
	s_movk_i32 s71, 0x3f0
	s_mov_b32 s70, 0
	s_mov_b32 s72, s68
	;; [unrolled: 1-line block ×3, first 2 shown]
.LBB124_809:                            ; =>This Inner Loop Header: Depth=1
	v_mov_b32_e32 v134, s72
	v_mov_b32_e32 v180, s71
	s_add_i32 s74, s73, 8
	s_add_i32 s73, s73, 10
	v_cmp_eq_u32_e32 vcc_lo, s74, v130
	s_clause 0x1f
	buffer_load_dword v131, v134, s[0:3], 0 offen offset:8
	buffer_load_dword v132, v134, s[0:3], 0 offen offset:12
	buffer_load_dword v142, v134, s[0:3], 0 offen
	buffer_load_dword v143, v134, s[0:3], 0 offen offset:4
	buffer_load_dword v144, v134, s[0:3], 0 offen offset:24
	buffer_load_dword v145, v134, s[0:3], 0 offen offset:28
	buffer_load_dword v146, v134, s[0:3], 0 offen offset:16
	buffer_load_dword v147, v134, s[0:3], 0 offen offset:20
	buffer_load_dword v148, v134, s[0:3], 0 offen offset:40
	buffer_load_dword v149, v134, s[0:3], 0 offen offset:44
	buffer_load_dword v150, v134, s[0:3], 0 offen offset:32
	buffer_load_dword v151, v134, s[0:3], 0 offen offset:36
	buffer_load_dword v152, v134, s[0:3], 0 offen offset:56
	buffer_load_dword v153, v134, s[0:3], 0 offen offset:60
	buffer_load_dword v154, v134, s[0:3], 0 offen offset:48
	buffer_load_dword v155, v134, s[0:3], 0 offen offset:52
	buffer_load_dword v157, v134, s[0:3], 0 offen offset:76
	buffer_load_dword v158, v134, s[0:3], 0 offen offset:88
	buffer_load_dword v160, v134, s[0:3], 0 offen offset:80
	buffer_load_dword v156, v134, s[0:3], 0 offen offset:72
	buffer_load_dword v161, v134, s[0:3], 0 offen offset:84
	buffer_load_dword v159, v134, s[0:3], 0 offen offset:92
	buffer_load_dword v163, v134, s[0:3], 0 offen offset:68
	buffer_load_dword v162, v134, s[0:3], 0 offen offset:64
	buffer_load_dword v165, v134, s[0:3], 0 offen offset:108
	buffer_load_dword v166, v134, s[0:3], 0 offen offset:120
	buffer_load_dword v168, v134, s[0:3], 0 offen offset:112
	buffer_load_dword v164, v134, s[0:3], 0 offen offset:104
	buffer_load_dword v169, v134, s[0:3], 0 offen offset:116
	buffer_load_dword v167, v134, s[0:3], 0 offen offset:124
	buffer_load_dword v171, v134, s[0:3], 0 offen offset:100
	buffer_load_dword v170, v134, s[0:3], 0 offen offset:96
	ds_read_b128 v[134:137], v180
	ds_read_b128 v[138:141], v180 offset:16
	s_addk_i32 s71, 0x80
	s_addk_i32 s72, 0x80
	s_or_b32 s70, vcc_lo, s70
	s_waitcnt vmcnt(30) lgkmcnt(1)
	v_mul_f64 v[172:173], v[136:137], v[131:132]
	v_mul_f64 v[131:132], v[134:135], v[131:132]
	s_waitcnt vmcnt(26) lgkmcnt(0)
	v_mul_f64 v[174:175], v[140:141], v[144:145]
	v_mul_f64 v[176:177], v[138:139], v[144:145]
	v_fma_f64 v[172:173], v[134:135], v[142:143], -v[172:173]
	v_fma_f64 v[131:132], v[136:137], v[142:143], v[131:132]
	ds_read_b128 v[134:137], v180 offset:32
	ds_read_b128 v[142:145], v180 offset:48
	s_waitcnt vmcnt(24)
	v_fma_f64 v[138:139], v[138:139], v[146:147], -v[174:175]
	v_fma_f64 v[140:141], v[140:141], v[146:147], v[176:177]
	s_waitcnt vmcnt(22) lgkmcnt(1)
	v_mul_f64 v[178:179], v[136:137], v[148:149]
	v_mul_f64 v[148:149], v[134:135], v[148:149]
	v_add_f64 v[1:2], v[1:2], v[172:173]
	v_add_f64 v[3:4], v[3:4], v[131:132]
	s_waitcnt vmcnt(18) lgkmcnt(0)
	v_mul_f64 v[131:132], v[144:145], v[152:153]
	v_mul_f64 v[146:147], v[142:143], v[152:153]
	v_fma_f64 v[152:153], v[134:135], v[150:151], -v[178:179]
	v_fma_f64 v[148:149], v[136:137], v[150:151], v[148:149]
	v_add_f64 v[138:139], v[1:2], v[138:139]
	v_add_f64 v[140:141], v[3:4], v[140:141]
	ds_read_b128 v[1:4], v180 offset:64
	ds_read_b128 v[134:137], v180 offset:80
	s_waitcnt vmcnt(16)
	v_fma_f64 v[131:132], v[142:143], v[154:155], -v[131:132]
	v_fma_f64 v[142:143], v[144:145], v[154:155], v[146:147]
	s_waitcnt vmcnt(12) lgkmcnt(1)
	v_mul_f64 v[150:151], v[3:4], v[156:157]
	v_mul_f64 v[156:157], v[1:2], v[156:157]
	v_add_f64 v[138:139], v[138:139], v[152:153]
	v_add_f64 v[140:141], v[140:141], v[148:149]
	s_waitcnt vmcnt(10) lgkmcnt(0)
	v_mul_f64 v[144:145], v[136:137], v[158:159]
	v_mul_f64 v[146:147], v[134:135], v[158:159]
	s_waitcnt vmcnt(8)
	v_fma_f64 v[148:149], v[1:2], v[162:163], -v[150:151]
	v_fma_f64 v[150:151], v[3:4], v[162:163], v[156:157]
	v_add_f64 v[131:132], v[138:139], v[131:132]
	v_add_f64 v[142:143], v[140:141], v[142:143]
	ds_read_b128 v[1:4], v180 offset:96
	ds_read_b128 v[138:141], v180 offset:112
	v_fma_f64 v[134:135], v[134:135], v[160:161], -v[144:145]
	v_fma_f64 v[136:137], v[136:137], v[160:161], v[146:147]
	s_waitcnt vmcnt(4) lgkmcnt(1)
	v_mul_f64 v[152:153], v[3:4], v[164:165]
	v_mul_f64 v[154:155], v[1:2], v[164:165]
	v_add_f64 v[131:132], v[131:132], v[148:149]
	v_add_f64 v[142:143], v[142:143], v[150:151]
	s_waitcnt vmcnt(2) lgkmcnt(0)
	v_mul_f64 v[144:145], v[140:141], v[166:167]
	v_mul_f64 v[146:147], v[138:139], v[166:167]
	s_waitcnt vmcnt(0)
	v_fma_f64 v[1:2], v[1:2], v[170:171], -v[152:153]
	v_fma_f64 v[3:4], v[3:4], v[170:171], v[154:155]
	v_add_f64 v[131:132], v[131:132], v[134:135]
	v_add_f64 v[134:135], v[142:143], v[136:137]
	v_fma_f64 v[136:137], v[138:139], v[168:169], -v[144:145]
	v_fma_f64 v[138:139], v[140:141], v[168:169], v[146:147]
	v_add_f64 v[1:2], v[131:132], v[1:2]
	v_add_f64 v[3:4], v[134:135], v[3:4]
	v_mov_b32_e32 v131, s73
	s_mov_b32 s73, s74
	v_add_f64 v[1:2], v[1:2], v[136:137]
	v_add_f64 v[3:4], v[3:4], v[138:139]
	s_andn2_b32 exec_lo, exec_lo, s70
	s_cbranch_execnz .LBB124_809
; %bb.810:
	s_or_b32 exec_lo, exec_lo, s70
.LBB124_811:
	s_or_b32 exec_lo, exec_lo, s6
	v_and_b32_e32 v129, 7, v129
	s_mov_b32 s70, 0
	s_mov_b32 s6, exec_lo
	v_cmpx_ne_u32_e32 0, v129
	s_cbranch_execz .LBB124_815
; %bb.812:
	v_lshlrev_b32_e32 v131, 4, v131
	v_add_nc_u32_e32 v130, 0x3d0, v131
	.p2align	6
.LBB124_813:                            ; =>This Inner Loop Header: Depth=1
	s_clause 0x3
	buffer_load_dword v138, v131, s[0:3], 0 offen offset:8
	buffer_load_dword v139, v131, s[0:3], 0 offen offset:12
	buffer_load_dword v140, v131, s[0:3], 0 offen
	buffer_load_dword v141, v131, s[0:3], 0 offen offset:4
	ds_read_b128 v[134:137], v130
	v_add_nc_u32_e32 v129, -1, v129
	v_add_nc_u32_e32 v130, 16, v130
	v_add_nc_u32_e32 v131, 16, v131
	v_cmp_eq_u32_e32 vcc_lo, 0, v129
	s_or_b32 s70, vcc_lo, s70
	s_waitcnt vmcnt(2) lgkmcnt(0)
	v_mul_f64 v[142:143], v[136:137], v[138:139]
	v_mul_f64 v[138:139], v[134:135], v[138:139]
	s_waitcnt vmcnt(0)
	v_fma_f64 v[134:135], v[134:135], v[140:141], -v[142:143]
	v_fma_f64 v[136:137], v[136:137], v[140:141], v[138:139]
	v_add_f64 v[1:2], v[1:2], v[134:135]
	v_add_f64 v[3:4], v[3:4], v[136:137]
	s_andn2_b32 exec_lo, exec_lo, s70
	s_cbranch_execnz .LBB124_813
; %bb.814:
	s_or_b32 exec_lo, exec_lo, s70
.LBB124_815:
	s_or_b32 exec_lo, exec_lo, s6
.LBB124_816:
	s_or_b32 exec_lo, exec_lo, s8
	v_mov_b32_e32 v129, 0
	ds_read_b128 v[129:132], v129 offset:16
	s_waitcnt lgkmcnt(0)
	v_mul_f64 v[134:135], v[3:4], v[131:132]
	v_mul_f64 v[131:132], v[1:2], v[131:132]
	v_fma_f64 v[1:2], v[1:2], v[129:130], -v[134:135]
	v_fma_f64 v[3:4], v[3:4], v[129:130], v[131:132]
	buffer_store_dword v2, off, s[0:3], 0 offset:20
	buffer_store_dword v1, off, s[0:3], 0 offset:16
	;; [unrolled: 1-line block ×4, first 2 shown]
.LBB124_817:
	s_or_b32 exec_lo, exec_lo, s5
	s_clause 0x3
	buffer_load_dword v1, off, s[0:3], 0
	buffer_load_dword v2, off, s[0:3], 0 offset:4
	buffer_load_dword v3, off, s[0:3], 0 offset:8
	;; [unrolled: 1-line block ×3, first 2 shown]
	s_mov_b32 s5, 0
	s_mov_b32 s8, 0
	s_mov_b32 s6, exec_lo
                                        ; implicit-def: $sgpr70
	s_waitcnt vmcnt(0)
	ds_write_b128 v128, v[1:4]
	s_waitcnt lgkmcnt(0)
	s_waitcnt_vscnt null, 0x0
	s_barrier
	buffer_gl0_inv
                                        ; implicit-def: $vgpr1_vgpr2
	v_cmpx_ne_u32_e32 0, v0
	s_cbranch_execz .LBB124_831
; %bb.818:
	ds_read_b128 v[1:4], v128
	s_andn2_b32 vcc_lo, exec_lo, s7
	s_cbranch_vccnz .LBB124_820
; %bb.819:
	s_clause 0x3
	buffer_load_dword v129, v127, s[0:3], 0 offen offset:8
	buffer_load_dword v130, v127, s[0:3], 0 offen offset:12
	buffer_load_dword v131, v127, s[0:3], 0 offen
	buffer_load_dword v132, v127, s[0:3], 0 offen offset:4
	s_waitcnt vmcnt(2) lgkmcnt(0)
	v_mul_f64 v[134:135], v[3:4], v[129:130]
	v_mul_f64 v[129:130], v[1:2], v[129:130]
	s_waitcnt vmcnt(0)
	v_fma_f64 v[1:2], v[1:2], v[131:132], -v[134:135]
	v_fma_f64 v[3:4], v[3:4], v[131:132], v[129:130]
.LBB124_820:
	s_and_saveexec_b32 s8, s4
	s_cbranch_execz .LBB124_830
; %bb.821:
	v_add_nc_u32_e32 v130, -2, v0
	v_add_nc_u32_e32 v129, -1, v0
	v_mov_b32_e32 v131, 1
	s_mov_b32 s4, exec_lo
	v_cmpx_lt_u32_e32 6, v130
	s_cbranch_execz .LBB124_825
; %bb.822:
	v_and_b32_e32 v130, -8, v129
	s_movk_i32 s71, 0x3e0
	s_mov_b32 s70, 0
	s_mov_b32 s72, s69
	s_mov_b32 s73, 0
.LBB124_823:                            ; =>This Inner Loop Header: Depth=1
	v_mov_b32_e32 v134, s72
	v_mov_b32_e32 v180, s71
	s_add_i32 s74, s73, 8
	s_add_i32 s73, s73, 9
	v_cmp_eq_u32_e32 vcc_lo, s74, v130
	s_clause 0x1f
	buffer_load_dword v131, v134, s[0:3], 0 offen offset:8
	buffer_load_dword v132, v134, s[0:3], 0 offen offset:12
	buffer_load_dword v142, v134, s[0:3], 0 offen
	buffer_load_dword v143, v134, s[0:3], 0 offen offset:4
	buffer_load_dword v144, v134, s[0:3], 0 offen offset:24
	;; [unrolled: 1-line block ×29, first 2 shown]
	ds_read_b128 v[134:137], v180
	ds_read_b128 v[138:141], v180 offset:16
	s_addk_i32 s71, 0x80
	s_addk_i32 s72, 0x80
	s_or_b32 s70, vcc_lo, s70
	s_waitcnt vmcnt(30) lgkmcnt(1)
	v_mul_f64 v[172:173], v[136:137], v[131:132]
	v_mul_f64 v[131:132], v[134:135], v[131:132]
	s_waitcnt vmcnt(26) lgkmcnt(0)
	v_mul_f64 v[174:175], v[140:141], v[144:145]
	v_mul_f64 v[176:177], v[138:139], v[144:145]
	v_fma_f64 v[172:173], v[134:135], v[142:143], -v[172:173]
	v_fma_f64 v[131:132], v[136:137], v[142:143], v[131:132]
	ds_read_b128 v[134:137], v180 offset:32
	ds_read_b128 v[142:145], v180 offset:48
	s_waitcnt vmcnt(24)
	v_fma_f64 v[138:139], v[138:139], v[146:147], -v[174:175]
	v_fma_f64 v[140:141], v[140:141], v[146:147], v[176:177]
	s_waitcnt vmcnt(22) lgkmcnt(1)
	v_mul_f64 v[178:179], v[136:137], v[148:149]
	v_mul_f64 v[148:149], v[134:135], v[148:149]
	v_add_f64 v[1:2], v[1:2], v[172:173]
	v_add_f64 v[3:4], v[3:4], v[131:132]
	s_waitcnt vmcnt(18) lgkmcnt(0)
	v_mul_f64 v[131:132], v[144:145], v[152:153]
	v_mul_f64 v[146:147], v[142:143], v[152:153]
	v_fma_f64 v[152:153], v[134:135], v[150:151], -v[178:179]
	v_fma_f64 v[148:149], v[136:137], v[150:151], v[148:149]
	v_add_f64 v[138:139], v[1:2], v[138:139]
	v_add_f64 v[140:141], v[3:4], v[140:141]
	ds_read_b128 v[1:4], v180 offset:64
	ds_read_b128 v[134:137], v180 offset:80
	s_waitcnt vmcnt(16)
	v_fma_f64 v[131:132], v[142:143], v[154:155], -v[131:132]
	v_fma_f64 v[142:143], v[144:145], v[154:155], v[146:147]
	s_waitcnt vmcnt(12) lgkmcnt(1)
	v_mul_f64 v[150:151], v[3:4], v[156:157]
	v_mul_f64 v[156:157], v[1:2], v[156:157]
	v_add_f64 v[138:139], v[138:139], v[152:153]
	v_add_f64 v[140:141], v[140:141], v[148:149]
	s_waitcnt vmcnt(10) lgkmcnt(0)
	v_mul_f64 v[144:145], v[136:137], v[158:159]
	v_mul_f64 v[146:147], v[134:135], v[158:159]
	s_waitcnt vmcnt(8)
	v_fma_f64 v[148:149], v[1:2], v[162:163], -v[150:151]
	v_fma_f64 v[150:151], v[3:4], v[162:163], v[156:157]
	v_add_f64 v[131:132], v[138:139], v[131:132]
	v_add_f64 v[142:143], v[140:141], v[142:143]
	ds_read_b128 v[1:4], v180 offset:96
	ds_read_b128 v[138:141], v180 offset:112
	v_fma_f64 v[134:135], v[134:135], v[160:161], -v[144:145]
	v_fma_f64 v[136:137], v[136:137], v[160:161], v[146:147]
	s_waitcnt vmcnt(4) lgkmcnt(1)
	v_mul_f64 v[152:153], v[3:4], v[164:165]
	v_mul_f64 v[154:155], v[1:2], v[164:165]
	v_add_f64 v[131:132], v[131:132], v[148:149]
	v_add_f64 v[142:143], v[142:143], v[150:151]
	s_waitcnt vmcnt(2) lgkmcnt(0)
	v_mul_f64 v[144:145], v[140:141], v[166:167]
	v_mul_f64 v[146:147], v[138:139], v[166:167]
	s_waitcnt vmcnt(0)
	v_fma_f64 v[1:2], v[1:2], v[170:171], -v[152:153]
	v_fma_f64 v[3:4], v[3:4], v[170:171], v[154:155]
	v_add_f64 v[131:132], v[131:132], v[134:135]
	v_add_f64 v[134:135], v[142:143], v[136:137]
	v_fma_f64 v[136:137], v[138:139], v[168:169], -v[144:145]
	v_fma_f64 v[138:139], v[140:141], v[168:169], v[146:147]
	v_add_f64 v[1:2], v[131:132], v[1:2]
	v_add_f64 v[3:4], v[134:135], v[3:4]
	v_mov_b32_e32 v131, s73
	s_mov_b32 s73, s74
	v_add_f64 v[1:2], v[1:2], v[136:137]
	v_add_f64 v[3:4], v[3:4], v[138:139]
	s_andn2_b32 exec_lo, exec_lo, s70
	s_cbranch_execnz .LBB124_823
; %bb.824:
	s_or_b32 exec_lo, exec_lo, s70
.LBB124_825:
	s_or_b32 exec_lo, exec_lo, s4
	v_and_b32_e32 v129, 7, v129
	s_mov_b32 s70, 0
	s_mov_b32 s4, exec_lo
	v_cmpx_ne_u32_e32 0, v129
	s_cbranch_execz .LBB124_829
; %bb.826:
	v_lshlrev_b32_e32 v131, 4, v131
	v_add_nc_u32_e32 v130, 0x3d0, v131
	.p2align	6
.LBB124_827:                            ; =>This Inner Loop Header: Depth=1
	s_clause 0x3
	buffer_load_dword v138, v131, s[0:3], 0 offen offset:8
	buffer_load_dword v139, v131, s[0:3], 0 offen offset:12
	buffer_load_dword v140, v131, s[0:3], 0 offen
	buffer_load_dword v141, v131, s[0:3], 0 offen offset:4
	ds_read_b128 v[134:137], v130
	v_add_nc_u32_e32 v129, -1, v129
	v_add_nc_u32_e32 v130, 16, v130
	v_add_nc_u32_e32 v131, 16, v131
	v_cmp_eq_u32_e32 vcc_lo, 0, v129
	s_or_b32 s70, vcc_lo, s70
	s_waitcnt vmcnt(2) lgkmcnt(0)
	v_mul_f64 v[142:143], v[136:137], v[138:139]
	v_mul_f64 v[138:139], v[134:135], v[138:139]
	s_waitcnt vmcnt(0)
	v_fma_f64 v[134:135], v[134:135], v[140:141], -v[142:143]
	v_fma_f64 v[136:137], v[136:137], v[140:141], v[138:139]
	v_add_f64 v[1:2], v[1:2], v[134:135]
	v_add_f64 v[3:4], v[3:4], v[136:137]
	s_andn2_b32 exec_lo, exec_lo, s70
	s_cbranch_execnz .LBB124_827
; %bb.828:
	s_or_b32 exec_lo, exec_lo, s70
.LBB124_829:
	s_or_b32 exec_lo, exec_lo, s4
.LBB124_830:
	s_or_b32 exec_lo, exec_lo, s8
	v_mov_b32_e32 v129, 0
	s_mov_b32 s8, exec_lo
	s_or_b32 s70, 0, 8
	ds_read_b128 v[129:132], v129
	s_waitcnt lgkmcnt(0)
	v_mul_f64 v[134:135], v[3:4], v[131:132]
	v_mul_f64 v[131:132], v[1:2], v[131:132]
	v_fma_f64 v[134:135], v[1:2], v[129:130], -v[134:135]
	v_fma_f64 v[1:2], v[3:4], v[129:130], v[131:132]
	buffer_store_dword v135, off, s[0:3], 0 offset:4
	buffer_store_dword v134, off, s[0:3], 0
.LBB124_831:
	s_or_b32 exec_lo, exec_lo, s6
	s_and_b32 vcc_lo, exec_lo, s5
	s_cbranch_vccnz .LBB124_833
	s_branch .LBB124_1320
.LBB124_832:
	s_mov_b32 s8, 0
                                        ; implicit-def: $vgpr1_vgpr2
                                        ; implicit-def: $sgpr70
	s_cbranch_execz .LBB124_1320
.LBB124_833:
	v_mov_b32_e32 v4, s69
	v_cmp_eq_u32_e64 s4, 0, v0
	v_cndmask_b32_e64 v129, 0, 1, s7
	s_clause 0x3
	buffer_load_dword v1, v4, s[0:3], 0 offen
	buffer_load_dword v2, v4, s[0:3], 0 offen offset:4
	buffer_load_dword v3, v4, s[0:3], 0 offen offset:8
	;; [unrolled: 1-line block ×3, first 2 shown]
	s_waitcnt vmcnt(0)
	ds_write_b128 v128, v[1:4]
	s_waitcnt lgkmcnt(0)
	s_waitcnt_vscnt null, 0x0
	s_barrier
	buffer_gl0_inv
	s_and_saveexec_b32 s5, s4
	s_cbranch_execz .LBB124_837
; %bb.834:
	ds_read_b128 v[1:4], v128
	s_andn2_b32 vcc_lo, exec_lo, s7
	s_cbranch_vccnz .LBB124_836
; %bb.835:
	s_clause 0x3
	buffer_load_dword v130, v127, s[0:3], 0 offen offset:8
	buffer_load_dword v131, v127, s[0:3], 0 offen offset:12
	buffer_load_dword v134, v127, s[0:3], 0 offen
	buffer_load_dword v135, v127, s[0:3], 0 offen offset:4
	s_waitcnt vmcnt(2) lgkmcnt(0)
	v_mul_f64 v[136:137], v[3:4], v[130:131]
	v_mul_f64 v[130:131], v[1:2], v[130:131]
	s_waitcnt vmcnt(0)
	v_fma_f64 v[1:2], v[1:2], v[134:135], -v[136:137]
	v_fma_f64 v[3:4], v[3:4], v[134:135], v[130:131]
.LBB124_836:
	v_mov_b32_e32 v130, 0
	ds_read_b128 v[134:137], v130 offset:16
	s_waitcnt lgkmcnt(0)
	v_mul_f64 v[130:131], v[3:4], v[136:137]
	v_mul_f64 v[136:137], v[1:2], v[136:137]
	v_fma_f64 v[1:2], v[1:2], v[134:135], -v[130:131]
	v_fma_f64 v[3:4], v[3:4], v[134:135], v[136:137]
	buffer_store_dword v2, off, s[0:3], 0 offset:20
	buffer_store_dword v1, off, s[0:3], 0 offset:16
	;; [unrolled: 1-line block ×4, first 2 shown]
.LBB124_837:
	s_or_b32 exec_lo, exec_lo, s5
	v_mov_b32_e32 v4, s68
	s_mov_b32 s5, exec_lo
	s_clause 0x3
	buffer_load_dword v1, v4, s[0:3], 0 offen
	buffer_load_dword v2, v4, s[0:3], 0 offen offset:4
	buffer_load_dword v3, v4, s[0:3], 0 offen offset:8
	;; [unrolled: 1-line block ×3, first 2 shown]
	s_waitcnt vmcnt(0)
	ds_write_b128 v128, v[1:4]
	s_waitcnt lgkmcnt(0)
	s_waitcnt_vscnt null, 0x0
	s_barrier
	buffer_gl0_inv
	v_cmpx_gt_u32_e32 2, v0
	s_cbranch_execz .LBB124_843
; %bb.838:
	ds_read_b128 v[1:4], v128
	v_cmp_ne_u32_e32 vcc_lo, 1, v129
	s_cbranch_vccnz .LBB124_840
; %bb.839:
	s_clause 0x3
	buffer_load_dword v130, v127, s[0:3], 0 offen offset:8
	buffer_load_dword v131, v127, s[0:3], 0 offen offset:12
	buffer_load_dword v134, v127, s[0:3], 0 offen
	buffer_load_dword v135, v127, s[0:3], 0 offen offset:4
	s_waitcnt vmcnt(2) lgkmcnt(0)
	v_mul_f64 v[136:137], v[3:4], v[130:131]
	v_mul_f64 v[130:131], v[1:2], v[130:131]
	s_waitcnt vmcnt(0)
	v_fma_f64 v[1:2], v[1:2], v[134:135], -v[136:137]
	v_fma_f64 v[3:4], v[3:4], v[134:135], v[130:131]
.LBB124_840:
	s_and_saveexec_b32 s6, s4
	s_cbranch_execz .LBB124_842
; %bb.841:
	s_clause 0x3
	buffer_load_dword v130, off, s[0:3], 0 offset:24
	buffer_load_dword v131, off, s[0:3], 0 offset:28
	;; [unrolled: 1-line block ×4, first 2 shown]
	v_mov_b32_e32 v132, 0
	ds_read_b128 v[134:137], v132 offset:992
	s_waitcnt vmcnt(2) lgkmcnt(0)
	v_mul_f64 v[140:141], v[136:137], v[130:131]
	v_mul_f64 v[130:131], v[134:135], v[130:131]
	s_waitcnt vmcnt(0)
	v_fma_f64 v[134:135], v[134:135], v[138:139], -v[140:141]
	v_fma_f64 v[130:131], v[136:137], v[138:139], v[130:131]
	v_add_f64 v[1:2], v[1:2], v[134:135]
	v_add_f64 v[3:4], v[3:4], v[130:131]
.LBB124_842:
	s_or_b32 exec_lo, exec_lo, s6
	v_mov_b32_e32 v130, 0
	ds_read_b128 v[134:137], v130 offset:32
	s_waitcnt lgkmcnt(0)
	v_mul_f64 v[130:131], v[3:4], v[136:137]
	v_mul_f64 v[136:137], v[1:2], v[136:137]
	v_fma_f64 v[1:2], v[1:2], v[134:135], -v[130:131]
	v_fma_f64 v[3:4], v[3:4], v[134:135], v[136:137]
	buffer_store_dword v2, off, s[0:3], 0 offset:36
	buffer_store_dword v1, off, s[0:3], 0 offset:32
	;; [unrolled: 1-line block ×4, first 2 shown]
.LBB124_843:
	s_or_b32 exec_lo, exec_lo, s5
	v_mov_b32_e32 v4, s67
	v_cmp_gt_u32_e64 s5, 3, v0
	s_clause 0x3
	buffer_load_dword v1, v4, s[0:3], 0 offen
	buffer_load_dword v2, v4, s[0:3], 0 offen offset:4
	buffer_load_dword v3, v4, s[0:3], 0 offen offset:8
	;; [unrolled: 1-line block ×3, first 2 shown]
	s_waitcnt vmcnt(0)
	ds_write_b128 v128, v[1:4]
	s_waitcnt lgkmcnt(0)
	s_waitcnt_vscnt null, 0x0
	s_barrier
	buffer_gl0_inv
	s_and_saveexec_b32 s6, s5
	s_cbranch_execz .LBB124_851
; %bb.844:
	ds_read_b128 v[1:4], v128
	v_cmp_ne_u32_e32 vcc_lo, 1, v129
	s_cbranch_vccnz .LBB124_846
; %bb.845:
	s_clause 0x3
	buffer_load_dword v130, v127, s[0:3], 0 offen offset:8
	buffer_load_dword v131, v127, s[0:3], 0 offen offset:12
	buffer_load_dword v134, v127, s[0:3], 0 offen
	buffer_load_dword v135, v127, s[0:3], 0 offen offset:4
	s_waitcnt vmcnt(2) lgkmcnt(0)
	v_mul_f64 v[136:137], v[3:4], v[130:131]
	v_mul_f64 v[130:131], v[1:2], v[130:131]
	s_waitcnt vmcnt(0)
	v_fma_f64 v[1:2], v[1:2], v[134:135], -v[136:137]
	v_fma_f64 v[3:4], v[3:4], v[134:135], v[130:131]
.LBB124_846:
	s_mov_b32 s7, exec_lo
	v_cmpx_ne_u32_e32 2, v0
	s_cbranch_execz .LBB124_850
; %bb.847:
	s_clause 0x3
	buffer_load_dword v130, v127, s[0:3], 0 offen offset:24
	buffer_load_dword v131, v127, s[0:3], 0 offen offset:28
	;; [unrolled: 1-line block ×4, first 2 shown]
	ds_read_b128 v[134:137], v128 offset:16
	s_waitcnt vmcnt(2) lgkmcnt(0)
	v_mul_f64 v[140:141], v[136:137], v[130:131]
	v_mul_f64 v[130:131], v[134:135], v[130:131]
	s_waitcnt vmcnt(0)
	v_fma_f64 v[134:135], v[134:135], v[138:139], -v[140:141]
	v_fma_f64 v[130:131], v[136:137], v[138:139], v[130:131]
	v_add_f64 v[1:2], v[1:2], v[134:135]
	v_add_f64 v[3:4], v[3:4], v[130:131]
	s_and_saveexec_b32 s70, s4
	s_cbranch_execz .LBB124_849
; %bb.848:
	s_clause 0x3
	buffer_load_dword v130, off, s[0:3], 0 offset:40
	buffer_load_dword v131, off, s[0:3], 0 offset:44
	;; [unrolled: 1-line block ×4, first 2 shown]
	v_mov_b32_e32 v132, 0
	ds_read_b128 v[134:137], v132 offset:1008
	s_waitcnt vmcnt(2) lgkmcnt(0)
	v_mul_f64 v[140:141], v[134:135], v[130:131]
	v_mul_f64 v[130:131], v[136:137], v[130:131]
	s_waitcnt vmcnt(0)
	v_fma_f64 v[136:137], v[136:137], v[138:139], v[140:141]
	v_fma_f64 v[130:131], v[134:135], v[138:139], -v[130:131]
	v_add_f64 v[3:4], v[3:4], v[136:137]
	v_add_f64 v[1:2], v[1:2], v[130:131]
.LBB124_849:
	s_or_b32 exec_lo, exec_lo, s70
.LBB124_850:
	s_or_b32 exec_lo, exec_lo, s7
	v_mov_b32_e32 v130, 0
	ds_read_b128 v[134:137], v130 offset:48
	s_waitcnt lgkmcnt(0)
	v_mul_f64 v[130:131], v[3:4], v[136:137]
	v_mul_f64 v[136:137], v[1:2], v[136:137]
	v_fma_f64 v[1:2], v[1:2], v[134:135], -v[130:131]
	v_fma_f64 v[3:4], v[3:4], v[134:135], v[136:137]
	buffer_store_dword v2, off, s[0:3], 0 offset:52
	buffer_store_dword v1, off, s[0:3], 0 offset:48
	;; [unrolled: 1-line block ×4, first 2 shown]
.LBB124_851:
	s_or_b32 exec_lo, exec_lo, s6
	v_mov_b32_e32 v4, s66
	s_mov_b32 s6, exec_lo
	s_clause 0x3
	buffer_load_dword v1, v4, s[0:3], 0 offen
	buffer_load_dword v2, v4, s[0:3], 0 offen offset:4
	buffer_load_dword v3, v4, s[0:3], 0 offen offset:8
	;; [unrolled: 1-line block ×3, first 2 shown]
	s_waitcnt vmcnt(0)
	ds_write_b128 v128, v[1:4]
	s_waitcnt lgkmcnt(0)
	s_waitcnt_vscnt null, 0x0
	s_barrier
	buffer_gl0_inv
	v_cmpx_gt_u32_e32 4, v0
	s_cbranch_execz .LBB124_859
; %bb.852:
	ds_read_b128 v[1:4], v128
	v_cmp_ne_u32_e32 vcc_lo, 1, v129
	s_cbranch_vccnz .LBB124_854
; %bb.853:
	s_clause 0x3
	buffer_load_dword v130, v127, s[0:3], 0 offen offset:8
	buffer_load_dword v131, v127, s[0:3], 0 offen offset:12
	buffer_load_dword v134, v127, s[0:3], 0 offen
	buffer_load_dword v135, v127, s[0:3], 0 offen offset:4
	s_waitcnt vmcnt(2) lgkmcnt(0)
	v_mul_f64 v[136:137], v[3:4], v[130:131]
	v_mul_f64 v[130:131], v[1:2], v[130:131]
	s_waitcnt vmcnt(0)
	v_fma_f64 v[1:2], v[1:2], v[134:135], -v[136:137]
	v_fma_f64 v[3:4], v[3:4], v[134:135], v[130:131]
.LBB124_854:
	s_mov_b32 s7, exec_lo
	v_cmpx_ne_u32_e32 3, v0
	s_cbranch_execz .LBB124_858
; %bb.855:
	v_add_nc_u32_e32 v130, 0x3e0, v133
	v_add3_u32 v131, 0, v133, 16
	v_mov_b32_e32 v132, v0
	s_mov_b32 s70, 0
	.p2align	6
.LBB124_856:                            ; =>This Inner Loop Header: Depth=1
	s_clause 0x3
	buffer_load_dword v138, v131, s[0:3], 0 offen offset:8
	buffer_load_dword v139, v131, s[0:3], 0 offen offset:12
	buffer_load_dword v140, v131, s[0:3], 0 offen
	buffer_load_dword v141, v131, s[0:3], 0 offen offset:4
	ds_read_b128 v[134:137], v130
	v_add_nc_u32_e32 v132, 1, v132
	v_add_nc_u32_e32 v130, 16, v130
	;; [unrolled: 1-line block ×3, first 2 shown]
	v_cmp_lt_u32_e32 vcc_lo, 2, v132
	s_or_b32 s70, vcc_lo, s70
	s_waitcnt vmcnt(2) lgkmcnt(0)
	v_mul_f64 v[142:143], v[136:137], v[138:139]
	v_mul_f64 v[138:139], v[134:135], v[138:139]
	s_waitcnt vmcnt(0)
	v_fma_f64 v[134:135], v[134:135], v[140:141], -v[142:143]
	v_fma_f64 v[136:137], v[136:137], v[140:141], v[138:139]
	v_add_f64 v[1:2], v[1:2], v[134:135]
	v_add_f64 v[3:4], v[3:4], v[136:137]
	s_andn2_b32 exec_lo, exec_lo, s70
	s_cbranch_execnz .LBB124_856
; %bb.857:
	s_or_b32 exec_lo, exec_lo, s70
.LBB124_858:
	s_or_b32 exec_lo, exec_lo, s7
	v_mov_b32_e32 v130, 0
	ds_read_b128 v[134:137], v130 offset:64
	s_waitcnt lgkmcnt(0)
	v_mul_f64 v[130:131], v[3:4], v[136:137]
	v_mul_f64 v[136:137], v[1:2], v[136:137]
	v_fma_f64 v[1:2], v[1:2], v[134:135], -v[130:131]
	v_fma_f64 v[3:4], v[3:4], v[134:135], v[136:137]
	buffer_store_dword v2, off, s[0:3], 0 offset:68
	buffer_store_dword v1, off, s[0:3], 0 offset:64
	;; [unrolled: 1-line block ×4, first 2 shown]
.LBB124_859:
	s_or_b32 exec_lo, exec_lo, s6
	v_mov_b32_e32 v4, s65
	v_cmp_gt_u32_e64 s6, 5, v0
	s_clause 0x3
	buffer_load_dword v1, v4, s[0:3], 0 offen
	buffer_load_dword v2, v4, s[0:3], 0 offen offset:4
	buffer_load_dword v3, v4, s[0:3], 0 offen offset:8
	;; [unrolled: 1-line block ×3, first 2 shown]
	s_waitcnt vmcnt(0)
	ds_write_b128 v128, v[1:4]
	s_waitcnt lgkmcnt(0)
	s_waitcnt_vscnt null, 0x0
	s_barrier
	buffer_gl0_inv
	s_and_saveexec_b32 s7, s6
	s_cbranch_execz .LBB124_867
; %bb.860:
	ds_read_b128 v[1:4], v128
	v_cmp_ne_u32_e32 vcc_lo, 1, v129
	s_cbranch_vccnz .LBB124_862
; %bb.861:
	s_clause 0x3
	buffer_load_dword v130, v127, s[0:3], 0 offen offset:8
	buffer_load_dword v131, v127, s[0:3], 0 offen offset:12
	buffer_load_dword v134, v127, s[0:3], 0 offen
	buffer_load_dword v135, v127, s[0:3], 0 offen offset:4
	s_waitcnt vmcnt(2) lgkmcnt(0)
	v_mul_f64 v[136:137], v[3:4], v[130:131]
	v_mul_f64 v[130:131], v[1:2], v[130:131]
	s_waitcnt vmcnt(0)
	v_fma_f64 v[1:2], v[1:2], v[134:135], -v[136:137]
	v_fma_f64 v[3:4], v[3:4], v[134:135], v[130:131]
.LBB124_862:
	s_mov_b32 s70, exec_lo
	v_cmpx_ne_u32_e32 4, v0
	s_cbranch_execz .LBB124_866
; %bb.863:
	v_add_nc_u32_e32 v130, 0x3e0, v133
	v_add3_u32 v131, 0, v133, 16
	v_mov_b32_e32 v132, v0
	s_mov_b32 s71, 0
	.p2align	6
.LBB124_864:                            ; =>This Inner Loop Header: Depth=1
	s_clause 0x3
	buffer_load_dword v138, v131, s[0:3], 0 offen offset:8
	buffer_load_dword v139, v131, s[0:3], 0 offen offset:12
	buffer_load_dword v140, v131, s[0:3], 0 offen
	buffer_load_dword v141, v131, s[0:3], 0 offen offset:4
	ds_read_b128 v[134:137], v130
	v_add_nc_u32_e32 v132, 1, v132
	v_add_nc_u32_e32 v130, 16, v130
	;; [unrolled: 1-line block ×3, first 2 shown]
	v_cmp_lt_u32_e32 vcc_lo, 3, v132
	s_or_b32 s71, vcc_lo, s71
	s_waitcnt vmcnt(2) lgkmcnt(0)
	v_mul_f64 v[142:143], v[136:137], v[138:139]
	v_mul_f64 v[138:139], v[134:135], v[138:139]
	s_waitcnt vmcnt(0)
	v_fma_f64 v[134:135], v[134:135], v[140:141], -v[142:143]
	v_fma_f64 v[136:137], v[136:137], v[140:141], v[138:139]
	v_add_f64 v[1:2], v[1:2], v[134:135]
	v_add_f64 v[3:4], v[3:4], v[136:137]
	s_andn2_b32 exec_lo, exec_lo, s71
	s_cbranch_execnz .LBB124_864
; %bb.865:
	s_or_b32 exec_lo, exec_lo, s71
.LBB124_866:
	s_or_b32 exec_lo, exec_lo, s70
	v_mov_b32_e32 v130, 0
	ds_read_b128 v[134:137], v130 offset:80
	s_waitcnt lgkmcnt(0)
	v_mul_f64 v[130:131], v[3:4], v[136:137]
	v_mul_f64 v[136:137], v[1:2], v[136:137]
	v_fma_f64 v[1:2], v[1:2], v[134:135], -v[130:131]
	v_fma_f64 v[3:4], v[3:4], v[134:135], v[136:137]
	buffer_store_dword v2, off, s[0:3], 0 offset:84
	buffer_store_dword v1, off, s[0:3], 0 offset:80
	;; [unrolled: 1-line block ×4, first 2 shown]
.LBB124_867:
	s_or_b32 exec_lo, exec_lo, s7
	v_mov_b32_e32 v4, s64
	s_mov_b32 s7, exec_lo
	s_clause 0x3
	buffer_load_dword v1, v4, s[0:3], 0 offen
	buffer_load_dword v2, v4, s[0:3], 0 offen offset:4
	buffer_load_dword v3, v4, s[0:3], 0 offen offset:8
	;; [unrolled: 1-line block ×3, first 2 shown]
	s_waitcnt vmcnt(0)
	ds_write_b128 v128, v[1:4]
	s_waitcnt lgkmcnt(0)
	s_waitcnt_vscnt null, 0x0
	s_barrier
	buffer_gl0_inv
	v_cmpx_gt_u32_e32 6, v0
	s_cbranch_execz .LBB124_875
; %bb.868:
	ds_read_b128 v[1:4], v128
	v_cmp_ne_u32_e32 vcc_lo, 1, v129
	s_cbranch_vccnz .LBB124_870
; %bb.869:
	s_clause 0x3
	buffer_load_dword v130, v127, s[0:3], 0 offen offset:8
	buffer_load_dword v131, v127, s[0:3], 0 offen offset:12
	buffer_load_dword v134, v127, s[0:3], 0 offen
	buffer_load_dword v135, v127, s[0:3], 0 offen offset:4
	s_waitcnt vmcnt(2) lgkmcnt(0)
	v_mul_f64 v[136:137], v[3:4], v[130:131]
	v_mul_f64 v[130:131], v[1:2], v[130:131]
	s_waitcnt vmcnt(0)
	v_fma_f64 v[1:2], v[1:2], v[134:135], -v[136:137]
	v_fma_f64 v[3:4], v[3:4], v[134:135], v[130:131]
.LBB124_870:
	s_mov_b32 s70, exec_lo
	v_cmpx_ne_u32_e32 5, v0
	s_cbranch_execz .LBB124_874
; %bb.871:
	v_add_nc_u32_e32 v130, 0x3e0, v133
	v_add3_u32 v131, 0, v133, 16
	v_mov_b32_e32 v132, v0
	s_mov_b32 s71, 0
	.p2align	6
.LBB124_872:                            ; =>This Inner Loop Header: Depth=1
	s_clause 0x3
	buffer_load_dword v138, v131, s[0:3], 0 offen offset:8
	buffer_load_dword v139, v131, s[0:3], 0 offen offset:12
	buffer_load_dword v140, v131, s[0:3], 0 offen
	buffer_load_dword v141, v131, s[0:3], 0 offen offset:4
	ds_read_b128 v[134:137], v130
	v_add_nc_u32_e32 v132, 1, v132
	v_add_nc_u32_e32 v130, 16, v130
	v_add_nc_u32_e32 v131, 16, v131
	v_cmp_lt_u32_e32 vcc_lo, 4, v132
	s_or_b32 s71, vcc_lo, s71
	s_waitcnt vmcnt(2) lgkmcnt(0)
	v_mul_f64 v[142:143], v[136:137], v[138:139]
	v_mul_f64 v[138:139], v[134:135], v[138:139]
	s_waitcnt vmcnt(0)
	v_fma_f64 v[134:135], v[134:135], v[140:141], -v[142:143]
	v_fma_f64 v[136:137], v[136:137], v[140:141], v[138:139]
	v_add_f64 v[1:2], v[1:2], v[134:135]
	v_add_f64 v[3:4], v[3:4], v[136:137]
	s_andn2_b32 exec_lo, exec_lo, s71
	s_cbranch_execnz .LBB124_872
; %bb.873:
	s_or_b32 exec_lo, exec_lo, s71
.LBB124_874:
	s_or_b32 exec_lo, exec_lo, s70
	v_mov_b32_e32 v130, 0
	ds_read_b128 v[134:137], v130 offset:96
	s_waitcnt lgkmcnt(0)
	v_mul_f64 v[130:131], v[3:4], v[136:137]
	v_mul_f64 v[136:137], v[1:2], v[136:137]
	v_fma_f64 v[1:2], v[1:2], v[134:135], -v[130:131]
	v_fma_f64 v[3:4], v[3:4], v[134:135], v[136:137]
	buffer_store_dword v2, off, s[0:3], 0 offset:100
	buffer_store_dword v1, off, s[0:3], 0 offset:96
	;; [unrolled: 1-line block ×4, first 2 shown]
.LBB124_875:
	s_or_b32 exec_lo, exec_lo, s7
	v_mov_b32_e32 v4, s63
	v_cmp_gt_u32_e64 s7, 7, v0
	s_clause 0x3
	buffer_load_dword v1, v4, s[0:3], 0 offen
	buffer_load_dword v2, v4, s[0:3], 0 offen offset:4
	buffer_load_dword v3, v4, s[0:3], 0 offen offset:8
	;; [unrolled: 1-line block ×3, first 2 shown]
	s_waitcnt vmcnt(0)
	ds_write_b128 v128, v[1:4]
	s_waitcnt lgkmcnt(0)
	s_waitcnt_vscnt null, 0x0
	s_barrier
	buffer_gl0_inv
	s_and_saveexec_b32 s70, s7
	s_cbranch_execz .LBB124_883
; %bb.876:
	ds_read_b128 v[1:4], v128
	v_cmp_ne_u32_e32 vcc_lo, 1, v129
	s_cbranch_vccnz .LBB124_878
; %bb.877:
	s_clause 0x3
	buffer_load_dword v130, v127, s[0:3], 0 offen offset:8
	buffer_load_dword v131, v127, s[0:3], 0 offen offset:12
	buffer_load_dword v134, v127, s[0:3], 0 offen
	buffer_load_dword v135, v127, s[0:3], 0 offen offset:4
	s_waitcnt vmcnt(2) lgkmcnt(0)
	v_mul_f64 v[136:137], v[3:4], v[130:131]
	v_mul_f64 v[130:131], v[1:2], v[130:131]
	s_waitcnt vmcnt(0)
	v_fma_f64 v[1:2], v[1:2], v[134:135], -v[136:137]
	v_fma_f64 v[3:4], v[3:4], v[134:135], v[130:131]
.LBB124_878:
	s_mov_b32 s71, exec_lo
	v_cmpx_ne_u32_e32 6, v0
	s_cbranch_execz .LBB124_882
; %bb.879:
	v_add_nc_u32_e32 v130, 0x3e0, v133
	v_add3_u32 v131, 0, v133, 16
	v_mov_b32_e32 v132, v0
	s_mov_b32 s72, 0
	.p2align	6
.LBB124_880:                            ; =>This Inner Loop Header: Depth=1
	s_clause 0x3
	buffer_load_dword v138, v131, s[0:3], 0 offen offset:8
	buffer_load_dword v139, v131, s[0:3], 0 offen offset:12
	buffer_load_dword v140, v131, s[0:3], 0 offen
	buffer_load_dword v141, v131, s[0:3], 0 offen offset:4
	ds_read_b128 v[134:137], v130
	v_add_nc_u32_e32 v132, 1, v132
	v_add_nc_u32_e32 v130, 16, v130
	;; [unrolled: 1-line block ×3, first 2 shown]
	v_cmp_lt_u32_e32 vcc_lo, 5, v132
	s_or_b32 s72, vcc_lo, s72
	s_waitcnt vmcnt(2) lgkmcnt(0)
	v_mul_f64 v[142:143], v[136:137], v[138:139]
	v_mul_f64 v[138:139], v[134:135], v[138:139]
	s_waitcnt vmcnt(0)
	v_fma_f64 v[134:135], v[134:135], v[140:141], -v[142:143]
	v_fma_f64 v[136:137], v[136:137], v[140:141], v[138:139]
	v_add_f64 v[1:2], v[1:2], v[134:135]
	v_add_f64 v[3:4], v[3:4], v[136:137]
	s_andn2_b32 exec_lo, exec_lo, s72
	s_cbranch_execnz .LBB124_880
; %bb.881:
	s_or_b32 exec_lo, exec_lo, s72
.LBB124_882:
	s_or_b32 exec_lo, exec_lo, s71
	v_mov_b32_e32 v130, 0
	ds_read_b128 v[134:137], v130 offset:112
	s_waitcnt lgkmcnt(0)
	v_mul_f64 v[130:131], v[3:4], v[136:137]
	v_mul_f64 v[136:137], v[1:2], v[136:137]
	v_fma_f64 v[1:2], v[1:2], v[134:135], -v[130:131]
	v_fma_f64 v[3:4], v[3:4], v[134:135], v[136:137]
	buffer_store_dword v2, off, s[0:3], 0 offset:116
	buffer_store_dword v1, off, s[0:3], 0 offset:112
	;; [unrolled: 1-line block ×4, first 2 shown]
.LBB124_883:
	s_or_b32 exec_lo, exec_lo, s70
	v_mov_b32_e32 v4, s62
	s_mov_b32 s70, exec_lo
	s_clause 0x3
	buffer_load_dword v1, v4, s[0:3], 0 offen
	buffer_load_dword v2, v4, s[0:3], 0 offen offset:4
	buffer_load_dword v3, v4, s[0:3], 0 offen offset:8
	;; [unrolled: 1-line block ×3, first 2 shown]
	s_waitcnt vmcnt(0)
	ds_write_b128 v128, v[1:4]
	s_waitcnt lgkmcnt(0)
	s_waitcnt_vscnt null, 0x0
	s_barrier
	buffer_gl0_inv
	v_cmpx_gt_u32_e32 8, v0
	s_cbranch_execz .LBB124_891
; %bb.884:
	ds_read_b128 v[1:4], v128
	v_cmp_ne_u32_e32 vcc_lo, 1, v129
	s_cbranch_vccnz .LBB124_886
; %bb.885:
	s_clause 0x3
	buffer_load_dword v130, v127, s[0:3], 0 offen offset:8
	buffer_load_dword v131, v127, s[0:3], 0 offen offset:12
	buffer_load_dword v134, v127, s[0:3], 0 offen
	buffer_load_dword v135, v127, s[0:3], 0 offen offset:4
	s_waitcnt vmcnt(2) lgkmcnt(0)
	v_mul_f64 v[136:137], v[3:4], v[130:131]
	v_mul_f64 v[130:131], v[1:2], v[130:131]
	s_waitcnt vmcnt(0)
	v_fma_f64 v[1:2], v[1:2], v[134:135], -v[136:137]
	v_fma_f64 v[3:4], v[3:4], v[134:135], v[130:131]
.LBB124_886:
	s_mov_b32 s71, exec_lo
	v_cmpx_ne_u32_e32 7, v0
	s_cbranch_execz .LBB124_890
; %bb.887:
	v_add_nc_u32_e32 v130, 0x3e0, v133
	v_add3_u32 v131, 0, v133, 16
	v_mov_b32_e32 v132, v0
	s_mov_b32 s72, 0
	.p2align	6
.LBB124_888:                            ; =>This Inner Loop Header: Depth=1
	s_clause 0x3
	buffer_load_dword v138, v131, s[0:3], 0 offen offset:8
	buffer_load_dword v139, v131, s[0:3], 0 offen offset:12
	buffer_load_dword v140, v131, s[0:3], 0 offen
	buffer_load_dword v141, v131, s[0:3], 0 offen offset:4
	ds_read_b128 v[134:137], v130
	v_add_nc_u32_e32 v132, 1, v132
	v_add_nc_u32_e32 v130, 16, v130
	;; [unrolled: 1-line block ×3, first 2 shown]
	v_cmp_lt_u32_e32 vcc_lo, 6, v132
	s_or_b32 s72, vcc_lo, s72
	s_waitcnt vmcnt(2) lgkmcnt(0)
	v_mul_f64 v[142:143], v[136:137], v[138:139]
	v_mul_f64 v[138:139], v[134:135], v[138:139]
	s_waitcnt vmcnt(0)
	v_fma_f64 v[134:135], v[134:135], v[140:141], -v[142:143]
	v_fma_f64 v[136:137], v[136:137], v[140:141], v[138:139]
	v_add_f64 v[1:2], v[1:2], v[134:135]
	v_add_f64 v[3:4], v[3:4], v[136:137]
	s_andn2_b32 exec_lo, exec_lo, s72
	s_cbranch_execnz .LBB124_888
; %bb.889:
	s_or_b32 exec_lo, exec_lo, s72
.LBB124_890:
	s_or_b32 exec_lo, exec_lo, s71
	v_mov_b32_e32 v130, 0
	ds_read_b128 v[134:137], v130 offset:128
	s_waitcnt lgkmcnt(0)
	v_mul_f64 v[130:131], v[3:4], v[136:137]
	v_mul_f64 v[136:137], v[1:2], v[136:137]
	v_fma_f64 v[1:2], v[1:2], v[134:135], -v[130:131]
	v_fma_f64 v[3:4], v[3:4], v[134:135], v[136:137]
	buffer_store_dword v2, off, s[0:3], 0 offset:132
	buffer_store_dword v1, off, s[0:3], 0 offset:128
	;; [unrolled: 1-line block ×4, first 2 shown]
.LBB124_891:
	s_or_b32 exec_lo, exec_lo, s70
	v_mov_b32_e32 v4, s61
	s_mov_b32 s70, exec_lo
	s_clause 0x3
	buffer_load_dword v1, v4, s[0:3], 0 offen
	buffer_load_dword v2, v4, s[0:3], 0 offen offset:4
	buffer_load_dword v3, v4, s[0:3], 0 offen offset:8
	;; [unrolled: 1-line block ×3, first 2 shown]
	s_waitcnt vmcnt(0)
	ds_write_b128 v128, v[1:4]
	s_waitcnt lgkmcnt(0)
	s_waitcnt_vscnt null, 0x0
	s_barrier
	buffer_gl0_inv
	v_cmpx_gt_u32_e32 9, v0
	s_cbranch_execz .LBB124_911
; %bb.892:
	ds_read_b128 v[1:4], v128
	v_cmp_ne_u32_e32 vcc_lo, 1, v129
	s_cbranch_vccnz .LBB124_894
; %bb.893:
	s_clause 0x3
	buffer_load_dword v130, v127, s[0:3], 0 offen offset:8
	buffer_load_dword v131, v127, s[0:3], 0 offen offset:12
	buffer_load_dword v134, v127, s[0:3], 0 offen
	buffer_load_dword v135, v127, s[0:3], 0 offen offset:4
	s_waitcnt vmcnt(2) lgkmcnt(0)
	v_mul_f64 v[136:137], v[3:4], v[130:131]
	v_mul_f64 v[130:131], v[1:2], v[130:131]
	s_waitcnt vmcnt(0)
	v_fma_f64 v[1:2], v[1:2], v[134:135], -v[136:137]
	v_fma_f64 v[3:4], v[3:4], v[134:135], v[130:131]
.LBB124_894:
	s_mov_b32 s71, exec_lo
	v_cmpx_ne_u32_e32 8, v0
	s_cbranch_execz .LBB124_910
; %bb.895:
	s_clause 0x3
	buffer_load_dword v130, v127, s[0:3], 0 offen offset:24
	buffer_load_dword v131, v127, s[0:3], 0 offen offset:28
	buffer_load_dword v138, v127, s[0:3], 0 offen offset:16
	buffer_load_dword v139, v127, s[0:3], 0 offen offset:20
	ds_read_b128 v[134:137], v128 offset:16
	s_waitcnt vmcnt(2) lgkmcnt(0)
	v_mul_f64 v[140:141], v[136:137], v[130:131]
	v_mul_f64 v[130:131], v[134:135], v[130:131]
	s_waitcnt vmcnt(0)
	v_fma_f64 v[134:135], v[134:135], v[138:139], -v[140:141]
	v_fma_f64 v[130:131], v[136:137], v[138:139], v[130:131]
	v_add_f64 v[1:2], v[1:2], v[134:135]
	v_add_f64 v[3:4], v[3:4], v[130:131]
	s_and_saveexec_b32 s72, s7
	s_cbranch_execz .LBB124_909
; %bb.896:
	s_clause 0x3
	buffer_load_dword v130, v127, s[0:3], 0 offen offset:40
	buffer_load_dword v131, v127, s[0:3], 0 offen offset:44
	buffer_load_dword v138, v127, s[0:3], 0 offen offset:32
	buffer_load_dword v139, v127, s[0:3], 0 offen offset:36
	ds_read_b128 v[134:137], v128 offset:32
	s_mov_b32 s7, exec_lo
	s_waitcnt vmcnt(2) lgkmcnt(0)
	v_mul_f64 v[140:141], v[136:137], v[130:131]
	v_mul_f64 v[130:131], v[134:135], v[130:131]
	s_waitcnt vmcnt(0)
	v_fma_f64 v[134:135], v[134:135], v[138:139], -v[140:141]
	v_fma_f64 v[130:131], v[136:137], v[138:139], v[130:131]
	v_add_f64 v[1:2], v[1:2], v[134:135]
	v_add_f64 v[3:4], v[3:4], v[130:131]
	v_cmpx_ne_u32_e32 6, v0
	s_cbranch_execz .LBB124_908
; %bb.897:
	s_clause 0x3
	buffer_load_dword v130, v127, s[0:3], 0 offen offset:56
	buffer_load_dword v131, v127, s[0:3], 0 offen offset:60
	buffer_load_dword v138, v127, s[0:3], 0 offen offset:48
	buffer_load_dword v139, v127, s[0:3], 0 offen offset:52
	ds_read_b128 v[134:137], v128 offset:48
	s_waitcnt vmcnt(2) lgkmcnt(0)
	v_mul_f64 v[140:141], v[136:137], v[130:131]
	v_mul_f64 v[130:131], v[134:135], v[130:131]
	s_waitcnt vmcnt(0)
	v_fma_f64 v[134:135], v[134:135], v[138:139], -v[140:141]
	v_fma_f64 v[130:131], v[136:137], v[138:139], v[130:131]
	v_add_f64 v[1:2], v[1:2], v[134:135]
	v_add_f64 v[3:4], v[3:4], v[130:131]
	s_and_saveexec_b32 s73, s6
	s_cbranch_execz .LBB124_907
; %bb.898:
	s_clause 0x3
	buffer_load_dword v130, v127, s[0:3], 0 offen offset:72
	buffer_load_dword v131, v127, s[0:3], 0 offen offset:76
	buffer_load_dword v138, v127, s[0:3], 0 offen offset:64
	buffer_load_dword v139, v127, s[0:3], 0 offen offset:68
	ds_read_b128 v[134:137], v128 offset:64
	s_mov_b32 s6, exec_lo
	s_waitcnt vmcnt(2) lgkmcnt(0)
	v_mul_f64 v[140:141], v[136:137], v[130:131]
	v_mul_f64 v[130:131], v[134:135], v[130:131]
	s_waitcnt vmcnt(0)
	v_fma_f64 v[134:135], v[134:135], v[138:139], -v[140:141]
	v_fma_f64 v[130:131], v[136:137], v[138:139], v[130:131]
	v_add_f64 v[1:2], v[1:2], v[134:135]
	v_add_f64 v[3:4], v[3:4], v[130:131]
	;; [unrolled: 35-line block ×3, first 2 shown]
	v_cmpx_ne_u32_e32 2, v0
	s_cbranch_execz .LBB124_904
; %bb.901:
	s_clause 0x3
	buffer_load_dword v130, v127, s[0:3], 0 offen offset:120
	buffer_load_dword v131, v127, s[0:3], 0 offen offset:124
	;; [unrolled: 1-line block ×4, first 2 shown]
	ds_read_b128 v[134:137], v128 offset:112
	s_waitcnt vmcnt(2) lgkmcnt(0)
	v_mul_f64 v[140:141], v[136:137], v[130:131]
	v_mul_f64 v[130:131], v[134:135], v[130:131]
	s_waitcnt vmcnt(0)
	v_fma_f64 v[134:135], v[134:135], v[138:139], -v[140:141]
	v_fma_f64 v[130:131], v[136:137], v[138:139], v[130:131]
	v_add_f64 v[1:2], v[1:2], v[134:135]
	v_add_f64 v[3:4], v[3:4], v[130:131]
	s_and_saveexec_b32 s75, s4
	s_cbranch_execz .LBB124_903
; %bb.902:
	s_clause 0x3
	buffer_load_dword v130, v127, s[0:3], 0 offen offset:136
	buffer_load_dword v131, v127, s[0:3], 0 offen offset:140
	;; [unrolled: 1-line block ×4, first 2 shown]
	ds_read_b128 v[134:137], v128 offset:128
	s_waitcnt vmcnt(2) lgkmcnt(0)
	v_mul_f64 v[140:141], v[136:137], v[130:131]
	v_mul_f64 v[130:131], v[134:135], v[130:131]
	s_waitcnt vmcnt(0)
	v_fma_f64 v[134:135], v[134:135], v[138:139], -v[140:141]
	v_fma_f64 v[130:131], v[136:137], v[138:139], v[130:131]
	v_add_f64 v[1:2], v[1:2], v[134:135]
	v_add_f64 v[3:4], v[3:4], v[130:131]
.LBB124_903:
	s_or_b32 exec_lo, exec_lo, s75
.LBB124_904:
	s_or_b32 exec_lo, exec_lo, s5
.LBB124_905:
	s_or_b32 exec_lo, exec_lo, s74
.LBB124_906:
	s_or_b32 exec_lo, exec_lo, s6
.LBB124_907:
	s_or_b32 exec_lo, exec_lo, s73
.LBB124_908:
	s_or_b32 exec_lo, exec_lo, s7
.LBB124_909:
	s_or_b32 exec_lo, exec_lo, s72
.LBB124_910:
	s_or_b32 exec_lo, exec_lo, s71
	v_mov_b32_e32 v130, 0
	ds_read_b128 v[134:137], v130 offset:144
	s_waitcnt lgkmcnt(0)
	v_mul_f64 v[130:131], v[3:4], v[136:137]
	v_mul_f64 v[136:137], v[1:2], v[136:137]
	v_fma_f64 v[1:2], v[1:2], v[134:135], -v[130:131]
	v_fma_f64 v[3:4], v[3:4], v[134:135], v[136:137]
	buffer_store_dword v2, off, s[0:3], 0 offset:148
	buffer_store_dword v1, off, s[0:3], 0 offset:144
	;; [unrolled: 1-line block ×4, first 2 shown]
.LBB124_911:
	s_or_b32 exec_lo, exec_lo, s70
	v_mov_b32_e32 v4, s60
	s_mov_b32 s4, exec_lo
	s_clause 0x3
	buffer_load_dword v1, v4, s[0:3], 0 offen
	buffer_load_dword v2, v4, s[0:3], 0 offen offset:4
	buffer_load_dword v3, v4, s[0:3], 0 offen offset:8
	;; [unrolled: 1-line block ×3, first 2 shown]
	s_waitcnt vmcnt(0)
	ds_write_b128 v128, v[1:4]
	s_waitcnt lgkmcnt(0)
	s_waitcnt_vscnt null, 0x0
	s_barrier
	buffer_gl0_inv
	v_cmpx_gt_u32_e32 10, v0
	s_cbranch_execz .LBB124_919
; %bb.912:
	ds_read_b128 v[1:4], v128
	v_cmp_ne_u32_e32 vcc_lo, 1, v129
	s_cbranch_vccnz .LBB124_914
; %bb.913:
	s_clause 0x3
	buffer_load_dword v130, v127, s[0:3], 0 offen offset:8
	buffer_load_dword v131, v127, s[0:3], 0 offen offset:12
	buffer_load_dword v134, v127, s[0:3], 0 offen
	buffer_load_dword v135, v127, s[0:3], 0 offen offset:4
	s_waitcnt vmcnt(2) lgkmcnt(0)
	v_mul_f64 v[136:137], v[3:4], v[130:131]
	v_mul_f64 v[130:131], v[1:2], v[130:131]
	s_waitcnt vmcnt(0)
	v_fma_f64 v[1:2], v[1:2], v[134:135], -v[136:137]
	v_fma_f64 v[3:4], v[3:4], v[134:135], v[130:131]
.LBB124_914:
	s_mov_b32 s5, exec_lo
	v_cmpx_ne_u32_e32 9, v0
	s_cbranch_execz .LBB124_918
; %bb.915:
	v_add_nc_u32_e32 v130, 0x3e0, v133
	v_add3_u32 v131, 0, v133, 16
	v_mov_b32_e32 v132, v0
	s_mov_b32 s6, 0
	.p2align	6
.LBB124_916:                            ; =>This Inner Loop Header: Depth=1
	s_clause 0x3
	buffer_load_dword v138, v131, s[0:3], 0 offen offset:8
	buffer_load_dword v139, v131, s[0:3], 0 offen offset:12
	buffer_load_dword v140, v131, s[0:3], 0 offen
	buffer_load_dword v141, v131, s[0:3], 0 offen offset:4
	ds_read_b128 v[134:137], v130
	v_add_nc_u32_e32 v132, 1, v132
	v_add_nc_u32_e32 v130, 16, v130
	;; [unrolled: 1-line block ×3, first 2 shown]
	v_cmp_lt_u32_e32 vcc_lo, 8, v132
	s_or_b32 s6, vcc_lo, s6
	s_waitcnt vmcnt(2) lgkmcnt(0)
	v_mul_f64 v[142:143], v[136:137], v[138:139]
	v_mul_f64 v[138:139], v[134:135], v[138:139]
	s_waitcnt vmcnt(0)
	v_fma_f64 v[134:135], v[134:135], v[140:141], -v[142:143]
	v_fma_f64 v[136:137], v[136:137], v[140:141], v[138:139]
	v_add_f64 v[1:2], v[1:2], v[134:135]
	v_add_f64 v[3:4], v[3:4], v[136:137]
	s_andn2_b32 exec_lo, exec_lo, s6
	s_cbranch_execnz .LBB124_916
; %bb.917:
	s_or_b32 exec_lo, exec_lo, s6
.LBB124_918:
	s_or_b32 exec_lo, exec_lo, s5
	v_mov_b32_e32 v130, 0
	ds_read_b128 v[134:137], v130 offset:160
	s_waitcnt lgkmcnt(0)
	v_mul_f64 v[130:131], v[3:4], v[136:137]
	v_mul_f64 v[136:137], v[1:2], v[136:137]
	v_fma_f64 v[1:2], v[1:2], v[134:135], -v[130:131]
	v_fma_f64 v[3:4], v[3:4], v[134:135], v[136:137]
	buffer_store_dword v2, off, s[0:3], 0 offset:164
	buffer_store_dword v1, off, s[0:3], 0 offset:160
	;; [unrolled: 1-line block ×4, first 2 shown]
.LBB124_919:
	s_or_b32 exec_lo, exec_lo, s4
	v_mov_b32_e32 v4, s59
	s_mov_b32 s4, exec_lo
	s_clause 0x3
	buffer_load_dword v1, v4, s[0:3], 0 offen
	buffer_load_dword v2, v4, s[0:3], 0 offen offset:4
	buffer_load_dword v3, v4, s[0:3], 0 offen offset:8
	buffer_load_dword v4, v4, s[0:3], 0 offen offset:12
	s_waitcnt vmcnt(0)
	ds_write_b128 v128, v[1:4]
	s_waitcnt lgkmcnt(0)
	s_waitcnt_vscnt null, 0x0
	s_barrier
	buffer_gl0_inv
	v_cmpx_gt_u32_e32 11, v0
	s_cbranch_execz .LBB124_927
; %bb.920:
	ds_read_b128 v[1:4], v128
	v_cmp_ne_u32_e32 vcc_lo, 1, v129
	s_cbranch_vccnz .LBB124_922
; %bb.921:
	s_clause 0x3
	buffer_load_dword v130, v127, s[0:3], 0 offen offset:8
	buffer_load_dword v131, v127, s[0:3], 0 offen offset:12
	buffer_load_dword v134, v127, s[0:3], 0 offen
	buffer_load_dword v135, v127, s[0:3], 0 offen offset:4
	s_waitcnt vmcnt(2) lgkmcnt(0)
	v_mul_f64 v[136:137], v[3:4], v[130:131]
	v_mul_f64 v[130:131], v[1:2], v[130:131]
	s_waitcnt vmcnt(0)
	v_fma_f64 v[1:2], v[1:2], v[134:135], -v[136:137]
	v_fma_f64 v[3:4], v[3:4], v[134:135], v[130:131]
.LBB124_922:
	s_mov_b32 s5, exec_lo
	v_cmpx_ne_u32_e32 10, v0
	s_cbranch_execz .LBB124_926
; %bb.923:
	v_add_nc_u32_e32 v130, 0x3e0, v133
	v_add3_u32 v131, 0, v133, 16
	v_mov_b32_e32 v132, v0
	s_mov_b32 s6, 0
	.p2align	6
.LBB124_924:                            ; =>This Inner Loop Header: Depth=1
	s_clause 0x3
	buffer_load_dword v138, v131, s[0:3], 0 offen offset:8
	buffer_load_dword v139, v131, s[0:3], 0 offen offset:12
	buffer_load_dword v140, v131, s[0:3], 0 offen
	buffer_load_dword v141, v131, s[0:3], 0 offen offset:4
	ds_read_b128 v[134:137], v130
	v_add_nc_u32_e32 v132, 1, v132
	v_add_nc_u32_e32 v130, 16, v130
	;; [unrolled: 1-line block ×3, first 2 shown]
	v_cmp_lt_u32_e32 vcc_lo, 9, v132
	s_or_b32 s6, vcc_lo, s6
	s_waitcnt vmcnt(2) lgkmcnt(0)
	v_mul_f64 v[142:143], v[136:137], v[138:139]
	v_mul_f64 v[138:139], v[134:135], v[138:139]
	s_waitcnt vmcnt(0)
	v_fma_f64 v[134:135], v[134:135], v[140:141], -v[142:143]
	v_fma_f64 v[136:137], v[136:137], v[140:141], v[138:139]
	v_add_f64 v[1:2], v[1:2], v[134:135]
	v_add_f64 v[3:4], v[3:4], v[136:137]
	s_andn2_b32 exec_lo, exec_lo, s6
	s_cbranch_execnz .LBB124_924
; %bb.925:
	s_or_b32 exec_lo, exec_lo, s6
.LBB124_926:
	s_or_b32 exec_lo, exec_lo, s5
	v_mov_b32_e32 v130, 0
	ds_read_b128 v[134:137], v130 offset:176
	s_waitcnt lgkmcnt(0)
	v_mul_f64 v[130:131], v[3:4], v[136:137]
	v_mul_f64 v[136:137], v[1:2], v[136:137]
	v_fma_f64 v[1:2], v[1:2], v[134:135], -v[130:131]
	v_fma_f64 v[3:4], v[3:4], v[134:135], v[136:137]
	buffer_store_dword v2, off, s[0:3], 0 offset:180
	buffer_store_dword v1, off, s[0:3], 0 offset:176
	;; [unrolled: 1-line block ×4, first 2 shown]
.LBB124_927:
	s_or_b32 exec_lo, exec_lo, s4
	v_mov_b32_e32 v4, s58
	s_mov_b32 s4, exec_lo
	s_clause 0x3
	buffer_load_dword v1, v4, s[0:3], 0 offen
	buffer_load_dword v2, v4, s[0:3], 0 offen offset:4
	buffer_load_dword v3, v4, s[0:3], 0 offen offset:8
	;; [unrolled: 1-line block ×3, first 2 shown]
	s_waitcnt vmcnt(0)
	ds_write_b128 v128, v[1:4]
	s_waitcnt lgkmcnt(0)
	s_waitcnt_vscnt null, 0x0
	s_barrier
	buffer_gl0_inv
	v_cmpx_gt_u32_e32 12, v0
	s_cbranch_execz .LBB124_935
; %bb.928:
	ds_read_b128 v[1:4], v128
	v_cmp_ne_u32_e32 vcc_lo, 1, v129
	s_cbranch_vccnz .LBB124_930
; %bb.929:
	s_clause 0x3
	buffer_load_dword v130, v127, s[0:3], 0 offen offset:8
	buffer_load_dword v131, v127, s[0:3], 0 offen offset:12
	buffer_load_dword v134, v127, s[0:3], 0 offen
	buffer_load_dword v135, v127, s[0:3], 0 offen offset:4
	s_waitcnt vmcnt(2) lgkmcnt(0)
	v_mul_f64 v[136:137], v[3:4], v[130:131]
	v_mul_f64 v[130:131], v[1:2], v[130:131]
	s_waitcnt vmcnt(0)
	v_fma_f64 v[1:2], v[1:2], v[134:135], -v[136:137]
	v_fma_f64 v[3:4], v[3:4], v[134:135], v[130:131]
.LBB124_930:
	s_mov_b32 s5, exec_lo
	v_cmpx_ne_u32_e32 11, v0
	s_cbranch_execz .LBB124_934
; %bb.931:
	v_add_nc_u32_e32 v130, 0x3e0, v133
	v_add3_u32 v131, 0, v133, 16
	v_mov_b32_e32 v132, v0
	s_mov_b32 s6, 0
	.p2align	6
.LBB124_932:                            ; =>This Inner Loop Header: Depth=1
	s_clause 0x3
	buffer_load_dword v138, v131, s[0:3], 0 offen offset:8
	buffer_load_dword v139, v131, s[0:3], 0 offen offset:12
	buffer_load_dword v140, v131, s[0:3], 0 offen
	buffer_load_dword v141, v131, s[0:3], 0 offen offset:4
	ds_read_b128 v[134:137], v130
	v_add_nc_u32_e32 v132, 1, v132
	v_add_nc_u32_e32 v130, 16, v130
	;; [unrolled: 1-line block ×3, first 2 shown]
	v_cmp_lt_u32_e32 vcc_lo, 10, v132
	s_or_b32 s6, vcc_lo, s6
	s_waitcnt vmcnt(2) lgkmcnt(0)
	v_mul_f64 v[142:143], v[136:137], v[138:139]
	v_mul_f64 v[138:139], v[134:135], v[138:139]
	s_waitcnt vmcnt(0)
	v_fma_f64 v[134:135], v[134:135], v[140:141], -v[142:143]
	v_fma_f64 v[136:137], v[136:137], v[140:141], v[138:139]
	v_add_f64 v[1:2], v[1:2], v[134:135]
	v_add_f64 v[3:4], v[3:4], v[136:137]
	s_andn2_b32 exec_lo, exec_lo, s6
	s_cbranch_execnz .LBB124_932
; %bb.933:
	s_or_b32 exec_lo, exec_lo, s6
.LBB124_934:
	s_or_b32 exec_lo, exec_lo, s5
	v_mov_b32_e32 v130, 0
	ds_read_b128 v[134:137], v130 offset:192
	s_waitcnt lgkmcnt(0)
	v_mul_f64 v[130:131], v[3:4], v[136:137]
	v_mul_f64 v[136:137], v[1:2], v[136:137]
	v_fma_f64 v[1:2], v[1:2], v[134:135], -v[130:131]
	v_fma_f64 v[3:4], v[3:4], v[134:135], v[136:137]
	buffer_store_dword v2, off, s[0:3], 0 offset:196
	buffer_store_dword v1, off, s[0:3], 0 offset:192
	;; [unrolled: 1-line block ×4, first 2 shown]
.LBB124_935:
	s_or_b32 exec_lo, exec_lo, s4
	v_mov_b32_e32 v4, s57
	s_mov_b32 s4, exec_lo
	s_clause 0x3
	buffer_load_dword v1, v4, s[0:3], 0 offen
	buffer_load_dword v2, v4, s[0:3], 0 offen offset:4
	buffer_load_dword v3, v4, s[0:3], 0 offen offset:8
	;; [unrolled: 1-line block ×3, first 2 shown]
	s_waitcnt vmcnt(0)
	ds_write_b128 v128, v[1:4]
	s_waitcnt lgkmcnt(0)
	s_waitcnt_vscnt null, 0x0
	s_barrier
	buffer_gl0_inv
	v_cmpx_gt_u32_e32 13, v0
	s_cbranch_execz .LBB124_943
; %bb.936:
	ds_read_b128 v[1:4], v128
	v_cmp_ne_u32_e32 vcc_lo, 1, v129
	s_cbranch_vccnz .LBB124_938
; %bb.937:
	s_clause 0x3
	buffer_load_dword v130, v127, s[0:3], 0 offen offset:8
	buffer_load_dword v131, v127, s[0:3], 0 offen offset:12
	buffer_load_dword v134, v127, s[0:3], 0 offen
	buffer_load_dword v135, v127, s[0:3], 0 offen offset:4
	s_waitcnt vmcnt(2) lgkmcnt(0)
	v_mul_f64 v[136:137], v[3:4], v[130:131]
	v_mul_f64 v[130:131], v[1:2], v[130:131]
	s_waitcnt vmcnt(0)
	v_fma_f64 v[1:2], v[1:2], v[134:135], -v[136:137]
	v_fma_f64 v[3:4], v[3:4], v[134:135], v[130:131]
.LBB124_938:
	s_mov_b32 s5, exec_lo
	v_cmpx_ne_u32_e32 12, v0
	s_cbranch_execz .LBB124_942
; %bb.939:
	v_add_nc_u32_e32 v130, 0x3e0, v133
	v_add3_u32 v131, 0, v133, 16
	v_mov_b32_e32 v132, v0
	s_mov_b32 s6, 0
	.p2align	6
.LBB124_940:                            ; =>This Inner Loop Header: Depth=1
	s_clause 0x3
	buffer_load_dword v138, v131, s[0:3], 0 offen offset:8
	buffer_load_dword v139, v131, s[0:3], 0 offen offset:12
	buffer_load_dword v140, v131, s[0:3], 0 offen
	buffer_load_dword v141, v131, s[0:3], 0 offen offset:4
	ds_read_b128 v[134:137], v130
	v_add_nc_u32_e32 v132, 1, v132
	v_add_nc_u32_e32 v130, 16, v130
	v_add_nc_u32_e32 v131, 16, v131
	v_cmp_lt_u32_e32 vcc_lo, 11, v132
	s_or_b32 s6, vcc_lo, s6
	s_waitcnt vmcnt(2) lgkmcnt(0)
	v_mul_f64 v[142:143], v[136:137], v[138:139]
	v_mul_f64 v[138:139], v[134:135], v[138:139]
	s_waitcnt vmcnt(0)
	v_fma_f64 v[134:135], v[134:135], v[140:141], -v[142:143]
	v_fma_f64 v[136:137], v[136:137], v[140:141], v[138:139]
	v_add_f64 v[1:2], v[1:2], v[134:135]
	v_add_f64 v[3:4], v[3:4], v[136:137]
	s_andn2_b32 exec_lo, exec_lo, s6
	s_cbranch_execnz .LBB124_940
; %bb.941:
	s_or_b32 exec_lo, exec_lo, s6
.LBB124_942:
	s_or_b32 exec_lo, exec_lo, s5
	v_mov_b32_e32 v130, 0
	ds_read_b128 v[134:137], v130 offset:208
	s_waitcnt lgkmcnt(0)
	v_mul_f64 v[130:131], v[3:4], v[136:137]
	v_mul_f64 v[136:137], v[1:2], v[136:137]
	v_fma_f64 v[1:2], v[1:2], v[134:135], -v[130:131]
	v_fma_f64 v[3:4], v[3:4], v[134:135], v[136:137]
	buffer_store_dword v2, off, s[0:3], 0 offset:212
	buffer_store_dword v1, off, s[0:3], 0 offset:208
	;; [unrolled: 1-line block ×4, first 2 shown]
.LBB124_943:
	s_or_b32 exec_lo, exec_lo, s4
	v_mov_b32_e32 v4, s56
	s_mov_b32 s4, exec_lo
	s_clause 0x3
	buffer_load_dword v1, v4, s[0:3], 0 offen
	buffer_load_dword v2, v4, s[0:3], 0 offen offset:4
	buffer_load_dword v3, v4, s[0:3], 0 offen offset:8
	;; [unrolled: 1-line block ×3, first 2 shown]
	s_waitcnt vmcnt(0)
	ds_write_b128 v128, v[1:4]
	s_waitcnt lgkmcnt(0)
	s_waitcnt_vscnt null, 0x0
	s_barrier
	buffer_gl0_inv
	v_cmpx_gt_u32_e32 14, v0
	s_cbranch_execz .LBB124_951
; %bb.944:
	ds_read_b128 v[1:4], v128
	v_cmp_ne_u32_e32 vcc_lo, 1, v129
	s_cbranch_vccnz .LBB124_946
; %bb.945:
	s_clause 0x3
	buffer_load_dword v130, v127, s[0:3], 0 offen offset:8
	buffer_load_dword v131, v127, s[0:3], 0 offen offset:12
	buffer_load_dword v134, v127, s[0:3], 0 offen
	buffer_load_dword v135, v127, s[0:3], 0 offen offset:4
	s_waitcnt vmcnt(2) lgkmcnt(0)
	v_mul_f64 v[136:137], v[3:4], v[130:131]
	v_mul_f64 v[130:131], v[1:2], v[130:131]
	s_waitcnt vmcnt(0)
	v_fma_f64 v[1:2], v[1:2], v[134:135], -v[136:137]
	v_fma_f64 v[3:4], v[3:4], v[134:135], v[130:131]
.LBB124_946:
	s_mov_b32 s5, exec_lo
	v_cmpx_ne_u32_e32 13, v0
	s_cbranch_execz .LBB124_950
; %bb.947:
	v_add_nc_u32_e32 v130, 0x3e0, v133
	v_add3_u32 v131, 0, v133, 16
	v_mov_b32_e32 v132, v0
	s_mov_b32 s6, 0
	.p2align	6
.LBB124_948:                            ; =>This Inner Loop Header: Depth=1
	s_clause 0x3
	buffer_load_dword v138, v131, s[0:3], 0 offen offset:8
	buffer_load_dword v139, v131, s[0:3], 0 offen offset:12
	buffer_load_dword v140, v131, s[0:3], 0 offen
	buffer_load_dword v141, v131, s[0:3], 0 offen offset:4
	ds_read_b128 v[134:137], v130
	v_add_nc_u32_e32 v132, 1, v132
	v_add_nc_u32_e32 v130, 16, v130
	;; [unrolled: 1-line block ×3, first 2 shown]
	v_cmp_lt_u32_e32 vcc_lo, 12, v132
	s_or_b32 s6, vcc_lo, s6
	s_waitcnt vmcnt(2) lgkmcnt(0)
	v_mul_f64 v[142:143], v[136:137], v[138:139]
	v_mul_f64 v[138:139], v[134:135], v[138:139]
	s_waitcnt vmcnt(0)
	v_fma_f64 v[134:135], v[134:135], v[140:141], -v[142:143]
	v_fma_f64 v[136:137], v[136:137], v[140:141], v[138:139]
	v_add_f64 v[1:2], v[1:2], v[134:135]
	v_add_f64 v[3:4], v[3:4], v[136:137]
	s_andn2_b32 exec_lo, exec_lo, s6
	s_cbranch_execnz .LBB124_948
; %bb.949:
	s_or_b32 exec_lo, exec_lo, s6
.LBB124_950:
	s_or_b32 exec_lo, exec_lo, s5
	v_mov_b32_e32 v130, 0
	ds_read_b128 v[134:137], v130 offset:224
	s_waitcnt lgkmcnt(0)
	v_mul_f64 v[130:131], v[3:4], v[136:137]
	v_mul_f64 v[136:137], v[1:2], v[136:137]
	v_fma_f64 v[1:2], v[1:2], v[134:135], -v[130:131]
	v_fma_f64 v[3:4], v[3:4], v[134:135], v[136:137]
	buffer_store_dword v2, off, s[0:3], 0 offset:228
	buffer_store_dword v1, off, s[0:3], 0 offset:224
	;; [unrolled: 1-line block ×4, first 2 shown]
.LBB124_951:
	s_or_b32 exec_lo, exec_lo, s4
	v_mov_b32_e32 v4, s55
	s_mov_b32 s4, exec_lo
	s_clause 0x3
	buffer_load_dword v1, v4, s[0:3], 0 offen
	buffer_load_dword v2, v4, s[0:3], 0 offen offset:4
	buffer_load_dword v3, v4, s[0:3], 0 offen offset:8
	;; [unrolled: 1-line block ×3, first 2 shown]
	s_waitcnt vmcnt(0)
	ds_write_b128 v128, v[1:4]
	s_waitcnt lgkmcnt(0)
	s_waitcnt_vscnt null, 0x0
	s_barrier
	buffer_gl0_inv
	v_cmpx_gt_u32_e32 15, v0
	s_cbranch_execz .LBB124_959
; %bb.952:
	ds_read_b128 v[1:4], v128
	v_cmp_ne_u32_e32 vcc_lo, 1, v129
	s_cbranch_vccnz .LBB124_954
; %bb.953:
	s_clause 0x3
	buffer_load_dword v130, v127, s[0:3], 0 offen offset:8
	buffer_load_dword v131, v127, s[0:3], 0 offen offset:12
	buffer_load_dword v134, v127, s[0:3], 0 offen
	buffer_load_dword v135, v127, s[0:3], 0 offen offset:4
	s_waitcnt vmcnt(2) lgkmcnt(0)
	v_mul_f64 v[136:137], v[3:4], v[130:131]
	v_mul_f64 v[130:131], v[1:2], v[130:131]
	s_waitcnt vmcnt(0)
	v_fma_f64 v[1:2], v[1:2], v[134:135], -v[136:137]
	v_fma_f64 v[3:4], v[3:4], v[134:135], v[130:131]
.LBB124_954:
	s_mov_b32 s5, exec_lo
	v_cmpx_ne_u32_e32 14, v0
	s_cbranch_execz .LBB124_958
; %bb.955:
	v_add_nc_u32_e32 v130, 0x3e0, v133
	v_add3_u32 v131, 0, v133, 16
	v_mov_b32_e32 v132, v0
	s_mov_b32 s6, 0
	.p2align	6
.LBB124_956:                            ; =>This Inner Loop Header: Depth=1
	s_clause 0x3
	buffer_load_dword v138, v131, s[0:3], 0 offen offset:8
	buffer_load_dword v139, v131, s[0:3], 0 offen offset:12
	buffer_load_dword v140, v131, s[0:3], 0 offen
	buffer_load_dword v141, v131, s[0:3], 0 offen offset:4
	ds_read_b128 v[134:137], v130
	v_add_nc_u32_e32 v132, 1, v132
	v_add_nc_u32_e32 v130, 16, v130
	;; [unrolled: 1-line block ×3, first 2 shown]
	v_cmp_lt_u32_e32 vcc_lo, 13, v132
	s_or_b32 s6, vcc_lo, s6
	s_waitcnt vmcnt(2) lgkmcnt(0)
	v_mul_f64 v[142:143], v[136:137], v[138:139]
	v_mul_f64 v[138:139], v[134:135], v[138:139]
	s_waitcnt vmcnt(0)
	v_fma_f64 v[134:135], v[134:135], v[140:141], -v[142:143]
	v_fma_f64 v[136:137], v[136:137], v[140:141], v[138:139]
	v_add_f64 v[1:2], v[1:2], v[134:135]
	v_add_f64 v[3:4], v[3:4], v[136:137]
	s_andn2_b32 exec_lo, exec_lo, s6
	s_cbranch_execnz .LBB124_956
; %bb.957:
	s_or_b32 exec_lo, exec_lo, s6
.LBB124_958:
	s_or_b32 exec_lo, exec_lo, s5
	v_mov_b32_e32 v130, 0
	ds_read_b128 v[134:137], v130 offset:240
	s_waitcnt lgkmcnt(0)
	v_mul_f64 v[130:131], v[3:4], v[136:137]
	v_mul_f64 v[136:137], v[1:2], v[136:137]
	v_fma_f64 v[1:2], v[1:2], v[134:135], -v[130:131]
	v_fma_f64 v[3:4], v[3:4], v[134:135], v[136:137]
	buffer_store_dword v2, off, s[0:3], 0 offset:244
	buffer_store_dword v1, off, s[0:3], 0 offset:240
	;; [unrolled: 1-line block ×4, first 2 shown]
.LBB124_959:
	s_or_b32 exec_lo, exec_lo, s4
	v_mov_b32_e32 v4, s54
	s_mov_b32 s4, exec_lo
	s_clause 0x3
	buffer_load_dword v1, v4, s[0:3], 0 offen
	buffer_load_dword v2, v4, s[0:3], 0 offen offset:4
	buffer_load_dword v3, v4, s[0:3], 0 offen offset:8
	;; [unrolled: 1-line block ×3, first 2 shown]
	s_waitcnt vmcnt(0)
	ds_write_b128 v128, v[1:4]
	s_waitcnt lgkmcnt(0)
	s_waitcnt_vscnt null, 0x0
	s_barrier
	buffer_gl0_inv
	v_cmpx_gt_u32_e32 16, v0
	s_cbranch_execz .LBB124_967
; %bb.960:
	ds_read_b128 v[1:4], v128
	v_cmp_ne_u32_e32 vcc_lo, 1, v129
	s_cbranch_vccnz .LBB124_962
; %bb.961:
	s_clause 0x3
	buffer_load_dword v130, v127, s[0:3], 0 offen offset:8
	buffer_load_dword v131, v127, s[0:3], 0 offen offset:12
	buffer_load_dword v134, v127, s[0:3], 0 offen
	buffer_load_dword v135, v127, s[0:3], 0 offen offset:4
	s_waitcnt vmcnt(2) lgkmcnt(0)
	v_mul_f64 v[136:137], v[3:4], v[130:131]
	v_mul_f64 v[130:131], v[1:2], v[130:131]
	s_waitcnt vmcnt(0)
	v_fma_f64 v[1:2], v[1:2], v[134:135], -v[136:137]
	v_fma_f64 v[3:4], v[3:4], v[134:135], v[130:131]
.LBB124_962:
	s_mov_b32 s5, exec_lo
	v_cmpx_ne_u32_e32 15, v0
	s_cbranch_execz .LBB124_966
; %bb.963:
	v_add_nc_u32_e32 v130, 0x3e0, v133
	v_add3_u32 v131, 0, v133, 16
	v_mov_b32_e32 v132, v0
	s_mov_b32 s6, 0
	.p2align	6
.LBB124_964:                            ; =>This Inner Loop Header: Depth=1
	s_clause 0x3
	buffer_load_dword v138, v131, s[0:3], 0 offen offset:8
	buffer_load_dword v139, v131, s[0:3], 0 offen offset:12
	buffer_load_dword v140, v131, s[0:3], 0 offen
	buffer_load_dword v141, v131, s[0:3], 0 offen offset:4
	ds_read_b128 v[134:137], v130
	v_add_nc_u32_e32 v132, 1, v132
	v_add_nc_u32_e32 v130, 16, v130
	;; [unrolled: 1-line block ×3, first 2 shown]
	v_cmp_lt_u32_e32 vcc_lo, 14, v132
	s_or_b32 s6, vcc_lo, s6
	s_waitcnt vmcnt(2) lgkmcnt(0)
	v_mul_f64 v[142:143], v[136:137], v[138:139]
	v_mul_f64 v[138:139], v[134:135], v[138:139]
	s_waitcnt vmcnt(0)
	v_fma_f64 v[134:135], v[134:135], v[140:141], -v[142:143]
	v_fma_f64 v[136:137], v[136:137], v[140:141], v[138:139]
	v_add_f64 v[1:2], v[1:2], v[134:135]
	v_add_f64 v[3:4], v[3:4], v[136:137]
	s_andn2_b32 exec_lo, exec_lo, s6
	s_cbranch_execnz .LBB124_964
; %bb.965:
	s_or_b32 exec_lo, exec_lo, s6
.LBB124_966:
	s_or_b32 exec_lo, exec_lo, s5
	v_mov_b32_e32 v130, 0
	ds_read_b128 v[134:137], v130 offset:256
	s_waitcnt lgkmcnt(0)
	v_mul_f64 v[130:131], v[3:4], v[136:137]
	v_mul_f64 v[136:137], v[1:2], v[136:137]
	v_fma_f64 v[1:2], v[1:2], v[134:135], -v[130:131]
	v_fma_f64 v[3:4], v[3:4], v[134:135], v[136:137]
	buffer_store_dword v2, off, s[0:3], 0 offset:260
	buffer_store_dword v1, off, s[0:3], 0 offset:256
	;; [unrolled: 1-line block ×4, first 2 shown]
.LBB124_967:
	s_or_b32 exec_lo, exec_lo, s4
	v_mov_b32_e32 v4, s53
	s_mov_b32 s4, exec_lo
	s_clause 0x3
	buffer_load_dword v1, v4, s[0:3], 0 offen
	buffer_load_dword v2, v4, s[0:3], 0 offen offset:4
	buffer_load_dword v3, v4, s[0:3], 0 offen offset:8
	;; [unrolled: 1-line block ×3, first 2 shown]
	s_waitcnt vmcnt(0)
	ds_write_b128 v128, v[1:4]
	s_waitcnt lgkmcnt(0)
	s_waitcnt_vscnt null, 0x0
	s_barrier
	buffer_gl0_inv
	v_cmpx_gt_u32_e32 17, v0
	s_cbranch_execz .LBB124_975
; %bb.968:
	ds_read_b128 v[1:4], v128
	v_cmp_ne_u32_e32 vcc_lo, 1, v129
	s_cbranch_vccnz .LBB124_970
; %bb.969:
	s_clause 0x3
	buffer_load_dword v130, v127, s[0:3], 0 offen offset:8
	buffer_load_dword v131, v127, s[0:3], 0 offen offset:12
	buffer_load_dword v134, v127, s[0:3], 0 offen
	buffer_load_dword v135, v127, s[0:3], 0 offen offset:4
	s_waitcnt vmcnt(2) lgkmcnt(0)
	v_mul_f64 v[136:137], v[3:4], v[130:131]
	v_mul_f64 v[130:131], v[1:2], v[130:131]
	s_waitcnt vmcnt(0)
	v_fma_f64 v[1:2], v[1:2], v[134:135], -v[136:137]
	v_fma_f64 v[3:4], v[3:4], v[134:135], v[130:131]
.LBB124_970:
	s_mov_b32 s5, exec_lo
	v_cmpx_ne_u32_e32 16, v0
	s_cbranch_execz .LBB124_974
; %bb.971:
	v_add_nc_u32_e32 v130, 0x3e0, v133
	v_add3_u32 v131, 0, v133, 16
	v_mov_b32_e32 v132, v0
	s_mov_b32 s6, 0
	.p2align	6
.LBB124_972:                            ; =>This Inner Loop Header: Depth=1
	s_clause 0x3
	buffer_load_dword v138, v131, s[0:3], 0 offen offset:8
	buffer_load_dword v139, v131, s[0:3], 0 offen offset:12
	buffer_load_dword v140, v131, s[0:3], 0 offen
	buffer_load_dword v141, v131, s[0:3], 0 offen offset:4
	ds_read_b128 v[134:137], v130
	v_add_nc_u32_e32 v132, 1, v132
	v_add_nc_u32_e32 v130, 16, v130
	;; [unrolled: 1-line block ×3, first 2 shown]
	v_cmp_lt_u32_e32 vcc_lo, 15, v132
	s_or_b32 s6, vcc_lo, s6
	s_waitcnt vmcnt(2) lgkmcnt(0)
	v_mul_f64 v[142:143], v[136:137], v[138:139]
	v_mul_f64 v[138:139], v[134:135], v[138:139]
	s_waitcnt vmcnt(0)
	v_fma_f64 v[134:135], v[134:135], v[140:141], -v[142:143]
	v_fma_f64 v[136:137], v[136:137], v[140:141], v[138:139]
	v_add_f64 v[1:2], v[1:2], v[134:135]
	v_add_f64 v[3:4], v[3:4], v[136:137]
	s_andn2_b32 exec_lo, exec_lo, s6
	s_cbranch_execnz .LBB124_972
; %bb.973:
	s_or_b32 exec_lo, exec_lo, s6
.LBB124_974:
	s_or_b32 exec_lo, exec_lo, s5
	v_mov_b32_e32 v130, 0
	ds_read_b128 v[134:137], v130 offset:272
	s_waitcnt lgkmcnt(0)
	v_mul_f64 v[130:131], v[3:4], v[136:137]
	v_mul_f64 v[136:137], v[1:2], v[136:137]
	v_fma_f64 v[1:2], v[1:2], v[134:135], -v[130:131]
	v_fma_f64 v[3:4], v[3:4], v[134:135], v[136:137]
	buffer_store_dword v2, off, s[0:3], 0 offset:276
	buffer_store_dword v1, off, s[0:3], 0 offset:272
	;; [unrolled: 1-line block ×4, first 2 shown]
.LBB124_975:
	s_or_b32 exec_lo, exec_lo, s4
	v_mov_b32_e32 v4, s52
	s_mov_b32 s4, exec_lo
	s_clause 0x3
	buffer_load_dword v1, v4, s[0:3], 0 offen
	buffer_load_dword v2, v4, s[0:3], 0 offen offset:4
	buffer_load_dword v3, v4, s[0:3], 0 offen offset:8
	;; [unrolled: 1-line block ×3, first 2 shown]
	s_waitcnt vmcnt(0)
	ds_write_b128 v128, v[1:4]
	s_waitcnt lgkmcnt(0)
	s_waitcnt_vscnt null, 0x0
	s_barrier
	buffer_gl0_inv
	v_cmpx_gt_u32_e32 18, v0
	s_cbranch_execz .LBB124_983
; %bb.976:
	ds_read_b128 v[1:4], v128
	v_cmp_ne_u32_e32 vcc_lo, 1, v129
	s_cbranch_vccnz .LBB124_978
; %bb.977:
	s_clause 0x3
	buffer_load_dword v130, v127, s[0:3], 0 offen offset:8
	buffer_load_dword v131, v127, s[0:3], 0 offen offset:12
	buffer_load_dword v134, v127, s[0:3], 0 offen
	buffer_load_dword v135, v127, s[0:3], 0 offen offset:4
	s_waitcnt vmcnt(2) lgkmcnt(0)
	v_mul_f64 v[136:137], v[3:4], v[130:131]
	v_mul_f64 v[130:131], v[1:2], v[130:131]
	s_waitcnt vmcnt(0)
	v_fma_f64 v[1:2], v[1:2], v[134:135], -v[136:137]
	v_fma_f64 v[3:4], v[3:4], v[134:135], v[130:131]
.LBB124_978:
	s_mov_b32 s5, exec_lo
	v_cmpx_ne_u32_e32 17, v0
	s_cbranch_execz .LBB124_982
; %bb.979:
	v_add_nc_u32_e32 v130, 0x3e0, v133
	v_add3_u32 v131, 0, v133, 16
	v_mov_b32_e32 v132, v0
	s_mov_b32 s6, 0
	.p2align	6
.LBB124_980:                            ; =>This Inner Loop Header: Depth=1
	s_clause 0x3
	buffer_load_dword v138, v131, s[0:3], 0 offen offset:8
	buffer_load_dword v139, v131, s[0:3], 0 offen offset:12
	buffer_load_dword v140, v131, s[0:3], 0 offen
	buffer_load_dword v141, v131, s[0:3], 0 offen offset:4
	ds_read_b128 v[134:137], v130
	v_add_nc_u32_e32 v132, 1, v132
	v_add_nc_u32_e32 v130, 16, v130
	;; [unrolled: 1-line block ×3, first 2 shown]
	v_cmp_lt_u32_e32 vcc_lo, 16, v132
	s_or_b32 s6, vcc_lo, s6
	s_waitcnt vmcnt(2) lgkmcnt(0)
	v_mul_f64 v[142:143], v[136:137], v[138:139]
	v_mul_f64 v[138:139], v[134:135], v[138:139]
	s_waitcnt vmcnt(0)
	v_fma_f64 v[134:135], v[134:135], v[140:141], -v[142:143]
	v_fma_f64 v[136:137], v[136:137], v[140:141], v[138:139]
	v_add_f64 v[1:2], v[1:2], v[134:135]
	v_add_f64 v[3:4], v[3:4], v[136:137]
	s_andn2_b32 exec_lo, exec_lo, s6
	s_cbranch_execnz .LBB124_980
; %bb.981:
	s_or_b32 exec_lo, exec_lo, s6
.LBB124_982:
	s_or_b32 exec_lo, exec_lo, s5
	v_mov_b32_e32 v130, 0
	ds_read_b128 v[134:137], v130 offset:288
	s_waitcnt lgkmcnt(0)
	v_mul_f64 v[130:131], v[3:4], v[136:137]
	v_mul_f64 v[136:137], v[1:2], v[136:137]
	v_fma_f64 v[1:2], v[1:2], v[134:135], -v[130:131]
	v_fma_f64 v[3:4], v[3:4], v[134:135], v[136:137]
	buffer_store_dword v2, off, s[0:3], 0 offset:292
	buffer_store_dword v1, off, s[0:3], 0 offset:288
	;; [unrolled: 1-line block ×4, first 2 shown]
.LBB124_983:
	s_or_b32 exec_lo, exec_lo, s4
	v_mov_b32_e32 v4, s51
	s_mov_b32 s4, exec_lo
	s_clause 0x3
	buffer_load_dword v1, v4, s[0:3], 0 offen
	buffer_load_dword v2, v4, s[0:3], 0 offen offset:4
	buffer_load_dword v3, v4, s[0:3], 0 offen offset:8
	;; [unrolled: 1-line block ×3, first 2 shown]
	s_waitcnt vmcnt(0)
	ds_write_b128 v128, v[1:4]
	s_waitcnt lgkmcnt(0)
	s_waitcnt_vscnt null, 0x0
	s_barrier
	buffer_gl0_inv
	v_cmpx_gt_u32_e32 19, v0
	s_cbranch_execz .LBB124_991
; %bb.984:
	ds_read_b128 v[1:4], v128
	v_cmp_ne_u32_e32 vcc_lo, 1, v129
	s_cbranch_vccnz .LBB124_986
; %bb.985:
	s_clause 0x3
	buffer_load_dword v130, v127, s[0:3], 0 offen offset:8
	buffer_load_dword v131, v127, s[0:3], 0 offen offset:12
	buffer_load_dword v134, v127, s[0:3], 0 offen
	buffer_load_dword v135, v127, s[0:3], 0 offen offset:4
	s_waitcnt vmcnt(2) lgkmcnt(0)
	v_mul_f64 v[136:137], v[3:4], v[130:131]
	v_mul_f64 v[130:131], v[1:2], v[130:131]
	s_waitcnt vmcnt(0)
	v_fma_f64 v[1:2], v[1:2], v[134:135], -v[136:137]
	v_fma_f64 v[3:4], v[3:4], v[134:135], v[130:131]
.LBB124_986:
	s_mov_b32 s5, exec_lo
	v_cmpx_ne_u32_e32 18, v0
	s_cbranch_execz .LBB124_990
; %bb.987:
	v_add_nc_u32_e32 v130, 0x3e0, v133
	v_add3_u32 v131, 0, v133, 16
	v_mov_b32_e32 v132, v0
	s_mov_b32 s6, 0
	.p2align	6
.LBB124_988:                            ; =>This Inner Loop Header: Depth=1
	s_clause 0x3
	buffer_load_dword v138, v131, s[0:3], 0 offen offset:8
	buffer_load_dword v139, v131, s[0:3], 0 offen offset:12
	buffer_load_dword v140, v131, s[0:3], 0 offen
	buffer_load_dword v141, v131, s[0:3], 0 offen offset:4
	ds_read_b128 v[134:137], v130
	v_add_nc_u32_e32 v132, 1, v132
	v_add_nc_u32_e32 v130, 16, v130
	;; [unrolled: 1-line block ×3, first 2 shown]
	v_cmp_lt_u32_e32 vcc_lo, 17, v132
	s_or_b32 s6, vcc_lo, s6
	s_waitcnt vmcnt(2) lgkmcnt(0)
	v_mul_f64 v[142:143], v[136:137], v[138:139]
	v_mul_f64 v[138:139], v[134:135], v[138:139]
	s_waitcnt vmcnt(0)
	v_fma_f64 v[134:135], v[134:135], v[140:141], -v[142:143]
	v_fma_f64 v[136:137], v[136:137], v[140:141], v[138:139]
	v_add_f64 v[1:2], v[1:2], v[134:135]
	v_add_f64 v[3:4], v[3:4], v[136:137]
	s_andn2_b32 exec_lo, exec_lo, s6
	s_cbranch_execnz .LBB124_988
; %bb.989:
	s_or_b32 exec_lo, exec_lo, s6
.LBB124_990:
	s_or_b32 exec_lo, exec_lo, s5
	v_mov_b32_e32 v130, 0
	ds_read_b128 v[134:137], v130 offset:304
	s_waitcnt lgkmcnt(0)
	v_mul_f64 v[130:131], v[3:4], v[136:137]
	v_mul_f64 v[136:137], v[1:2], v[136:137]
	v_fma_f64 v[1:2], v[1:2], v[134:135], -v[130:131]
	v_fma_f64 v[3:4], v[3:4], v[134:135], v[136:137]
	buffer_store_dword v2, off, s[0:3], 0 offset:308
	buffer_store_dword v1, off, s[0:3], 0 offset:304
	;; [unrolled: 1-line block ×4, first 2 shown]
.LBB124_991:
	s_or_b32 exec_lo, exec_lo, s4
	v_mov_b32_e32 v4, s50
	s_mov_b32 s4, exec_lo
	s_clause 0x3
	buffer_load_dword v1, v4, s[0:3], 0 offen
	buffer_load_dword v2, v4, s[0:3], 0 offen offset:4
	buffer_load_dword v3, v4, s[0:3], 0 offen offset:8
	;; [unrolled: 1-line block ×3, first 2 shown]
	s_waitcnt vmcnt(0)
	ds_write_b128 v128, v[1:4]
	s_waitcnt lgkmcnt(0)
	s_waitcnt_vscnt null, 0x0
	s_barrier
	buffer_gl0_inv
	v_cmpx_gt_u32_e32 20, v0
	s_cbranch_execz .LBB124_999
; %bb.992:
	ds_read_b128 v[1:4], v128
	v_cmp_ne_u32_e32 vcc_lo, 1, v129
	s_cbranch_vccnz .LBB124_994
; %bb.993:
	s_clause 0x3
	buffer_load_dword v130, v127, s[0:3], 0 offen offset:8
	buffer_load_dword v131, v127, s[0:3], 0 offen offset:12
	buffer_load_dword v134, v127, s[0:3], 0 offen
	buffer_load_dword v135, v127, s[0:3], 0 offen offset:4
	s_waitcnt vmcnt(2) lgkmcnt(0)
	v_mul_f64 v[136:137], v[3:4], v[130:131]
	v_mul_f64 v[130:131], v[1:2], v[130:131]
	s_waitcnt vmcnt(0)
	v_fma_f64 v[1:2], v[1:2], v[134:135], -v[136:137]
	v_fma_f64 v[3:4], v[3:4], v[134:135], v[130:131]
.LBB124_994:
	s_mov_b32 s5, exec_lo
	v_cmpx_ne_u32_e32 19, v0
	s_cbranch_execz .LBB124_998
; %bb.995:
	v_add_nc_u32_e32 v130, 0x3e0, v133
	v_add3_u32 v131, 0, v133, 16
	v_mov_b32_e32 v132, v0
	s_mov_b32 s6, 0
	.p2align	6
.LBB124_996:                            ; =>This Inner Loop Header: Depth=1
	s_clause 0x3
	buffer_load_dword v138, v131, s[0:3], 0 offen offset:8
	buffer_load_dword v139, v131, s[0:3], 0 offen offset:12
	buffer_load_dword v140, v131, s[0:3], 0 offen
	buffer_load_dword v141, v131, s[0:3], 0 offen offset:4
	ds_read_b128 v[134:137], v130
	v_add_nc_u32_e32 v132, 1, v132
	v_add_nc_u32_e32 v130, 16, v130
	;; [unrolled: 1-line block ×3, first 2 shown]
	v_cmp_lt_u32_e32 vcc_lo, 18, v132
	s_or_b32 s6, vcc_lo, s6
	s_waitcnt vmcnt(2) lgkmcnt(0)
	v_mul_f64 v[142:143], v[136:137], v[138:139]
	v_mul_f64 v[138:139], v[134:135], v[138:139]
	s_waitcnt vmcnt(0)
	v_fma_f64 v[134:135], v[134:135], v[140:141], -v[142:143]
	v_fma_f64 v[136:137], v[136:137], v[140:141], v[138:139]
	v_add_f64 v[1:2], v[1:2], v[134:135]
	v_add_f64 v[3:4], v[3:4], v[136:137]
	s_andn2_b32 exec_lo, exec_lo, s6
	s_cbranch_execnz .LBB124_996
; %bb.997:
	s_or_b32 exec_lo, exec_lo, s6
.LBB124_998:
	s_or_b32 exec_lo, exec_lo, s5
	v_mov_b32_e32 v130, 0
	ds_read_b128 v[134:137], v130 offset:320
	s_waitcnt lgkmcnt(0)
	v_mul_f64 v[130:131], v[3:4], v[136:137]
	v_mul_f64 v[136:137], v[1:2], v[136:137]
	v_fma_f64 v[1:2], v[1:2], v[134:135], -v[130:131]
	v_fma_f64 v[3:4], v[3:4], v[134:135], v[136:137]
	buffer_store_dword v2, off, s[0:3], 0 offset:324
	buffer_store_dword v1, off, s[0:3], 0 offset:320
	;; [unrolled: 1-line block ×4, first 2 shown]
.LBB124_999:
	s_or_b32 exec_lo, exec_lo, s4
	v_mov_b32_e32 v4, s49
	s_mov_b32 s4, exec_lo
	s_clause 0x3
	buffer_load_dword v1, v4, s[0:3], 0 offen
	buffer_load_dword v2, v4, s[0:3], 0 offen offset:4
	buffer_load_dword v3, v4, s[0:3], 0 offen offset:8
	;; [unrolled: 1-line block ×3, first 2 shown]
	s_waitcnt vmcnt(0)
	ds_write_b128 v128, v[1:4]
	s_waitcnt lgkmcnt(0)
	s_waitcnt_vscnt null, 0x0
	s_barrier
	buffer_gl0_inv
	v_cmpx_gt_u32_e32 21, v0
	s_cbranch_execz .LBB124_1007
; %bb.1000:
	ds_read_b128 v[1:4], v128
	v_cmp_ne_u32_e32 vcc_lo, 1, v129
	s_cbranch_vccnz .LBB124_1002
; %bb.1001:
	s_clause 0x3
	buffer_load_dword v130, v127, s[0:3], 0 offen offset:8
	buffer_load_dword v131, v127, s[0:3], 0 offen offset:12
	buffer_load_dword v134, v127, s[0:3], 0 offen
	buffer_load_dword v135, v127, s[0:3], 0 offen offset:4
	s_waitcnt vmcnt(2) lgkmcnt(0)
	v_mul_f64 v[136:137], v[3:4], v[130:131]
	v_mul_f64 v[130:131], v[1:2], v[130:131]
	s_waitcnt vmcnt(0)
	v_fma_f64 v[1:2], v[1:2], v[134:135], -v[136:137]
	v_fma_f64 v[3:4], v[3:4], v[134:135], v[130:131]
.LBB124_1002:
	s_mov_b32 s5, exec_lo
	v_cmpx_ne_u32_e32 20, v0
	s_cbranch_execz .LBB124_1006
; %bb.1003:
	v_add_nc_u32_e32 v130, 0x3e0, v133
	v_add3_u32 v131, 0, v133, 16
	v_mov_b32_e32 v132, v0
	s_mov_b32 s6, 0
	.p2align	6
.LBB124_1004:                           ; =>This Inner Loop Header: Depth=1
	s_clause 0x3
	buffer_load_dword v138, v131, s[0:3], 0 offen offset:8
	buffer_load_dword v139, v131, s[0:3], 0 offen offset:12
	buffer_load_dword v140, v131, s[0:3], 0 offen
	buffer_load_dword v141, v131, s[0:3], 0 offen offset:4
	ds_read_b128 v[134:137], v130
	v_add_nc_u32_e32 v132, 1, v132
	v_add_nc_u32_e32 v130, 16, v130
	;; [unrolled: 1-line block ×3, first 2 shown]
	v_cmp_lt_u32_e32 vcc_lo, 19, v132
	s_or_b32 s6, vcc_lo, s6
	s_waitcnt vmcnt(2) lgkmcnt(0)
	v_mul_f64 v[142:143], v[136:137], v[138:139]
	v_mul_f64 v[138:139], v[134:135], v[138:139]
	s_waitcnt vmcnt(0)
	v_fma_f64 v[134:135], v[134:135], v[140:141], -v[142:143]
	v_fma_f64 v[136:137], v[136:137], v[140:141], v[138:139]
	v_add_f64 v[1:2], v[1:2], v[134:135]
	v_add_f64 v[3:4], v[3:4], v[136:137]
	s_andn2_b32 exec_lo, exec_lo, s6
	s_cbranch_execnz .LBB124_1004
; %bb.1005:
	s_or_b32 exec_lo, exec_lo, s6
.LBB124_1006:
	s_or_b32 exec_lo, exec_lo, s5
	v_mov_b32_e32 v130, 0
	ds_read_b128 v[134:137], v130 offset:336
	s_waitcnt lgkmcnt(0)
	v_mul_f64 v[130:131], v[3:4], v[136:137]
	v_mul_f64 v[136:137], v[1:2], v[136:137]
	v_fma_f64 v[1:2], v[1:2], v[134:135], -v[130:131]
	v_fma_f64 v[3:4], v[3:4], v[134:135], v[136:137]
	buffer_store_dword v2, off, s[0:3], 0 offset:340
	buffer_store_dword v1, off, s[0:3], 0 offset:336
	;; [unrolled: 1-line block ×4, first 2 shown]
.LBB124_1007:
	s_or_b32 exec_lo, exec_lo, s4
	v_mov_b32_e32 v4, s48
	s_mov_b32 s4, exec_lo
	s_clause 0x3
	buffer_load_dword v1, v4, s[0:3], 0 offen
	buffer_load_dword v2, v4, s[0:3], 0 offen offset:4
	buffer_load_dword v3, v4, s[0:3], 0 offen offset:8
	;; [unrolled: 1-line block ×3, first 2 shown]
	s_waitcnt vmcnt(0)
	ds_write_b128 v128, v[1:4]
	s_waitcnt lgkmcnt(0)
	s_waitcnt_vscnt null, 0x0
	s_barrier
	buffer_gl0_inv
	v_cmpx_gt_u32_e32 22, v0
	s_cbranch_execz .LBB124_1015
; %bb.1008:
	ds_read_b128 v[1:4], v128
	v_cmp_ne_u32_e32 vcc_lo, 1, v129
	s_cbranch_vccnz .LBB124_1010
; %bb.1009:
	s_clause 0x3
	buffer_load_dword v130, v127, s[0:3], 0 offen offset:8
	buffer_load_dword v131, v127, s[0:3], 0 offen offset:12
	buffer_load_dword v134, v127, s[0:3], 0 offen
	buffer_load_dword v135, v127, s[0:3], 0 offen offset:4
	s_waitcnt vmcnt(2) lgkmcnt(0)
	v_mul_f64 v[136:137], v[3:4], v[130:131]
	v_mul_f64 v[130:131], v[1:2], v[130:131]
	s_waitcnt vmcnt(0)
	v_fma_f64 v[1:2], v[1:2], v[134:135], -v[136:137]
	v_fma_f64 v[3:4], v[3:4], v[134:135], v[130:131]
.LBB124_1010:
	s_mov_b32 s5, exec_lo
	v_cmpx_ne_u32_e32 21, v0
	s_cbranch_execz .LBB124_1014
; %bb.1011:
	v_add_nc_u32_e32 v130, 0x3e0, v133
	v_add3_u32 v131, 0, v133, 16
	v_mov_b32_e32 v132, v0
	s_mov_b32 s6, 0
	.p2align	6
.LBB124_1012:                           ; =>This Inner Loop Header: Depth=1
	s_clause 0x3
	buffer_load_dword v138, v131, s[0:3], 0 offen offset:8
	buffer_load_dword v139, v131, s[0:3], 0 offen offset:12
	buffer_load_dword v140, v131, s[0:3], 0 offen
	buffer_load_dword v141, v131, s[0:3], 0 offen offset:4
	ds_read_b128 v[134:137], v130
	v_add_nc_u32_e32 v132, 1, v132
	v_add_nc_u32_e32 v130, 16, v130
	;; [unrolled: 1-line block ×3, first 2 shown]
	v_cmp_lt_u32_e32 vcc_lo, 20, v132
	s_or_b32 s6, vcc_lo, s6
	s_waitcnt vmcnt(2) lgkmcnt(0)
	v_mul_f64 v[142:143], v[136:137], v[138:139]
	v_mul_f64 v[138:139], v[134:135], v[138:139]
	s_waitcnt vmcnt(0)
	v_fma_f64 v[134:135], v[134:135], v[140:141], -v[142:143]
	v_fma_f64 v[136:137], v[136:137], v[140:141], v[138:139]
	v_add_f64 v[1:2], v[1:2], v[134:135]
	v_add_f64 v[3:4], v[3:4], v[136:137]
	s_andn2_b32 exec_lo, exec_lo, s6
	s_cbranch_execnz .LBB124_1012
; %bb.1013:
	s_or_b32 exec_lo, exec_lo, s6
.LBB124_1014:
	s_or_b32 exec_lo, exec_lo, s5
	v_mov_b32_e32 v130, 0
	ds_read_b128 v[134:137], v130 offset:352
	s_waitcnt lgkmcnt(0)
	v_mul_f64 v[130:131], v[3:4], v[136:137]
	v_mul_f64 v[136:137], v[1:2], v[136:137]
	v_fma_f64 v[1:2], v[1:2], v[134:135], -v[130:131]
	v_fma_f64 v[3:4], v[3:4], v[134:135], v[136:137]
	buffer_store_dword v2, off, s[0:3], 0 offset:356
	buffer_store_dword v1, off, s[0:3], 0 offset:352
	;; [unrolled: 1-line block ×4, first 2 shown]
.LBB124_1015:
	s_or_b32 exec_lo, exec_lo, s4
	v_mov_b32_e32 v4, s47
	s_mov_b32 s4, exec_lo
	s_clause 0x3
	buffer_load_dword v1, v4, s[0:3], 0 offen
	buffer_load_dword v2, v4, s[0:3], 0 offen offset:4
	buffer_load_dword v3, v4, s[0:3], 0 offen offset:8
	;; [unrolled: 1-line block ×3, first 2 shown]
	s_waitcnt vmcnt(0)
	ds_write_b128 v128, v[1:4]
	s_waitcnt lgkmcnt(0)
	s_waitcnt_vscnt null, 0x0
	s_barrier
	buffer_gl0_inv
	v_cmpx_gt_u32_e32 23, v0
	s_cbranch_execz .LBB124_1023
; %bb.1016:
	ds_read_b128 v[1:4], v128
	v_cmp_ne_u32_e32 vcc_lo, 1, v129
	s_cbranch_vccnz .LBB124_1018
; %bb.1017:
	s_clause 0x3
	buffer_load_dword v130, v127, s[0:3], 0 offen offset:8
	buffer_load_dword v131, v127, s[0:3], 0 offen offset:12
	buffer_load_dword v134, v127, s[0:3], 0 offen
	buffer_load_dword v135, v127, s[0:3], 0 offen offset:4
	s_waitcnt vmcnt(2) lgkmcnt(0)
	v_mul_f64 v[136:137], v[3:4], v[130:131]
	v_mul_f64 v[130:131], v[1:2], v[130:131]
	s_waitcnt vmcnt(0)
	v_fma_f64 v[1:2], v[1:2], v[134:135], -v[136:137]
	v_fma_f64 v[3:4], v[3:4], v[134:135], v[130:131]
.LBB124_1018:
	s_mov_b32 s5, exec_lo
	v_cmpx_ne_u32_e32 22, v0
	s_cbranch_execz .LBB124_1022
; %bb.1019:
	v_add_nc_u32_e32 v130, 0x3e0, v133
	v_add3_u32 v131, 0, v133, 16
	v_mov_b32_e32 v132, v0
	s_mov_b32 s6, 0
	.p2align	6
.LBB124_1020:                           ; =>This Inner Loop Header: Depth=1
	s_clause 0x3
	buffer_load_dword v138, v131, s[0:3], 0 offen offset:8
	buffer_load_dword v139, v131, s[0:3], 0 offen offset:12
	buffer_load_dword v140, v131, s[0:3], 0 offen
	buffer_load_dword v141, v131, s[0:3], 0 offen offset:4
	ds_read_b128 v[134:137], v130
	v_add_nc_u32_e32 v132, 1, v132
	v_add_nc_u32_e32 v130, 16, v130
	;; [unrolled: 1-line block ×3, first 2 shown]
	v_cmp_lt_u32_e32 vcc_lo, 21, v132
	s_or_b32 s6, vcc_lo, s6
	s_waitcnt vmcnt(2) lgkmcnt(0)
	v_mul_f64 v[142:143], v[136:137], v[138:139]
	v_mul_f64 v[138:139], v[134:135], v[138:139]
	s_waitcnt vmcnt(0)
	v_fma_f64 v[134:135], v[134:135], v[140:141], -v[142:143]
	v_fma_f64 v[136:137], v[136:137], v[140:141], v[138:139]
	v_add_f64 v[1:2], v[1:2], v[134:135]
	v_add_f64 v[3:4], v[3:4], v[136:137]
	s_andn2_b32 exec_lo, exec_lo, s6
	s_cbranch_execnz .LBB124_1020
; %bb.1021:
	s_or_b32 exec_lo, exec_lo, s6
.LBB124_1022:
	s_or_b32 exec_lo, exec_lo, s5
	v_mov_b32_e32 v130, 0
	ds_read_b128 v[134:137], v130 offset:368
	s_waitcnt lgkmcnt(0)
	v_mul_f64 v[130:131], v[3:4], v[136:137]
	v_mul_f64 v[136:137], v[1:2], v[136:137]
	v_fma_f64 v[1:2], v[1:2], v[134:135], -v[130:131]
	v_fma_f64 v[3:4], v[3:4], v[134:135], v[136:137]
	buffer_store_dword v2, off, s[0:3], 0 offset:372
	buffer_store_dword v1, off, s[0:3], 0 offset:368
	;; [unrolled: 1-line block ×4, first 2 shown]
.LBB124_1023:
	s_or_b32 exec_lo, exec_lo, s4
	v_mov_b32_e32 v4, s46
	s_mov_b32 s4, exec_lo
	s_clause 0x3
	buffer_load_dword v1, v4, s[0:3], 0 offen
	buffer_load_dword v2, v4, s[0:3], 0 offen offset:4
	buffer_load_dword v3, v4, s[0:3], 0 offen offset:8
	;; [unrolled: 1-line block ×3, first 2 shown]
	s_waitcnt vmcnt(0)
	ds_write_b128 v128, v[1:4]
	s_waitcnt lgkmcnt(0)
	s_waitcnt_vscnt null, 0x0
	s_barrier
	buffer_gl0_inv
	v_cmpx_gt_u32_e32 24, v0
	s_cbranch_execz .LBB124_1031
; %bb.1024:
	ds_read_b128 v[1:4], v128
	v_cmp_ne_u32_e32 vcc_lo, 1, v129
	s_cbranch_vccnz .LBB124_1026
; %bb.1025:
	s_clause 0x3
	buffer_load_dword v130, v127, s[0:3], 0 offen offset:8
	buffer_load_dword v131, v127, s[0:3], 0 offen offset:12
	buffer_load_dword v134, v127, s[0:3], 0 offen
	buffer_load_dword v135, v127, s[0:3], 0 offen offset:4
	s_waitcnt vmcnt(2) lgkmcnt(0)
	v_mul_f64 v[136:137], v[3:4], v[130:131]
	v_mul_f64 v[130:131], v[1:2], v[130:131]
	s_waitcnt vmcnt(0)
	v_fma_f64 v[1:2], v[1:2], v[134:135], -v[136:137]
	v_fma_f64 v[3:4], v[3:4], v[134:135], v[130:131]
.LBB124_1026:
	s_mov_b32 s5, exec_lo
	v_cmpx_ne_u32_e32 23, v0
	s_cbranch_execz .LBB124_1030
; %bb.1027:
	v_add_nc_u32_e32 v130, 0x3e0, v133
	v_add3_u32 v131, 0, v133, 16
	v_mov_b32_e32 v132, v0
	s_mov_b32 s6, 0
	.p2align	6
.LBB124_1028:                           ; =>This Inner Loop Header: Depth=1
	s_clause 0x3
	buffer_load_dword v138, v131, s[0:3], 0 offen offset:8
	buffer_load_dword v139, v131, s[0:3], 0 offen offset:12
	buffer_load_dword v140, v131, s[0:3], 0 offen
	buffer_load_dword v141, v131, s[0:3], 0 offen offset:4
	ds_read_b128 v[134:137], v130
	v_add_nc_u32_e32 v132, 1, v132
	v_add_nc_u32_e32 v130, 16, v130
	;; [unrolled: 1-line block ×3, first 2 shown]
	v_cmp_lt_u32_e32 vcc_lo, 22, v132
	s_or_b32 s6, vcc_lo, s6
	s_waitcnt vmcnt(2) lgkmcnt(0)
	v_mul_f64 v[142:143], v[136:137], v[138:139]
	v_mul_f64 v[138:139], v[134:135], v[138:139]
	s_waitcnt vmcnt(0)
	v_fma_f64 v[134:135], v[134:135], v[140:141], -v[142:143]
	v_fma_f64 v[136:137], v[136:137], v[140:141], v[138:139]
	v_add_f64 v[1:2], v[1:2], v[134:135]
	v_add_f64 v[3:4], v[3:4], v[136:137]
	s_andn2_b32 exec_lo, exec_lo, s6
	s_cbranch_execnz .LBB124_1028
; %bb.1029:
	s_or_b32 exec_lo, exec_lo, s6
.LBB124_1030:
	s_or_b32 exec_lo, exec_lo, s5
	v_mov_b32_e32 v130, 0
	ds_read_b128 v[134:137], v130 offset:384
	s_waitcnt lgkmcnt(0)
	v_mul_f64 v[130:131], v[3:4], v[136:137]
	v_mul_f64 v[136:137], v[1:2], v[136:137]
	v_fma_f64 v[1:2], v[1:2], v[134:135], -v[130:131]
	v_fma_f64 v[3:4], v[3:4], v[134:135], v[136:137]
	buffer_store_dword v2, off, s[0:3], 0 offset:388
	buffer_store_dword v1, off, s[0:3], 0 offset:384
	;; [unrolled: 1-line block ×4, first 2 shown]
.LBB124_1031:
	s_or_b32 exec_lo, exec_lo, s4
	v_mov_b32_e32 v4, s45
	s_mov_b32 s4, exec_lo
	s_clause 0x3
	buffer_load_dword v1, v4, s[0:3], 0 offen
	buffer_load_dword v2, v4, s[0:3], 0 offen offset:4
	buffer_load_dword v3, v4, s[0:3], 0 offen offset:8
	;; [unrolled: 1-line block ×3, first 2 shown]
	s_waitcnt vmcnt(0)
	ds_write_b128 v128, v[1:4]
	s_waitcnt lgkmcnt(0)
	s_waitcnt_vscnt null, 0x0
	s_barrier
	buffer_gl0_inv
	v_cmpx_gt_u32_e32 25, v0
	s_cbranch_execz .LBB124_1039
; %bb.1032:
	ds_read_b128 v[1:4], v128
	v_cmp_ne_u32_e32 vcc_lo, 1, v129
	s_cbranch_vccnz .LBB124_1034
; %bb.1033:
	s_clause 0x3
	buffer_load_dword v130, v127, s[0:3], 0 offen offset:8
	buffer_load_dword v131, v127, s[0:3], 0 offen offset:12
	buffer_load_dword v134, v127, s[0:3], 0 offen
	buffer_load_dword v135, v127, s[0:3], 0 offen offset:4
	s_waitcnt vmcnt(2) lgkmcnt(0)
	v_mul_f64 v[136:137], v[3:4], v[130:131]
	v_mul_f64 v[130:131], v[1:2], v[130:131]
	s_waitcnt vmcnt(0)
	v_fma_f64 v[1:2], v[1:2], v[134:135], -v[136:137]
	v_fma_f64 v[3:4], v[3:4], v[134:135], v[130:131]
.LBB124_1034:
	s_mov_b32 s5, exec_lo
	v_cmpx_ne_u32_e32 24, v0
	s_cbranch_execz .LBB124_1038
; %bb.1035:
	v_add_nc_u32_e32 v130, 0x3e0, v133
	v_add3_u32 v131, 0, v133, 16
	v_mov_b32_e32 v132, v0
	s_mov_b32 s6, 0
	.p2align	6
.LBB124_1036:                           ; =>This Inner Loop Header: Depth=1
	s_clause 0x3
	buffer_load_dword v138, v131, s[0:3], 0 offen offset:8
	buffer_load_dword v139, v131, s[0:3], 0 offen offset:12
	buffer_load_dword v140, v131, s[0:3], 0 offen
	buffer_load_dword v141, v131, s[0:3], 0 offen offset:4
	ds_read_b128 v[134:137], v130
	v_add_nc_u32_e32 v132, 1, v132
	v_add_nc_u32_e32 v130, 16, v130
	;; [unrolled: 1-line block ×3, first 2 shown]
	v_cmp_lt_u32_e32 vcc_lo, 23, v132
	s_or_b32 s6, vcc_lo, s6
	s_waitcnt vmcnt(2) lgkmcnt(0)
	v_mul_f64 v[142:143], v[136:137], v[138:139]
	v_mul_f64 v[138:139], v[134:135], v[138:139]
	s_waitcnt vmcnt(0)
	v_fma_f64 v[134:135], v[134:135], v[140:141], -v[142:143]
	v_fma_f64 v[136:137], v[136:137], v[140:141], v[138:139]
	v_add_f64 v[1:2], v[1:2], v[134:135]
	v_add_f64 v[3:4], v[3:4], v[136:137]
	s_andn2_b32 exec_lo, exec_lo, s6
	s_cbranch_execnz .LBB124_1036
; %bb.1037:
	s_or_b32 exec_lo, exec_lo, s6
.LBB124_1038:
	s_or_b32 exec_lo, exec_lo, s5
	v_mov_b32_e32 v130, 0
	ds_read_b128 v[134:137], v130 offset:400
	s_waitcnt lgkmcnt(0)
	v_mul_f64 v[130:131], v[3:4], v[136:137]
	v_mul_f64 v[136:137], v[1:2], v[136:137]
	v_fma_f64 v[1:2], v[1:2], v[134:135], -v[130:131]
	v_fma_f64 v[3:4], v[3:4], v[134:135], v[136:137]
	buffer_store_dword v2, off, s[0:3], 0 offset:404
	buffer_store_dword v1, off, s[0:3], 0 offset:400
	;; [unrolled: 1-line block ×4, first 2 shown]
.LBB124_1039:
	s_or_b32 exec_lo, exec_lo, s4
	v_mov_b32_e32 v4, s44
	s_mov_b32 s4, exec_lo
	s_clause 0x3
	buffer_load_dword v1, v4, s[0:3], 0 offen
	buffer_load_dword v2, v4, s[0:3], 0 offen offset:4
	buffer_load_dword v3, v4, s[0:3], 0 offen offset:8
	;; [unrolled: 1-line block ×3, first 2 shown]
	s_waitcnt vmcnt(0)
	ds_write_b128 v128, v[1:4]
	s_waitcnt lgkmcnt(0)
	s_waitcnt_vscnt null, 0x0
	s_barrier
	buffer_gl0_inv
	v_cmpx_gt_u32_e32 26, v0
	s_cbranch_execz .LBB124_1047
; %bb.1040:
	ds_read_b128 v[1:4], v128
	v_cmp_ne_u32_e32 vcc_lo, 1, v129
	s_cbranch_vccnz .LBB124_1042
; %bb.1041:
	s_clause 0x3
	buffer_load_dword v130, v127, s[0:3], 0 offen offset:8
	buffer_load_dword v131, v127, s[0:3], 0 offen offset:12
	buffer_load_dword v134, v127, s[0:3], 0 offen
	buffer_load_dword v135, v127, s[0:3], 0 offen offset:4
	s_waitcnt vmcnt(2) lgkmcnt(0)
	v_mul_f64 v[136:137], v[3:4], v[130:131]
	v_mul_f64 v[130:131], v[1:2], v[130:131]
	s_waitcnt vmcnt(0)
	v_fma_f64 v[1:2], v[1:2], v[134:135], -v[136:137]
	v_fma_f64 v[3:4], v[3:4], v[134:135], v[130:131]
.LBB124_1042:
	s_mov_b32 s5, exec_lo
	v_cmpx_ne_u32_e32 25, v0
	s_cbranch_execz .LBB124_1046
; %bb.1043:
	v_add_nc_u32_e32 v130, 0x3e0, v133
	v_add3_u32 v131, 0, v133, 16
	v_mov_b32_e32 v132, v0
	s_mov_b32 s6, 0
	.p2align	6
.LBB124_1044:                           ; =>This Inner Loop Header: Depth=1
	s_clause 0x3
	buffer_load_dword v138, v131, s[0:3], 0 offen offset:8
	buffer_load_dword v139, v131, s[0:3], 0 offen offset:12
	buffer_load_dword v140, v131, s[0:3], 0 offen
	buffer_load_dword v141, v131, s[0:3], 0 offen offset:4
	ds_read_b128 v[134:137], v130
	v_add_nc_u32_e32 v132, 1, v132
	v_add_nc_u32_e32 v130, 16, v130
	;; [unrolled: 1-line block ×3, first 2 shown]
	v_cmp_lt_u32_e32 vcc_lo, 24, v132
	s_or_b32 s6, vcc_lo, s6
	s_waitcnt vmcnt(2) lgkmcnt(0)
	v_mul_f64 v[142:143], v[136:137], v[138:139]
	v_mul_f64 v[138:139], v[134:135], v[138:139]
	s_waitcnt vmcnt(0)
	v_fma_f64 v[134:135], v[134:135], v[140:141], -v[142:143]
	v_fma_f64 v[136:137], v[136:137], v[140:141], v[138:139]
	v_add_f64 v[1:2], v[1:2], v[134:135]
	v_add_f64 v[3:4], v[3:4], v[136:137]
	s_andn2_b32 exec_lo, exec_lo, s6
	s_cbranch_execnz .LBB124_1044
; %bb.1045:
	s_or_b32 exec_lo, exec_lo, s6
.LBB124_1046:
	s_or_b32 exec_lo, exec_lo, s5
	v_mov_b32_e32 v130, 0
	ds_read_b128 v[134:137], v130 offset:416
	s_waitcnt lgkmcnt(0)
	v_mul_f64 v[130:131], v[3:4], v[136:137]
	v_mul_f64 v[136:137], v[1:2], v[136:137]
	v_fma_f64 v[1:2], v[1:2], v[134:135], -v[130:131]
	v_fma_f64 v[3:4], v[3:4], v[134:135], v[136:137]
	buffer_store_dword v2, off, s[0:3], 0 offset:420
	buffer_store_dword v1, off, s[0:3], 0 offset:416
	;; [unrolled: 1-line block ×4, first 2 shown]
.LBB124_1047:
	s_or_b32 exec_lo, exec_lo, s4
	v_mov_b32_e32 v4, s43
	s_mov_b32 s4, exec_lo
	s_clause 0x3
	buffer_load_dword v1, v4, s[0:3], 0 offen
	buffer_load_dword v2, v4, s[0:3], 0 offen offset:4
	buffer_load_dword v3, v4, s[0:3], 0 offen offset:8
	;; [unrolled: 1-line block ×3, first 2 shown]
	s_waitcnt vmcnt(0)
	ds_write_b128 v128, v[1:4]
	s_waitcnt lgkmcnt(0)
	s_waitcnt_vscnt null, 0x0
	s_barrier
	buffer_gl0_inv
	v_cmpx_gt_u32_e32 27, v0
	s_cbranch_execz .LBB124_1055
; %bb.1048:
	ds_read_b128 v[1:4], v128
	v_cmp_ne_u32_e32 vcc_lo, 1, v129
	s_cbranch_vccnz .LBB124_1050
; %bb.1049:
	s_clause 0x3
	buffer_load_dword v130, v127, s[0:3], 0 offen offset:8
	buffer_load_dword v131, v127, s[0:3], 0 offen offset:12
	buffer_load_dword v134, v127, s[0:3], 0 offen
	buffer_load_dword v135, v127, s[0:3], 0 offen offset:4
	s_waitcnt vmcnt(2) lgkmcnt(0)
	v_mul_f64 v[136:137], v[3:4], v[130:131]
	v_mul_f64 v[130:131], v[1:2], v[130:131]
	s_waitcnt vmcnt(0)
	v_fma_f64 v[1:2], v[1:2], v[134:135], -v[136:137]
	v_fma_f64 v[3:4], v[3:4], v[134:135], v[130:131]
.LBB124_1050:
	s_mov_b32 s5, exec_lo
	v_cmpx_ne_u32_e32 26, v0
	s_cbranch_execz .LBB124_1054
; %bb.1051:
	v_add_nc_u32_e32 v130, 0x3e0, v133
	v_add3_u32 v131, 0, v133, 16
	v_mov_b32_e32 v132, v0
	s_mov_b32 s6, 0
	.p2align	6
.LBB124_1052:                           ; =>This Inner Loop Header: Depth=1
	s_clause 0x3
	buffer_load_dword v138, v131, s[0:3], 0 offen offset:8
	buffer_load_dword v139, v131, s[0:3], 0 offen offset:12
	buffer_load_dword v140, v131, s[0:3], 0 offen
	buffer_load_dword v141, v131, s[0:3], 0 offen offset:4
	ds_read_b128 v[134:137], v130
	v_add_nc_u32_e32 v132, 1, v132
	v_add_nc_u32_e32 v130, 16, v130
	;; [unrolled: 1-line block ×3, first 2 shown]
	v_cmp_lt_u32_e32 vcc_lo, 25, v132
	s_or_b32 s6, vcc_lo, s6
	s_waitcnt vmcnt(2) lgkmcnt(0)
	v_mul_f64 v[142:143], v[136:137], v[138:139]
	v_mul_f64 v[138:139], v[134:135], v[138:139]
	s_waitcnt vmcnt(0)
	v_fma_f64 v[134:135], v[134:135], v[140:141], -v[142:143]
	v_fma_f64 v[136:137], v[136:137], v[140:141], v[138:139]
	v_add_f64 v[1:2], v[1:2], v[134:135]
	v_add_f64 v[3:4], v[3:4], v[136:137]
	s_andn2_b32 exec_lo, exec_lo, s6
	s_cbranch_execnz .LBB124_1052
; %bb.1053:
	s_or_b32 exec_lo, exec_lo, s6
.LBB124_1054:
	s_or_b32 exec_lo, exec_lo, s5
	v_mov_b32_e32 v130, 0
	ds_read_b128 v[134:137], v130 offset:432
	s_waitcnt lgkmcnt(0)
	v_mul_f64 v[130:131], v[3:4], v[136:137]
	v_mul_f64 v[136:137], v[1:2], v[136:137]
	v_fma_f64 v[1:2], v[1:2], v[134:135], -v[130:131]
	v_fma_f64 v[3:4], v[3:4], v[134:135], v[136:137]
	buffer_store_dword v2, off, s[0:3], 0 offset:436
	buffer_store_dword v1, off, s[0:3], 0 offset:432
	;; [unrolled: 1-line block ×4, first 2 shown]
.LBB124_1055:
	s_or_b32 exec_lo, exec_lo, s4
	v_mov_b32_e32 v4, s42
	s_mov_b32 s4, exec_lo
	s_clause 0x3
	buffer_load_dword v1, v4, s[0:3], 0 offen
	buffer_load_dword v2, v4, s[0:3], 0 offen offset:4
	buffer_load_dword v3, v4, s[0:3], 0 offen offset:8
	;; [unrolled: 1-line block ×3, first 2 shown]
	s_waitcnt vmcnt(0)
	ds_write_b128 v128, v[1:4]
	s_waitcnt lgkmcnt(0)
	s_waitcnt_vscnt null, 0x0
	s_barrier
	buffer_gl0_inv
	v_cmpx_gt_u32_e32 28, v0
	s_cbranch_execz .LBB124_1063
; %bb.1056:
	ds_read_b128 v[1:4], v128
	v_cmp_ne_u32_e32 vcc_lo, 1, v129
	s_cbranch_vccnz .LBB124_1058
; %bb.1057:
	s_clause 0x3
	buffer_load_dword v130, v127, s[0:3], 0 offen offset:8
	buffer_load_dword v131, v127, s[0:3], 0 offen offset:12
	buffer_load_dword v134, v127, s[0:3], 0 offen
	buffer_load_dword v135, v127, s[0:3], 0 offen offset:4
	s_waitcnt vmcnt(2) lgkmcnt(0)
	v_mul_f64 v[136:137], v[3:4], v[130:131]
	v_mul_f64 v[130:131], v[1:2], v[130:131]
	s_waitcnt vmcnt(0)
	v_fma_f64 v[1:2], v[1:2], v[134:135], -v[136:137]
	v_fma_f64 v[3:4], v[3:4], v[134:135], v[130:131]
.LBB124_1058:
	s_mov_b32 s5, exec_lo
	v_cmpx_ne_u32_e32 27, v0
	s_cbranch_execz .LBB124_1062
; %bb.1059:
	v_add_nc_u32_e32 v130, 0x3e0, v133
	v_add3_u32 v131, 0, v133, 16
	v_mov_b32_e32 v132, v0
	s_mov_b32 s6, 0
	.p2align	6
.LBB124_1060:                           ; =>This Inner Loop Header: Depth=1
	s_clause 0x3
	buffer_load_dword v138, v131, s[0:3], 0 offen offset:8
	buffer_load_dword v139, v131, s[0:3], 0 offen offset:12
	buffer_load_dword v140, v131, s[0:3], 0 offen
	buffer_load_dword v141, v131, s[0:3], 0 offen offset:4
	ds_read_b128 v[134:137], v130
	v_add_nc_u32_e32 v132, 1, v132
	v_add_nc_u32_e32 v130, 16, v130
	;; [unrolled: 1-line block ×3, first 2 shown]
	v_cmp_lt_u32_e32 vcc_lo, 26, v132
	s_or_b32 s6, vcc_lo, s6
	s_waitcnt vmcnt(2) lgkmcnt(0)
	v_mul_f64 v[142:143], v[136:137], v[138:139]
	v_mul_f64 v[138:139], v[134:135], v[138:139]
	s_waitcnt vmcnt(0)
	v_fma_f64 v[134:135], v[134:135], v[140:141], -v[142:143]
	v_fma_f64 v[136:137], v[136:137], v[140:141], v[138:139]
	v_add_f64 v[1:2], v[1:2], v[134:135]
	v_add_f64 v[3:4], v[3:4], v[136:137]
	s_andn2_b32 exec_lo, exec_lo, s6
	s_cbranch_execnz .LBB124_1060
; %bb.1061:
	s_or_b32 exec_lo, exec_lo, s6
.LBB124_1062:
	s_or_b32 exec_lo, exec_lo, s5
	v_mov_b32_e32 v130, 0
	ds_read_b128 v[134:137], v130 offset:448
	s_waitcnt lgkmcnt(0)
	v_mul_f64 v[130:131], v[3:4], v[136:137]
	v_mul_f64 v[136:137], v[1:2], v[136:137]
	v_fma_f64 v[1:2], v[1:2], v[134:135], -v[130:131]
	v_fma_f64 v[3:4], v[3:4], v[134:135], v[136:137]
	buffer_store_dword v2, off, s[0:3], 0 offset:452
	buffer_store_dword v1, off, s[0:3], 0 offset:448
	;; [unrolled: 1-line block ×4, first 2 shown]
.LBB124_1063:
	s_or_b32 exec_lo, exec_lo, s4
	v_mov_b32_e32 v4, s41
	s_mov_b32 s4, exec_lo
	s_clause 0x3
	buffer_load_dword v1, v4, s[0:3], 0 offen
	buffer_load_dword v2, v4, s[0:3], 0 offen offset:4
	buffer_load_dword v3, v4, s[0:3], 0 offen offset:8
	;; [unrolled: 1-line block ×3, first 2 shown]
	s_waitcnt vmcnt(0)
	ds_write_b128 v128, v[1:4]
	s_waitcnt lgkmcnt(0)
	s_waitcnt_vscnt null, 0x0
	s_barrier
	buffer_gl0_inv
	v_cmpx_gt_u32_e32 29, v0
	s_cbranch_execz .LBB124_1071
; %bb.1064:
	ds_read_b128 v[1:4], v128
	v_cmp_ne_u32_e32 vcc_lo, 1, v129
	s_cbranch_vccnz .LBB124_1066
; %bb.1065:
	s_clause 0x3
	buffer_load_dword v130, v127, s[0:3], 0 offen offset:8
	buffer_load_dword v131, v127, s[0:3], 0 offen offset:12
	buffer_load_dword v134, v127, s[0:3], 0 offen
	buffer_load_dword v135, v127, s[0:3], 0 offen offset:4
	s_waitcnt vmcnt(2) lgkmcnt(0)
	v_mul_f64 v[136:137], v[3:4], v[130:131]
	v_mul_f64 v[130:131], v[1:2], v[130:131]
	s_waitcnt vmcnt(0)
	v_fma_f64 v[1:2], v[1:2], v[134:135], -v[136:137]
	v_fma_f64 v[3:4], v[3:4], v[134:135], v[130:131]
.LBB124_1066:
	s_mov_b32 s5, exec_lo
	v_cmpx_ne_u32_e32 28, v0
	s_cbranch_execz .LBB124_1070
; %bb.1067:
	v_add_nc_u32_e32 v130, 0x3e0, v133
	v_add3_u32 v131, 0, v133, 16
	v_mov_b32_e32 v132, v0
	s_mov_b32 s6, 0
	.p2align	6
.LBB124_1068:                           ; =>This Inner Loop Header: Depth=1
	s_clause 0x3
	buffer_load_dword v138, v131, s[0:3], 0 offen offset:8
	buffer_load_dword v139, v131, s[0:3], 0 offen offset:12
	buffer_load_dword v140, v131, s[0:3], 0 offen
	buffer_load_dword v141, v131, s[0:3], 0 offen offset:4
	ds_read_b128 v[134:137], v130
	v_add_nc_u32_e32 v132, 1, v132
	v_add_nc_u32_e32 v130, 16, v130
	;; [unrolled: 1-line block ×3, first 2 shown]
	v_cmp_lt_u32_e32 vcc_lo, 27, v132
	s_or_b32 s6, vcc_lo, s6
	s_waitcnt vmcnt(2) lgkmcnt(0)
	v_mul_f64 v[142:143], v[136:137], v[138:139]
	v_mul_f64 v[138:139], v[134:135], v[138:139]
	s_waitcnt vmcnt(0)
	v_fma_f64 v[134:135], v[134:135], v[140:141], -v[142:143]
	v_fma_f64 v[136:137], v[136:137], v[140:141], v[138:139]
	v_add_f64 v[1:2], v[1:2], v[134:135]
	v_add_f64 v[3:4], v[3:4], v[136:137]
	s_andn2_b32 exec_lo, exec_lo, s6
	s_cbranch_execnz .LBB124_1068
; %bb.1069:
	s_or_b32 exec_lo, exec_lo, s6
.LBB124_1070:
	s_or_b32 exec_lo, exec_lo, s5
	v_mov_b32_e32 v130, 0
	ds_read_b128 v[134:137], v130 offset:464
	s_waitcnt lgkmcnt(0)
	v_mul_f64 v[130:131], v[3:4], v[136:137]
	v_mul_f64 v[136:137], v[1:2], v[136:137]
	v_fma_f64 v[1:2], v[1:2], v[134:135], -v[130:131]
	v_fma_f64 v[3:4], v[3:4], v[134:135], v[136:137]
	buffer_store_dword v2, off, s[0:3], 0 offset:468
	buffer_store_dword v1, off, s[0:3], 0 offset:464
	;; [unrolled: 1-line block ×4, first 2 shown]
.LBB124_1071:
	s_or_b32 exec_lo, exec_lo, s4
	v_mov_b32_e32 v4, s40
	s_mov_b32 s4, exec_lo
	s_clause 0x3
	buffer_load_dword v1, v4, s[0:3], 0 offen
	buffer_load_dword v2, v4, s[0:3], 0 offen offset:4
	buffer_load_dword v3, v4, s[0:3], 0 offen offset:8
	;; [unrolled: 1-line block ×3, first 2 shown]
	s_waitcnt vmcnt(0)
	ds_write_b128 v128, v[1:4]
	s_waitcnt lgkmcnt(0)
	s_waitcnt_vscnt null, 0x0
	s_barrier
	buffer_gl0_inv
	v_cmpx_gt_u32_e32 30, v0
	s_cbranch_execz .LBB124_1079
; %bb.1072:
	ds_read_b128 v[1:4], v128
	v_cmp_ne_u32_e32 vcc_lo, 1, v129
	s_cbranch_vccnz .LBB124_1074
; %bb.1073:
	s_clause 0x3
	buffer_load_dword v130, v127, s[0:3], 0 offen offset:8
	buffer_load_dword v131, v127, s[0:3], 0 offen offset:12
	buffer_load_dword v134, v127, s[0:3], 0 offen
	buffer_load_dword v135, v127, s[0:3], 0 offen offset:4
	s_waitcnt vmcnt(2) lgkmcnt(0)
	v_mul_f64 v[136:137], v[3:4], v[130:131]
	v_mul_f64 v[130:131], v[1:2], v[130:131]
	s_waitcnt vmcnt(0)
	v_fma_f64 v[1:2], v[1:2], v[134:135], -v[136:137]
	v_fma_f64 v[3:4], v[3:4], v[134:135], v[130:131]
.LBB124_1074:
	s_mov_b32 s5, exec_lo
	v_cmpx_ne_u32_e32 29, v0
	s_cbranch_execz .LBB124_1078
; %bb.1075:
	v_add_nc_u32_e32 v130, 0x3e0, v133
	v_add3_u32 v131, 0, v133, 16
	v_mov_b32_e32 v132, v0
	s_mov_b32 s6, 0
	.p2align	6
.LBB124_1076:                           ; =>This Inner Loop Header: Depth=1
	s_clause 0x3
	buffer_load_dword v138, v131, s[0:3], 0 offen offset:8
	buffer_load_dword v139, v131, s[0:3], 0 offen offset:12
	buffer_load_dword v140, v131, s[0:3], 0 offen
	buffer_load_dword v141, v131, s[0:3], 0 offen offset:4
	ds_read_b128 v[134:137], v130
	v_add_nc_u32_e32 v132, 1, v132
	v_add_nc_u32_e32 v130, 16, v130
	;; [unrolled: 1-line block ×3, first 2 shown]
	v_cmp_lt_u32_e32 vcc_lo, 28, v132
	s_or_b32 s6, vcc_lo, s6
	s_waitcnt vmcnt(2) lgkmcnt(0)
	v_mul_f64 v[142:143], v[136:137], v[138:139]
	v_mul_f64 v[138:139], v[134:135], v[138:139]
	s_waitcnt vmcnt(0)
	v_fma_f64 v[134:135], v[134:135], v[140:141], -v[142:143]
	v_fma_f64 v[136:137], v[136:137], v[140:141], v[138:139]
	v_add_f64 v[1:2], v[1:2], v[134:135]
	v_add_f64 v[3:4], v[3:4], v[136:137]
	s_andn2_b32 exec_lo, exec_lo, s6
	s_cbranch_execnz .LBB124_1076
; %bb.1077:
	s_or_b32 exec_lo, exec_lo, s6
.LBB124_1078:
	s_or_b32 exec_lo, exec_lo, s5
	v_mov_b32_e32 v130, 0
	ds_read_b128 v[134:137], v130 offset:480
	s_waitcnt lgkmcnt(0)
	v_mul_f64 v[130:131], v[3:4], v[136:137]
	v_mul_f64 v[136:137], v[1:2], v[136:137]
	v_fma_f64 v[1:2], v[1:2], v[134:135], -v[130:131]
	v_fma_f64 v[3:4], v[3:4], v[134:135], v[136:137]
	buffer_store_dword v2, off, s[0:3], 0 offset:484
	buffer_store_dword v1, off, s[0:3], 0 offset:480
	;; [unrolled: 1-line block ×4, first 2 shown]
.LBB124_1079:
	s_or_b32 exec_lo, exec_lo, s4
	v_mov_b32_e32 v4, s39
	s_mov_b32 s4, exec_lo
	s_clause 0x3
	buffer_load_dword v1, v4, s[0:3], 0 offen
	buffer_load_dword v2, v4, s[0:3], 0 offen offset:4
	buffer_load_dword v3, v4, s[0:3], 0 offen offset:8
	;; [unrolled: 1-line block ×3, first 2 shown]
	s_waitcnt vmcnt(0)
	ds_write_b128 v128, v[1:4]
	s_waitcnt lgkmcnt(0)
	s_waitcnt_vscnt null, 0x0
	s_barrier
	buffer_gl0_inv
	v_cmpx_gt_u32_e32 31, v0
	s_cbranch_execz .LBB124_1087
; %bb.1080:
	ds_read_b128 v[1:4], v128
	v_cmp_ne_u32_e32 vcc_lo, 1, v129
	s_cbranch_vccnz .LBB124_1082
; %bb.1081:
	s_clause 0x3
	buffer_load_dword v130, v127, s[0:3], 0 offen offset:8
	buffer_load_dword v131, v127, s[0:3], 0 offen offset:12
	buffer_load_dword v134, v127, s[0:3], 0 offen
	buffer_load_dword v135, v127, s[0:3], 0 offen offset:4
	s_waitcnt vmcnt(2) lgkmcnt(0)
	v_mul_f64 v[136:137], v[3:4], v[130:131]
	v_mul_f64 v[130:131], v[1:2], v[130:131]
	s_waitcnt vmcnt(0)
	v_fma_f64 v[1:2], v[1:2], v[134:135], -v[136:137]
	v_fma_f64 v[3:4], v[3:4], v[134:135], v[130:131]
.LBB124_1082:
	s_mov_b32 s5, exec_lo
	v_cmpx_ne_u32_e32 30, v0
	s_cbranch_execz .LBB124_1086
; %bb.1083:
	v_add_nc_u32_e32 v130, 0x3e0, v133
	v_add3_u32 v131, 0, v133, 16
	v_mov_b32_e32 v132, v0
	s_mov_b32 s6, 0
	.p2align	6
.LBB124_1084:                           ; =>This Inner Loop Header: Depth=1
	s_clause 0x3
	buffer_load_dword v138, v131, s[0:3], 0 offen offset:8
	buffer_load_dword v139, v131, s[0:3], 0 offen offset:12
	buffer_load_dword v140, v131, s[0:3], 0 offen
	buffer_load_dword v141, v131, s[0:3], 0 offen offset:4
	ds_read_b128 v[134:137], v130
	v_add_nc_u32_e32 v132, 1, v132
	v_add_nc_u32_e32 v130, 16, v130
	v_add_nc_u32_e32 v131, 16, v131
	v_cmp_lt_u32_e32 vcc_lo, 29, v132
	s_or_b32 s6, vcc_lo, s6
	s_waitcnt vmcnt(2) lgkmcnt(0)
	v_mul_f64 v[142:143], v[136:137], v[138:139]
	v_mul_f64 v[138:139], v[134:135], v[138:139]
	s_waitcnt vmcnt(0)
	v_fma_f64 v[134:135], v[134:135], v[140:141], -v[142:143]
	v_fma_f64 v[136:137], v[136:137], v[140:141], v[138:139]
	v_add_f64 v[1:2], v[1:2], v[134:135]
	v_add_f64 v[3:4], v[3:4], v[136:137]
	s_andn2_b32 exec_lo, exec_lo, s6
	s_cbranch_execnz .LBB124_1084
; %bb.1085:
	s_or_b32 exec_lo, exec_lo, s6
.LBB124_1086:
	s_or_b32 exec_lo, exec_lo, s5
	v_mov_b32_e32 v130, 0
	ds_read_b128 v[134:137], v130 offset:496
	s_waitcnt lgkmcnt(0)
	v_mul_f64 v[130:131], v[3:4], v[136:137]
	v_mul_f64 v[136:137], v[1:2], v[136:137]
	v_fma_f64 v[1:2], v[1:2], v[134:135], -v[130:131]
	v_fma_f64 v[3:4], v[3:4], v[134:135], v[136:137]
	buffer_store_dword v2, off, s[0:3], 0 offset:500
	buffer_store_dword v1, off, s[0:3], 0 offset:496
	;; [unrolled: 1-line block ×4, first 2 shown]
.LBB124_1087:
	s_or_b32 exec_lo, exec_lo, s4
	v_mov_b32_e32 v4, s38
	s_mov_b32 s4, exec_lo
	s_clause 0x3
	buffer_load_dword v1, v4, s[0:3], 0 offen
	buffer_load_dword v2, v4, s[0:3], 0 offen offset:4
	buffer_load_dword v3, v4, s[0:3], 0 offen offset:8
	;; [unrolled: 1-line block ×3, first 2 shown]
	s_waitcnt vmcnt(0)
	ds_write_b128 v128, v[1:4]
	s_waitcnt lgkmcnt(0)
	s_waitcnt_vscnt null, 0x0
	s_barrier
	buffer_gl0_inv
	v_cmpx_gt_u32_e32 32, v0
	s_cbranch_execz .LBB124_1095
; %bb.1088:
	ds_read_b128 v[1:4], v128
	v_cmp_ne_u32_e32 vcc_lo, 1, v129
	s_cbranch_vccnz .LBB124_1090
; %bb.1089:
	s_clause 0x3
	buffer_load_dword v130, v127, s[0:3], 0 offen offset:8
	buffer_load_dword v131, v127, s[0:3], 0 offen offset:12
	buffer_load_dword v134, v127, s[0:3], 0 offen
	buffer_load_dword v135, v127, s[0:3], 0 offen offset:4
	s_waitcnt vmcnt(2) lgkmcnt(0)
	v_mul_f64 v[136:137], v[3:4], v[130:131]
	v_mul_f64 v[130:131], v[1:2], v[130:131]
	s_waitcnt vmcnt(0)
	v_fma_f64 v[1:2], v[1:2], v[134:135], -v[136:137]
	v_fma_f64 v[3:4], v[3:4], v[134:135], v[130:131]
.LBB124_1090:
	s_mov_b32 s5, exec_lo
	v_cmpx_ne_u32_e32 31, v0
	s_cbranch_execz .LBB124_1094
; %bb.1091:
	v_add_nc_u32_e32 v130, 0x3e0, v133
	v_add3_u32 v131, 0, v133, 16
	v_mov_b32_e32 v132, v0
	s_mov_b32 s6, 0
	.p2align	6
.LBB124_1092:                           ; =>This Inner Loop Header: Depth=1
	s_clause 0x3
	buffer_load_dword v138, v131, s[0:3], 0 offen offset:8
	buffer_load_dword v139, v131, s[0:3], 0 offen offset:12
	buffer_load_dword v140, v131, s[0:3], 0 offen
	buffer_load_dword v141, v131, s[0:3], 0 offen offset:4
	ds_read_b128 v[134:137], v130
	v_add_nc_u32_e32 v132, 1, v132
	v_add_nc_u32_e32 v130, 16, v130
	;; [unrolled: 1-line block ×3, first 2 shown]
	v_cmp_lt_u32_e32 vcc_lo, 30, v132
	s_or_b32 s6, vcc_lo, s6
	s_waitcnt vmcnt(2) lgkmcnt(0)
	v_mul_f64 v[142:143], v[136:137], v[138:139]
	v_mul_f64 v[138:139], v[134:135], v[138:139]
	s_waitcnt vmcnt(0)
	v_fma_f64 v[134:135], v[134:135], v[140:141], -v[142:143]
	v_fma_f64 v[136:137], v[136:137], v[140:141], v[138:139]
	v_add_f64 v[1:2], v[1:2], v[134:135]
	v_add_f64 v[3:4], v[3:4], v[136:137]
	s_andn2_b32 exec_lo, exec_lo, s6
	s_cbranch_execnz .LBB124_1092
; %bb.1093:
	s_or_b32 exec_lo, exec_lo, s6
.LBB124_1094:
	s_or_b32 exec_lo, exec_lo, s5
	v_mov_b32_e32 v130, 0
	ds_read_b128 v[134:137], v130 offset:512
	s_waitcnt lgkmcnt(0)
	v_mul_f64 v[130:131], v[3:4], v[136:137]
	v_mul_f64 v[136:137], v[1:2], v[136:137]
	v_fma_f64 v[1:2], v[1:2], v[134:135], -v[130:131]
	v_fma_f64 v[3:4], v[3:4], v[134:135], v[136:137]
	buffer_store_dword v2, off, s[0:3], 0 offset:516
	buffer_store_dword v1, off, s[0:3], 0 offset:512
	;; [unrolled: 1-line block ×4, first 2 shown]
.LBB124_1095:
	s_or_b32 exec_lo, exec_lo, s4
	v_mov_b32_e32 v4, s37
	s_mov_b32 s4, exec_lo
	s_clause 0x3
	buffer_load_dword v1, v4, s[0:3], 0 offen
	buffer_load_dword v2, v4, s[0:3], 0 offen offset:4
	buffer_load_dword v3, v4, s[0:3], 0 offen offset:8
	;; [unrolled: 1-line block ×3, first 2 shown]
	s_waitcnt vmcnt(0)
	ds_write_b128 v128, v[1:4]
	s_waitcnt lgkmcnt(0)
	s_waitcnt_vscnt null, 0x0
	s_barrier
	buffer_gl0_inv
	v_cmpx_gt_u32_e32 33, v0
	s_cbranch_execz .LBB124_1103
; %bb.1096:
	ds_read_b128 v[1:4], v128
	v_cmp_ne_u32_e32 vcc_lo, 1, v129
	s_cbranch_vccnz .LBB124_1098
; %bb.1097:
	s_clause 0x3
	buffer_load_dword v130, v127, s[0:3], 0 offen offset:8
	buffer_load_dword v131, v127, s[0:3], 0 offen offset:12
	buffer_load_dword v134, v127, s[0:3], 0 offen
	buffer_load_dword v135, v127, s[0:3], 0 offen offset:4
	s_waitcnt vmcnt(2) lgkmcnt(0)
	v_mul_f64 v[136:137], v[3:4], v[130:131]
	v_mul_f64 v[130:131], v[1:2], v[130:131]
	s_waitcnt vmcnt(0)
	v_fma_f64 v[1:2], v[1:2], v[134:135], -v[136:137]
	v_fma_f64 v[3:4], v[3:4], v[134:135], v[130:131]
.LBB124_1098:
	s_mov_b32 s5, exec_lo
	v_cmpx_ne_u32_e32 32, v0
	s_cbranch_execz .LBB124_1102
; %bb.1099:
	v_add_nc_u32_e32 v130, 0x3e0, v133
	v_add3_u32 v131, 0, v133, 16
	v_mov_b32_e32 v132, v0
	s_mov_b32 s6, 0
	.p2align	6
.LBB124_1100:                           ; =>This Inner Loop Header: Depth=1
	s_clause 0x3
	buffer_load_dword v138, v131, s[0:3], 0 offen offset:8
	buffer_load_dword v139, v131, s[0:3], 0 offen offset:12
	buffer_load_dword v140, v131, s[0:3], 0 offen
	buffer_load_dword v141, v131, s[0:3], 0 offen offset:4
	ds_read_b128 v[134:137], v130
	v_add_nc_u32_e32 v132, 1, v132
	v_add_nc_u32_e32 v130, 16, v130
	;; [unrolled: 1-line block ×3, first 2 shown]
	v_cmp_lt_u32_e32 vcc_lo, 31, v132
	s_or_b32 s6, vcc_lo, s6
	s_waitcnt vmcnt(2) lgkmcnt(0)
	v_mul_f64 v[142:143], v[136:137], v[138:139]
	v_mul_f64 v[138:139], v[134:135], v[138:139]
	s_waitcnt vmcnt(0)
	v_fma_f64 v[134:135], v[134:135], v[140:141], -v[142:143]
	v_fma_f64 v[136:137], v[136:137], v[140:141], v[138:139]
	v_add_f64 v[1:2], v[1:2], v[134:135]
	v_add_f64 v[3:4], v[3:4], v[136:137]
	s_andn2_b32 exec_lo, exec_lo, s6
	s_cbranch_execnz .LBB124_1100
; %bb.1101:
	s_or_b32 exec_lo, exec_lo, s6
.LBB124_1102:
	s_or_b32 exec_lo, exec_lo, s5
	v_mov_b32_e32 v130, 0
	ds_read_b128 v[134:137], v130 offset:528
	s_waitcnt lgkmcnt(0)
	v_mul_f64 v[130:131], v[3:4], v[136:137]
	v_mul_f64 v[136:137], v[1:2], v[136:137]
	v_fma_f64 v[1:2], v[1:2], v[134:135], -v[130:131]
	v_fma_f64 v[3:4], v[3:4], v[134:135], v[136:137]
	buffer_store_dword v2, off, s[0:3], 0 offset:532
	buffer_store_dword v1, off, s[0:3], 0 offset:528
	;; [unrolled: 1-line block ×4, first 2 shown]
.LBB124_1103:
	s_or_b32 exec_lo, exec_lo, s4
	v_mov_b32_e32 v4, s36
	s_mov_b32 s4, exec_lo
	s_clause 0x3
	buffer_load_dword v1, v4, s[0:3], 0 offen
	buffer_load_dword v2, v4, s[0:3], 0 offen offset:4
	buffer_load_dword v3, v4, s[0:3], 0 offen offset:8
	;; [unrolled: 1-line block ×3, first 2 shown]
	s_waitcnt vmcnt(0)
	ds_write_b128 v128, v[1:4]
	s_waitcnt lgkmcnt(0)
	s_waitcnt_vscnt null, 0x0
	s_barrier
	buffer_gl0_inv
	v_cmpx_gt_u32_e32 34, v0
	s_cbranch_execz .LBB124_1111
; %bb.1104:
	ds_read_b128 v[1:4], v128
	v_cmp_ne_u32_e32 vcc_lo, 1, v129
	s_cbranch_vccnz .LBB124_1106
; %bb.1105:
	s_clause 0x3
	buffer_load_dword v130, v127, s[0:3], 0 offen offset:8
	buffer_load_dword v131, v127, s[0:3], 0 offen offset:12
	buffer_load_dword v134, v127, s[0:3], 0 offen
	buffer_load_dword v135, v127, s[0:3], 0 offen offset:4
	s_waitcnt vmcnt(2) lgkmcnt(0)
	v_mul_f64 v[136:137], v[3:4], v[130:131]
	v_mul_f64 v[130:131], v[1:2], v[130:131]
	s_waitcnt vmcnt(0)
	v_fma_f64 v[1:2], v[1:2], v[134:135], -v[136:137]
	v_fma_f64 v[3:4], v[3:4], v[134:135], v[130:131]
.LBB124_1106:
	s_mov_b32 s5, exec_lo
	v_cmpx_ne_u32_e32 33, v0
	s_cbranch_execz .LBB124_1110
; %bb.1107:
	v_add_nc_u32_e32 v130, 0x3e0, v133
	v_add3_u32 v131, 0, v133, 16
	v_mov_b32_e32 v132, v0
	s_mov_b32 s6, 0
	.p2align	6
.LBB124_1108:                           ; =>This Inner Loop Header: Depth=1
	s_clause 0x3
	buffer_load_dword v138, v131, s[0:3], 0 offen offset:8
	buffer_load_dword v139, v131, s[0:3], 0 offen offset:12
	buffer_load_dword v140, v131, s[0:3], 0 offen
	buffer_load_dword v141, v131, s[0:3], 0 offen offset:4
	ds_read_b128 v[134:137], v130
	v_add_nc_u32_e32 v132, 1, v132
	v_add_nc_u32_e32 v130, 16, v130
	;; [unrolled: 1-line block ×3, first 2 shown]
	v_cmp_lt_u32_e32 vcc_lo, 32, v132
	s_or_b32 s6, vcc_lo, s6
	s_waitcnt vmcnt(2) lgkmcnt(0)
	v_mul_f64 v[142:143], v[136:137], v[138:139]
	v_mul_f64 v[138:139], v[134:135], v[138:139]
	s_waitcnt vmcnt(0)
	v_fma_f64 v[134:135], v[134:135], v[140:141], -v[142:143]
	v_fma_f64 v[136:137], v[136:137], v[140:141], v[138:139]
	v_add_f64 v[1:2], v[1:2], v[134:135]
	v_add_f64 v[3:4], v[3:4], v[136:137]
	s_andn2_b32 exec_lo, exec_lo, s6
	s_cbranch_execnz .LBB124_1108
; %bb.1109:
	s_or_b32 exec_lo, exec_lo, s6
.LBB124_1110:
	s_or_b32 exec_lo, exec_lo, s5
	v_mov_b32_e32 v130, 0
	ds_read_b128 v[134:137], v130 offset:544
	s_waitcnt lgkmcnt(0)
	v_mul_f64 v[130:131], v[3:4], v[136:137]
	v_mul_f64 v[136:137], v[1:2], v[136:137]
	v_fma_f64 v[1:2], v[1:2], v[134:135], -v[130:131]
	v_fma_f64 v[3:4], v[3:4], v[134:135], v[136:137]
	buffer_store_dword v2, off, s[0:3], 0 offset:548
	buffer_store_dword v1, off, s[0:3], 0 offset:544
	;; [unrolled: 1-line block ×4, first 2 shown]
.LBB124_1111:
	s_or_b32 exec_lo, exec_lo, s4
	v_mov_b32_e32 v4, s35
	s_mov_b32 s4, exec_lo
	s_clause 0x3
	buffer_load_dword v1, v4, s[0:3], 0 offen
	buffer_load_dword v2, v4, s[0:3], 0 offen offset:4
	buffer_load_dword v3, v4, s[0:3], 0 offen offset:8
	buffer_load_dword v4, v4, s[0:3], 0 offen offset:12
	s_waitcnt vmcnt(0)
	ds_write_b128 v128, v[1:4]
	s_waitcnt lgkmcnt(0)
	s_waitcnt_vscnt null, 0x0
	s_barrier
	buffer_gl0_inv
	v_cmpx_gt_u32_e32 35, v0
	s_cbranch_execz .LBB124_1119
; %bb.1112:
	ds_read_b128 v[1:4], v128
	v_cmp_ne_u32_e32 vcc_lo, 1, v129
	s_cbranch_vccnz .LBB124_1114
; %bb.1113:
	s_clause 0x3
	buffer_load_dword v130, v127, s[0:3], 0 offen offset:8
	buffer_load_dword v131, v127, s[0:3], 0 offen offset:12
	buffer_load_dword v134, v127, s[0:3], 0 offen
	buffer_load_dword v135, v127, s[0:3], 0 offen offset:4
	s_waitcnt vmcnt(2) lgkmcnt(0)
	v_mul_f64 v[136:137], v[3:4], v[130:131]
	v_mul_f64 v[130:131], v[1:2], v[130:131]
	s_waitcnt vmcnt(0)
	v_fma_f64 v[1:2], v[1:2], v[134:135], -v[136:137]
	v_fma_f64 v[3:4], v[3:4], v[134:135], v[130:131]
.LBB124_1114:
	s_mov_b32 s5, exec_lo
	v_cmpx_ne_u32_e32 34, v0
	s_cbranch_execz .LBB124_1118
; %bb.1115:
	v_add_nc_u32_e32 v130, 0x3e0, v133
	v_add3_u32 v131, 0, v133, 16
	v_mov_b32_e32 v132, v0
	s_mov_b32 s6, 0
	.p2align	6
.LBB124_1116:                           ; =>This Inner Loop Header: Depth=1
	s_clause 0x3
	buffer_load_dword v138, v131, s[0:3], 0 offen offset:8
	buffer_load_dword v139, v131, s[0:3], 0 offen offset:12
	buffer_load_dword v140, v131, s[0:3], 0 offen
	buffer_load_dword v141, v131, s[0:3], 0 offen offset:4
	ds_read_b128 v[134:137], v130
	v_add_nc_u32_e32 v132, 1, v132
	v_add_nc_u32_e32 v130, 16, v130
	;; [unrolled: 1-line block ×3, first 2 shown]
	v_cmp_lt_u32_e32 vcc_lo, 33, v132
	s_or_b32 s6, vcc_lo, s6
	s_waitcnt vmcnt(2) lgkmcnt(0)
	v_mul_f64 v[142:143], v[136:137], v[138:139]
	v_mul_f64 v[138:139], v[134:135], v[138:139]
	s_waitcnt vmcnt(0)
	v_fma_f64 v[134:135], v[134:135], v[140:141], -v[142:143]
	v_fma_f64 v[136:137], v[136:137], v[140:141], v[138:139]
	v_add_f64 v[1:2], v[1:2], v[134:135]
	v_add_f64 v[3:4], v[3:4], v[136:137]
	s_andn2_b32 exec_lo, exec_lo, s6
	s_cbranch_execnz .LBB124_1116
; %bb.1117:
	s_or_b32 exec_lo, exec_lo, s6
.LBB124_1118:
	s_or_b32 exec_lo, exec_lo, s5
	v_mov_b32_e32 v130, 0
	ds_read_b128 v[134:137], v130 offset:560
	s_waitcnt lgkmcnt(0)
	v_mul_f64 v[130:131], v[3:4], v[136:137]
	v_mul_f64 v[136:137], v[1:2], v[136:137]
	v_fma_f64 v[1:2], v[1:2], v[134:135], -v[130:131]
	v_fma_f64 v[3:4], v[3:4], v[134:135], v[136:137]
	buffer_store_dword v2, off, s[0:3], 0 offset:564
	buffer_store_dword v1, off, s[0:3], 0 offset:560
	;; [unrolled: 1-line block ×4, first 2 shown]
.LBB124_1119:
	s_or_b32 exec_lo, exec_lo, s4
	v_mov_b32_e32 v4, s34
	s_mov_b32 s4, exec_lo
	s_clause 0x3
	buffer_load_dword v1, v4, s[0:3], 0 offen
	buffer_load_dword v2, v4, s[0:3], 0 offen offset:4
	buffer_load_dword v3, v4, s[0:3], 0 offen offset:8
	;; [unrolled: 1-line block ×3, first 2 shown]
	s_waitcnt vmcnt(0)
	ds_write_b128 v128, v[1:4]
	s_waitcnt lgkmcnt(0)
	s_waitcnt_vscnt null, 0x0
	s_barrier
	buffer_gl0_inv
	v_cmpx_gt_u32_e32 36, v0
	s_cbranch_execz .LBB124_1127
; %bb.1120:
	ds_read_b128 v[1:4], v128
	v_cmp_ne_u32_e32 vcc_lo, 1, v129
	s_cbranch_vccnz .LBB124_1122
; %bb.1121:
	s_clause 0x3
	buffer_load_dword v130, v127, s[0:3], 0 offen offset:8
	buffer_load_dword v131, v127, s[0:3], 0 offen offset:12
	buffer_load_dword v134, v127, s[0:3], 0 offen
	buffer_load_dword v135, v127, s[0:3], 0 offen offset:4
	s_waitcnt vmcnt(2) lgkmcnt(0)
	v_mul_f64 v[136:137], v[3:4], v[130:131]
	v_mul_f64 v[130:131], v[1:2], v[130:131]
	s_waitcnt vmcnt(0)
	v_fma_f64 v[1:2], v[1:2], v[134:135], -v[136:137]
	v_fma_f64 v[3:4], v[3:4], v[134:135], v[130:131]
.LBB124_1122:
	s_mov_b32 s5, exec_lo
	v_cmpx_ne_u32_e32 35, v0
	s_cbranch_execz .LBB124_1126
; %bb.1123:
	v_add_nc_u32_e32 v130, 0x3e0, v133
	v_add3_u32 v131, 0, v133, 16
	v_mov_b32_e32 v132, v0
	s_mov_b32 s6, 0
	.p2align	6
.LBB124_1124:                           ; =>This Inner Loop Header: Depth=1
	s_clause 0x3
	buffer_load_dword v138, v131, s[0:3], 0 offen offset:8
	buffer_load_dword v139, v131, s[0:3], 0 offen offset:12
	buffer_load_dword v140, v131, s[0:3], 0 offen
	buffer_load_dword v141, v131, s[0:3], 0 offen offset:4
	ds_read_b128 v[134:137], v130
	v_add_nc_u32_e32 v132, 1, v132
	v_add_nc_u32_e32 v130, 16, v130
	;; [unrolled: 1-line block ×3, first 2 shown]
	v_cmp_lt_u32_e32 vcc_lo, 34, v132
	s_or_b32 s6, vcc_lo, s6
	s_waitcnt vmcnt(2) lgkmcnt(0)
	v_mul_f64 v[142:143], v[136:137], v[138:139]
	v_mul_f64 v[138:139], v[134:135], v[138:139]
	s_waitcnt vmcnt(0)
	v_fma_f64 v[134:135], v[134:135], v[140:141], -v[142:143]
	v_fma_f64 v[136:137], v[136:137], v[140:141], v[138:139]
	v_add_f64 v[1:2], v[1:2], v[134:135]
	v_add_f64 v[3:4], v[3:4], v[136:137]
	s_andn2_b32 exec_lo, exec_lo, s6
	s_cbranch_execnz .LBB124_1124
; %bb.1125:
	s_or_b32 exec_lo, exec_lo, s6
.LBB124_1126:
	s_or_b32 exec_lo, exec_lo, s5
	v_mov_b32_e32 v130, 0
	ds_read_b128 v[134:137], v130 offset:576
	s_waitcnt lgkmcnt(0)
	v_mul_f64 v[130:131], v[3:4], v[136:137]
	v_mul_f64 v[136:137], v[1:2], v[136:137]
	v_fma_f64 v[1:2], v[1:2], v[134:135], -v[130:131]
	v_fma_f64 v[3:4], v[3:4], v[134:135], v[136:137]
	buffer_store_dword v2, off, s[0:3], 0 offset:580
	buffer_store_dword v1, off, s[0:3], 0 offset:576
	;; [unrolled: 1-line block ×4, first 2 shown]
.LBB124_1127:
	s_or_b32 exec_lo, exec_lo, s4
	v_mov_b32_e32 v4, s33
	s_mov_b32 s4, exec_lo
	s_clause 0x3
	buffer_load_dword v1, v4, s[0:3], 0 offen
	buffer_load_dword v2, v4, s[0:3], 0 offen offset:4
	buffer_load_dword v3, v4, s[0:3], 0 offen offset:8
	;; [unrolled: 1-line block ×3, first 2 shown]
	s_waitcnt vmcnt(0)
	ds_write_b128 v128, v[1:4]
	s_waitcnt lgkmcnt(0)
	s_waitcnt_vscnt null, 0x0
	s_barrier
	buffer_gl0_inv
	v_cmpx_gt_u32_e32 37, v0
	s_cbranch_execz .LBB124_1135
; %bb.1128:
	ds_read_b128 v[1:4], v128
	v_cmp_ne_u32_e32 vcc_lo, 1, v129
	s_cbranch_vccnz .LBB124_1130
; %bb.1129:
	s_clause 0x3
	buffer_load_dword v130, v127, s[0:3], 0 offen offset:8
	buffer_load_dword v131, v127, s[0:3], 0 offen offset:12
	buffer_load_dword v134, v127, s[0:3], 0 offen
	buffer_load_dword v135, v127, s[0:3], 0 offen offset:4
	s_waitcnt vmcnt(2) lgkmcnt(0)
	v_mul_f64 v[136:137], v[3:4], v[130:131]
	v_mul_f64 v[130:131], v[1:2], v[130:131]
	s_waitcnt vmcnt(0)
	v_fma_f64 v[1:2], v[1:2], v[134:135], -v[136:137]
	v_fma_f64 v[3:4], v[3:4], v[134:135], v[130:131]
.LBB124_1130:
	s_mov_b32 s5, exec_lo
	v_cmpx_ne_u32_e32 36, v0
	s_cbranch_execz .LBB124_1134
; %bb.1131:
	v_add_nc_u32_e32 v130, 0x3e0, v133
	v_add3_u32 v131, 0, v133, 16
	v_mov_b32_e32 v132, v0
	s_mov_b32 s6, 0
	.p2align	6
.LBB124_1132:                           ; =>This Inner Loop Header: Depth=1
	s_clause 0x3
	buffer_load_dword v138, v131, s[0:3], 0 offen offset:8
	buffer_load_dword v139, v131, s[0:3], 0 offen offset:12
	buffer_load_dword v140, v131, s[0:3], 0 offen
	buffer_load_dword v141, v131, s[0:3], 0 offen offset:4
	ds_read_b128 v[134:137], v130
	v_add_nc_u32_e32 v132, 1, v132
	v_add_nc_u32_e32 v130, 16, v130
	;; [unrolled: 1-line block ×3, first 2 shown]
	v_cmp_lt_u32_e32 vcc_lo, 35, v132
	s_or_b32 s6, vcc_lo, s6
	s_waitcnt vmcnt(2) lgkmcnt(0)
	v_mul_f64 v[142:143], v[136:137], v[138:139]
	v_mul_f64 v[138:139], v[134:135], v[138:139]
	s_waitcnt vmcnt(0)
	v_fma_f64 v[134:135], v[134:135], v[140:141], -v[142:143]
	v_fma_f64 v[136:137], v[136:137], v[140:141], v[138:139]
	v_add_f64 v[1:2], v[1:2], v[134:135]
	v_add_f64 v[3:4], v[3:4], v[136:137]
	s_andn2_b32 exec_lo, exec_lo, s6
	s_cbranch_execnz .LBB124_1132
; %bb.1133:
	s_or_b32 exec_lo, exec_lo, s6
.LBB124_1134:
	s_or_b32 exec_lo, exec_lo, s5
	v_mov_b32_e32 v130, 0
	ds_read_b128 v[134:137], v130 offset:592
	s_waitcnt lgkmcnt(0)
	v_mul_f64 v[130:131], v[3:4], v[136:137]
	v_mul_f64 v[136:137], v[1:2], v[136:137]
	v_fma_f64 v[1:2], v[1:2], v[134:135], -v[130:131]
	v_fma_f64 v[3:4], v[3:4], v[134:135], v[136:137]
	buffer_store_dword v2, off, s[0:3], 0 offset:596
	buffer_store_dword v1, off, s[0:3], 0 offset:592
	buffer_store_dword v4, off, s[0:3], 0 offset:604
	buffer_store_dword v3, off, s[0:3], 0 offset:600
.LBB124_1135:
	s_or_b32 exec_lo, exec_lo, s4
	v_mov_b32_e32 v4, s31
	s_mov_b32 s4, exec_lo
	s_clause 0x3
	buffer_load_dword v1, v4, s[0:3], 0 offen
	buffer_load_dword v2, v4, s[0:3], 0 offen offset:4
	buffer_load_dword v3, v4, s[0:3], 0 offen offset:8
	;; [unrolled: 1-line block ×3, first 2 shown]
	s_waitcnt vmcnt(0)
	ds_write_b128 v128, v[1:4]
	s_waitcnt lgkmcnt(0)
	s_waitcnt_vscnt null, 0x0
	s_barrier
	buffer_gl0_inv
	v_cmpx_gt_u32_e32 38, v0
	s_cbranch_execz .LBB124_1143
; %bb.1136:
	ds_read_b128 v[1:4], v128
	v_cmp_ne_u32_e32 vcc_lo, 1, v129
	s_cbranch_vccnz .LBB124_1138
; %bb.1137:
	s_clause 0x3
	buffer_load_dword v130, v127, s[0:3], 0 offen offset:8
	buffer_load_dword v131, v127, s[0:3], 0 offen offset:12
	buffer_load_dword v134, v127, s[0:3], 0 offen
	buffer_load_dword v135, v127, s[0:3], 0 offen offset:4
	s_waitcnt vmcnt(2) lgkmcnt(0)
	v_mul_f64 v[136:137], v[3:4], v[130:131]
	v_mul_f64 v[130:131], v[1:2], v[130:131]
	s_waitcnt vmcnt(0)
	v_fma_f64 v[1:2], v[1:2], v[134:135], -v[136:137]
	v_fma_f64 v[3:4], v[3:4], v[134:135], v[130:131]
.LBB124_1138:
	s_mov_b32 s5, exec_lo
	v_cmpx_ne_u32_e32 37, v0
	s_cbranch_execz .LBB124_1142
; %bb.1139:
	v_add_nc_u32_e32 v130, 0x3e0, v133
	v_add3_u32 v131, 0, v133, 16
	v_mov_b32_e32 v132, v0
	s_mov_b32 s6, 0
	.p2align	6
.LBB124_1140:                           ; =>This Inner Loop Header: Depth=1
	s_clause 0x3
	buffer_load_dword v138, v131, s[0:3], 0 offen offset:8
	buffer_load_dword v139, v131, s[0:3], 0 offen offset:12
	buffer_load_dword v140, v131, s[0:3], 0 offen
	buffer_load_dword v141, v131, s[0:3], 0 offen offset:4
	ds_read_b128 v[134:137], v130
	v_add_nc_u32_e32 v132, 1, v132
	v_add_nc_u32_e32 v130, 16, v130
	;; [unrolled: 1-line block ×3, first 2 shown]
	v_cmp_lt_u32_e32 vcc_lo, 36, v132
	s_or_b32 s6, vcc_lo, s6
	s_waitcnt vmcnt(2) lgkmcnt(0)
	v_mul_f64 v[142:143], v[136:137], v[138:139]
	v_mul_f64 v[138:139], v[134:135], v[138:139]
	s_waitcnt vmcnt(0)
	v_fma_f64 v[134:135], v[134:135], v[140:141], -v[142:143]
	v_fma_f64 v[136:137], v[136:137], v[140:141], v[138:139]
	v_add_f64 v[1:2], v[1:2], v[134:135]
	v_add_f64 v[3:4], v[3:4], v[136:137]
	s_andn2_b32 exec_lo, exec_lo, s6
	s_cbranch_execnz .LBB124_1140
; %bb.1141:
	s_or_b32 exec_lo, exec_lo, s6
.LBB124_1142:
	s_or_b32 exec_lo, exec_lo, s5
	v_mov_b32_e32 v130, 0
	ds_read_b128 v[134:137], v130 offset:608
	s_waitcnt lgkmcnt(0)
	v_mul_f64 v[130:131], v[3:4], v[136:137]
	v_mul_f64 v[136:137], v[1:2], v[136:137]
	v_fma_f64 v[1:2], v[1:2], v[134:135], -v[130:131]
	v_fma_f64 v[3:4], v[3:4], v[134:135], v[136:137]
	buffer_store_dword v2, off, s[0:3], 0 offset:612
	buffer_store_dword v1, off, s[0:3], 0 offset:608
	;; [unrolled: 1-line block ×4, first 2 shown]
.LBB124_1143:
	s_or_b32 exec_lo, exec_lo, s4
	v_mov_b32_e32 v4, s30
	s_mov_b32 s4, exec_lo
	s_clause 0x3
	buffer_load_dword v1, v4, s[0:3], 0 offen
	buffer_load_dword v2, v4, s[0:3], 0 offen offset:4
	buffer_load_dword v3, v4, s[0:3], 0 offen offset:8
	buffer_load_dword v4, v4, s[0:3], 0 offen offset:12
	s_waitcnt vmcnt(0)
	ds_write_b128 v128, v[1:4]
	s_waitcnt lgkmcnt(0)
	s_waitcnt_vscnt null, 0x0
	s_barrier
	buffer_gl0_inv
	v_cmpx_gt_u32_e32 39, v0
	s_cbranch_execz .LBB124_1151
; %bb.1144:
	ds_read_b128 v[1:4], v128
	v_cmp_ne_u32_e32 vcc_lo, 1, v129
	s_cbranch_vccnz .LBB124_1146
; %bb.1145:
	s_clause 0x3
	buffer_load_dword v130, v127, s[0:3], 0 offen offset:8
	buffer_load_dword v131, v127, s[0:3], 0 offen offset:12
	buffer_load_dword v134, v127, s[0:3], 0 offen
	buffer_load_dword v135, v127, s[0:3], 0 offen offset:4
	s_waitcnt vmcnt(2) lgkmcnt(0)
	v_mul_f64 v[136:137], v[3:4], v[130:131]
	v_mul_f64 v[130:131], v[1:2], v[130:131]
	s_waitcnt vmcnt(0)
	v_fma_f64 v[1:2], v[1:2], v[134:135], -v[136:137]
	v_fma_f64 v[3:4], v[3:4], v[134:135], v[130:131]
.LBB124_1146:
	s_mov_b32 s5, exec_lo
	v_cmpx_ne_u32_e32 38, v0
	s_cbranch_execz .LBB124_1150
; %bb.1147:
	v_add_nc_u32_e32 v130, 0x3e0, v133
	v_add3_u32 v131, 0, v133, 16
	v_mov_b32_e32 v132, v0
	s_mov_b32 s6, 0
	.p2align	6
.LBB124_1148:                           ; =>This Inner Loop Header: Depth=1
	s_clause 0x3
	buffer_load_dword v138, v131, s[0:3], 0 offen offset:8
	buffer_load_dword v139, v131, s[0:3], 0 offen offset:12
	buffer_load_dword v140, v131, s[0:3], 0 offen
	buffer_load_dword v141, v131, s[0:3], 0 offen offset:4
	ds_read_b128 v[134:137], v130
	v_add_nc_u32_e32 v132, 1, v132
	v_add_nc_u32_e32 v130, 16, v130
	;; [unrolled: 1-line block ×3, first 2 shown]
	v_cmp_lt_u32_e32 vcc_lo, 37, v132
	s_or_b32 s6, vcc_lo, s6
	s_waitcnt vmcnt(2) lgkmcnt(0)
	v_mul_f64 v[142:143], v[136:137], v[138:139]
	v_mul_f64 v[138:139], v[134:135], v[138:139]
	s_waitcnt vmcnt(0)
	v_fma_f64 v[134:135], v[134:135], v[140:141], -v[142:143]
	v_fma_f64 v[136:137], v[136:137], v[140:141], v[138:139]
	v_add_f64 v[1:2], v[1:2], v[134:135]
	v_add_f64 v[3:4], v[3:4], v[136:137]
	s_andn2_b32 exec_lo, exec_lo, s6
	s_cbranch_execnz .LBB124_1148
; %bb.1149:
	s_or_b32 exec_lo, exec_lo, s6
.LBB124_1150:
	s_or_b32 exec_lo, exec_lo, s5
	v_mov_b32_e32 v130, 0
	ds_read_b128 v[134:137], v130 offset:624
	s_waitcnt lgkmcnt(0)
	v_mul_f64 v[130:131], v[3:4], v[136:137]
	v_mul_f64 v[136:137], v[1:2], v[136:137]
	v_fma_f64 v[1:2], v[1:2], v[134:135], -v[130:131]
	v_fma_f64 v[3:4], v[3:4], v[134:135], v[136:137]
	buffer_store_dword v2, off, s[0:3], 0 offset:628
	buffer_store_dword v1, off, s[0:3], 0 offset:624
	;; [unrolled: 1-line block ×4, first 2 shown]
.LBB124_1151:
	s_or_b32 exec_lo, exec_lo, s4
	v_mov_b32_e32 v4, s29
	s_mov_b32 s4, exec_lo
	s_clause 0x3
	buffer_load_dword v1, v4, s[0:3], 0 offen
	buffer_load_dword v2, v4, s[0:3], 0 offen offset:4
	buffer_load_dword v3, v4, s[0:3], 0 offen offset:8
	;; [unrolled: 1-line block ×3, first 2 shown]
	s_waitcnt vmcnt(0)
	ds_write_b128 v128, v[1:4]
	s_waitcnt lgkmcnt(0)
	s_waitcnt_vscnt null, 0x0
	s_barrier
	buffer_gl0_inv
	v_cmpx_gt_u32_e32 40, v0
	s_cbranch_execz .LBB124_1159
; %bb.1152:
	ds_read_b128 v[1:4], v128
	v_cmp_ne_u32_e32 vcc_lo, 1, v129
	s_cbranch_vccnz .LBB124_1154
; %bb.1153:
	s_clause 0x3
	buffer_load_dword v130, v127, s[0:3], 0 offen offset:8
	buffer_load_dword v131, v127, s[0:3], 0 offen offset:12
	buffer_load_dword v134, v127, s[0:3], 0 offen
	buffer_load_dword v135, v127, s[0:3], 0 offen offset:4
	s_waitcnt vmcnt(2) lgkmcnt(0)
	v_mul_f64 v[136:137], v[3:4], v[130:131]
	v_mul_f64 v[130:131], v[1:2], v[130:131]
	s_waitcnt vmcnt(0)
	v_fma_f64 v[1:2], v[1:2], v[134:135], -v[136:137]
	v_fma_f64 v[3:4], v[3:4], v[134:135], v[130:131]
.LBB124_1154:
	s_mov_b32 s5, exec_lo
	v_cmpx_ne_u32_e32 39, v0
	s_cbranch_execz .LBB124_1158
; %bb.1155:
	v_add_nc_u32_e32 v130, 0x3e0, v133
	v_add3_u32 v131, 0, v133, 16
	v_mov_b32_e32 v132, v0
	s_mov_b32 s6, 0
	.p2align	6
.LBB124_1156:                           ; =>This Inner Loop Header: Depth=1
	s_clause 0x3
	buffer_load_dword v138, v131, s[0:3], 0 offen offset:8
	buffer_load_dword v139, v131, s[0:3], 0 offen offset:12
	buffer_load_dword v140, v131, s[0:3], 0 offen
	buffer_load_dword v141, v131, s[0:3], 0 offen offset:4
	ds_read_b128 v[134:137], v130
	v_add_nc_u32_e32 v132, 1, v132
	v_add_nc_u32_e32 v130, 16, v130
	;; [unrolled: 1-line block ×3, first 2 shown]
	v_cmp_lt_u32_e32 vcc_lo, 38, v132
	s_or_b32 s6, vcc_lo, s6
	s_waitcnt vmcnt(2) lgkmcnt(0)
	v_mul_f64 v[142:143], v[136:137], v[138:139]
	v_mul_f64 v[138:139], v[134:135], v[138:139]
	s_waitcnt vmcnt(0)
	v_fma_f64 v[134:135], v[134:135], v[140:141], -v[142:143]
	v_fma_f64 v[136:137], v[136:137], v[140:141], v[138:139]
	v_add_f64 v[1:2], v[1:2], v[134:135]
	v_add_f64 v[3:4], v[3:4], v[136:137]
	s_andn2_b32 exec_lo, exec_lo, s6
	s_cbranch_execnz .LBB124_1156
; %bb.1157:
	s_or_b32 exec_lo, exec_lo, s6
.LBB124_1158:
	s_or_b32 exec_lo, exec_lo, s5
	v_mov_b32_e32 v130, 0
	ds_read_b128 v[134:137], v130 offset:640
	s_waitcnt lgkmcnt(0)
	v_mul_f64 v[130:131], v[3:4], v[136:137]
	v_mul_f64 v[136:137], v[1:2], v[136:137]
	v_fma_f64 v[1:2], v[1:2], v[134:135], -v[130:131]
	v_fma_f64 v[3:4], v[3:4], v[134:135], v[136:137]
	buffer_store_dword v2, off, s[0:3], 0 offset:644
	buffer_store_dword v1, off, s[0:3], 0 offset:640
	;; [unrolled: 1-line block ×4, first 2 shown]
.LBB124_1159:
	s_or_b32 exec_lo, exec_lo, s4
	v_mov_b32_e32 v4, s28
	s_mov_b32 s4, exec_lo
	s_clause 0x3
	buffer_load_dword v1, v4, s[0:3], 0 offen
	buffer_load_dword v2, v4, s[0:3], 0 offen offset:4
	buffer_load_dword v3, v4, s[0:3], 0 offen offset:8
	;; [unrolled: 1-line block ×3, first 2 shown]
	s_waitcnt vmcnt(0)
	ds_write_b128 v128, v[1:4]
	s_waitcnt lgkmcnt(0)
	s_waitcnt_vscnt null, 0x0
	s_barrier
	buffer_gl0_inv
	v_cmpx_gt_u32_e32 41, v0
	s_cbranch_execz .LBB124_1167
; %bb.1160:
	ds_read_b128 v[1:4], v128
	v_cmp_ne_u32_e32 vcc_lo, 1, v129
	s_cbranch_vccnz .LBB124_1162
; %bb.1161:
	s_clause 0x3
	buffer_load_dword v130, v127, s[0:3], 0 offen offset:8
	buffer_load_dword v131, v127, s[0:3], 0 offen offset:12
	buffer_load_dword v134, v127, s[0:3], 0 offen
	buffer_load_dword v135, v127, s[0:3], 0 offen offset:4
	s_waitcnt vmcnt(2) lgkmcnt(0)
	v_mul_f64 v[136:137], v[3:4], v[130:131]
	v_mul_f64 v[130:131], v[1:2], v[130:131]
	s_waitcnt vmcnt(0)
	v_fma_f64 v[1:2], v[1:2], v[134:135], -v[136:137]
	v_fma_f64 v[3:4], v[3:4], v[134:135], v[130:131]
.LBB124_1162:
	s_mov_b32 s5, exec_lo
	v_cmpx_ne_u32_e32 40, v0
	s_cbranch_execz .LBB124_1166
; %bb.1163:
	v_add_nc_u32_e32 v130, 0x3e0, v133
	v_add3_u32 v131, 0, v133, 16
	v_mov_b32_e32 v132, v0
	s_mov_b32 s6, 0
	.p2align	6
.LBB124_1164:                           ; =>This Inner Loop Header: Depth=1
	s_clause 0x3
	buffer_load_dword v138, v131, s[0:3], 0 offen offset:8
	buffer_load_dword v139, v131, s[0:3], 0 offen offset:12
	buffer_load_dword v140, v131, s[0:3], 0 offen
	buffer_load_dword v141, v131, s[0:3], 0 offen offset:4
	ds_read_b128 v[134:137], v130
	v_add_nc_u32_e32 v132, 1, v132
	v_add_nc_u32_e32 v130, 16, v130
	;; [unrolled: 1-line block ×3, first 2 shown]
	v_cmp_lt_u32_e32 vcc_lo, 39, v132
	s_or_b32 s6, vcc_lo, s6
	s_waitcnt vmcnt(2) lgkmcnt(0)
	v_mul_f64 v[142:143], v[136:137], v[138:139]
	v_mul_f64 v[138:139], v[134:135], v[138:139]
	s_waitcnt vmcnt(0)
	v_fma_f64 v[134:135], v[134:135], v[140:141], -v[142:143]
	v_fma_f64 v[136:137], v[136:137], v[140:141], v[138:139]
	v_add_f64 v[1:2], v[1:2], v[134:135]
	v_add_f64 v[3:4], v[3:4], v[136:137]
	s_andn2_b32 exec_lo, exec_lo, s6
	s_cbranch_execnz .LBB124_1164
; %bb.1165:
	s_or_b32 exec_lo, exec_lo, s6
.LBB124_1166:
	s_or_b32 exec_lo, exec_lo, s5
	v_mov_b32_e32 v130, 0
	ds_read_b128 v[134:137], v130 offset:656
	s_waitcnt lgkmcnt(0)
	v_mul_f64 v[130:131], v[3:4], v[136:137]
	v_mul_f64 v[136:137], v[1:2], v[136:137]
	v_fma_f64 v[1:2], v[1:2], v[134:135], -v[130:131]
	v_fma_f64 v[3:4], v[3:4], v[134:135], v[136:137]
	buffer_store_dword v2, off, s[0:3], 0 offset:660
	buffer_store_dword v1, off, s[0:3], 0 offset:656
	;; [unrolled: 1-line block ×4, first 2 shown]
.LBB124_1167:
	s_or_b32 exec_lo, exec_lo, s4
	v_mov_b32_e32 v4, s27
	s_mov_b32 s4, exec_lo
	s_clause 0x3
	buffer_load_dword v1, v4, s[0:3], 0 offen
	buffer_load_dword v2, v4, s[0:3], 0 offen offset:4
	buffer_load_dword v3, v4, s[0:3], 0 offen offset:8
	;; [unrolled: 1-line block ×3, first 2 shown]
	s_waitcnt vmcnt(0)
	ds_write_b128 v128, v[1:4]
	s_waitcnt lgkmcnt(0)
	s_waitcnt_vscnt null, 0x0
	s_barrier
	buffer_gl0_inv
	v_cmpx_gt_u32_e32 42, v0
	s_cbranch_execz .LBB124_1175
; %bb.1168:
	ds_read_b128 v[1:4], v128
	v_cmp_ne_u32_e32 vcc_lo, 1, v129
	s_cbranch_vccnz .LBB124_1170
; %bb.1169:
	s_clause 0x3
	buffer_load_dword v130, v127, s[0:3], 0 offen offset:8
	buffer_load_dword v131, v127, s[0:3], 0 offen offset:12
	buffer_load_dword v134, v127, s[0:3], 0 offen
	buffer_load_dword v135, v127, s[0:3], 0 offen offset:4
	s_waitcnt vmcnt(2) lgkmcnt(0)
	v_mul_f64 v[136:137], v[3:4], v[130:131]
	v_mul_f64 v[130:131], v[1:2], v[130:131]
	s_waitcnt vmcnt(0)
	v_fma_f64 v[1:2], v[1:2], v[134:135], -v[136:137]
	v_fma_f64 v[3:4], v[3:4], v[134:135], v[130:131]
.LBB124_1170:
	s_mov_b32 s5, exec_lo
	v_cmpx_ne_u32_e32 41, v0
	s_cbranch_execz .LBB124_1174
; %bb.1171:
	v_add_nc_u32_e32 v130, 0x3e0, v133
	v_add3_u32 v131, 0, v133, 16
	v_mov_b32_e32 v132, v0
	s_mov_b32 s6, 0
	.p2align	6
.LBB124_1172:                           ; =>This Inner Loop Header: Depth=1
	s_clause 0x3
	buffer_load_dword v138, v131, s[0:3], 0 offen offset:8
	buffer_load_dword v139, v131, s[0:3], 0 offen offset:12
	buffer_load_dword v140, v131, s[0:3], 0 offen
	buffer_load_dword v141, v131, s[0:3], 0 offen offset:4
	ds_read_b128 v[134:137], v130
	v_add_nc_u32_e32 v132, 1, v132
	v_add_nc_u32_e32 v130, 16, v130
	v_add_nc_u32_e32 v131, 16, v131
	v_cmp_lt_u32_e32 vcc_lo, 40, v132
	s_or_b32 s6, vcc_lo, s6
	s_waitcnt vmcnt(2) lgkmcnt(0)
	v_mul_f64 v[142:143], v[136:137], v[138:139]
	v_mul_f64 v[138:139], v[134:135], v[138:139]
	s_waitcnt vmcnt(0)
	v_fma_f64 v[134:135], v[134:135], v[140:141], -v[142:143]
	v_fma_f64 v[136:137], v[136:137], v[140:141], v[138:139]
	v_add_f64 v[1:2], v[1:2], v[134:135]
	v_add_f64 v[3:4], v[3:4], v[136:137]
	s_andn2_b32 exec_lo, exec_lo, s6
	s_cbranch_execnz .LBB124_1172
; %bb.1173:
	s_or_b32 exec_lo, exec_lo, s6
.LBB124_1174:
	s_or_b32 exec_lo, exec_lo, s5
	v_mov_b32_e32 v130, 0
	ds_read_b128 v[134:137], v130 offset:672
	s_waitcnt lgkmcnt(0)
	v_mul_f64 v[130:131], v[3:4], v[136:137]
	v_mul_f64 v[136:137], v[1:2], v[136:137]
	v_fma_f64 v[1:2], v[1:2], v[134:135], -v[130:131]
	v_fma_f64 v[3:4], v[3:4], v[134:135], v[136:137]
	buffer_store_dword v2, off, s[0:3], 0 offset:676
	buffer_store_dword v1, off, s[0:3], 0 offset:672
	;; [unrolled: 1-line block ×4, first 2 shown]
.LBB124_1175:
	s_or_b32 exec_lo, exec_lo, s4
	v_mov_b32_e32 v4, s26
	s_mov_b32 s4, exec_lo
	s_clause 0x3
	buffer_load_dword v1, v4, s[0:3], 0 offen
	buffer_load_dword v2, v4, s[0:3], 0 offen offset:4
	buffer_load_dword v3, v4, s[0:3], 0 offen offset:8
	;; [unrolled: 1-line block ×3, first 2 shown]
	s_waitcnt vmcnt(0)
	ds_write_b128 v128, v[1:4]
	s_waitcnt lgkmcnt(0)
	s_waitcnt_vscnt null, 0x0
	s_barrier
	buffer_gl0_inv
	v_cmpx_gt_u32_e32 43, v0
	s_cbranch_execz .LBB124_1183
; %bb.1176:
	ds_read_b128 v[1:4], v128
	v_cmp_ne_u32_e32 vcc_lo, 1, v129
	s_cbranch_vccnz .LBB124_1178
; %bb.1177:
	s_clause 0x3
	buffer_load_dword v130, v127, s[0:3], 0 offen offset:8
	buffer_load_dword v131, v127, s[0:3], 0 offen offset:12
	buffer_load_dword v134, v127, s[0:3], 0 offen
	buffer_load_dword v135, v127, s[0:3], 0 offen offset:4
	s_waitcnt vmcnt(2) lgkmcnt(0)
	v_mul_f64 v[136:137], v[3:4], v[130:131]
	v_mul_f64 v[130:131], v[1:2], v[130:131]
	s_waitcnt vmcnt(0)
	v_fma_f64 v[1:2], v[1:2], v[134:135], -v[136:137]
	v_fma_f64 v[3:4], v[3:4], v[134:135], v[130:131]
.LBB124_1178:
	s_mov_b32 s5, exec_lo
	v_cmpx_ne_u32_e32 42, v0
	s_cbranch_execz .LBB124_1182
; %bb.1179:
	v_add_nc_u32_e32 v130, 0x3e0, v133
	v_add3_u32 v131, 0, v133, 16
	v_mov_b32_e32 v132, v0
	s_mov_b32 s6, 0
	.p2align	6
.LBB124_1180:                           ; =>This Inner Loop Header: Depth=1
	s_clause 0x3
	buffer_load_dword v138, v131, s[0:3], 0 offen offset:8
	buffer_load_dword v139, v131, s[0:3], 0 offen offset:12
	buffer_load_dword v140, v131, s[0:3], 0 offen
	buffer_load_dword v141, v131, s[0:3], 0 offen offset:4
	ds_read_b128 v[134:137], v130
	v_add_nc_u32_e32 v132, 1, v132
	v_add_nc_u32_e32 v130, 16, v130
	v_add_nc_u32_e32 v131, 16, v131
	v_cmp_lt_u32_e32 vcc_lo, 41, v132
	s_or_b32 s6, vcc_lo, s6
	s_waitcnt vmcnt(2) lgkmcnt(0)
	v_mul_f64 v[142:143], v[136:137], v[138:139]
	v_mul_f64 v[138:139], v[134:135], v[138:139]
	s_waitcnt vmcnt(0)
	v_fma_f64 v[134:135], v[134:135], v[140:141], -v[142:143]
	v_fma_f64 v[136:137], v[136:137], v[140:141], v[138:139]
	v_add_f64 v[1:2], v[1:2], v[134:135]
	v_add_f64 v[3:4], v[3:4], v[136:137]
	s_andn2_b32 exec_lo, exec_lo, s6
	s_cbranch_execnz .LBB124_1180
; %bb.1181:
	s_or_b32 exec_lo, exec_lo, s6
.LBB124_1182:
	s_or_b32 exec_lo, exec_lo, s5
	v_mov_b32_e32 v130, 0
	ds_read_b128 v[134:137], v130 offset:688
	s_waitcnt lgkmcnt(0)
	v_mul_f64 v[130:131], v[3:4], v[136:137]
	v_mul_f64 v[136:137], v[1:2], v[136:137]
	v_fma_f64 v[1:2], v[1:2], v[134:135], -v[130:131]
	v_fma_f64 v[3:4], v[3:4], v[134:135], v[136:137]
	buffer_store_dword v2, off, s[0:3], 0 offset:692
	buffer_store_dword v1, off, s[0:3], 0 offset:688
	;; [unrolled: 1-line block ×4, first 2 shown]
.LBB124_1183:
	s_or_b32 exec_lo, exec_lo, s4
	v_mov_b32_e32 v4, s25
	s_mov_b32 s4, exec_lo
	s_clause 0x3
	buffer_load_dword v1, v4, s[0:3], 0 offen
	buffer_load_dword v2, v4, s[0:3], 0 offen offset:4
	buffer_load_dword v3, v4, s[0:3], 0 offen offset:8
	buffer_load_dword v4, v4, s[0:3], 0 offen offset:12
	s_waitcnt vmcnt(0)
	ds_write_b128 v128, v[1:4]
	s_waitcnt lgkmcnt(0)
	s_waitcnt_vscnt null, 0x0
	s_barrier
	buffer_gl0_inv
	v_cmpx_gt_u32_e32 44, v0
	s_cbranch_execz .LBB124_1191
; %bb.1184:
	ds_read_b128 v[1:4], v128
	v_cmp_ne_u32_e32 vcc_lo, 1, v129
	s_cbranch_vccnz .LBB124_1186
; %bb.1185:
	s_clause 0x3
	buffer_load_dword v130, v127, s[0:3], 0 offen offset:8
	buffer_load_dword v131, v127, s[0:3], 0 offen offset:12
	buffer_load_dword v134, v127, s[0:3], 0 offen
	buffer_load_dword v135, v127, s[0:3], 0 offen offset:4
	s_waitcnt vmcnt(2) lgkmcnt(0)
	v_mul_f64 v[136:137], v[3:4], v[130:131]
	v_mul_f64 v[130:131], v[1:2], v[130:131]
	s_waitcnt vmcnt(0)
	v_fma_f64 v[1:2], v[1:2], v[134:135], -v[136:137]
	v_fma_f64 v[3:4], v[3:4], v[134:135], v[130:131]
.LBB124_1186:
	s_mov_b32 s5, exec_lo
	v_cmpx_ne_u32_e32 43, v0
	s_cbranch_execz .LBB124_1190
; %bb.1187:
	v_add_nc_u32_e32 v130, 0x3e0, v133
	v_add3_u32 v131, 0, v133, 16
	v_mov_b32_e32 v132, v0
	s_mov_b32 s6, 0
	.p2align	6
.LBB124_1188:                           ; =>This Inner Loop Header: Depth=1
	s_clause 0x3
	buffer_load_dword v138, v131, s[0:3], 0 offen offset:8
	buffer_load_dword v139, v131, s[0:3], 0 offen offset:12
	buffer_load_dword v140, v131, s[0:3], 0 offen
	buffer_load_dword v141, v131, s[0:3], 0 offen offset:4
	ds_read_b128 v[134:137], v130
	v_add_nc_u32_e32 v132, 1, v132
	v_add_nc_u32_e32 v130, 16, v130
	;; [unrolled: 1-line block ×3, first 2 shown]
	v_cmp_lt_u32_e32 vcc_lo, 42, v132
	s_or_b32 s6, vcc_lo, s6
	s_waitcnt vmcnt(2) lgkmcnt(0)
	v_mul_f64 v[142:143], v[136:137], v[138:139]
	v_mul_f64 v[138:139], v[134:135], v[138:139]
	s_waitcnt vmcnt(0)
	v_fma_f64 v[134:135], v[134:135], v[140:141], -v[142:143]
	v_fma_f64 v[136:137], v[136:137], v[140:141], v[138:139]
	v_add_f64 v[1:2], v[1:2], v[134:135]
	v_add_f64 v[3:4], v[3:4], v[136:137]
	s_andn2_b32 exec_lo, exec_lo, s6
	s_cbranch_execnz .LBB124_1188
; %bb.1189:
	s_or_b32 exec_lo, exec_lo, s6
.LBB124_1190:
	s_or_b32 exec_lo, exec_lo, s5
	v_mov_b32_e32 v130, 0
	ds_read_b128 v[134:137], v130 offset:704
	s_waitcnt lgkmcnt(0)
	v_mul_f64 v[130:131], v[3:4], v[136:137]
	v_mul_f64 v[136:137], v[1:2], v[136:137]
	v_fma_f64 v[1:2], v[1:2], v[134:135], -v[130:131]
	v_fma_f64 v[3:4], v[3:4], v[134:135], v[136:137]
	buffer_store_dword v2, off, s[0:3], 0 offset:708
	buffer_store_dword v1, off, s[0:3], 0 offset:704
	;; [unrolled: 1-line block ×4, first 2 shown]
.LBB124_1191:
	s_or_b32 exec_lo, exec_lo, s4
	v_mov_b32_e32 v4, s24
	s_mov_b32 s4, exec_lo
	s_clause 0x3
	buffer_load_dword v1, v4, s[0:3], 0 offen
	buffer_load_dword v2, v4, s[0:3], 0 offen offset:4
	buffer_load_dword v3, v4, s[0:3], 0 offen offset:8
	;; [unrolled: 1-line block ×3, first 2 shown]
	s_waitcnt vmcnt(0)
	ds_write_b128 v128, v[1:4]
	s_waitcnt lgkmcnt(0)
	s_waitcnt_vscnt null, 0x0
	s_barrier
	buffer_gl0_inv
	v_cmpx_gt_u32_e32 45, v0
	s_cbranch_execz .LBB124_1199
; %bb.1192:
	ds_read_b128 v[1:4], v128
	v_cmp_ne_u32_e32 vcc_lo, 1, v129
	s_cbranch_vccnz .LBB124_1194
; %bb.1193:
	s_clause 0x3
	buffer_load_dword v130, v127, s[0:3], 0 offen offset:8
	buffer_load_dword v131, v127, s[0:3], 0 offen offset:12
	buffer_load_dword v134, v127, s[0:3], 0 offen
	buffer_load_dword v135, v127, s[0:3], 0 offen offset:4
	s_waitcnt vmcnt(2) lgkmcnt(0)
	v_mul_f64 v[136:137], v[3:4], v[130:131]
	v_mul_f64 v[130:131], v[1:2], v[130:131]
	s_waitcnt vmcnt(0)
	v_fma_f64 v[1:2], v[1:2], v[134:135], -v[136:137]
	v_fma_f64 v[3:4], v[3:4], v[134:135], v[130:131]
.LBB124_1194:
	s_mov_b32 s5, exec_lo
	v_cmpx_ne_u32_e32 44, v0
	s_cbranch_execz .LBB124_1198
; %bb.1195:
	v_add_nc_u32_e32 v130, 0x3e0, v133
	v_add3_u32 v131, 0, v133, 16
	v_mov_b32_e32 v132, v0
	s_mov_b32 s6, 0
	.p2align	6
.LBB124_1196:                           ; =>This Inner Loop Header: Depth=1
	s_clause 0x3
	buffer_load_dword v138, v131, s[0:3], 0 offen offset:8
	buffer_load_dword v139, v131, s[0:3], 0 offen offset:12
	buffer_load_dword v140, v131, s[0:3], 0 offen
	buffer_load_dword v141, v131, s[0:3], 0 offen offset:4
	ds_read_b128 v[134:137], v130
	v_add_nc_u32_e32 v132, 1, v132
	v_add_nc_u32_e32 v130, 16, v130
	;; [unrolled: 1-line block ×3, first 2 shown]
	v_cmp_lt_u32_e32 vcc_lo, 43, v132
	s_or_b32 s6, vcc_lo, s6
	s_waitcnt vmcnt(2) lgkmcnt(0)
	v_mul_f64 v[142:143], v[136:137], v[138:139]
	v_mul_f64 v[138:139], v[134:135], v[138:139]
	s_waitcnt vmcnt(0)
	v_fma_f64 v[134:135], v[134:135], v[140:141], -v[142:143]
	v_fma_f64 v[136:137], v[136:137], v[140:141], v[138:139]
	v_add_f64 v[1:2], v[1:2], v[134:135]
	v_add_f64 v[3:4], v[3:4], v[136:137]
	s_andn2_b32 exec_lo, exec_lo, s6
	s_cbranch_execnz .LBB124_1196
; %bb.1197:
	s_or_b32 exec_lo, exec_lo, s6
.LBB124_1198:
	s_or_b32 exec_lo, exec_lo, s5
	v_mov_b32_e32 v130, 0
	ds_read_b128 v[134:137], v130 offset:720
	s_waitcnt lgkmcnt(0)
	v_mul_f64 v[130:131], v[3:4], v[136:137]
	v_mul_f64 v[136:137], v[1:2], v[136:137]
	v_fma_f64 v[1:2], v[1:2], v[134:135], -v[130:131]
	v_fma_f64 v[3:4], v[3:4], v[134:135], v[136:137]
	buffer_store_dword v2, off, s[0:3], 0 offset:724
	buffer_store_dword v1, off, s[0:3], 0 offset:720
	;; [unrolled: 1-line block ×4, first 2 shown]
.LBB124_1199:
	s_or_b32 exec_lo, exec_lo, s4
	v_mov_b32_e32 v4, s23
	s_mov_b32 s4, exec_lo
	s_clause 0x3
	buffer_load_dword v1, v4, s[0:3], 0 offen
	buffer_load_dword v2, v4, s[0:3], 0 offen offset:4
	buffer_load_dword v3, v4, s[0:3], 0 offen offset:8
	;; [unrolled: 1-line block ×3, first 2 shown]
	s_waitcnt vmcnt(0)
	ds_write_b128 v128, v[1:4]
	s_waitcnt lgkmcnt(0)
	s_waitcnt_vscnt null, 0x0
	s_barrier
	buffer_gl0_inv
	v_cmpx_gt_u32_e32 46, v0
	s_cbranch_execz .LBB124_1207
; %bb.1200:
	ds_read_b128 v[1:4], v128
	v_cmp_ne_u32_e32 vcc_lo, 1, v129
	s_cbranch_vccnz .LBB124_1202
; %bb.1201:
	s_clause 0x3
	buffer_load_dword v130, v127, s[0:3], 0 offen offset:8
	buffer_load_dword v131, v127, s[0:3], 0 offen offset:12
	buffer_load_dword v134, v127, s[0:3], 0 offen
	buffer_load_dword v135, v127, s[0:3], 0 offen offset:4
	s_waitcnt vmcnt(2) lgkmcnt(0)
	v_mul_f64 v[136:137], v[3:4], v[130:131]
	v_mul_f64 v[130:131], v[1:2], v[130:131]
	s_waitcnt vmcnt(0)
	v_fma_f64 v[1:2], v[1:2], v[134:135], -v[136:137]
	v_fma_f64 v[3:4], v[3:4], v[134:135], v[130:131]
.LBB124_1202:
	s_mov_b32 s5, exec_lo
	v_cmpx_ne_u32_e32 45, v0
	s_cbranch_execz .LBB124_1206
; %bb.1203:
	v_add_nc_u32_e32 v130, 0x3e0, v133
	v_add3_u32 v131, 0, v133, 16
	v_mov_b32_e32 v132, v0
	s_mov_b32 s6, 0
	.p2align	6
.LBB124_1204:                           ; =>This Inner Loop Header: Depth=1
	s_clause 0x3
	buffer_load_dword v138, v131, s[0:3], 0 offen offset:8
	buffer_load_dword v139, v131, s[0:3], 0 offen offset:12
	buffer_load_dword v140, v131, s[0:3], 0 offen
	buffer_load_dword v141, v131, s[0:3], 0 offen offset:4
	ds_read_b128 v[134:137], v130
	v_add_nc_u32_e32 v132, 1, v132
	v_add_nc_u32_e32 v130, 16, v130
	;; [unrolled: 1-line block ×3, first 2 shown]
	v_cmp_lt_u32_e32 vcc_lo, 44, v132
	s_or_b32 s6, vcc_lo, s6
	s_waitcnt vmcnt(2) lgkmcnt(0)
	v_mul_f64 v[142:143], v[136:137], v[138:139]
	v_mul_f64 v[138:139], v[134:135], v[138:139]
	s_waitcnt vmcnt(0)
	v_fma_f64 v[134:135], v[134:135], v[140:141], -v[142:143]
	v_fma_f64 v[136:137], v[136:137], v[140:141], v[138:139]
	v_add_f64 v[1:2], v[1:2], v[134:135]
	v_add_f64 v[3:4], v[3:4], v[136:137]
	s_andn2_b32 exec_lo, exec_lo, s6
	s_cbranch_execnz .LBB124_1204
; %bb.1205:
	s_or_b32 exec_lo, exec_lo, s6
.LBB124_1206:
	s_or_b32 exec_lo, exec_lo, s5
	v_mov_b32_e32 v130, 0
	ds_read_b128 v[134:137], v130 offset:736
	s_waitcnt lgkmcnt(0)
	v_mul_f64 v[130:131], v[3:4], v[136:137]
	v_mul_f64 v[136:137], v[1:2], v[136:137]
	v_fma_f64 v[1:2], v[1:2], v[134:135], -v[130:131]
	v_fma_f64 v[3:4], v[3:4], v[134:135], v[136:137]
	buffer_store_dword v2, off, s[0:3], 0 offset:740
	buffer_store_dword v1, off, s[0:3], 0 offset:736
	;; [unrolled: 1-line block ×4, first 2 shown]
.LBB124_1207:
	s_or_b32 exec_lo, exec_lo, s4
	v_mov_b32_e32 v4, s22
	s_mov_b32 s4, exec_lo
	s_clause 0x3
	buffer_load_dword v1, v4, s[0:3], 0 offen
	buffer_load_dword v2, v4, s[0:3], 0 offen offset:4
	buffer_load_dword v3, v4, s[0:3], 0 offen offset:8
	buffer_load_dword v4, v4, s[0:3], 0 offen offset:12
	s_waitcnt vmcnt(0)
	ds_write_b128 v128, v[1:4]
	s_waitcnt lgkmcnt(0)
	s_waitcnt_vscnt null, 0x0
	s_barrier
	buffer_gl0_inv
	v_cmpx_gt_u32_e32 47, v0
	s_cbranch_execz .LBB124_1215
; %bb.1208:
	ds_read_b128 v[1:4], v128
	v_cmp_ne_u32_e32 vcc_lo, 1, v129
	s_cbranch_vccnz .LBB124_1210
; %bb.1209:
	s_clause 0x3
	buffer_load_dword v130, v127, s[0:3], 0 offen offset:8
	buffer_load_dword v131, v127, s[0:3], 0 offen offset:12
	buffer_load_dword v134, v127, s[0:3], 0 offen
	buffer_load_dword v135, v127, s[0:3], 0 offen offset:4
	s_waitcnt vmcnt(2) lgkmcnt(0)
	v_mul_f64 v[136:137], v[3:4], v[130:131]
	v_mul_f64 v[130:131], v[1:2], v[130:131]
	s_waitcnt vmcnt(0)
	v_fma_f64 v[1:2], v[1:2], v[134:135], -v[136:137]
	v_fma_f64 v[3:4], v[3:4], v[134:135], v[130:131]
.LBB124_1210:
	s_mov_b32 s5, exec_lo
	v_cmpx_ne_u32_e32 46, v0
	s_cbranch_execz .LBB124_1214
; %bb.1211:
	v_add_nc_u32_e32 v130, 0x3e0, v133
	v_add3_u32 v131, 0, v133, 16
	v_mov_b32_e32 v132, v0
	s_mov_b32 s6, 0
	.p2align	6
.LBB124_1212:                           ; =>This Inner Loop Header: Depth=1
	s_clause 0x3
	buffer_load_dword v138, v131, s[0:3], 0 offen offset:8
	buffer_load_dword v139, v131, s[0:3], 0 offen offset:12
	buffer_load_dword v140, v131, s[0:3], 0 offen
	buffer_load_dword v141, v131, s[0:3], 0 offen offset:4
	ds_read_b128 v[134:137], v130
	v_add_nc_u32_e32 v132, 1, v132
	v_add_nc_u32_e32 v130, 16, v130
	;; [unrolled: 1-line block ×3, first 2 shown]
	v_cmp_lt_u32_e32 vcc_lo, 45, v132
	s_or_b32 s6, vcc_lo, s6
	s_waitcnt vmcnt(2) lgkmcnt(0)
	v_mul_f64 v[142:143], v[136:137], v[138:139]
	v_mul_f64 v[138:139], v[134:135], v[138:139]
	s_waitcnt vmcnt(0)
	v_fma_f64 v[134:135], v[134:135], v[140:141], -v[142:143]
	v_fma_f64 v[136:137], v[136:137], v[140:141], v[138:139]
	v_add_f64 v[1:2], v[1:2], v[134:135]
	v_add_f64 v[3:4], v[3:4], v[136:137]
	s_andn2_b32 exec_lo, exec_lo, s6
	s_cbranch_execnz .LBB124_1212
; %bb.1213:
	s_or_b32 exec_lo, exec_lo, s6
.LBB124_1214:
	s_or_b32 exec_lo, exec_lo, s5
	v_mov_b32_e32 v130, 0
	ds_read_b128 v[134:137], v130 offset:752
	s_waitcnt lgkmcnt(0)
	v_mul_f64 v[130:131], v[3:4], v[136:137]
	v_mul_f64 v[136:137], v[1:2], v[136:137]
	v_fma_f64 v[1:2], v[1:2], v[134:135], -v[130:131]
	v_fma_f64 v[3:4], v[3:4], v[134:135], v[136:137]
	buffer_store_dword v2, off, s[0:3], 0 offset:756
	buffer_store_dword v1, off, s[0:3], 0 offset:752
	;; [unrolled: 1-line block ×4, first 2 shown]
.LBB124_1215:
	s_or_b32 exec_lo, exec_lo, s4
	v_mov_b32_e32 v4, s21
	s_mov_b32 s4, exec_lo
	s_clause 0x3
	buffer_load_dword v1, v4, s[0:3], 0 offen
	buffer_load_dword v2, v4, s[0:3], 0 offen offset:4
	buffer_load_dword v3, v4, s[0:3], 0 offen offset:8
	buffer_load_dword v4, v4, s[0:3], 0 offen offset:12
	s_waitcnt vmcnt(0)
	ds_write_b128 v128, v[1:4]
	s_waitcnt lgkmcnt(0)
	s_waitcnt_vscnt null, 0x0
	s_barrier
	buffer_gl0_inv
	v_cmpx_gt_u32_e32 48, v0
	s_cbranch_execz .LBB124_1223
; %bb.1216:
	ds_read_b128 v[1:4], v128
	v_cmp_ne_u32_e32 vcc_lo, 1, v129
	s_cbranch_vccnz .LBB124_1218
; %bb.1217:
	s_clause 0x3
	buffer_load_dword v130, v127, s[0:3], 0 offen offset:8
	buffer_load_dword v131, v127, s[0:3], 0 offen offset:12
	buffer_load_dword v134, v127, s[0:3], 0 offen
	buffer_load_dword v135, v127, s[0:3], 0 offen offset:4
	s_waitcnt vmcnt(2) lgkmcnt(0)
	v_mul_f64 v[136:137], v[3:4], v[130:131]
	v_mul_f64 v[130:131], v[1:2], v[130:131]
	s_waitcnt vmcnt(0)
	v_fma_f64 v[1:2], v[1:2], v[134:135], -v[136:137]
	v_fma_f64 v[3:4], v[3:4], v[134:135], v[130:131]
.LBB124_1218:
	s_mov_b32 s5, exec_lo
	v_cmpx_ne_u32_e32 47, v0
	s_cbranch_execz .LBB124_1222
; %bb.1219:
	v_add_nc_u32_e32 v130, 0x3e0, v133
	v_add3_u32 v131, 0, v133, 16
	v_mov_b32_e32 v132, v0
	s_mov_b32 s6, 0
	.p2align	6
.LBB124_1220:                           ; =>This Inner Loop Header: Depth=1
	s_clause 0x3
	buffer_load_dword v138, v131, s[0:3], 0 offen offset:8
	buffer_load_dword v139, v131, s[0:3], 0 offen offset:12
	buffer_load_dword v140, v131, s[0:3], 0 offen
	buffer_load_dword v141, v131, s[0:3], 0 offen offset:4
	ds_read_b128 v[134:137], v130
	v_add_nc_u32_e32 v132, 1, v132
	v_add_nc_u32_e32 v130, 16, v130
	;; [unrolled: 1-line block ×3, first 2 shown]
	v_cmp_lt_u32_e32 vcc_lo, 46, v132
	s_or_b32 s6, vcc_lo, s6
	s_waitcnt vmcnt(2) lgkmcnt(0)
	v_mul_f64 v[142:143], v[136:137], v[138:139]
	v_mul_f64 v[138:139], v[134:135], v[138:139]
	s_waitcnt vmcnt(0)
	v_fma_f64 v[134:135], v[134:135], v[140:141], -v[142:143]
	v_fma_f64 v[136:137], v[136:137], v[140:141], v[138:139]
	v_add_f64 v[1:2], v[1:2], v[134:135]
	v_add_f64 v[3:4], v[3:4], v[136:137]
	s_andn2_b32 exec_lo, exec_lo, s6
	s_cbranch_execnz .LBB124_1220
; %bb.1221:
	s_or_b32 exec_lo, exec_lo, s6
.LBB124_1222:
	s_or_b32 exec_lo, exec_lo, s5
	v_mov_b32_e32 v130, 0
	ds_read_b128 v[134:137], v130 offset:768
	s_waitcnt lgkmcnt(0)
	v_mul_f64 v[130:131], v[3:4], v[136:137]
	v_mul_f64 v[136:137], v[1:2], v[136:137]
	v_fma_f64 v[1:2], v[1:2], v[134:135], -v[130:131]
	v_fma_f64 v[3:4], v[3:4], v[134:135], v[136:137]
	buffer_store_dword v2, off, s[0:3], 0 offset:772
	buffer_store_dword v1, off, s[0:3], 0 offset:768
	;; [unrolled: 1-line block ×4, first 2 shown]
.LBB124_1223:
	s_or_b32 exec_lo, exec_lo, s4
	v_mov_b32_e32 v4, s20
	s_mov_b32 s4, exec_lo
	s_clause 0x3
	buffer_load_dword v1, v4, s[0:3], 0 offen
	buffer_load_dword v2, v4, s[0:3], 0 offen offset:4
	buffer_load_dword v3, v4, s[0:3], 0 offen offset:8
	;; [unrolled: 1-line block ×3, first 2 shown]
	s_waitcnt vmcnt(0)
	ds_write_b128 v128, v[1:4]
	s_waitcnt lgkmcnt(0)
	s_waitcnt_vscnt null, 0x0
	s_barrier
	buffer_gl0_inv
	v_cmpx_gt_u32_e32 49, v0
	s_cbranch_execz .LBB124_1231
; %bb.1224:
	ds_read_b128 v[1:4], v128
	v_cmp_ne_u32_e32 vcc_lo, 1, v129
	s_cbranch_vccnz .LBB124_1226
; %bb.1225:
	s_clause 0x3
	buffer_load_dword v130, v127, s[0:3], 0 offen offset:8
	buffer_load_dword v131, v127, s[0:3], 0 offen offset:12
	buffer_load_dword v134, v127, s[0:3], 0 offen
	buffer_load_dword v135, v127, s[0:3], 0 offen offset:4
	s_waitcnt vmcnt(2) lgkmcnt(0)
	v_mul_f64 v[136:137], v[3:4], v[130:131]
	v_mul_f64 v[130:131], v[1:2], v[130:131]
	s_waitcnt vmcnt(0)
	v_fma_f64 v[1:2], v[1:2], v[134:135], -v[136:137]
	v_fma_f64 v[3:4], v[3:4], v[134:135], v[130:131]
.LBB124_1226:
	s_mov_b32 s5, exec_lo
	v_cmpx_ne_u32_e32 48, v0
	s_cbranch_execz .LBB124_1230
; %bb.1227:
	v_add_nc_u32_e32 v130, 0x3e0, v133
	v_add3_u32 v131, 0, v133, 16
	v_mov_b32_e32 v132, v0
	s_mov_b32 s6, 0
	.p2align	6
.LBB124_1228:                           ; =>This Inner Loop Header: Depth=1
	s_clause 0x3
	buffer_load_dword v138, v131, s[0:3], 0 offen offset:8
	buffer_load_dword v139, v131, s[0:3], 0 offen offset:12
	buffer_load_dword v140, v131, s[0:3], 0 offen
	buffer_load_dword v141, v131, s[0:3], 0 offen offset:4
	ds_read_b128 v[134:137], v130
	v_add_nc_u32_e32 v132, 1, v132
	v_add_nc_u32_e32 v130, 16, v130
	;; [unrolled: 1-line block ×3, first 2 shown]
	v_cmp_lt_u32_e32 vcc_lo, 47, v132
	s_or_b32 s6, vcc_lo, s6
	s_waitcnt vmcnt(2) lgkmcnt(0)
	v_mul_f64 v[142:143], v[136:137], v[138:139]
	v_mul_f64 v[138:139], v[134:135], v[138:139]
	s_waitcnt vmcnt(0)
	v_fma_f64 v[134:135], v[134:135], v[140:141], -v[142:143]
	v_fma_f64 v[136:137], v[136:137], v[140:141], v[138:139]
	v_add_f64 v[1:2], v[1:2], v[134:135]
	v_add_f64 v[3:4], v[3:4], v[136:137]
	s_andn2_b32 exec_lo, exec_lo, s6
	s_cbranch_execnz .LBB124_1228
; %bb.1229:
	s_or_b32 exec_lo, exec_lo, s6
.LBB124_1230:
	s_or_b32 exec_lo, exec_lo, s5
	v_mov_b32_e32 v130, 0
	ds_read_b128 v[134:137], v130 offset:784
	s_waitcnt lgkmcnt(0)
	v_mul_f64 v[130:131], v[3:4], v[136:137]
	v_mul_f64 v[136:137], v[1:2], v[136:137]
	v_fma_f64 v[1:2], v[1:2], v[134:135], -v[130:131]
	v_fma_f64 v[3:4], v[3:4], v[134:135], v[136:137]
	buffer_store_dword v2, off, s[0:3], 0 offset:788
	buffer_store_dword v1, off, s[0:3], 0 offset:784
	;; [unrolled: 1-line block ×4, first 2 shown]
.LBB124_1231:
	s_or_b32 exec_lo, exec_lo, s4
	v_mov_b32_e32 v4, s19
	s_mov_b32 s4, exec_lo
	s_clause 0x3
	buffer_load_dword v1, v4, s[0:3], 0 offen
	buffer_load_dword v2, v4, s[0:3], 0 offen offset:4
	buffer_load_dword v3, v4, s[0:3], 0 offen offset:8
	;; [unrolled: 1-line block ×3, first 2 shown]
	s_waitcnt vmcnt(0)
	ds_write_b128 v128, v[1:4]
	s_waitcnt lgkmcnt(0)
	s_waitcnt_vscnt null, 0x0
	s_barrier
	buffer_gl0_inv
	v_cmpx_gt_u32_e32 50, v0
	s_cbranch_execz .LBB124_1239
; %bb.1232:
	ds_read_b128 v[1:4], v128
	v_cmp_ne_u32_e32 vcc_lo, 1, v129
	s_cbranch_vccnz .LBB124_1234
; %bb.1233:
	s_clause 0x3
	buffer_load_dword v130, v127, s[0:3], 0 offen offset:8
	buffer_load_dword v131, v127, s[0:3], 0 offen offset:12
	buffer_load_dword v134, v127, s[0:3], 0 offen
	buffer_load_dword v135, v127, s[0:3], 0 offen offset:4
	s_waitcnt vmcnt(2) lgkmcnt(0)
	v_mul_f64 v[136:137], v[3:4], v[130:131]
	v_mul_f64 v[130:131], v[1:2], v[130:131]
	s_waitcnt vmcnt(0)
	v_fma_f64 v[1:2], v[1:2], v[134:135], -v[136:137]
	v_fma_f64 v[3:4], v[3:4], v[134:135], v[130:131]
.LBB124_1234:
	s_mov_b32 s5, exec_lo
	v_cmpx_ne_u32_e32 49, v0
	s_cbranch_execz .LBB124_1238
; %bb.1235:
	v_add_nc_u32_e32 v130, 0x3e0, v133
	v_add3_u32 v131, 0, v133, 16
	v_mov_b32_e32 v132, v0
	s_mov_b32 s6, 0
	.p2align	6
.LBB124_1236:                           ; =>This Inner Loop Header: Depth=1
	s_clause 0x3
	buffer_load_dword v138, v131, s[0:3], 0 offen offset:8
	buffer_load_dword v139, v131, s[0:3], 0 offen offset:12
	buffer_load_dword v140, v131, s[0:3], 0 offen
	buffer_load_dword v141, v131, s[0:3], 0 offen offset:4
	ds_read_b128 v[134:137], v130
	v_add_nc_u32_e32 v132, 1, v132
	v_add_nc_u32_e32 v130, 16, v130
	;; [unrolled: 1-line block ×3, first 2 shown]
	v_cmp_lt_u32_e32 vcc_lo, 48, v132
	s_or_b32 s6, vcc_lo, s6
	s_waitcnt vmcnt(2) lgkmcnt(0)
	v_mul_f64 v[142:143], v[136:137], v[138:139]
	v_mul_f64 v[138:139], v[134:135], v[138:139]
	s_waitcnt vmcnt(0)
	v_fma_f64 v[134:135], v[134:135], v[140:141], -v[142:143]
	v_fma_f64 v[136:137], v[136:137], v[140:141], v[138:139]
	v_add_f64 v[1:2], v[1:2], v[134:135]
	v_add_f64 v[3:4], v[3:4], v[136:137]
	s_andn2_b32 exec_lo, exec_lo, s6
	s_cbranch_execnz .LBB124_1236
; %bb.1237:
	s_or_b32 exec_lo, exec_lo, s6
.LBB124_1238:
	s_or_b32 exec_lo, exec_lo, s5
	v_mov_b32_e32 v130, 0
	ds_read_b128 v[134:137], v130 offset:800
	s_waitcnt lgkmcnt(0)
	v_mul_f64 v[130:131], v[3:4], v[136:137]
	v_mul_f64 v[136:137], v[1:2], v[136:137]
	v_fma_f64 v[1:2], v[1:2], v[134:135], -v[130:131]
	v_fma_f64 v[3:4], v[3:4], v[134:135], v[136:137]
	buffer_store_dword v2, off, s[0:3], 0 offset:804
	buffer_store_dword v1, off, s[0:3], 0 offset:800
	;; [unrolled: 1-line block ×4, first 2 shown]
.LBB124_1239:
	s_or_b32 exec_lo, exec_lo, s4
	v_mov_b32_e32 v4, s18
	s_mov_b32 s4, exec_lo
	s_clause 0x3
	buffer_load_dword v1, v4, s[0:3], 0 offen
	buffer_load_dword v2, v4, s[0:3], 0 offen offset:4
	buffer_load_dword v3, v4, s[0:3], 0 offen offset:8
	;; [unrolled: 1-line block ×3, first 2 shown]
	s_waitcnt vmcnt(0)
	ds_write_b128 v128, v[1:4]
	s_waitcnt lgkmcnt(0)
	s_waitcnt_vscnt null, 0x0
	s_barrier
	buffer_gl0_inv
	v_cmpx_gt_u32_e32 51, v0
	s_cbranch_execz .LBB124_1247
; %bb.1240:
	ds_read_b128 v[1:4], v128
	v_cmp_ne_u32_e32 vcc_lo, 1, v129
	s_cbranch_vccnz .LBB124_1242
; %bb.1241:
	s_clause 0x3
	buffer_load_dword v130, v127, s[0:3], 0 offen offset:8
	buffer_load_dword v131, v127, s[0:3], 0 offen offset:12
	buffer_load_dword v134, v127, s[0:3], 0 offen
	buffer_load_dword v135, v127, s[0:3], 0 offen offset:4
	s_waitcnt vmcnt(2) lgkmcnt(0)
	v_mul_f64 v[136:137], v[3:4], v[130:131]
	v_mul_f64 v[130:131], v[1:2], v[130:131]
	s_waitcnt vmcnt(0)
	v_fma_f64 v[1:2], v[1:2], v[134:135], -v[136:137]
	v_fma_f64 v[3:4], v[3:4], v[134:135], v[130:131]
.LBB124_1242:
	s_mov_b32 s5, exec_lo
	v_cmpx_ne_u32_e32 50, v0
	s_cbranch_execz .LBB124_1246
; %bb.1243:
	v_add_nc_u32_e32 v130, 0x3e0, v133
	v_add3_u32 v131, 0, v133, 16
	v_mov_b32_e32 v132, v0
	s_mov_b32 s6, 0
	.p2align	6
.LBB124_1244:                           ; =>This Inner Loop Header: Depth=1
	s_clause 0x3
	buffer_load_dword v138, v131, s[0:3], 0 offen offset:8
	buffer_load_dword v139, v131, s[0:3], 0 offen offset:12
	buffer_load_dword v140, v131, s[0:3], 0 offen
	buffer_load_dword v141, v131, s[0:3], 0 offen offset:4
	ds_read_b128 v[134:137], v130
	v_add_nc_u32_e32 v132, 1, v132
	v_add_nc_u32_e32 v130, 16, v130
	;; [unrolled: 1-line block ×3, first 2 shown]
	v_cmp_lt_u32_e32 vcc_lo, 49, v132
	s_or_b32 s6, vcc_lo, s6
	s_waitcnt vmcnt(2) lgkmcnt(0)
	v_mul_f64 v[142:143], v[136:137], v[138:139]
	v_mul_f64 v[138:139], v[134:135], v[138:139]
	s_waitcnt vmcnt(0)
	v_fma_f64 v[134:135], v[134:135], v[140:141], -v[142:143]
	v_fma_f64 v[136:137], v[136:137], v[140:141], v[138:139]
	v_add_f64 v[1:2], v[1:2], v[134:135]
	v_add_f64 v[3:4], v[3:4], v[136:137]
	s_andn2_b32 exec_lo, exec_lo, s6
	s_cbranch_execnz .LBB124_1244
; %bb.1245:
	s_or_b32 exec_lo, exec_lo, s6
.LBB124_1246:
	s_or_b32 exec_lo, exec_lo, s5
	v_mov_b32_e32 v130, 0
	ds_read_b128 v[134:137], v130 offset:816
	s_waitcnt lgkmcnt(0)
	v_mul_f64 v[130:131], v[3:4], v[136:137]
	v_mul_f64 v[136:137], v[1:2], v[136:137]
	v_fma_f64 v[1:2], v[1:2], v[134:135], -v[130:131]
	v_fma_f64 v[3:4], v[3:4], v[134:135], v[136:137]
	buffer_store_dword v2, off, s[0:3], 0 offset:820
	buffer_store_dword v1, off, s[0:3], 0 offset:816
	;; [unrolled: 1-line block ×4, first 2 shown]
.LBB124_1247:
	s_or_b32 exec_lo, exec_lo, s4
	v_mov_b32_e32 v4, s17
	s_mov_b32 s4, exec_lo
	s_clause 0x3
	buffer_load_dword v1, v4, s[0:3], 0 offen
	buffer_load_dword v2, v4, s[0:3], 0 offen offset:4
	buffer_load_dword v3, v4, s[0:3], 0 offen offset:8
	;; [unrolled: 1-line block ×3, first 2 shown]
	s_waitcnt vmcnt(0)
	ds_write_b128 v128, v[1:4]
	s_waitcnt lgkmcnt(0)
	s_waitcnt_vscnt null, 0x0
	s_barrier
	buffer_gl0_inv
	v_cmpx_gt_u32_e32 52, v0
	s_cbranch_execz .LBB124_1255
; %bb.1248:
	ds_read_b128 v[1:4], v128
	v_cmp_ne_u32_e32 vcc_lo, 1, v129
	s_cbranch_vccnz .LBB124_1250
; %bb.1249:
	s_clause 0x3
	buffer_load_dword v130, v127, s[0:3], 0 offen offset:8
	buffer_load_dword v131, v127, s[0:3], 0 offen offset:12
	buffer_load_dword v134, v127, s[0:3], 0 offen
	buffer_load_dword v135, v127, s[0:3], 0 offen offset:4
	s_waitcnt vmcnt(2) lgkmcnt(0)
	v_mul_f64 v[136:137], v[3:4], v[130:131]
	v_mul_f64 v[130:131], v[1:2], v[130:131]
	s_waitcnt vmcnt(0)
	v_fma_f64 v[1:2], v[1:2], v[134:135], -v[136:137]
	v_fma_f64 v[3:4], v[3:4], v[134:135], v[130:131]
.LBB124_1250:
	s_mov_b32 s5, exec_lo
	v_cmpx_ne_u32_e32 51, v0
	s_cbranch_execz .LBB124_1254
; %bb.1251:
	v_add_nc_u32_e32 v130, 0x3e0, v133
	v_add3_u32 v131, 0, v133, 16
	v_mov_b32_e32 v132, v0
	s_mov_b32 s6, 0
	.p2align	6
.LBB124_1252:                           ; =>This Inner Loop Header: Depth=1
	s_clause 0x3
	buffer_load_dword v138, v131, s[0:3], 0 offen offset:8
	buffer_load_dword v139, v131, s[0:3], 0 offen offset:12
	buffer_load_dword v140, v131, s[0:3], 0 offen
	buffer_load_dword v141, v131, s[0:3], 0 offen offset:4
	ds_read_b128 v[134:137], v130
	v_add_nc_u32_e32 v132, 1, v132
	v_add_nc_u32_e32 v130, 16, v130
	;; [unrolled: 1-line block ×3, first 2 shown]
	v_cmp_lt_u32_e32 vcc_lo, 50, v132
	s_or_b32 s6, vcc_lo, s6
	s_waitcnt vmcnt(2) lgkmcnt(0)
	v_mul_f64 v[142:143], v[136:137], v[138:139]
	v_mul_f64 v[138:139], v[134:135], v[138:139]
	s_waitcnt vmcnt(0)
	v_fma_f64 v[134:135], v[134:135], v[140:141], -v[142:143]
	v_fma_f64 v[136:137], v[136:137], v[140:141], v[138:139]
	v_add_f64 v[1:2], v[1:2], v[134:135]
	v_add_f64 v[3:4], v[3:4], v[136:137]
	s_andn2_b32 exec_lo, exec_lo, s6
	s_cbranch_execnz .LBB124_1252
; %bb.1253:
	s_or_b32 exec_lo, exec_lo, s6
.LBB124_1254:
	s_or_b32 exec_lo, exec_lo, s5
	v_mov_b32_e32 v130, 0
	ds_read_b128 v[134:137], v130 offset:832
	s_waitcnt lgkmcnt(0)
	v_mul_f64 v[130:131], v[3:4], v[136:137]
	v_mul_f64 v[136:137], v[1:2], v[136:137]
	v_fma_f64 v[1:2], v[1:2], v[134:135], -v[130:131]
	v_fma_f64 v[3:4], v[3:4], v[134:135], v[136:137]
	buffer_store_dword v2, off, s[0:3], 0 offset:836
	buffer_store_dword v1, off, s[0:3], 0 offset:832
	;; [unrolled: 1-line block ×4, first 2 shown]
.LBB124_1255:
	s_or_b32 exec_lo, exec_lo, s4
	v_mov_b32_e32 v4, s16
	s_mov_b32 s4, exec_lo
	s_clause 0x3
	buffer_load_dword v1, v4, s[0:3], 0 offen
	buffer_load_dword v2, v4, s[0:3], 0 offen offset:4
	buffer_load_dword v3, v4, s[0:3], 0 offen offset:8
	;; [unrolled: 1-line block ×3, first 2 shown]
	s_waitcnt vmcnt(0)
	ds_write_b128 v128, v[1:4]
	s_waitcnt lgkmcnt(0)
	s_waitcnt_vscnt null, 0x0
	s_barrier
	buffer_gl0_inv
	v_cmpx_gt_u32_e32 53, v0
	s_cbranch_execz .LBB124_1263
; %bb.1256:
	ds_read_b128 v[1:4], v128
	v_cmp_ne_u32_e32 vcc_lo, 1, v129
	s_cbranch_vccnz .LBB124_1258
; %bb.1257:
	s_clause 0x3
	buffer_load_dword v130, v127, s[0:3], 0 offen offset:8
	buffer_load_dword v131, v127, s[0:3], 0 offen offset:12
	buffer_load_dword v134, v127, s[0:3], 0 offen
	buffer_load_dword v135, v127, s[0:3], 0 offen offset:4
	s_waitcnt vmcnt(2) lgkmcnt(0)
	v_mul_f64 v[136:137], v[3:4], v[130:131]
	v_mul_f64 v[130:131], v[1:2], v[130:131]
	s_waitcnt vmcnt(0)
	v_fma_f64 v[1:2], v[1:2], v[134:135], -v[136:137]
	v_fma_f64 v[3:4], v[3:4], v[134:135], v[130:131]
.LBB124_1258:
	s_mov_b32 s5, exec_lo
	v_cmpx_ne_u32_e32 52, v0
	s_cbranch_execz .LBB124_1262
; %bb.1259:
	v_add_nc_u32_e32 v130, 0x3e0, v133
	v_add3_u32 v131, 0, v133, 16
	v_mov_b32_e32 v132, v0
	s_mov_b32 s6, 0
	.p2align	6
.LBB124_1260:                           ; =>This Inner Loop Header: Depth=1
	s_clause 0x3
	buffer_load_dword v138, v131, s[0:3], 0 offen offset:8
	buffer_load_dword v139, v131, s[0:3], 0 offen offset:12
	buffer_load_dword v140, v131, s[0:3], 0 offen
	buffer_load_dword v141, v131, s[0:3], 0 offen offset:4
	ds_read_b128 v[134:137], v130
	v_add_nc_u32_e32 v132, 1, v132
	v_add_nc_u32_e32 v130, 16, v130
	;; [unrolled: 1-line block ×3, first 2 shown]
	v_cmp_lt_u32_e32 vcc_lo, 51, v132
	s_or_b32 s6, vcc_lo, s6
	s_waitcnt vmcnt(2) lgkmcnt(0)
	v_mul_f64 v[142:143], v[136:137], v[138:139]
	v_mul_f64 v[138:139], v[134:135], v[138:139]
	s_waitcnt vmcnt(0)
	v_fma_f64 v[134:135], v[134:135], v[140:141], -v[142:143]
	v_fma_f64 v[136:137], v[136:137], v[140:141], v[138:139]
	v_add_f64 v[1:2], v[1:2], v[134:135]
	v_add_f64 v[3:4], v[3:4], v[136:137]
	s_andn2_b32 exec_lo, exec_lo, s6
	s_cbranch_execnz .LBB124_1260
; %bb.1261:
	s_or_b32 exec_lo, exec_lo, s6
.LBB124_1262:
	s_or_b32 exec_lo, exec_lo, s5
	v_mov_b32_e32 v130, 0
	ds_read_b128 v[134:137], v130 offset:848
	s_waitcnt lgkmcnt(0)
	v_mul_f64 v[130:131], v[3:4], v[136:137]
	v_mul_f64 v[136:137], v[1:2], v[136:137]
	v_fma_f64 v[1:2], v[1:2], v[134:135], -v[130:131]
	v_fma_f64 v[3:4], v[3:4], v[134:135], v[136:137]
	buffer_store_dword v2, off, s[0:3], 0 offset:852
	buffer_store_dword v1, off, s[0:3], 0 offset:848
	;; [unrolled: 1-line block ×4, first 2 shown]
.LBB124_1263:
	s_or_b32 exec_lo, exec_lo, s4
	v_mov_b32_e32 v4, s15
	s_mov_b32 s4, exec_lo
	s_clause 0x3
	buffer_load_dword v1, v4, s[0:3], 0 offen
	buffer_load_dword v2, v4, s[0:3], 0 offen offset:4
	buffer_load_dword v3, v4, s[0:3], 0 offen offset:8
	;; [unrolled: 1-line block ×3, first 2 shown]
	s_waitcnt vmcnt(0)
	ds_write_b128 v128, v[1:4]
	s_waitcnt lgkmcnt(0)
	s_waitcnt_vscnt null, 0x0
	s_barrier
	buffer_gl0_inv
	v_cmpx_gt_u32_e32 54, v0
	s_cbranch_execz .LBB124_1271
; %bb.1264:
	ds_read_b128 v[1:4], v128
	v_cmp_ne_u32_e32 vcc_lo, 1, v129
	s_cbranch_vccnz .LBB124_1266
; %bb.1265:
	s_clause 0x3
	buffer_load_dword v130, v127, s[0:3], 0 offen offset:8
	buffer_load_dword v131, v127, s[0:3], 0 offen offset:12
	buffer_load_dword v134, v127, s[0:3], 0 offen
	buffer_load_dword v135, v127, s[0:3], 0 offen offset:4
	s_waitcnt vmcnt(2) lgkmcnt(0)
	v_mul_f64 v[136:137], v[3:4], v[130:131]
	v_mul_f64 v[130:131], v[1:2], v[130:131]
	s_waitcnt vmcnt(0)
	v_fma_f64 v[1:2], v[1:2], v[134:135], -v[136:137]
	v_fma_f64 v[3:4], v[3:4], v[134:135], v[130:131]
.LBB124_1266:
	s_mov_b32 s5, exec_lo
	v_cmpx_ne_u32_e32 53, v0
	s_cbranch_execz .LBB124_1270
; %bb.1267:
	v_add_nc_u32_e32 v130, 0x3e0, v133
	v_add3_u32 v131, 0, v133, 16
	v_mov_b32_e32 v132, v0
	s_mov_b32 s6, 0
	.p2align	6
.LBB124_1268:                           ; =>This Inner Loop Header: Depth=1
	s_clause 0x3
	buffer_load_dword v138, v131, s[0:3], 0 offen offset:8
	buffer_load_dword v139, v131, s[0:3], 0 offen offset:12
	buffer_load_dword v140, v131, s[0:3], 0 offen
	buffer_load_dword v141, v131, s[0:3], 0 offen offset:4
	ds_read_b128 v[134:137], v130
	v_add_nc_u32_e32 v132, 1, v132
	v_add_nc_u32_e32 v130, 16, v130
	;; [unrolled: 1-line block ×3, first 2 shown]
	v_cmp_lt_u32_e32 vcc_lo, 52, v132
	s_or_b32 s6, vcc_lo, s6
	s_waitcnt vmcnt(2) lgkmcnt(0)
	v_mul_f64 v[142:143], v[136:137], v[138:139]
	v_mul_f64 v[138:139], v[134:135], v[138:139]
	s_waitcnt vmcnt(0)
	v_fma_f64 v[134:135], v[134:135], v[140:141], -v[142:143]
	v_fma_f64 v[136:137], v[136:137], v[140:141], v[138:139]
	v_add_f64 v[1:2], v[1:2], v[134:135]
	v_add_f64 v[3:4], v[3:4], v[136:137]
	s_andn2_b32 exec_lo, exec_lo, s6
	s_cbranch_execnz .LBB124_1268
; %bb.1269:
	s_or_b32 exec_lo, exec_lo, s6
.LBB124_1270:
	s_or_b32 exec_lo, exec_lo, s5
	v_mov_b32_e32 v130, 0
	ds_read_b128 v[134:137], v130 offset:864
	s_waitcnt lgkmcnt(0)
	v_mul_f64 v[130:131], v[3:4], v[136:137]
	v_mul_f64 v[136:137], v[1:2], v[136:137]
	v_fma_f64 v[1:2], v[1:2], v[134:135], -v[130:131]
	v_fma_f64 v[3:4], v[3:4], v[134:135], v[136:137]
	buffer_store_dword v2, off, s[0:3], 0 offset:868
	buffer_store_dword v1, off, s[0:3], 0 offset:864
	;; [unrolled: 1-line block ×4, first 2 shown]
.LBB124_1271:
	s_or_b32 exec_lo, exec_lo, s4
	v_mov_b32_e32 v4, s14
	s_mov_b32 s4, exec_lo
	s_clause 0x3
	buffer_load_dword v1, v4, s[0:3], 0 offen
	buffer_load_dword v2, v4, s[0:3], 0 offen offset:4
	buffer_load_dword v3, v4, s[0:3], 0 offen offset:8
	;; [unrolled: 1-line block ×3, first 2 shown]
	s_waitcnt vmcnt(0)
	ds_write_b128 v128, v[1:4]
	s_waitcnt lgkmcnt(0)
	s_waitcnt_vscnt null, 0x0
	s_barrier
	buffer_gl0_inv
	v_cmpx_gt_u32_e32 55, v0
	s_cbranch_execz .LBB124_1279
; %bb.1272:
	ds_read_b128 v[1:4], v128
	v_cmp_ne_u32_e32 vcc_lo, 1, v129
	s_cbranch_vccnz .LBB124_1274
; %bb.1273:
	s_clause 0x3
	buffer_load_dword v130, v127, s[0:3], 0 offen offset:8
	buffer_load_dword v131, v127, s[0:3], 0 offen offset:12
	buffer_load_dword v134, v127, s[0:3], 0 offen
	buffer_load_dword v135, v127, s[0:3], 0 offen offset:4
	s_waitcnt vmcnt(2) lgkmcnt(0)
	v_mul_f64 v[136:137], v[3:4], v[130:131]
	v_mul_f64 v[130:131], v[1:2], v[130:131]
	s_waitcnt vmcnt(0)
	v_fma_f64 v[1:2], v[1:2], v[134:135], -v[136:137]
	v_fma_f64 v[3:4], v[3:4], v[134:135], v[130:131]
.LBB124_1274:
	s_mov_b32 s5, exec_lo
	v_cmpx_ne_u32_e32 54, v0
	s_cbranch_execz .LBB124_1278
; %bb.1275:
	v_add_nc_u32_e32 v130, 0x3e0, v133
	v_add3_u32 v131, 0, v133, 16
	v_mov_b32_e32 v132, v0
	s_mov_b32 s6, 0
	.p2align	6
.LBB124_1276:                           ; =>This Inner Loop Header: Depth=1
	s_clause 0x3
	buffer_load_dword v138, v131, s[0:3], 0 offen offset:8
	buffer_load_dword v139, v131, s[0:3], 0 offen offset:12
	buffer_load_dword v140, v131, s[0:3], 0 offen
	buffer_load_dword v141, v131, s[0:3], 0 offen offset:4
	ds_read_b128 v[134:137], v130
	v_add_nc_u32_e32 v132, 1, v132
	v_add_nc_u32_e32 v130, 16, v130
	;; [unrolled: 1-line block ×3, first 2 shown]
	v_cmp_lt_u32_e32 vcc_lo, 53, v132
	s_or_b32 s6, vcc_lo, s6
	s_waitcnt vmcnt(2) lgkmcnt(0)
	v_mul_f64 v[142:143], v[136:137], v[138:139]
	v_mul_f64 v[138:139], v[134:135], v[138:139]
	s_waitcnt vmcnt(0)
	v_fma_f64 v[134:135], v[134:135], v[140:141], -v[142:143]
	v_fma_f64 v[136:137], v[136:137], v[140:141], v[138:139]
	v_add_f64 v[1:2], v[1:2], v[134:135]
	v_add_f64 v[3:4], v[3:4], v[136:137]
	s_andn2_b32 exec_lo, exec_lo, s6
	s_cbranch_execnz .LBB124_1276
; %bb.1277:
	s_or_b32 exec_lo, exec_lo, s6
.LBB124_1278:
	s_or_b32 exec_lo, exec_lo, s5
	v_mov_b32_e32 v130, 0
	ds_read_b128 v[134:137], v130 offset:880
	s_waitcnt lgkmcnt(0)
	v_mul_f64 v[130:131], v[3:4], v[136:137]
	v_mul_f64 v[136:137], v[1:2], v[136:137]
	v_fma_f64 v[1:2], v[1:2], v[134:135], -v[130:131]
	v_fma_f64 v[3:4], v[3:4], v[134:135], v[136:137]
	buffer_store_dword v2, off, s[0:3], 0 offset:884
	buffer_store_dword v1, off, s[0:3], 0 offset:880
	;; [unrolled: 1-line block ×4, first 2 shown]
.LBB124_1279:
	s_or_b32 exec_lo, exec_lo, s4
	v_mov_b32_e32 v4, s13
	s_mov_b32 s4, exec_lo
	s_clause 0x3
	buffer_load_dword v1, v4, s[0:3], 0 offen
	buffer_load_dword v2, v4, s[0:3], 0 offen offset:4
	buffer_load_dword v3, v4, s[0:3], 0 offen offset:8
	;; [unrolled: 1-line block ×3, first 2 shown]
	s_waitcnt vmcnt(0)
	ds_write_b128 v128, v[1:4]
	s_waitcnt lgkmcnt(0)
	s_waitcnt_vscnt null, 0x0
	s_barrier
	buffer_gl0_inv
	v_cmpx_gt_u32_e32 56, v0
	s_cbranch_execz .LBB124_1287
; %bb.1280:
	ds_read_b128 v[1:4], v128
	v_cmp_ne_u32_e32 vcc_lo, 1, v129
	s_cbranch_vccnz .LBB124_1282
; %bb.1281:
	s_clause 0x3
	buffer_load_dword v130, v127, s[0:3], 0 offen offset:8
	buffer_load_dword v131, v127, s[0:3], 0 offen offset:12
	buffer_load_dword v134, v127, s[0:3], 0 offen
	buffer_load_dword v135, v127, s[0:3], 0 offen offset:4
	s_waitcnt vmcnt(2) lgkmcnt(0)
	v_mul_f64 v[136:137], v[3:4], v[130:131]
	v_mul_f64 v[130:131], v[1:2], v[130:131]
	s_waitcnt vmcnt(0)
	v_fma_f64 v[1:2], v[1:2], v[134:135], -v[136:137]
	v_fma_f64 v[3:4], v[3:4], v[134:135], v[130:131]
.LBB124_1282:
	s_mov_b32 s5, exec_lo
	v_cmpx_ne_u32_e32 55, v0
	s_cbranch_execz .LBB124_1286
; %bb.1283:
	v_add_nc_u32_e32 v130, 0x3e0, v133
	v_add3_u32 v131, 0, v133, 16
	v_mov_b32_e32 v132, v0
	s_mov_b32 s6, 0
	.p2align	6
.LBB124_1284:                           ; =>This Inner Loop Header: Depth=1
	s_clause 0x3
	buffer_load_dword v138, v131, s[0:3], 0 offen offset:8
	buffer_load_dword v139, v131, s[0:3], 0 offen offset:12
	buffer_load_dword v140, v131, s[0:3], 0 offen
	buffer_load_dword v141, v131, s[0:3], 0 offen offset:4
	ds_read_b128 v[134:137], v130
	v_add_nc_u32_e32 v132, 1, v132
	v_add_nc_u32_e32 v130, 16, v130
	;; [unrolled: 1-line block ×3, first 2 shown]
	v_cmp_lt_u32_e32 vcc_lo, 54, v132
	s_or_b32 s6, vcc_lo, s6
	s_waitcnt vmcnt(2) lgkmcnt(0)
	v_mul_f64 v[142:143], v[136:137], v[138:139]
	v_mul_f64 v[138:139], v[134:135], v[138:139]
	s_waitcnt vmcnt(0)
	v_fma_f64 v[134:135], v[134:135], v[140:141], -v[142:143]
	v_fma_f64 v[136:137], v[136:137], v[140:141], v[138:139]
	v_add_f64 v[1:2], v[1:2], v[134:135]
	v_add_f64 v[3:4], v[3:4], v[136:137]
	s_andn2_b32 exec_lo, exec_lo, s6
	s_cbranch_execnz .LBB124_1284
; %bb.1285:
	s_or_b32 exec_lo, exec_lo, s6
.LBB124_1286:
	s_or_b32 exec_lo, exec_lo, s5
	v_mov_b32_e32 v130, 0
	ds_read_b128 v[134:137], v130 offset:896
	s_waitcnt lgkmcnt(0)
	v_mul_f64 v[130:131], v[3:4], v[136:137]
	v_mul_f64 v[136:137], v[1:2], v[136:137]
	v_fma_f64 v[1:2], v[1:2], v[134:135], -v[130:131]
	v_fma_f64 v[3:4], v[3:4], v[134:135], v[136:137]
	buffer_store_dword v2, off, s[0:3], 0 offset:900
	buffer_store_dword v1, off, s[0:3], 0 offset:896
	;; [unrolled: 1-line block ×4, first 2 shown]
.LBB124_1287:
	s_or_b32 exec_lo, exec_lo, s4
	v_mov_b32_e32 v4, s12
	s_mov_b32 s4, exec_lo
	s_clause 0x3
	buffer_load_dword v1, v4, s[0:3], 0 offen
	buffer_load_dword v2, v4, s[0:3], 0 offen offset:4
	buffer_load_dword v3, v4, s[0:3], 0 offen offset:8
	buffer_load_dword v4, v4, s[0:3], 0 offen offset:12
	s_waitcnt vmcnt(0)
	ds_write_b128 v128, v[1:4]
	s_waitcnt lgkmcnt(0)
	s_waitcnt_vscnt null, 0x0
	s_barrier
	buffer_gl0_inv
	v_cmpx_gt_u32_e32 57, v0
	s_cbranch_execz .LBB124_1295
; %bb.1288:
	ds_read_b128 v[1:4], v128
	v_cmp_ne_u32_e32 vcc_lo, 1, v129
	s_cbranch_vccnz .LBB124_1290
; %bb.1289:
	s_clause 0x3
	buffer_load_dword v130, v127, s[0:3], 0 offen offset:8
	buffer_load_dword v131, v127, s[0:3], 0 offen offset:12
	buffer_load_dword v134, v127, s[0:3], 0 offen
	buffer_load_dword v135, v127, s[0:3], 0 offen offset:4
	s_waitcnt vmcnt(2) lgkmcnt(0)
	v_mul_f64 v[136:137], v[3:4], v[130:131]
	v_mul_f64 v[130:131], v[1:2], v[130:131]
	s_waitcnt vmcnt(0)
	v_fma_f64 v[1:2], v[1:2], v[134:135], -v[136:137]
	v_fma_f64 v[3:4], v[3:4], v[134:135], v[130:131]
.LBB124_1290:
	s_mov_b32 s5, exec_lo
	v_cmpx_ne_u32_e32 56, v0
	s_cbranch_execz .LBB124_1294
; %bb.1291:
	v_add_nc_u32_e32 v130, 0x3e0, v133
	v_add3_u32 v131, 0, v133, 16
	v_mov_b32_e32 v132, v0
	s_mov_b32 s6, 0
	.p2align	6
.LBB124_1292:                           ; =>This Inner Loop Header: Depth=1
	s_clause 0x3
	buffer_load_dword v138, v131, s[0:3], 0 offen offset:8
	buffer_load_dword v139, v131, s[0:3], 0 offen offset:12
	buffer_load_dword v140, v131, s[0:3], 0 offen
	buffer_load_dword v141, v131, s[0:3], 0 offen offset:4
	ds_read_b128 v[134:137], v130
	v_add_nc_u32_e32 v132, 1, v132
	v_add_nc_u32_e32 v130, 16, v130
	;; [unrolled: 1-line block ×3, first 2 shown]
	v_cmp_lt_u32_e32 vcc_lo, 55, v132
	s_or_b32 s6, vcc_lo, s6
	s_waitcnt vmcnt(2) lgkmcnt(0)
	v_mul_f64 v[142:143], v[136:137], v[138:139]
	v_mul_f64 v[138:139], v[134:135], v[138:139]
	s_waitcnt vmcnt(0)
	v_fma_f64 v[134:135], v[134:135], v[140:141], -v[142:143]
	v_fma_f64 v[136:137], v[136:137], v[140:141], v[138:139]
	v_add_f64 v[1:2], v[1:2], v[134:135]
	v_add_f64 v[3:4], v[3:4], v[136:137]
	s_andn2_b32 exec_lo, exec_lo, s6
	s_cbranch_execnz .LBB124_1292
; %bb.1293:
	s_or_b32 exec_lo, exec_lo, s6
.LBB124_1294:
	s_or_b32 exec_lo, exec_lo, s5
	v_mov_b32_e32 v130, 0
	ds_read_b128 v[134:137], v130 offset:912
	s_waitcnt lgkmcnt(0)
	v_mul_f64 v[130:131], v[3:4], v[136:137]
	v_mul_f64 v[136:137], v[1:2], v[136:137]
	v_fma_f64 v[1:2], v[1:2], v[134:135], -v[130:131]
	v_fma_f64 v[3:4], v[3:4], v[134:135], v[136:137]
	buffer_store_dword v2, off, s[0:3], 0 offset:916
	buffer_store_dword v1, off, s[0:3], 0 offset:912
	;; [unrolled: 1-line block ×4, first 2 shown]
.LBB124_1295:
	s_or_b32 exec_lo, exec_lo, s4
	v_mov_b32_e32 v4, s11
	s_mov_b32 s4, exec_lo
	s_clause 0x3
	buffer_load_dword v1, v4, s[0:3], 0 offen
	buffer_load_dword v2, v4, s[0:3], 0 offen offset:4
	buffer_load_dword v3, v4, s[0:3], 0 offen offset:8
	;; [unrolled: 1-line block ×3, first 2 shown]
	s_waitcnt vmcnt(0)
	ds_write_b128 v128, v[1:4]
	s_waitcnt lgkmcnt(0)
	s_waitcnt_vscnt null, 0x0
	s_barrier
	buffer_gl0_inv
	v_cmpx_gt_u32_e32 58, v0
	s_cbranch_execz .LBB124_1303
; %bb.1296:
	ds_read_b128 v[1:4], v128
	v_cmp_ne_u32_e32 vcc_lo, 1, v129
	s_cbranch_vccnz .LBB124_1298
; %bb.1297:
	s_clause 0x3
	buffer_load_dword v130, v127, s[0:3], 0 offen offset:8
	buffer_load_dword v131, v127, s[0:3], 0 offen offset:12
	buffer_load_dword v134, v127, s[0:3], 0 offen
	buffer_load_dword v135, v127, s[0:3], 0 offen offset:4
	s_waitcnt vmcnt(2) lgkmcnt(0)
	v_mul_f64 v[136:137], v[3:4], v[130:131]
	v_mul_f64 v[130:131], v[1:2], v[130:131]
	s_waitcnt vmcnt(0)
	v_fma_f64 v[1:2], v[1:2], v[134:135], -v[136:137]
	v_fma_f64 v[3:4], v[3:4], v[134:135], v[130:131]
.LBB124_1298:
	s_mov_b32 s5, exec_lo
	v_cmpx_ne_u32_e32 57, v0
	s_cbranch_execz .LBB124_1302
; %bb.1299:
	v_add_nc_u32_e32 v130, 0x3e0, v133
	v_add3_u32 v131, 0, v133, 16
	v_mov_b32_e32 v132, v0
	s_mov_b32 s6, 0
	.p2align	6
.LBB124_1300:                           ; =>This Inner Loop Header: Depth=1
	s_clause 0x3
	buffer_load_dword v138, v131, s[0:3], 0 offen offset:8
	buffer_load_dword v139, v131, s[0:3], 0 offen offset:12
	buffer_load_dword v140, v131, s[0:3], 0 offen
	buffer_load_dword v141, v131, s[0:3], 0 offen offset:4
	ds_read_b128 v[134:137], v130
	v_add_nc_u32_e32 v132, 1, v132
	v_add_nc_u32_e32 v130, 16, v130
	;; [unrolled: 1-line block ×3, first 2 shown]
	v_cmp_lt_u32_e32 vcc_lo, 56, v132
	s_or_b32 s6, vcc_lo, s6
	s_waitcnt vmcnt(2) lgkmcnt(0)
	v_mul_f64 v[142:143], v[136:137], v[138:139]
	v_mul_f64 v[138:139], v[134:135], v[138:139]
	s_waitcnt vmcnt(0)
	v_fma_f64 v[134:135], v[134:135], v[140:141], -v[142:143]
	v_fma_f64 v[136:137], v[136:137], v[140:141], v[138:139]
	v_add_f64 v[1:2], v[1:2], v[134:135]
	v_add_f64 v[3:4], v[3:4], v[136:137]
	s_andn2_b32 exec_lo, exec_lo, s6
	s_cbranch_execnz .LBB124_1300
; %bb.1301:
	s_or_b32 exec_lo, exec_lo, s6
.LBB124_1302:
	s_or_b32 exec_lo, exec_lo, s5
	v_mov_b32_e32 v130, 0
	ds_read_b128 v[134:137], v130 offset:928
	s_waitcnt lgkmcnt(0)
	v_mul_f64 v[130:131], v[3:4], v[136:137]
	v_mul_f64 v[136:137], v[1:2], v[136:137]
	v_fma_f64 v[1:2], v[1:2], v[134:135], -v[130:131]
	v_fma_f64 v[3:4], v[3:4], v[134:135], v[136:137]
	buffer_store_dword v2, off, s[0:3], 0 offset:932
	buffer_store_dword v1, off, s[0:3], 0 offset:928
	;; [unrolled: 1-line block ×4, first 2 shown]
.LBB124_1303:
	s_or_b32 exec_lo, exec_lo, s4
	v_mov_b32_e32 v4, s10
	v_cmp_gt_u32_e64 s4, 59, v0
	s_clause 0x3
	buffer_load_dword v1, v4, s[0:3], 0 offen
	buffer_load_dword v2, v4, s[0:3], 0 offen offset:4
	buffer_load_dword v3, v4, s[0:3], 0 offen offset:8
	;; [unrolled: 1-line block ×3, first 2 shown]
	s_waitcnt vmcnt(0)
	ds_write_b128 v128, v[1:4]
	s_waitcnt lgkmcnt(0)
	s_waitcnt_vscnt null, 0x0
	s_barrier
	buffer_gl0_inv
	s_and_saveexec_b32 s5, s4
	s_cbranch_execz .LBB124_1311
; %bb.1304:
	ds_read_b128 v[1:4], v128
	v_cmp_ne_u32_e32 vcc_lo, 1, v129
	s_cbranch_vccnz .LBB124_1306
; %bb.1305:
	s_clause 0x3
	buffer_load_dword v130, v127, s[0:3], 0 offen offset:8
	buffer_load_dword v131, v127, s[0:3], 0 offen offset:12
	buffer_load_dword v134, v127, s[0:3], 0 offen
	buffer_load_dword v135, v127, s[0:3], 0 offen offset:4
	s_waitcnt vmcnt(2) lgkmcnt(0)
	v_mul_f64 v[136:137], v[3:4], v[130:131]
	v_mul_f64 v[130:131], v[1:2], v[130:131]
	s_waitcnt vmcnt(0)
	v_fma_f64 v[1:2], v[1:2], v[134:135], -v[136:137]
	v_fma_f64 v[3:4], v[3:4], v[134:135], v[130:131]
.LBB124_1306:
	s_mov_b32 s6, exec_lo
	v_cmpx_ne_u32_e32 58, v0
	s_cbranch_execz .LBB124_1310
; %bb.1307:
	v_add_nc_u32_e32 v130, 0x3e0, v133
	v_add3_u32 v131, 0, v133, 16
	v_mov_b32_e32 v132, v0
	s_mov_b32 s7, 0
	.p2align	6
.LBB124_1308:                           ; =>This Inner Loop Header: Depth=1
	s_clause 0x3
	buffer_load_dword v138, v131, s[0:3], 0 offen offset:8
	buffer_load_dword v139, v131, s[0:3], 0 offen offset:12
	buffer_load_dword v140, v131, s[0:3], 0 offen
	buffer_load_dword v141, v131, s[0:3], 0 offen offset:4
	ds_read_b128 v[134:137], v130
	v_add_nc_u32_e32 v132, 1, v132
	v_add_nc_u32_e32 v130, 16, v130
	;; [unrolled: 1-line block ×3, first 2 shown]
	v_cmp_lt_u32_e32 vcc_lo, 57, v132
	s_or_b32 s7, vcc_lo, s7
	s_waitcnt vmcnt(2) lgkmcnt(0)
	v_mul_f64 v[142:143], v[136:137], v[138:139]
	v_mul_f64 v[138:139], v[134:135], v[138:139]
	s_waitcnt vmcnt(0)
	v_fma_f64 v[134:135], v[134:135], v[140:141], -v[142:143]
	v_fma_f64 v[136:137], v[136:137], v[140:141], v[138:139]
	v_add_f64 v[1:2], v[1:2], v[134:135]
	v_add_f64 v[3:4], v[3:4], v[136:137]
	s_andn2_b32 exec_lo, exec_lo, s7
	s_cbranch_execnz .LBB124_1308
; %bb.1309:
	s_or_b32 exec_lo, exec_lo, s7
.LBB124_1310:
	s_or_b32 exec_lo, exec_lo, s6
	v_mov_b32_e32 v130, 0
	ds_read_b128 v[134:137], v130 offset:944
	s_waitcnt lgkmcnt(0)
	v_mul_f64 v[130:131], v[3:4], v[136:137]
	v_mul_f64 v[136:137], v[1:2], v[136:137]
	v_fma_f64 v[1:2], v[1:2], v[134:135], -v[130:131]
	v_fma_f64 v[3:4], v[3:4], v[134:135], v[136:137]
	buffer_store_dword v2, off, s[0:3], 0 offset:948
	buffer_store_dword v1, off, s[0:3], 0 offset:944
	;; [unrolled: 1-line block ×4, first 2 shown]
.LBB124_1311:
	s_or_b32 exec_lo, exec_lo, s5
	v_mov_b32_e32 v4, s9
	s_mov_b32 s5, exec_lo
                                        ; implicit-def: $sgpr70
	s_clause 0x3
	buffer_load_dword v1, v4, s[0:3], 0 offen
	buffer_load_dword v2, v4, s[0:3], 0 offen offset:4
	buffer_load_dword v3, v4, s[0:3], 0 offen offset:8
	;; [unrolled: 1-line block ×3, first 2 shown]
	s_waitcnt vmcnt(0)
	ds_write_b128 v128, v[1:4]
	s_waitcnt lgkmcnt(0)
	s_waitcnt_vscnt null, 0x0
	s_barrier
	buffer_gl0_inv
                                        ; implicit-def: $vgpr1_vgpr2
	v_cmpx_ne_u32_e32 60, v0
	s_cbranch_execz .LBB124_1319
; %bb.1312:
	ds_read_b128 v[1:4], v128
	v_cmp_ne_u32_e32 vcc_lo, 1, v129
	s_cbranch_vccnz .LBB124_1314
; %bb.1313:
	s_clause 0x3
	buffer_load_dword v128, v127, s[0:3], 0 offen offset:8
	buffer_load_dword v129, v127, s[0:3], 0 offen offset:12
	buffer_load_dword v130, v127, s[0:3], 0 offen
	buffer_load_dword v131, v127, s[0:3], 0 offen offset:4
	s_waitcnt vmcnt(2) lgkmcnt(0)
	v_mul_f64 v[134:135], v[3:4], v[128:129]
	v_mul_f64 v[127:128], v[1:2], v[128:129]
	s_waitcnt vmcnt(0)
	v_fma_f64 v[1:2], v[1:2], v[130:131], -v[134:135]
	v_fma_f64 v[3:4], v[3:4], v[130:131], v[127:128]
.LBB124_1314:
	s_and_saveexec_b32 s6, s4
	s_cbranch_execz .LBB124_1318
; %bb.1315:
	v_add_nc_u32_e32 v127, 0x3e0, v133
	v_add3_u32 v128, 0, v133, 16
	s_mov_b32 s4, 0
	.p2align	6
.LBB124_1316:                           ; =>This Inner Loop Header: Depth=1
	s_clause 0x3
	buffer_load_dword v133, v128, s[0:3], 0 offen offset:8
	buffer_load_dword v134, v128, s[0:3], 0 offen offset:12
	buffer_load_dword v135, v128, s[0:3], 0 offen
	buffer_load_dword v136, v128, s[0:3], 0 offen offset:4
	ds_read_b128 v[129:132], v127
	v_add_nc_u32_e32 v0, 1, v0
	v_add_nc_u32_e32 v127, 16, v127
	;; [unrolled: 1-line block ×3, first 2 shown]
	v_cmp_lt_u32_e32 vcc_lo, 58, v0
	s_or_b32 s4, vcc_lo, s4
	s_waitcnt vmcnt(2) lgkmcnt(0)
	v_mul_f64 v[137:138], v[131:132], v[133:134]
	v_mul_f64 v[133:134], v[129:130], v[133:134]
	s_waitcnt vmcnt(0)
	v_fma_f64 v[129:130], v[129:130], v[135:136], -v[137:138]
	v_fma_f64 v[131:132], v[131:132], v[135:136], v[133:134]
	v_add_f64 v[1:2], v[1:2], v[129:130]
	v_add_f64 v[3:4], v[3:4], v[131:132]
	s_andn2_b32 exec_lo, exec_lo, s4
	s_cbranch_execnz .LBB124_1316
; %bb.1317:
	s_or_b32 exec_lo, exec_lo, s4
.LBB124_1318:
	s_or_b32 exec_lo, exec_lo, s6
	v_mov_b32_e32 v0, 0
	s_movk_i32 s70, 0x3c8
	s_or_b32 s8, s8, exec_lo
	ds_read_b128 v[127:130], v0 offset:960
	s_waitcnt lgkmcnt(0)
	v_mul_f64 v[131:132], v[3:4], v[129:130]
	v_mul_f64 v[129:130], v[1:2], v[129:130]
	v_fma_f64 v[131:132], v[1:2], v[127:128], -v[131:132]
	v_fma_f64 v[1:2], v[3:4], v[127:128], v[129:130]
	buffer_store_dword v132, off, s[0:3], 0 offset:964
	buffer_store_dword v131, off, s[0:3], 0 offset:960
.LBB124_1319:
	s_or_b32 exec_lo, exec_lo, s5
.LBB124_1320:
	s_and_saveexec_b32 s4, s8
	s_cbranch_execz .LBB124_1322
; %bb.1321:
	v_mov_b32_e32 v0, s70
	buffer_store_dword v2, v0, s[0:3], 0 offen offset:4
	buffer_store_dword v1, v0, s[0:3], 0 offen
.LBB124_1322:
	s_or_b32 exec_lo, exec_lo, s4
	s_clause 0x3
	buffer_load_dword v0, off, s[0:3], 0
	buffer_load_dword v1, off, s[0:3], 0 offset:4
	buffer_load_dword v2, off, s[0:3], 0 offset:8
	;; [unrolled: 1-line block ×3, first 2 shown]
	v_mov_b32_e32 v4, s69
	s_waitcnt vmcnt(0)
	flat_store_dwordx4 v[5:6], v[0:3]
	s_clause 0x3
	buffer_load_dword v0, v4, s[0:3], 0 offen
	buffer_load_dword v1, v4, s[0:3], 0 offen offset:4
	buffer_load_dword v2, v4, s[0:3], 0 offen offset:8
	buffer_load_dword v3, v4, s[0:3], 0 offen offset:12
	v_mov_b32_e32 v4, s68
	s_waitcnt vmcnt(0)
	flat_store_dwordx4 v[59:60], v[0:3]
	s_clause 0x3
	buffer_load_dword v0, v4, s[0:3], 0 offen
	buffer_load_dword v1, v4, s[0:3], 0 offen offset:4
	buffer_load_dword v2, v4, s[0:3], 0 offen offset:8
	buffer_load_dword v3, v4, s[0:3], 0 offen offset:12
	;; [unrolled: 8-line block ×60, first 2 shown]
	s_waitcnt vmcnt(0)
	flat_store_dwordx4 v[125:126], v[0:3]
.LBB124_1323:
	s_endpgm
	.section	.rodata,"a",@progbits
	.p2align	6, 0x0
	.amdhsa_kernel _ZN9rocsolver6v33100L18trti2_kernel_smallILi61E19rocblas_complex_numIdEPKPS3_EEv13rocblas_fill_17rocblas_diagonal_T1_iil
		.amdhsa_group_segment_fixed_size 1952
		.amdhsa_private_segment_fixed_size 992
		.amdhsa_kernarg_size 32
		.amdhsa_user_sgpr_count 6
		.amdhsa_user_sgpr_private_segment_buffer 1
		.amdhsa_user_sgpr_dispatch_ptr 0
		.amdhsa_user_sgpr_queue_ptr 0
		.amdhsa_user_sgpr_kernarg_segment_ptr 1
		.amdhsa_user_sgpr_dispatch_id 0
		.amdhsa_user_sgpr_flat_scratch_init 0
		.amdhsa_user_sgpr_private_segment_size 0
		.amdhsa_wavefront_size32 1
		.amdhsa_uses_dynamic_stack 0
		.amdhsa_system_sgpr_private_segment_wavefront_offset 1
		.amdhsa_system_sgpr_workgroup_id_x 1
		.amdhsa_system_sgpr_workgroup_id_y 0
		.amdhsa_system_sgpr_workgroup_id_z 0
		.amdhsa_system_sgpr_workgroup_info 0
		.amdhsa_system_vgpr_workitem_id 0
		.amdhsa_next_free_vgpr 185
		.amdhsa_next_free_sgpr 97
		.amdhsa_reserve_vcc 1
		.amdhsa_reserve_flat_scratch 0
		.amdhsa_float_round_mode_32 0
		.amdhsa_float_round_mode_16_64 0
		.amdhsa_float_denorm_mode_32 3
		.amdhsa_float_denorm_mode_16_64 3
		.amdhsa_dx10_clamp 1
		.amdhsa_ieee_mode 1
		.amdhsa_fp16_overflow 0
		.amdhsa_workgroup_processor_mode 1
		.amdhsa_memory_ordered 1
		.amdhsa_forward_progress 1
		.amdhsa_shared_vgpr_count 0
		.amdhsa_exception_fp_ieee_invalid_op 0
		.amdhsa_exception_fp_denorm_src 0
		.amdhsa_exception_fp_ieee_div_zero 0
		.amdhsa_exception_fp_ieee_overflow 0
		.amdhsa_exception_fp_ieee_underflow 0
		.amdhsa_exception_fp_ieee_inexact 0
		.amdhsa_exception_int_div_zero 0
	.end_amdhsa_kernel
	.section	.text._ZN9rocsolver6v33100L18trti2_kernel_smallILi61E19rocblas_complex_numIdEPKPS3_EEv13rocblas_fill_17rocblas_diagonal_T1_iil,"axG",@progbits,_ZN9rocsolver6v33100L18trti2_kernel_smallILi61E19rocblas_complex_numIdEPKPS3_EEv13rocblas_fill_17rocblas_diagonal_T1_iil,comdat
.Lfunc_end124:
	.size	_ZN9rocsolver6v33100L18trti2_kernel_smallILi61E19rocblas_complex_numIdEPKPS3_EEv13rocblas_fill_17rocblas_diagonal_T1_iil, .Lfunc_end124-_ZN9rocsolver6v33100L18trti2_kernel_smallILi61E19rocblas_complex_numIdEPKPS3_EEv13rocblas_fill_17rocblas_diagonal_T1_iil
                                        ; -- End function
	.set _ZN9rocsolver6v33100L18trti2_kernel_smallILi61E19rocblas_complex_numIdEPKPS3_EEv13rocblas_fill_17rocblas_diagonal_T1_iil.num_vgpr, 185
	.set _ZN9rocsolver6v33100L18trti2_kernel_smallILi61E19rocblas_complex_numIdEPKPS3_EEv13rocblas_fill_17rocblas_diagonal_T1_iil.num_agpr, 0
	.set _ZN9rocsolver6v33100L18trti2_kernel_smallILi61E19rocblas_complex_numIdEPKPS3_EEv13rocblas_fill_17rocblas_diagonal_T1_iil.numbered_sgpr, 97
	.set _ZN9rocsolver6v33100L18trti2_kernel_smallILi61E19rocblas_complex_numIdEPKPS3_EEv13rocblas_fill_17rocblas_diagonal_T1_iil.num_named_barrier, 0
	.set _ZN9rocsolver6v33100L18trti2_kernel_smallILi61E19rocblas_complex_numIdEPKPS3_EEv13rocblas_fill_17rocblas_diagonal_T1_iil.private_seg_size, 992
	.set _ZN9rocsolver6v33100L18trti2_kernel_smallILi61E19rocblas_complex_numIdEPKPS3_EEv13rocblas_fill_17rocblas_diagonal_T1_iil.uses_vcc, 1
	.set _ZN9rocsolver6v33100L18trti2_kernel_smallILi61E19rocblas_complex_numIdEPKPS3_EEv13rocblas_fill_17rocblas_diagonal_T1_iil.uses_flat_scratch, 0
	.set _ZN9rocsolver6v33100L18trti2_kernel_smallILi61E19rocblas_complex_numIdEPKPS3_EEv13rocblas_fill_17rocblas_diagonal_T1_iil.has_dyn_sized_stack, 0
	.set _ZN9rocsolver6v33100L18trti2_kernel_smallILi61E19rocblas_complex_numIdEPKPS3_EEv13rocblas_fill_17rocblas_diagonal_T1_iil.has_recursion, 0
	.set _ZN9rocsolver6v33100L18trti2_kernel_smallILi61E19rocblas_complex_numIdEPKPS3_EEv13rocblas_fill_17rocblas_diagonal_T1_iil.has_indirect_call, 0
	.section	.AMDGPU.csdata,"",@progbits
; Kernel info:
; codeLenInByte = 115032
; TotalNumSgprs: 99
; NumVgprs: 185
; ScratchSize: 992
; MemoryBound: 0
; FloatMode: 240
; IeeeMode: 1
; LDSByteSize: 1952 bytes/workgroup (compile time only)
; SGPRBlocks: 0
; VGPRBlocks: 23
; NumSGPRsForWavesPerEU: 99
; NumVGPRsForWavesPerEU: 185
; Occupancy: 5
; WaveLimiterHint : 1
; COMPUTE_PGM_RSRC2:SCRATCH_EN: 1
; COMPUTE_PGM_RSRC2:USER_SGPR: 6
; COMPUTE_PGM_RSRC2:TRAP_HANDLER: 0
; COMPUTE_PGM_RSRC2:TGID_X_EN: 1
; COMPUTE_PGM_RSRC2:TGID_Y_EN: 0
; COMPUTE_PGM_RSRC2:TGID_Z_EN: 0
; COMPUTE_PGM_RSRC2:TIDIG_COMP_CNT: 0
	.section	.text._ZN9rocsolver6v33100L18trti2_kernel_smallILi62E19rocblas_complex_numIdEPKPS3_EEv13rocblas_fill_17rocblas_diagonal_T1_iil,"axG",@progbits,_ZN9rocsolver6v33100L18trti2_kernel_smallILi62E19rocblas_complex_numIdEPKPS3_EEv13rocblas_fill_17rocblas_diagonal_T1_iil,comdat
	.globl	_ZN9rocsolver6v33100L18trti2_kernel_smallILi62E19rocblas_complex_numIdEPKPS3_EEv13rocblas_fill_17rocblas_diagonal_T1_iil ; -- Begin function _ZN9rocsolver6v33100L18trti2_kernel_smallILi62E19rocblas_complex_numIdEPKPS3_EEv13rocblas_fill_17rocblas_diagonal_T1_iil
	.p2align	8
	.type	_ZN9rocsolver6v33100L18trti2_kernel_smallILi62E19rocblas_complex_numIdEPKPS3_EEv13rocblas_fill_17rocblas_diagonal_T1_iil,@function
_ZN9rocsolver6v33100L18trti2_kernel_smallILi62E19rocblas_complex_numIdEPKPS3_EEv13rocblas_fill_17rocblas_diagonal_T1_iil: ; @_ZN9rocsolver6v33100L18trti2_kernel_smallILi62E19rocblas_complex_numIdEPKPS3_EEv13rocblas_fill_17rocblas_diagonal_T1_iil
; %bb.0:
	s_add_u32 s0, s0, s7
	s_addc_u32 s1, s1, 0
	s_mov_b32 s7, exec_lo
	v_cmpx_gt_u32_e32 62, v0
	s_cbranch_execz .LBB125_1345
; %bb.1:
	s_clause 0x1
	s_load_dwordx2 s[12:13], s[4:5], 0x10
	s_load_dwordx4 s[8:11], s[4:5], 0x0
	s_ashr_i32 s7, s6, 31
	v_lshlrev_b32_e32 v135, 4, v0
	s_lshl_b64 s[4:5], s[6:7], 3
	s_movk_i32 s14, 0xc0
	s_movk_i32 s15, 0xd0
	;; [unrolled: 1-line block ×15, first 2 shown]
	s_waitcnt lgkmcnt(0)
	s_ashr_i32 s7, s12, 31
	s_add_u32 s4, s10, s4
	s_addc_u32 s5, s11, s5
	s_mov_b32 s6, s12
	s_load_dwordx2 s[4:5], s[4:5], 0x0
	s_lshl_b64 s[6:7], s[6:7], 4
	v_add3_u32 v7, s13, s13, v0
	s_movk_i32 s10, 0x80
	s_movk_i32 s11, 0x90
	;; [unrolled: 1-line block ×4, first 2 shown]
	v_ashrrev_i32_e32 v8, 31, v7
	s_movk_i32 s30, 0x1c0
	s_movk_i32 s31, 0x1d0
	;; [unrolled: 1-line block ×4, first 2 shown]
	v_lshlrev_b64 v[8:9], 4, v[7:8]
	v_add_nc_u32_e32 v7, s13, v7
	s_movk_i32 s35, 0x200
	s_movk_i32 s36, 0x210
	;; [unrolled: 1-line block ×6, first 2 shown]
	s_waitcnt lgkmcnt(0)
	s_add_u32 s6, s4, s6
	s_addc_u32 s7, s5, s7
	v_add_co_u32 v5, s4, s6, v135
	v_add_co_ci_u32_e64 v6, null, s7, 0, s4
	s_mov_b32 s4, s13
	s_ashr_i32 s5, s13, 31
	s_movk_i32 s74, 0x260
	flat_load_dwordx4 v[1:4], v[5:6]
	s_lshl_b64 s[4:5], s[4:5], 4
	s_cmpk_lg_i32 s9, 0x84
	v_add_co_u32 v59, vcc_lo, v5, s4
	v_add_co_ci_u32_e64 v60, null, s5, v6, vcc_lo
	v_add_co_u32 v57, vcc_lo, s6, v8
	v_add_co_ci_u32_e64 v58, null, s7, v9, vcc_lo
	v_ashrrev_i32_e32 v8, 31, v7
	s_movk_i32 s4, 0x50
	s_movk_i32 s5, 0x60
	s_movk_i32 s75, 0x270
	s_movk_i32 s76, 0x280
	v_lshlrev_b64 v[8:9], 4, v[7:8]
	v_add_nc_u32_e32 v7, s13, v7
	s_movk_i32 s77, 0x290
	s_movk_i32 s78, 0x2a0
	s_movk_i32 s79, 0x2b0
	s_movk_i32 s80, 0x2c0
	v_add_co_u32 v55, vcc_lo, s6, v8
	v_add_co_ci_u32_e64 v56, null, s7, v9, vcc_lo
	v_ashrrev_i32_e32 v8, 31, v7
	s_movk_i32 s81, 0x2d0
	s_movk_i32 s82, 0x2e0
	s_movk_i32 s83, 0x2f0
	s_movk_i32 s84, 0x300
	v_lshlrev_b64 v[8:9], 4, v[7:8]
	v_add_nc_u32_e32 v7, s13, v7
	s_movk_i32 s85, 0x310
	s_movk_i32 s86, 0x320
	s_movk_i32 s87, 0x330
	s_movk_i32 s88, 0x340
	;; [unrolled: 13-line block ×3, first 2 shown]
	v_add_co_u32 v49, vcc_lo, s6, v8
	v_add_co_ci_u32_e64 v50, null, s7, v9, vcc_lo
	v_ashrrev_i32_e32 v8, 31, v7
	s_movk_i32 s97, 0x3d0
	s_waitcnt vmcnt(0) lgkmcnt(0)
	buffer_store_dword v4, off, s[0:3], 0 offset:12
	buffer_store_dword v3, off, s[0:3], 0 offset:8
	buffer_store_dword v2, off, s[0:3], 0 offset:4
	buffer_store_dword v1, off, s[0:3], 0
	flat_load_dwordx4 v[1:4], v[59:60]
	v_lshlrev_b64 v[8:9], 4, v[7:8]
	v_add_nc_u32_e32 v7, s13, v7
	s_waitcnt vmcnt(0) lgkmcnt(0)
	buffer_store_dword v4, off, s[0:3], 0 offset:28
	buffer_store_dword v3, off, s[0:3], 0 offset:24
	buffer_store_dword v2, off, s[0:3], 0 offset:20
	buffer_store_dword v1, off, s[0:3], 0 offset:16
	flat_load_dwordx4 v[1:4], v[57:58]
	v_add_co_u32 v47, vcc_lo, s6, v8
	v_add_co_ci_u32_e64 v48, null, s7, v9, vcc_lo
	v_ashrrev_i32_e32 v8, 31, v7
	s_waitcnt vmcnt(0) lgkmcnt(0)
	buffer_store_dword v4, off, s[0:3], 0 offset:44
	buffer_store_dword v3, off, s[0:3], 0 offset:40
	buffer_store_dword v2, off, s[0:3], 0 offset:36
	buffer_store_dword v1, off, s[0:3], 0 offset:32
	flat_load_dwordx4 v[1:4], v[55:56]
	v_lshlrev_b64 v[8:9], 4, v[7:8]
	v_add_nc_u32_e32 v7, s13, v7
	s_waitcnt vmcnt(0) lgkmcnt(0)
	buffer_store_dword v4, off, s[0:3], 0 offset:60
	buffer_store_dword v3, off, s[0:3], 0 offset:56
	buffer_store_dword v2, off, s[0:3], 0 offset:52
	buffer_store_dword v1, off, s[0:3], 0 offset:48
	flat_load_dwordx4 v[1:4], v[53:54]
	v_add_co_u32 v45, vcc_lo, s6, v8
	v_add_co_ci_u32_e64 v46, null, s7, v9, vcc_lo
	v_ashrrev_i32_e32 v8, 31, v7
	s_waitcnt vmcnt(0) lgkmcnt(0)
	buffer_store_dword v4, off, s[0:3], 0 offset:76
	buffer_store_dword v3, off, s[0:3], 0 offset:72
	buffer_store_dword v2, off, s[0:3], 0 offset:68
	buffer_store_dword v1, off, s[0:3], 0 offset:64
	;; [unrolled: 17-line block ×4, first 2 shown]
	flat_load_dwordx4 v[1:4], v[41:42]
	v_lshlrev_b64 v[8:9], 4, v[7:8]
	v_add_nc_u32_e32 v7, s13, v7
	s_waitcnt vmcnt(0) lgkmcnt(0)
	buffer_store_dword v4, off, s[0:3], 0 offset:156
	buffer_store_dword v3, off, s[0:3], 0 offset:152
	;; [unrolled: 1-line block ×4, first 2 shown]
	v_add_co_u32 v39, vcc_lo, s6, v8
	v_add_co_ci_u32_e64 v40, null, s7, v9, vcc_lo
	v_ashrrev_i32_e32 v8, 31, v7
	flat_load_dwordx4 v[1:4], v[39:40]
	s_waitcnt vmcnt(0) lgkmcnt(0)
	buffer_store_dword v4, off, s[0:3], 0 offset:172
	buffer_store_dword v3, off, s[0:3], 0 offset:168
	buffer_store_dword v2, off, s[0:3], 0 offset:164
	buffer_store_dword v1, off, s[0:3], 0 offset:160
	v_lshlrev_b64 v[8:9], 4, v[7:8]
	v_add_nc_u32_e32 v7, s13, v7
	v_add_co_u32 v37, vcc_lo, s6, v8
	v_add_co_ci_u32_e64 v38, null, s7, v9, vcc_lo
	v_ashrrev_i32_e32 v8, 31, v7
	flat_load_dwordx4 v[1:4], v[37:38]
	s_waitcnt vmcnt(0) lgkmcnt(0)
	buffer_store_dword v4, off, s[0:3], 0 offset:188
	buffer_store_dword v3, off, s[0:3], 0 offset:184
	buffer_store_dword v2, off, s[0:3], 0 offset:180
	buffer_store_dword v1, off, s[0:3], 0 offset:176
	v_lshlrev_b64 v[8:9], 4, v[7:8]
	v_add_nc_u32_e32 v7, s13, v7
	;; [unrolled: 11-line block ×13, first 2 shown]
	v_add_co_u32 v11, vcc_lo, s6, v8
	v_add_co_ci_u32_e64 v12, null, s7, v9, vcc_lo
	v_ashrrev_i32_e32 v8, 31, v7
	v_add_nc_u32_e32 v33, s13, v7
	flat_load_dwordx4 v[1:4], v[11:12]
	s_waitcnt vmcnt(0) lgkmcnt(0)
	buffer_store_dword v4, off, s[0:3], 0 offset:380
	buffer_store_dword v3, off, s[0:3], 0 offset:376
	;; [unrolled: 1-line block ×4, first 2 shown]
	v_lshlrev_b64 v[9:10], 4, v[7:8]
	v_ashrrev_i32_e32 v34, 31, v33
	v_add_nc_u32_e32 v51, s13, v33
	v_add_co_u32 v9, vcc_lo, s6, v9
	v_add_co_ci_u32_e64 v10, null, s7, v10, vcc_lo
	v_lshlrev_b64 v[7:8], 4, v[33:34]
	v_ashrrev_i32_e32 v52, 31, v51
	v_add_nc_u32_e32 v61, s13, v51
	flat_load_dwordx4 v[1:4], v[9:10]
	s_waitcnt vmcnt(0) lgkmcnt(0)
	buffer_store_dword v4, off, s[0:3], 0 offset:396
	buffer_store_dword v3, off, s[0:3], 0 offset:392
	buffer_store_dword v2, off, s[0:3], 0 offset:388
	buffer_store_dword v1, off, s[0:3], 0 offset:384
	v_add_co_u32 v7, vcc_lo, s6, v7
	v_add_co_ci_u32_e64 v8, null, s7, v8, vcc_lo
	v_lshlrev_b64 v[33:34], 4, v[51:52]
	v_ashrrev_i32_e32 v62, 31, v61
	v_add_nc_u32_e32 v63, s13, v61
	flat_load_dwordx4 v[1:4], v[7:8]
	s_waitcnt vmcnt(0) lgkmcnt(0)
	buffer_store_dword v4, off, s[0:3], 0 offset:412
	buffer_store_dword v3, off, s[0:3], 0 offset:408
	buffer_store_dword v2, off, s[0:3], 0 offset:404
	buffer_store_dword v1, off, s[0:3], 0 offset:400
	;; [unrolled: 11-line block ×34, first 2 shown]
	v_add_co_u32 v121, vcc_lo, s6, v121
	v_add_co_ci_u32_e64 v122, null, s7, v122, vcc_lo
	v_lshlrev_b64 v[123:124], 4, v[125:126]
	v_ashrrev_i32_e32 v128, 31, v127
	flat_load_dwordx4 v[1:4], v[121:122]
	s_waitcnt vmcnt(0) lgkmcnt(0)
	buffer_store_dword v4, off, s[0:3], 0 offset:940
	buffer_store_dword v3, off, s[0:3], 0 offset:936
	;; [unrolled: 1-line block ×4, first 2 shown]
	v_add_co_u32 v123, vcc_lo, s6, v123
	v_add_co_ci_u32_e64 v124, null, s7, v124, vcc_lo
	v_lshlrev_b64 v[125:126], 4, v[127:128]
	v_add_nc_u32_e32 v127, s13, v127
	s_movk_i32 s13, 0xb0
	flat_load_dwordx4 v[1:4], v[123:124]
	s_waitcnt vmcnt(0) lgkmcnt(0)
	buffer_store_dword v4, off, s[0:3], 0 offset:956
	buffer_store_dword v3, off, s[0:3], 0 offset:952
	;; [unrolled: 1-line block ×4, first 2 shown]
	v_add_co_u32 v125, vcc_lo, s6, v125
	v_add_co_ci_u32_e64 v126, null, s7, v126, vcc_lo
	v_ashrrev_i32_e32 v128, 31, v127
	flat_load_dwordx4 v[1:4], v[125:126]
	s_waitcnt vmcnt(0) lgkmcnt(0)
	buffer_store_dword v4, off, s[0:3], 0 offset:972
	buffer_store_dword v3, off, s[0:3], 0 offset:968
	;; [unrolled: 1-line block ×4, first 2 shown]
	v_lshlrev_b64 v[127:128], 4, v[127:128]
	v_add_co_u32 v127, vcc_lo, s6, v127
	v_add_co_ci_u32_e64 v128, null, s7, v128, vcc_lo
	s_movk_i32 s6, 0x70
	s_cselect_b32 s7, -1, 0
	s_cmpk_eq_i32 s9, 0x84
	flat_load_dwordx4 v[1:4], v[127:128]
	s_waitcnt vmcnt(0) lgkmcnt(0)
	buffer_store_dword v4, off, s[0:3], 0 offset:988
	buffer_store_dword v3, off, s[0:3], 0 offset:984
	;; [unrolled: 1-line block ×4, first 2 shown]
	s_cbranch_scc1 .LBB125_7
; %bb.2:
	v_lshl_add_u32 v136, v0, 4, 0
                                        ; implicit-def: $vgpr131_vgpr132
                                        ; implicit-def: $vgpr3_vgpr4
	s_clause 0x3
	buffer_load_dword v129, v136, s[0:3], 0 offen
	buffer_load_dword v130, v136, s[0:3], 0 offen offset:4
	buffer_load_dword v133, v136, s[0:3], 0 offen offset:8
	;; [unrolled: 1-line block ×3, first 2 shown]
	s_waitcnt vmcnt(0)
	v_cmp_ngt_f64_e64 s9, |v[129:130]|, |v[133:134]|
	s_and_saveexec_b32 s38, s9
	s_xor_b32 s9, exec_lo, s38
	s_cbranch_execz .LBB125_4
; %bb.3:
	v_div_scale_f64 v[1:2], null, v[133:134], v[133:134], v[129:130]
	v_div_scale_f64 v[137:138], vcc_lo, v[129:130], v[133:134], v[129:130]
	v_rcp_f64_e32 v[3:4], v[1:2]
	v_fma_f64 v[131:132], -v[1:2], v[3:4], 1.0
	v_fma_f64 v[3:4], v[3:4], v[131:132], v[3:4]
	v_fma_f64 v[131:132], -v[1:2], v[3:4], 1.0
	v_fma_f64 v[3:4], v[3:4], v[131:132], v[3:4]
	v_mul_f64 v[131:132], v[137:138], v[3:4]
	v_fma_f64 v[1:2], -v[1:2], v[131:132], v[137:138]
	v_div_fmas_f64 v[1:2], v[1:2], v[3:4], v[131:132]
	v_div_fixup_f64 v[1:2], v[1:2], v[133:134], v[129:130]
	v_fma_f64 v[3:4], v[129:130], v[1:2], v[133:134]
	v_div_scale_f64 v[129:130], null, v[3:4], v[3:4], 1.0
	v_div_scale_f64 v[137:138], vcc_lo, 1.0, v[3:4], 1.0
	v_rcp_f64_e32 v[131:132], v[129:130]
	v_fma_f64 v[133:134], -v[129:130], v[131:132], 1.0
	v_fma_f64 v[131:132], v[131:132], v[133:134], v[131:132]
	v_fma_f64 v[133:134], -v[129:130], v[131:132], 1.0
	v_fma_f64 v[131:132], v[131:132], v[133:134], v[131:132]
	v_mul_f64 v[133:134], v[137:138], v[131:132]
	v_fma_f64 v[129:130], -v[129:130], v[133:134], v[137:138]
	v_div_fmas_f64 v[129:130], v[129:130], v[131:132], v[133:134]
                                        ; implicit-def: $vgpr133_vgpr134
	v_div_fixup_f64 v[3:4], v[129:130], v[3:4], 1.0
                                        ; implicit-def: $vgpr129_vgpr130
	v_mul_f64 v[131:132], v[1:2], v[3:4]
	v_xor_b32_e32 v4, 0x80000000, v4
	v_xor_b32_e32 v2, 0x80000000, v132
	v_mov_b32_e32 v1, v131
.LBB125_4:
	s_andn2_saveexec_b32 s9, s9
	s_cbranch_execz .LBB125_6
; %bb.5:
	v_div_scale_f64 v[1:2], null, v[129:130], v[129:130], v[133:134]
	v_div_scale_f64 v[137:138], vcc_lo, v[133:134], v[129:130], v[133:134]
	v_rcp_f64_e32 v[3:4], v[1:2]
	v_fma_f64 v[131:132], -v[1:2], v[3:4], 1.0
	v_fma_f64 v[3:4], v[3:4], v[131:132], v[3:4]
	v_fma_f64 v[131:132], -v[1:2], v[3:4], 1.0
	v_fma_f64 v[3:4], v[3:4], v[131:132], v[3:4]
	v_mul_f64 v[131:132], v[137:138], v[3:4]
	v_fma_f64 v[1:2], -v[1:2], v[131:132], v[137:138]
	v_div_fmas_f64 v[1:2], v[1:2], v[3:4], v[131:132]
	v_div_fixup_f64 v[1:2], v[1:2], v[129:130], v[133:134]
	v_fma_f64 v[3:4], v[133:134], v[1:2], v[129:130]
	v_div_scale_f64 v[129:130], null, v[3:4], v[3:4], 1.0
	v_rcp_f64_e32 v[131:132], v[129:130]
	v_fma_f64 v[133:134], -v[129:130], v[131:132], 1.0
	v_fma_f64 v[131:132], v[131:132], v[133:134], v[131:132]
	v_fma_f64 v[133:134], -v[129:130], v[131:132], 1.0
	v_fma_f64 v[131:132], v[131:132], v[133:134], v[131:132]
	v_div_scale_f64 v[133:134], vcc_lo, 1.0, v[3:4], 1.0
	v_mul_f64 v[137:138], v[133:134], v[131:132]
	v_fma_f64 v[129:130], -v[129:130], v[137:138], v[133:134]
	v_div_fmas_f64 v[129:130], v[129:130], v[131:132], v[137:138]
	v_div_fixup_f64 v[131:132], v[129:130], v[3:4], 1.0
	v_mul_f64 v[3:4], v[1:2], -v[131:132]
	v_xor_b32_e32 v2, 0x80000000, v132
	v_mov_b32_e32 v1, v131
.LBB125_6:
	s_or_b32 exec_lo, exec_lo, s9
	buffer_store_dword v4, v136, s[0:3], 0 offen offset:12
	v_xor_b32_e32 v4, 0x80000000, v4
	buffer_store_dword v132, v136, s[0:3], 0 offen offset:4
	buffer_store_dword v131, v136, s[0:3], 0 offen
	buffer_store_dword v3, v136, s[0:3], 0 offen offset:8
	s_branch .LBB125_8
.LBB125_7:
	v_mov_b32_e32 v1, 0
	v_mov_b32_e32 v3, 0
	;; [unrolled: 1-line block ×4, first 2 shown]
.LBB125_8:
	v_add_nc_u32_e32 v130, 0x3e0, v135
	v_mov_b32_e32 v129, v135
	s_mov_b32 s70, 16
	s_mov_b32 s69, 32
	;; [unrolled: 1-line block ×60, first 2 shown]
	s_cmpk_eq_i32 s8, 0x79
	ds_write_b128 v135, v[1:4]
	s_cbranch_scc1 .LBB125_846
; %bb.9:
	v_mov_b32_e32 v4, s10
	v_cmp_eq_u32_e64 s4, 61, v0
	s_clause 0x3
	buffer_load_dword v1, v4, s[0:3], 0 offen
	buffer_load_dword v2, v4, s[0:3], 0 offen offset:4
	buffer_load_dword v3, v4, s[0:3], 0 offen offset:8
	;; [unrolled: 1-line block ×3, first 2 shown]
	s_waitcnt vmcnt(0)
	ds_write_b128 v130, v[1:4]
	s_waitcnt lgkmcnt(0)
	s_waitcnt_vscnt null, 0x0
	s_barrier
	buffer_gl0_inv
	s_and_saveexec_b32 s5, s4
	s_cbranch_execz .LBB125_13
; %bb.10:
	ds_read_b128 v[1:4], v130
	s_andn2_b32 vcc_lo, exec_lo, s7
	s_cbranch_vccnz .LBB125_12
; %bb.11:
	s_clause 0x3
	buffer_load_dword v131, v129, s[0:3], 0 offen offset:8
	buffer_load_dword v132, v129, s[0:3], 0 offen offset:12
	buffer_load_dword v133, v129, s[0:3], 0 offen
	buffer_load_dword v134, v129, s[0:3], 0 offen offset:4
	s_waitcnt vmcnt(2) lgkmcnt(0)
	v_mul_f64 v[136:137], v[3:4], v[131:132]
	v_mul_f64 v[131:132], v[1:2], v[131:132]
	s_waitcnt vmcnt(0)
	v_fma_f64 v[1:2], v[1:2], v[133:134], -v[136:137]
	v_fma_f64 v[3:4], v[3:4], v[133:134], v[131:132]
.LBB125_12:
	v_mov_b32_e32 v131, 0
	ds_read_b128 v[131:134], v131 offset:960
	s_waitcnt lgkmcnt(0)
	v_mul_f64 v[136:137], v[3:4], v[133:134]
	v_mul_f64 v[133:134], v[1:2], v[133:134]
	v_fma_f64 v[1:2], v[1:2], v[131:132], -v[136:137]
	v_fma_f64 v[3:4], v[3:4], v[131:132], v[133:134]
	buffer_store_dword v2, off, s[0:3], 0 offset:964
	buffer_store_dword v1, off, s[0:3], 0 offset:960
	;; [unrolled: 1-line block ×4, first 2 shown]
.LBB125_13:
	s_or_b32 exec_lo, exec_lo, s5
	v_mov_b32_e32 v4, s11
	v_cmp_lt_u32_e64 s5, 59, v0
	s_clause 0x3
	buffer_load_dword v1, v4, s[0:3], 0 offen
	buffer_load_dword v2, v4, s[0:3], 0 offen offset:4
	buffer_load_dword v3, v4, s[0:3], 0 offen offset:8
	;; [unrolled: 1-line block ×3, first 2 shown]
	s_waitcnt vmcnt(0)
	ds_write_b128 v130, v[1:4]
	s_waitcnt lgkmcnt(0)
	s_waitcnt_vscnt null, 0x0
	s_barrier
	buffer_gl0_inv
	s_and_saveexec_b32 s6, s5
	s_cbranch_execz .LBB125_19
; %bb.14:
	ds_read_b128 v[1:4], v130
	s_andn2_b32 vcc_lo, exec_lo, s7
	s_cbranch_vccnz .LBB125_16
; %bb.15:
	s_clause 0x3
	buffer_load_dword v131, v129, s[0:3], 0 offen offset:8
	buffer_load_dword v132, v129, s[0:3], 0 offen offset:12
	buffer_load_dword v133, v129, s[0:3], 0 offen
	buffer_load_dword v134, v129, s[0:3], 0 offen offset:4
	s_waitcnt vmcnt(2) lgkmcnt(0)
	v_mul_f64 v[136:137], v[3:4], v[131:132]
	v_mul_f64 v[131:132], v[1:2], v[131:132]
	s_waitcnt vmcnt(0)
	v_fma_f64 v[1:2], v[1:2], v[133:134], -v[136:137]
	v_fma_f64 v[3:4], v[3:4], v[133:134], v[131:132]
.LBB125_16:
	s_and_saveexec_b32 s8, s4
	s_cbranch_execz .LBB125_18
; %bb.17:
	s_clause 0x3
	buffer_load_dword v136, off, s[0:3], 0 offset:968
	buffer_load_dword v137, off, s[0:3], 0 offset:972
	;; [unrolled: 1-line block ×4, first 2 shown]
	v_mov_b32_e32 v131, 0
	ds_read_b128 v[131:134], v131 offset:1952
	s_waitcnt vmcnt(2) lgkmcnt(0)
	v_mul_f64 v[140:141], v[131:132], v[136:137]
	v_mul_f64 v[136:137], v[133:134], v[136:137]
	s_waitcnt vmcnt(0)
	v_fma_f64 v[133:134], v[133:134], v[138:139], v[140:141]
	v_fma_f64 v[131:132], v[131:132], v[138:139], -v[136:137]
	v_add_f64 v[3:4], v[3:4], v[133:134]
	v_add_f64 v[1:2], v[1:2], v[131:132]
.LBB125_18:
	s_or_b32 exec_lo, exec_lo, s8
	v_mov_b32_e32 v131, 0
	ds_read_b128 v[131:134], v131 offset:944
	s_waitcnt lgkmcnt(0)
	v_mul_f64 v[136:137], v[3:4], v[133:134]
	v_mul_f64 v[133:134], v[1:2], v[133:134]
	v_fma_f64 v[1:2], v[1:2], v[131:132], -v[136:137]
	v_fma_f64 v[3:4], v[3:4], v[131:132], v[133:134]
	buffer_store_dword v2, off, s[0:3], 0 offset:948
	buffer_store_dword v1, off, s[0:3], 0 offset:944
	;; [unrolled: 1-line block ×4, first 2 shown]
.LBB125_19:
	s_or_b32 exec_lo, exec_lo, s6
	v_mov_b32_e32 v4, s12
	v_cmp_lt_u32_e64 s4, 58, v0
	s_clause 0x3
	buffer_load_dword v1, v4, s[0:3], 0 offen
	buffer_load_dword v2, v4, s[0:3], 0 offen offset:4
	buffer_load_dword v3, v4, s[0:3], 0 offen offset:8
	;; [unrolled: 1-line block ×3, first 2 shown]
	s_waitcnt vmcnt(0)
	ds_write_b128 v130, v[1:4]
	s_waitcnt lgkmcnt(0)
	s_waitcnt_vscnt null, 0x0
	s_barrier
	buffer_gl0_inv
	s_and_saveexec_b32 s6, s4
	s_cbranch_execz .LBB125_33
; %bb.20:
	ds_read_b128 v[1:4], v130
	s_andn2_b32 vcc_lo, exec_lo, s7
	s_cbranch_vccnz .LBB125_22
; %bb.21:
	s_clause 0x3
	buffer_load_dword v131, v129, s[0:3], 0 offen offset:8
	buffer_load_dword v132, v129, s[0:3], 0 offen offset:12
	buffer_load_dword v133, v129, s[0:3], 0 offen
	buffer_load_dword v134, v129, s[0:3], 0 offen offset:4
	s_waitcnt vmcnt(2) lgkmcnt(0)
	v_mul_f64 v[136:137], v[3:4], v[131:132]
	v_mul_f64 v[131:132], v[1:2], v[131:132]
	s_waitcnt vmcnt(0)
	v_fma_f64 v[1:2], v[1:2], v[133:134], -v[136:137]
	v_fma_f64 v[3:4], v[3:4], v[133:134], v[131:132]
.LBB125_22:
	s_and_saveexec_b32 s8, s5
	s_cbranch_execz .LBB125_32
; %bb.23:
	v_subrev_nc_u32_e32 v132, 60, v0
	v_mov_b32_e32 v133, 59
	v_subrev_nc_u32_e32 v131, 59, v0
	s_mov_b32 s5, exec_lo
	v_cmpx_lt_u32_e32 6, v132
	s_cbranch_execz .LBB125_27
; %bb.24:
	v_and_b32_e32 v132, -8, v131
	s_movk_i32 s72, 0x790
	s_mov_b32 s71, 0
	s_mov_b32 s73, s11
	;; [unrolled: 1-line block ×3, first 2 shown]
.LBB125_25:                             ; =>This Inner Loop Header: Depth=1
	v_mov_b32_e32 v136, s73
	v_mov_b32_e32 v186, s72
	s_add_i32 s75, s74, 8
	s_addk_i32 s74, 0x43
	v_cmp_eq_u32_e32 vcc_lo, s75, v132
	s_clause 0x1f
	buffer_load_dword v133, v136, s[0:3], 0 offen offset:8
	buffer_load_dword v134, v136, s[0:3], 0 offen offset:12
	;; [unrolled: 1-line block ×4, first 2 shown]
	buffer_load_dword v154, v136, s[0:3], 0 offen
	buffer_load_dword v155, v136, s[0:3], 0 offen offset:4
	buffer_load_dword v156, v136, s[0:3], 0 offen offset:40
	;; [unrolled: 1-line block ×27, first 2 shown]
	ds_read_b128 v[136:139], v186
	ds_read_b128 v[140:143], v186 offset:16
	ds_read_b128 v[144:147], v186 offset:32
	;; [unrolled: 1-line block ×3, first 2 shown]
	s_addk_i32 s72, 0x80
	s_addk_i32 s73, 0x80
	s_or_b32 s71, vcc_lo, s71
	s_waitcnt vmcnt(30) lgkmcnt(3)
	v_mul_f64 v[182:183], v[138:139], v[133:134]
	v_mul_f64 v[133:134], v[136:137], v[133:134]
	s_waitcnt vmcnt(28) lgkmcnt(2)
	v_mul_f64 v[184:185], v[142:143], v[152:153]
	v_mul_f64 v[152:153], v[140:141], v[152:153]
	s_waitcnt vmcnt(26)
	v_fma_f64 v[136:137], v[136:137], v[154:155], -v[182:183]
	v_fma_f64 v[133:134], v[138:139], v[154:155], v[133:134]
	s_waitcnt vmcnt(24) lgkmcnt(1)
	v_mul_f64 v[138:139], v[146:147], v[156:157]
	v_mul_f64 v[154:155], v[144:145], v[156:157]
	s_waitcnt vmcnt(22)
	v_fma_f64 v[140:141], v[140:141], v[158:159], -v[184:185]
	v_fma_f64 v[142:143], v[142:143], v[158:159], v[152:153]
	v_add_f64 v[1:2], v[1:2], v[136:137]
	v_add_f64 v[3:4], v[3:4], v[133:134]
	s_waitcnt vmcnt(20) lgkmcnt(0)
	v_mul_f64 v[133:134], v[150:151], v[160:161]
	v_mul_f64 v[136:137], v[148:149], v[160:161]
	s_waitcnt vmcnt(18)
	v_fma_f64 v[138:139], v[144:145], v[162:163], -v[138:139]
	v_fma_f64 v[144:145], v[146:147], v[162:163], v[154:155]
	v_add_f64 v[140:141], v[1:2], v[140:141]
	v_add_f64 v[142:143], v[3:4], v[142:143]
	ds_read_b128 v[1:4], v186 offset:64
	s_waitcnt vmcnt(14)
	v_fma_f64 v[133:134], v[148:149], v[166:167], -v[133:134]
	v_fma_f64 v[148:149], v[150:151], v[166:167], v[136:137]
	v_add_f64 v[140:141], v[140:141], v[138:139]
	v_add_f64 v[142:143], v[142:143], v[144:145]
	ds_read_b128 v[136:139], v186 offset:80
	s_waitcnt lgkmcnt(1)
	v_mul_f64 v[146:147], v[3:4], v[164:165]
	v_mul_f64 v[152:153], v[1:2], v[164:165]
	s_waitcnt vmcnt(12) lgkmcnt(0)
	v_mul_f64 v[144:145], v[138:139], v[168:169]
	v_mul_f64 v[150:151], v[136:137], v[168:169]
	v_add_f64 v[133:134], v[140:141], v[133:134]
	s_waitcnt vmcnt(10)
	v_fma_f64 v[146:147], v[1:2], v[170:171], -v[146:147]
	v_fma_f64 v[152:153], v[3:4], v[170:171], v[152:153]
	v_add_f64 v[140:141], v[142:143], v[148:149]
	ds_read_b128 v[1:4], v186 offset:96
	s_waitcnt vmcnt(6)
	v_fma_f64 v[144:145], v[136:137], v[174:175], -v[144:145]
	v_fma_f64 v[150:151], v[138:139], v[174:175], v[150:151]
	ds_read_b128 v[136:139], v186 offset:112
	v_add_f64 v[133:134], v[133:134], v[146:147]
	s_waitcnt lgkmcnt(1)
	v_mul_f64 v[142:143], v[3:4], v[172:173]
	v_mul_f64 v[148:149], v[1:2], v[172:173]
	v_add_f64 v[140:141], v[140:141], v[152:153]
	s_waitcnt vmcnt(4) lgkmcnt(0)
	v_mul_f64 v[146:147], v[138:139], v[176:177]
	v_mul_f64 v[152:153], v[136:137], v[176:177]
	v_add_f64 v[133:134], v[133:134], v[144:145]
	s_waitcnt vmcnt(2)
	v_fma_f64 v[1:2], v[1:2], v[178:179], -v[142:143]
	v_fma_f64 v[3:4], v[3:4], v[178:179], v[148:149]
	v_add_f64 v[140:141], v[140:141], v[150:151]
	s_waitcnt vmcnt(0)
	v_fma_f64 v[136:137], v[136:137], v[180:181], -v[146:147]
	v_fma_f64 v[138:139], v[138:139], v[180:181], v[152:153]
	v_add_f64 v[1:2], v[133:134], v[1:2]
	v_mov_b32_e32 v133, s74
	v_add_f64 v[3:4], v[140:141], v[3:4]
	s_mov_b32 s74, s75
	v_add_f64 v[1:2], v[1:2], v[136:137]
	v_add_f64 v[3:4], v[3:4], v[138:139]
	s_andn2_b32 exec_lo, exec_lo, s71
	s_cbranch_execnz .LBB125_25
; %bb.26:
	s_or_b32 exec_lo, exec_lo, s71
.LBB125_27:
	s_or_b32 exec_lo, exec_lo, s5
	v_and_b32_e32 v131, 7, v131
	s_mov_b32 s71, 0
	s_mov_b32 s5, exec_lo
	v_cmpx_ne_u32_e32 0, v131
	s_cbranch_execz .LBB125_31
; %bb.28:
	v_lshlrev_b32_e32 v133, 4, v133
	v_add_nc_u32_e32 v132, 0x3e0, v133
	.p2align	6
.LBB125_29:                             ; =>This Inner Loop Header: Depth=1
	s_clause 0x3
	buffer_load_dword v140, v133, s[0:3], 0 offen offset:8
	buffer_load_dword v141, v133, s[0:3], 0 offen offset:12
	buffer_load_dword v142, v133, s[0:3], 0 offen
	buffer_load_dword v143, v133, s[0:3], 0 offen offset:4
	ds_read_b128 v[136:139], v132
	v_add_nc_u32_e32 v131, -1, v131
	v_add_nc_u32_e32 v132, 16, v132
	v_add_nc_u32_e32 v133, 16, v133
	v_cmp_eq_u32_e32 vcc_lo, 0, v131
	s_or_b32 s71, vcc_lo, s71
	s_waitcnt vmcnt(2) lgkmcnt(0)
	v_mul_f64 v[144:145], v[138:139], v[140:141]
	v_mul_f64 v[140:141], v[136:137], v[140:141]
	s_waitcnt vmcnt(0)
	v_fma_f64 v[136:137], v[136:137], v[142:143], -v[144:145]
	v_fma_f64 v[138:139], v[138:139], v[142:143], v[140:141]
	v_add_f64 v[1:2], v[1:2], v[136:137]
	v_add_f64 v[3:4], v[3:4], v[138:139]
	s_andn2_b32 exec_lo, exec_lo, s71
	s_cbranch_execnz .LBB125_29
; %bb.30:
	s_or_b32 exec_lo, exec_lo, s71
.LBB125_31:
	s_or_b32 exec_lo, exec_lo, s5
.LBB125_32:
	s_or_b32 exec_lo, exec_lo, s8
	v_mov_b32_e32 v131, 0
	ds_read_b128 v[131:134], v131 offset:928
	s_waitcnt lgkmcnt(0)
	v_mul_f64 v[136:137], v[3:4], v[133:134]
	v_mul_f64 v[133:134], v[1:2], v[133:134]
	v_fma_f64 v[1:2], v[1:2], v[131:132], -v[136:137]
	v_fma_f64 v[3:4], v[3:4], v[131:132], v[133:134]
	buffer_store_dword v2, off, s[0:3], 0 offset:932
	buffer_store_dword v1, off, s[0:3], 0 offset:928
	;; [unrolled: 1-line block ×4, first 2 shown]
.LBB125_33:
	s_or_b32 exec_lo, exec_lo, s6
	v_mov_b32_e32 v4, s13
	v_cmp_lt_u32_e64 s5, 57, v0
	s_clause 0x3
	buffer_load_dword v1, v4, s[0:3], 0 offen
	buffer_load_dword v2, v4, s[0:3], 0 offen offset:4
	buffer_load_dword v3, v4, s[0:3], 0 offen offset:8
	;; [unrolled: 1-line block ×3, first 2 shown]
	s_waitcnt vmcnt(0)
	ds_write_b128 v130, v[1:4]
	s_waitcnt lgkmcnt(0)
	s_waitcnt_vscnt null, 0x0
	s_barrier
	buffer_gl0_inv
	s_and_saveexec_b32 s6, s5
	s_cbranch_execz .LBB125_47
; %bb.34:
	ds_read_b128 v[1:4], v130
	s_andn2_b32 vcc_lo, exec_lo, s7
	s_cbranch_vccnz .LBB125_36
; %bb.35:
	s_clause 0x3
	buffer_load_dword v131, v129, s[0:3], 0 offen offset:8
	buffer_load_dword v132, v129, s[0:3], 0 offen offset:12
	buffer_load_dword v133, v129, s[0:3], 0 offen
	buffer_load_dword v134, v129, s[0:3], 0 offen offset:4
	s_waitcnt vmcnt(2) lgkmcnt(0)
	v_mul_f64 v[136:137], v[3:4], v[131:132]
	v_mul_f64 v[131:132], v[1:2], v[131:132]
	s_waitcnt vmcnt(0)
	v_fma_f64 v[1:2], v[1:2], v[133:134], -v[136:137]
	v_fma_f64 v[3:4], v[3:4], v[133:134], v[131:132]
.LBB125_36:
	s_and_saveexec_b32 s8, s4
	s_cbranch_execz .LBB125_46
; %bb.37:
	v_subrev_nc_u32_e32 v132, 59, v0
	v_mov_b32_e32 v133, 58
	v_subrev_nc_u32_e32 v131, 58, v0
	s_mov_b32 s4, exec_lo
	v_cmpx_lt_u32_e32 6, v132
	s_cbranch_execz .LBB125_41
; %bb.38:
	v_and_b32_e32 v132, -8, v131
	s_movk_i32 s72, 0x780
	s_mov_b32 s71, 0
	s_mov_b32 s73, s12
	;; [unrolled: 1-line block ×3, first 2 shown]
.LBB125_39:                             ; =>This Inner Loop Header: Depth=1
	v_mov_b32_e32 v136, s73
	v_mov_b32_e32 v182, s72
	s_add_i32 s75, s74, 8
	s_addk_i32 s74, 0x42
	v_cmp_eq_u32_e32 vcc_lo, s75, v132
	s_clause 0x1f
	buffer_load_dword v133, v136, s[0:3], 0 offen offset:8
	buffer_load_dword v134, v136, s[0:3], 0 offen offset:12
	buffer_load_dword v144, v136, s[0:3], 0 offen
	buffer_load_dword v145, v136, s[0:3], 0 offen offset:4
	buffer_load_dword v146, v136, s[0:3], 0 offen offset:24
	;; [unrolled: 1-line block ×29, first 2 shown]
	ds_read_b128 v[136:139], v182
	ds_read_b128 v[140:143], v182 offset:16
	s_addk_i32 s72, 0x80
	s_addk_i32 s73, 0x80
	s_or_b32 s71, vcc_lo, s71
	s_waitcnt vmcnt(30) lgkmcnt(1)
	v_mul_f64 v[174:175], v[138:139], v[133:134]
	v_mul_f64 v[133:134], v[136:137], v[133:134]
	s_waitcnt vmcnt(26) lgkmcnt(0)
	v_mul_f64 v[176:177], v[142:143], v[146:147]
	v_mul_f64 v[178:179], v[140:141], v[146:147]
	v_fma_f64 v[174:175], v[136:137], v[144:145], -v[174:175]
	v_fma_f64 v[133:134], v[138:139], v[144:145], v[133:134]
	ds_read_b128 v[136:139], v182 offset:32
	ds_read_b128 v[144:147], v182 offset:48
	s_waitcnt vmcnt(24)
	v_fma_f64 v[140:141], v[140:141], v[148:149], -v[176:177]
	v_fma_f64 v[142:143], v[142:143], v[148:149], v[178:179]
	s_waitcnt vmcnt(22) lgkmcnt(1)
	v_mul_f64 v[180:181], v[138:139], v[150:151]
	v_mul_f64 v[150:151], v[136:137], v[150:151]
	v_add_f64 v[1:2], v[1:2], v[174:175]
	v_add_f64 v[3:4], v[3:4], v[133:134]
	s_waitcnt vmcnt(18) lgkmcnt(0)
	v_mul_f64 v[133:134], v[146:147], v[154:155]
	v_mul_f64 v[148:149], v[144:145], v[154:155]
	v_fma_f64 v[154:155], v[136:137], v[152:153], -v[180:181]
	v_fma_f64 v[150:151], v[138:139], v[152:153], v[150:151]
	v_add_f64 v[140:141], v[1:2], v[140:141]
	v_add_f64 v[142:143], v[3:4], v[142:143]
	ds_read_b128 v[1:4], v182 offset:64
	ds_read_b128 v[136:139], v182 offset:80
	s_waitcnt vmcnt(16)
	v_fma_f64 v[133:134], v[144:145], v[156:157], -v[133:134]
	v_fma_f64 v[144:145], v[146:147], v[156:157], v[148:149]
	s_waitcnt vmcnt(12) lgkmcnt(1)
	v_mul_f64 v[152:153], v[3:4], v[158:159]
	v_mul_f64 v[158:159], v[1:2], v[158:159]
	v_add_f64 v[140:141], v[140:141], v[154:155]
	v_add_f64 v[142:143], v[142:143], v[150:151]
	s_waitcnt vmcnt(10) lgkmcnt(0)
	v_mul_f64 v[146:147], v[138:139], v[160:161]
	v_mul_f64 v[148:149], v[136:137], v[160:161]
	s_waitcnt vmcnt(8)
	v_fma_f64 v[150:151], v[1:2], v[164:165], -v[152:153]
	v_fma_f64 v[152:153], v[3:4], v[164:165], v[158:159]
	v_add_f64 v[133:134], v[140:141], v[133:134]
	v_add_f64 v[144:145], v[142:143], v[144:145]
	ds_read_b128 v[1:4], v182 offset:96
	ds_read_b128 v[140:143], v182 offset:112
	v_fma_f64 v[136:137], v[136:137], v[162:163], -v[146:147]
	v_fma_f64 v[138:139], v[138:139], v[162:163], v[148:149]
	s_waitcnt vmcnt(4) lgkmcnt(1)
	v_mul_f64 v[154:155], v[3:4], v[166:167]
	v_mul_f64 v[156:157], v[1:2], v[166:167]
	v_add_f64 v[133:134], v[133:134], v[150:151]
	v_add_f64 v[144:145], v[144:145], v[152:153]
	s_waitcnt vmcnt(2) lgkmcnt(0)
	v_mul_f64 v[146:147], v[142:143], v[168:169]
	v_mul_f64 v[148:149], v[140:141], v[168:169]
	s_waitcnt vmcnt(0)
	v_fma_f64 v[1:2], v[1:2], v[172:173], -v[154:155]
	v_fma_f64 v[3:4], v[3:4], v[172:173], v[156:157]
	v_add_f64 v[133:134], v[133:134], v[136:137]
	v_add_f64 v[136:137], v[144:145], v[138:139]
	v_fma_f64 v[138:139], v[140:141], v[170:171], -v[146:147]
	v_fma_f64 v[140:141], v[142:143], v[170:171], v[148:149]
	v_add_f64 v[1:2], v[133:134], v[1:2]
	v_add_f64 v[3:4], v[136:137], v[3:4]
	v_mov_b32_e32 v133, s74
	s_mov_b32 s74, s75
	v_add_f64 v[1:2], v[1:2], v[138:139]
	v_add_f64 v[3:4], v[3:4], v[140:141]
	s_andn2_b32 exec_lo, exec_lo, s71
	s_cbranch_execnz .LBB125_39
; %bb.40:
	s_or_b32 exec_lo, exec_lo, s71
.LBB125_41:
	s_or_b32 exec_lo, exec_lo, s4
	v_and_b32_e32 v131, 7, v131
	s_mov_b32 s71, 0
	s_mov_b32 s4, exec_lo
	v_cmpx_ne_u32_e32 0, v131
	s_cbranch_execz .LBB125_45
; %bb.42:
	v_lshlrev_b32_e32 v133, 4, v133
	v_add_nc_u32_e32 v132, 0x3e0, v133
	.p2align	6
.LBB125_43:                             ; =>This Inner Loop Header: Depth=1
	s_clause 0x3
	buffer_load_dword v140, v133, s[0:3], 0 offen offset:8
	buffer_load_dword v141, v133, s[0:3], 0 offen offset:12
	buffer_load_dword v142, v133, s[0:3], 0 offen
	buffer_load_dword v143, v133, s[0:3], 0 offen offset:4
	ds_read_b128 v[136:139], v132
	v_add_nc_u32_e32 v131, -1, v131
	v_add_nc_u32_e32 v132, 16, v132
	v_add_nc_u32_e32 v133, 16, v133
	v_cmp_eq_u32_e32 vcc_lo, 0, v131
	s_or_b32 s71, vcc_lo, s71
	s_waitcnt vmcnt(2) lgkmcnt(0)
	v_mul_f64 v[144:145], v[138:139], v[140:141]
	v_mul_f64 v[140:141], v[136:137], v[140:141]
	s_waitcnt vmcnt(0)
	v_fma_f64 v[136:137], v[136:137], v[142:143], -v[144:145]
	v_fma_f64 v[138:139], v[138:139], v[142:143], v[140:141]
	v_add_f64 v[1:2], v[1:2], v[136:137]
	v_add_f64 v[3:4], v[3:4], v[138:139]
	s_andn2_b32 exec_lo, exec_lo, s71
	s_cbranch_execnz .LBB125_43
; %bb.44:
	s_or_b32 exec_lo, exec_lo, s71
.LBB125_45:
	s_or_b32 exec_lo, exec_lo, s4
.LBB125_46:
	s_or_b32 exec_lo, exec_lo, s8
	v_mov_b32_e32 v131, 0
	ds_read_b128 v[131:134], v131 offset:912
	s_waitcnt lgkmcnt(0)
	v_mul_f64 v[136:137], v[3:4], v[133:134]
	v_mul_f64 v[133:134], v[1:2], v[133:134]
	v_fma_f64 v[1:2], v[1:2], v[131:132], -v[136:137]
	v_fma_f64 v[3:4], v[3:4], v[131:132], v[133:134]
	buffer_store_dword v2, off, s[0:3], 0 offset:916
	buffer_store_dword v1, off, s[0:3], 0 offset:912
	;; [unrolled: 1-line block ×4, first 2 shown]
.LBB125_47:
	s_or_b32 exec_lo, exec_lo, s6
	v_mov_b32_e32 v4, s14
	v_cmp_lt_u32_e64 s4, 56, v0
	s_clause 0x3
	buffer_load_dword v1, v4, s[0:3], 0 offen
	buffer_load_dword v2, v4, s[0:3], 0 offen offset:4
	buffer_load_dword v3, v4, s[0:3], 0 offen offset:8
	;; [unrolled: 1-line block ×3, first 2 shown]
	s_waitcnt vmcnt(0)
	ds_write_b128 v130, v[1:4]
	s_waitcnt lgkmcnt(0)
	s_waitcnt_vscnt null, 0x0
	s_barrier
	buffer_gl0_inv
	s_and_saveexec_b32 s6, s4
	s_cbranch_execz .LBB125_61
; %bb.48:
	ds_read_b128 v[1:4], v130
	s_andn2_b32 vcc_lo, exec_lo, s7
	s_cbranch_vccnz .LBB125_50
; %bb.49:
	s_clause 0x3
	buffer_load_dword v131, v129, s[0:3], 0 offen offset:8
	buffer_load_dword v132, v129, s[0:3], 0 offen offset:12
	buffer_load_dword v133, v129, s[0:3], 0 offen
	buffer_load_dword v134, v129, s[0:3], 0 offen offset:4
	s_waitcnt vmcnt(2) lgkmcnt(0)
	v_mul_f64 v[136:137], v[3:4], v[131:132]
	v_mul_f64 v[131:132], v[1:2], v[131:132]
	s_waitcnt vmcnt(0)
	v_fma_f64 v[1:2], v[1:2], v[133:134], -v[136:137]
	v_fma_f64 v[3:4], v[3:4], v[133:134], v[131:132]
.LBB125_50:
	s_and_saveexec_b32 s8, s5
	s_cbranch_execz .LBB125_60
; %bb.51:
	v_subrev_nc_u32_e32 v132, 58, v0
	v_mov_b32_e32 v133, 57
	v_subrev_nc_u32_e32 v131, 57, v0
	s_mov_b32 s5, exec_lo
	v_cmpx_lt_u32_e32 6, v132
	s_cbranch_execz .LBB125_55
; %bb.52:
	v_and_b32_e32 v132, -8, v131
	s_movk_i32 s72, 0x770
	s_mov_b32 s71, 0
	s_mov_b32 s73, s13
	;; [unrolled: 1-line block ×3, first 2 shown]
.LBB125_53:                             ; =>This Inner Loop Header: Depth=1
	v_mov_b32_e32 v136, s73
	v_mov_b32_e32 v182, s72
	s_add_i32 s75, s74, 8
	s_addk_i32 s74, 0x41
	v_cmp_eq_u32_e32 vcc_lo, s75, v132
	s_clause 0x1f
	buffer_load_dword v133, v136, s[0:3], 0 offen offset:8
	buffer_load_dword v134, v136, s[0:3], 0 offen offset:12
	buffer_load_dword v144, v136, s[0:3], 0 offen
	buffer_load_dword v145, v136, s[0:3], 0 offen offset:4
	buffer_load_dword v146, v136, s[0:3], 0 offen offset:24
	;; [unrolled: 1-line block ×29, first 2 shown]
	ds_read_b128 v[136:139], v182
	ds_read_b128 v[140:143], v182 offset:16
	s_addk_i32 s72, 0x80
	s_addk_i32 s73, 0x80
	s_or_b32 s71, vcc_lo, s71
	s_waitcnt vmcnt(30) lgkmcnt(1)
	v_mul_f64 v[174:175], v[138:139], v[133:134]
	v_mul_f64 v[133:134], v[136:137], v[133:134]
	s_waitcnt vmcnt(26) lgkmcnt(0)
	v_mul_f64 v[176:177], v[142:143], v[146:147]
	v_mul_f64 v[178:179], v[140:141], v[146:147]
	v_fma_f64 v[174:175], v[136:137], v[144:145], -v[174:175]
	v_fma_f64 v[133:134], v[138:139], v[144:145], v[133:134]
	ds_read_b128 v[136:139], v182 offset:32
	ds_read_b128 v[144:147], v182 offset:48
	s_waitcnt vmcnt(24)
	v_fma_f64 v[140:141], v[140:141], v[148:149], -v[176:177]
	v_fma_f64 v[142:143], v[142:143], v[148:149], v[178:179]
	s_waitcnt vmcnt(22) lgkmcnt(1)
	v_mul_f64 v[180:181], v[138:139], v[150:151]
	v_mul_f64 v[150:151], v[136:137], v[150:151]
	v_add_f64 v[1:2], v[1:2], v[174:175]
	v_add_f64 v[3:4], v[3:4], v[133:134]
	s_waitcnt vmcnt(18) lgkmcnt(0)
	v_mul_f64 v[133:134], v[146:147], v[154:155]
	v_mul_f64 v[148:149], v[144:145], v[154:155]
	v_fma_f64 v[154:155], v[136:137], v[152:153], -v[180:181]
	v_fma_f64 v[150:151], v[138:139], v[152:153], v[150:151]
	v_add_f64 v[140:141], v[1:2], v[140:141]
	v_add_f64 v[142:143], v[3:4], v[142:143]
	ds_read_b128 v[1:4], v182 offset:64
	ds_read_b128 v[136:139], v182 offset:80
	s_waitcnt vmcnt(16)
	v_fma_f64 v[133:134], v[144:145], v[156:157], -v[133:134]
	v_fma_f64 v[144:145], v[146:147], v[156:157], v[148:149]
	s_waitcnt vmcnt(12) lgkmcnt(1)
	v_mul_f64 v[152:153], v[3:4], v[158:159]
	v_mul_f64 v[158:159], v[1:2], v[158:159]
	v_add_f64 v[140:141], v[140:141], v[154:155]
	v_add_f64 v[142:143], v[142:143], v[150:151]
	s_waitcnt vmcnt(10) lgkmcnt(0)
	v_mul_f64 v[146:147], v[138:139], v[160:161]
	v_mul_f64 v[148:149], v[136:137], v[160:161]
	s_waitcnt vmcnt(8)
	v_fma_f64 v[150:151], v[1:2], v[164:165], -v[152:153]
	v_fma_f64 v[152:153], v[3:4], v[164:165], v[158:159]
	v_add_f64 v[133:134], v[140:141], v[133:134]
	v_add_f64 v[144:145], v[142:143], v[144:145]
	ds_read_b128 v[1:4], v182 offset:96
	ds_read_b128 v[140:143], v182 offset:112
	v_fma_f64 v[136:137], v[136:137], v[162:163], -v[146:147]
	v_fma_f64 v[138:139], v[138:139], v[162:163], v[148:149]
	s_waitcnt vmcnt(4) lgkmcnt(1)
	v_mul_f64 v[154:155], v[3:4], v[166:167]
	v_mul_f64 v[156:157], v[1:2], v[166:167]
	v_add_f64 v[133:134], v[133:134], v[150:151]
	v_add_f64 v[144:145], v[144:145], v[152:153]
	s_waitcnt vmcnt(2) lgkmcnt(0)
	v_mul_f64 v[146:147], v[142:143], v[168:169]
	v_mul_f64 v[148:149], v[140:141], v[168:169]
	s_waitcnt vmcnt(0)
	v_fma_f64 v[1:2], v[1:2], v[172:173], -v[154:155]
	v_fma_f64 v[3:4], v[3:4], v[172:173], v[156:157]
	v_add_f64 v[133:134], v[133:134], v[136:137]
	v_add_f64 v[136:137], v[144:145], v[138:139]
	v_fma_f64 v[138:139], v[140:141], v[170:171], -v[146:147]
	v_fma_f64 v[140:141], v[142:143], v[170:171], v[148:149]
	v_add_f64 v[1:2], v[133:134], v[1:2]
	v_add_f64 v[3:4], v[136:137], v[3:4]
	v_mov_b32_e32 v133, s74
	s_mov_b32 s74, s75
	v_add_f64 v[1:2], v[1:2], v[138:139]
	v_add_f64 v[3:4], v[3:4], v[140:141]
	s_andn2_b32 exec_lo, exec_lo, s71
	s_cbranch_execnz .LBB125_53
; %bb.54:
	s_or_b32 exec_lo, exec_lo, s71
.LBB125_55:
	s_or_b32 exec_lo, exec_lo, s5
	v_and_b32_e32 v131, 7, v131
	s_mov_b32 s71, 0
	s_mov_b32 s5, exec_lo
	v_cmpx_ne_u32_e32 0, v131
	s_cbranch_execz .LBB125_59
; %bb.56:
	v_lshlrev_b32_e32 v133, 4, v133
	v_add_nc_u32_e32 v132, 0x3e0, v133
	.p2align	6
.LBB125_57:                             ; =>This Inner Loop Header: Depth=1
	s_clause 0x3
	buffer_load_dword v140, v133, s[0:3], 0 offen offset:8
	buffer_load_dword v141, v133, s[0:3], 0 offen offset:12
	buffer_load_dword v142, v133, s[0:3], 0 offen
	buffer_load_dword v143, v133, s[0:3], 0 offen offset:4
	ds_read_b128 v[136:139], v132
	v_add_nc_u32_e32 v131, -1, v131
	v_add_nc_u32_e32 v132, 16, v132
	v_add_nc_u32_e32 v133, 16, v133
	v_cmp_eq_u32_e32 vcc_lo, 0, v131
	s_or_b32 s71, vcc_lo, s71
	s_waitcnt vmcnt(2) lgkmcnt(0)
	v_mul_f64 v[144:145], v[138:139], v[140:141]
	v_mul_f64 v[140:141], v[136:137], v[140:141]
	s_waitcnt vmcnt(0)
	v_fma_f64 v[136:137], v[136:137], v[142:143], -v[144:145]
	v_fma_f64 v[138:139], v[138:139], v[142:143], v[140:141]
	v_add_f64 v[1:2], v[1:2], v[136:137]
	v_add_f64 v[3:4], v[3:4], v[138:139]
	s_andn2_b32 exec_lo, exec_lo, s71
	s_cbranch_execnz .LBB125_57
; %bb.58:
	s_or_b32 exec_lo, exec_lo, s71
.LBB125_59:
	s_or_b32 exec_lo, exec_lo, s5
.LBB125_60:
	s_or_b32 exec_lo, exec_lo, s8
	v_mov_b32_e32 v131, 0
	ds_read_b128 v[131:134], v131 offset:896
	s_waitcnt lgkmcnt(0)
	v_mul_f64 v[136:137], v[3:4], v[133:134]
	v_mul_f64 v[133:134], v[1:2], v[133:134]
	v_fma_f64 v[1:2], v[1:2], v[131:132], -v[136:137]
	v_fma_f64 v[3:4], v[3:4], v[131:132], v[133:134]
	buffer_store_dword v2, off, s[0:3], 0 offset:900
	buffer_store_dword v1, off, s[0:3], 0 offset:896
	;; [unrolled: 1-line block ×4, first 2 shown]
.LBB125_61:
	s_or_b32 exec_lo, exec_lo, s6
	v_mov_b32_e32 v4, s15
	v_cmp_lt_u32_e64 s5, 55, v0
	s_clause 0x3
	buffer_load_dword v1, v4, s[0:3], 0 offen
	buffer_load_dword v2, v4, s[0:3], 0 offen offset:4
	buffer_load_dword v3, v4, s[0:3], 0 offen offset:8
	;; [unrolled: 1-line block ×3, first 2 shown]
	s_waitcnt vmcnt(0)
	ds_write_b128 v130, v[1:4]
	s_waitcnt lgkmcnt(0)
	s_waitcnt_vscnt null, 0x0
	s_barrier
	buffer_gl0_inv
	s_and_saveexec_b32 s6, s5
	s_cbranch_execz .LBB125_75
; %bb.62:
	ds_read_b128 v[1:4], v130
	s_andn2_b32 vcc_lo, exec_lo, s7
	s_cbranch_vccnz .LBB125_64
; %bb.63:
	s_clause 0x3
	buffer_load_dword v131, v129, s[0:3], 0 offen offset:8
	buffer_load_dword v132, v129, s[0:3], 0 offen offset:12
	buffer_load_dword v133, v129, s[0:3], 0 offen
	buffer_load_dword v134, v129, s[0:3], 0 offen offset:4
	s_waitcnt vmcnt(2) lgkmcnt(0)
	v_mul_f64 v[136:137], v[3:4], v[131:132]
	v_mul_f64 v[131:132], v[1:2], v[131:132]
	s_waitcnt vmcnt(0)
	v_fma_f64 v[1:2], v[1:2], v[133:134], -v[136:137]
	v_fma_f64 v[3:4], v[3:4], v[133:134], v[131:132]
.LBB125_64:
	s_and_saveexec_b32 s8, s4
	s_cbranch_execz .LBB125_74
; %bb.65:
	v_subrev_nc_u32_e32 v131, 57, v0
	v_cmp_lt_u32_e32 vcc_lo, 6, v131
	v_mov_b32_e32 v131, 56
	s_and_saveexec_b32 s4, vcc_lo
	s_cbranch_execz .LBB125_69
; %bb.66:
	v_and_b32_e32 v131, 56, v0
	s_mov_b32 s71, 56
	s_movk_i32 s73, 0x760
	s_mov_b32 s72, 0
	s_mov_b32 s74, s14
.LBB125_67:                             ; =>This Inner Loop Header: Depth=1
	v_mov_b32_e32 v134, s74
	s_add_i32 s71, s71, 8
	s_addk_i32 s74, 0x80
	v_cmp_eq_u32_e32 vcc_lo, s71, v131
	s_clause 0x1f
	buffer_load_dword v132, v134, s[0:3], 0 offen offset:8
	buffer_load_dword v133, v134, s[0:3], 0 offen offset:12
	buffer_load_dword v144, v134, s[0:3], 0 offen
	buffer_load_dword v145, v134, s[0:3], 0 offen offset:4
	buffer_load_dword v146, v134, s[0:3], 0 offen offset:24
	;; [unrolled: 1-line block ×29, first 2 shown]
	v_mov_b32_e32 v134, s73
	s_addk_i32 s73, 0x80
	s_or_b32 s72, vcc_lo, s72
	ds_read_b128 v[136:139], v134
	ds_read_b128 v[140:143], v134 offset:16
	s_waitcnt vmcnt(30) lgkmcnt(1)
	v_mul_f64 v[174:175], v[138:139], v[132:133]
	v_mul_f64 v[132:133], v[136:137], v[132:133]
	s_waitcnt vmcnt(26) lgkmcnt(0)
	v_mul_f64 v[176:177], v[142:143], v[146:147]
	v_mul_f64 v[178:179], v[140:141], v[146:147]
	v_fma_f64 v[174:175], v[136:137], v[144:145], -v[174:175]
	v_fma_f64 v[132:133], v[138:139], v[144:145], v[132:133]
	ds_read_b128 v[136:139], v134 offset:32
	ds_read_b128 v[144:147], v134 offset:48
	s_waitcnt vmcnt(24)
	v_fma_f64 v[140:141], v[140:141], v[148:149], -v[176:177]
	v_fma_f64 v[142:143], v[142:143], v[148:149], v[178:179]
	s_waitcnt vmcnt(22) lgkmcnt(1)
	v_mul_f64 v[180:181], v[138:139], v[150:151]
	v_mul_f64 v[150:151], v[136:137], v[150:151]
	v_add_f64 v[1:2], v[1:2], v[174:175]
	v_add_f64 v[3:4], v[3:4], v[132:133]
	s_waitcnt vmcnt(18) lgkmcnt(0)
	v_mul_f64 v[132:133], v[146:147], v[154:155]
	v_mul_f64 v[148:149], v[144:145], v[154:155]
	v_fma_f64 v[154:155], v[136:137], v[152:153], -v[180:181]
	v_fma_f64 v[150:151], v[138:139], v[152:153], v[150:151]
	v_add_f64 v[140:141], v[1:2], v[140:141]
	v_add_f64 v[142:143], v[3:4], v[142:143]
	ds_read_b128 v[1:4], v134 offset:64
	ds_read_b128 v[136:139], v134 offset:80
	s_waitcnt vmcnt(16)
	v_fma_f64 v[132:133], v[144:145], v[156:157], -v[132:133]
	v_fma_f64 v[144:145], v[146:147], v[156:157], v[148:149]
	s_waitcnt vmcnt(12) lgkmcnt(1)
	v_mul_f64 v[152:153], v[3:4], v[158:159]
	v_mul_f64 v[158:159], v[1:2], v[158:159]
	v_add_f64 v[140:141], v[140:141], v[154:155]
	v_add_f64 v[142:143], v[142:143], v[150:151]
	s_waitcnt vmcnt(10) lgkmcnt(0)
	v_mul_f64 v[146:147], v[138:139], v[160:161]
	v_mul_f64 v[148:149], v[136:137], v[160:161]
	s_waitcnt vmcnt(8)
	v_fma_f64 v[150:151], v[1:2], v[164:165], -v[152:153]
	v_fma_f64 v[152:153], v[3:4], v[164:165], v[158:159]
	v_add_f64 v[132:133], v[140:141], v[132:133]
	v_add_f64 v[144:145], v[142:143], v[144:145]
	ds_read_b128 v[1:4], v134 offset:96
	ds_read_b128 v[140:143], v134 offset:112
	v_fma_f64 v[136:137], v[136:137], v[162:163], -v[146:147]
	v_fma_f64 v[138:139], v[138:139], v[162:163], v[148:149]
	s_waitcnt vmcnt(4) lgkmcnt(1)
	v_mul_f64 v[154:155], v[3:4], v[166:167]
	v_mul_f64 v[156:157], v[1:2], v[166:167]
	v_add_f64 v[132:133], v[132:133], v[150:151]
	v_add_f64 v[144:145], v[144:145], v[152:153]
	s_waitcnt vmcnt(2) lgkmcnt(0)
	v_mul_f64 v[146:147], v[142:143], v[168:169]
	v_mul_f64 v[148:149], v[140:141], v[168:169]
	s_waitcnt vmcnt(0)
	v_fma_f64 v[1:2], v[1:2], v[172:173], -v[154:155]
	v_fma_f64 v[3:4], v[3:4], v[172:173], v[156:157]
	v_add_f64 v[132:133], v[132:133], v[136:137]
	v_add_f64 v[136:137], v[144:145], v[138:139]
	v_fma_f64 v[138:139], v[140:141], v[170:171], -v[146:147]
	v_fma_f64 v[140:141], v[142:143], v[170:171], v[148:149]
	v_add_f64 v[1:2], v[132:133], v[1:2]
	v_add_f64 v[3:4], v[136:137], v[3:4]
	;; [unrolled: 1-line block ×4, first 2 shown]
	s_andn2_b32 exec_lo, exec_lo, s72
	s_cbranch_execnz .LBB125_67
; %bb.68:
	s_or_b32 exec_lo, exec_lo, s72
.LBB125_69:
	s_or_b32 exec_lo, exec_lo, s4
	v_and_b32_e32 v132, 7, v0
	s_mov_b32 s71, 0
	s_mov_b32 s4, exec_lo
	v_cmpx_ne_u32_e32 0, v132
	s_cbranch_execz .LBB125_73
; %bb.70:
	v_lshlrev_b32_e32 v133, 4, v131
	v_add_nc_u32_e32 v131, 0x3e0, v133
	.p2align	6
.LBB125_71:                             ; =>This Inner Loop Header: Depth=1
	s_clause 0x3
	buffer_load_dword v140, v133, s[0:3], 0 offen offset:8
	buffer_load_dword v141, v133, s[0:3], 0 offen offset:12
	buffer_load_dword v142, v133, s[0:3], 0 offen
	buffer_load_dword v143, v133, s[0:3], 0 offen offset:4
	ds_read_b128 v[136:139], v131
	v_add_nc_u32_e32 v132, -1, v132
	v_add_nc_u32_e32 v131, 16, v131
	v_add_nc_u32_e32 v133, 16, v133
	v_cmp_eq_u32_e32 vcc_lo, 0, v132
	s_or_b32 s71, vcc_lo, s71
	s_waitcnt vmcnt(2) lgkmcnt(0)
	v_mul_f64 v[144:145], v[138:139], v[140:141]
	v_mul_f64 v[140:141], v[136:137], v[140:141]
	s_waitcnt vmcnt(0)
	v_fma_f64 v[136:137], v[136:137], v[142:143], -v[144:145]
	v_fma_f64 v[138:139], v[138:139], v[142:143], v[140:141]
	v_add_f64 v[1:2], v[1:2], v[136:137]
	v_add_f64 v[3:4], v[3:4], v[138:139]
	s_andn2_b32 exec_lo, exec_lo, s71
	s_cbranch_execnz .LBB125_71
; %bb.72:
	s_or_b32 exec_lo, exec_lo, s71
.LBB125_73:
	s_or_b32 exec_lo, exec_lo, s4
.LBB125_74:
	s_or_b32 exec_lo, exec_lo, s8
	v_mov_b32_e32 v131, 0
	ds_read_b128 v[131:134], v131 offset:880
	s_waitcnt lgkmcnt(0)
	v_mul_f64 v[136:137], v[3:4], v[133:134]
	v_mul_f64 v[133:134], v[1:2], v[133:134]
	v_fma_f64 v[1:2], v[1:2], v[131:132], -v[136:137]
	v_fma_f64 v[3:4], v[3:4], v[131:132], v[133:134]
	buffer_store_dword v2, off, s[0:3], 0 offset:884
	buffer_store_dword v1, off, s[0:3], 0 offset:880
	;; [unrolled: 1-line block ×4, first 2 shown]
.LBB125_75:
	s_or_b32 exec_lo, exec_lo, s6
	v_mov_b32_e32 v4, s16
	v_cmp_lt_u32_e64 s4, 54, v0
	s_clause 0x3
	buffer_load_dword v1, v4, s[0:3], 0 offen
	buffer_load_dword v2, v4, s[0:3], 0 offen offset:4
	buffer_load_dword v3, v4, s[0:3], 0 offen offset:8
	;; [unrolled: 1-line block ×3, first 2 shown]
	s_waitcnt vmcnt(0)
	ds_write_b128 v130, v[1:4]
	s_waitcnt lgkmcnt(0)
	s_waitcnt_vscnt null, 0x0
	s_barrier
	buffer_gl0_inv
	s_and_saveexec_b32 s6, s4
	s_cbranch_execz .LBB125_89
; %bb.76:
	ds_read_b128 v[1:4], v130
	s_andn2_b32 vcc_lo, exec_lo, s7
	s_cbranch_vccnz .LBB125_78
; %bb.77:
	s_clause 0x3
	buffer_load_dword v131, v129, s[0:3], 0 offen offset:8
	buffer_load_dword v132, v129, s[0:3], 0 offen offset:12
	buffer_load_dword v133, v129, s[0:3], 0 offen
	buffer_load_dword v134, v129, s[0:3], 0 offen offset:4
	s_waitcnt vmcnt(2) lgkmcnt(0)
	v_mul_f64 v[136:137], v[3:4], v[131:132]
	v_mul_f64 v[131:132], v[1:2], v[131:132]
	s_waitcnt vmcnt(0)
	v_fma_f64 v[1:2], v[1:2], v[133:134], -v[136:137]
	v_fma_f64 v[3:4], v[3:4], v[133:134], v[131:132]
.LBB125_78:
	s_and_saveexec_b32 s8, s5
	s_cbranch_execz .LBB125_88
; %bb.79:
	v_subrev_nc_u32_e32 v132, 56, v0
	v_mov_b32_e32 v133, 55
	v_subrev_nc_u32_e32 v131, 55, v0
	s_mov_b32 s5, exec_lo
	v_cmpx_lt_u32_e32 6, v132
	s_cbranch_execz .LBB125_83
; %bb.80:
	v_and_b32_e32 v132, -8, v131
	s_movk_i32 s72, 0x750
	s_mov_b32 s71, 0
	s_mov_b32 s73, s15
	;; [unrolled: 1-line block ×3, first 2 shown]
.LBB125_81:                             ; =>This Inner Loop Header: Depth=1
	v_mov_b32_e32 v136, s73
	v_mov_b32_e32 v182, s72
	s_add_i32 s75, s74, 8
	s_add_i32 s74, s74, 63
	v_cmp_eq_u32_e32 vcc_lo, s75, v132
	s_clause 0x1f
	buffer_load_dword v133, v136, s[0:3], 0 offen offset:8
	buffer_load_dword v134, v136, s[0:3], 0 offen offset:12
	buffer_load_dword v144, v136, s[0:3], 0 offen
	buffer_load_dword v145, v136, s[0:3], 0 offen offset:4
	buffer_load_dword v146, v136, s[0:3], 0 offen offset:24
	buffer_load_dword v147, v136, s[0:3], 0 offen offset:28
	buffer_load_dword v148, v136, s[0:3], 0 offen offset:16
	buffer_load_dword v149, v136, s[0:3], 0 offen offset:20
	buffer_load_dword v150, v136, s[0:3], 0 offen offset:40
	buffer_load_dword v151, v136, s[0:3], 0 offen offset:44
	buffer_load_dword v152, v136, s[0:3], 0 offen offset:32
	buffer_load_dword v153, v136, s[0:3], 0 offen offset:36
	buffer_load_dword v154, v136, s[0:3], 0 offen offset:56
	buffer_load_dword v155, v136, s[0:3], 0 offen offset:60
	buffer_load_dword v156, v136, s[0:3], 0 offen offset:48
	buffer_load_dword v157, v136, s[0:3], 0 offen offset:52
	buffer_load_dword v159, v136, s[0:3], 0 offen offset:76
	buffer_load_dword v160, v136, s[0:3], 0 offen offset:88
	buffer_load_dword v162, v136, s[0:3], 0 offen offset:80
	buffer_load_dword v158, v136, s[0:3], 0 offen offset:72
	buffer_load_dword v163, v136, s[0:3], 0 offen offset:84
	buffer_load_dword v161, v136, s[0:3], 0 offen offset:92
	buffer_load_dword v165, v136, s[0:3], 0 offen offset:68
	buffer_load_dword v164, v136, s[0:3], 0 offen offset:64
	buffer_load_dword v167, v136, s[0:3], 0 offen offset:108
	buffer_load_dword v168, v136, s[0:3], 0 offen offset:120
	buffer_load_dword v170, v136, s[0:3], 0 offen offset:112
	buffer_load_dword v166, v136, s[0:3], 0 offen offset:104
	buffer_load_dword v171, v136, s[0:3], 0 offen offset:116
	buffer_load_dword v169, v136, s[0:3], 0 offen offset:124
	buffer_load_dword v173, v136, s[0:3], 0 offen offset:100
	buffer_load_dword v172, v136, s[0:3], 0 offen offset:96
	ds_read_b128 v[136:139], v182
	ds_read_b128 v[140:143], v182 offset:16
	s_addk_i32 s72, 0x80
	s_addk_i32 s73, 0x80
	s_or_b32 s71, vcc_lo, s71
	s_waitcnt vmcnt(30) lgkmcnt(1)
	v_mul_f64 v[174:175], v[138:139], v[133:134]
	v_mul_f64 v[133:134], v[136:137], v[133:134]
	s_waitcnt vmcnt(26) lgkmcnt(0)
	v_mul_f64 v[176:177], v[142:143], v[146:147]
	v_mul_f64 v[178:179], v[140:141], v[146:147]
	v_fma_f64 v[174:175], v[136:137], v[144:145], -v[174:175]
	v_fma_f64 v[133:134], v[138:139], v[144:145], v[133:134]
	ds_read_b128 v[136:139], v182 offset:32
	ds_read_b128 v[144:147], v182 offset:48
	s_waitcnt vmcnt(24)
	v_fma_f64 v[140:141], v[140:141], v[148:149], -v[176:177]
	v_fma_f64 v[142:143], v[142:143], v[148:149], v[178:179]
	s_waitcnt vmcnt(22) lgkmcnt(1)
	v_mul_f64 v[180:181], v[138:139], v[150:151]
	v_mul_f64 v[150:151], v[136:137], v[150:151]
	v_add_f64 v[1:2], v[1:2], v[174:175]
	v_add_f64 v[3:4], v[3:4], v[133:134]
	s_waitcnt vmcnt(18) lgkmcnt(0)
	v_mul_f64 v[133:134], v[146:147], v[154:155]
	v_mul_f64 v[148:149], v[144:145], v[154:155]
	v_fma_f64 v[154:155], v[136:137], v[152:153], -v[180:181]
	v_fma_f64 v[150:151], v[138:139], v[152:153], v[150:151]
	v_add_f64 v[140:141], v[1:2], v[140:141]
	v_add_f64 v[142:143], v[3:4], v[142:143]
	ds_read_b128 v[1:4], v182 offset:64
	ds_read_b128 v[136:139], v182 offset:80
	s_waitcnt vmcnt(16)
	v_fma_f64 v[133:134], v[144:145], v[156:157], -v[133:134]
	v_fma_f64 v[144:145], v[146:147], v[156:157], v[148:149]
	s_waitcnt vmcnt(12) lgkmcnt(1)
	v_mul_f64 v[152:153], v[3:4], v[158:159]
	v_mul_f64 v[158:159], v[1:2], v[158:159]
	v_add_f64 v[140:141], v[140:141], v[154:155]
	v_add_f64 v[142:143], v[142:143], v[150:151]
	s_waitcnt vmcnt(10) lgkmcnt(0)
	v_mul_f64 v[146:147], v[138:139], v[160:161]
	v_mul_f64 v[148:149], v[136:137], v[160:161]
	s_waitcnt vmcnt(8)
	v_fma_f64 v[150:151], v[1:2], v[164:165], -v[152:153]
	v_fma_f64 v[152:153], v[3:4], v[164:165], v[158:159]
	v_add_f64 v[133:134], v[140:141], v[133:134]
	v_add_f64 v[144:145], v[142:143], v[144:145]
	ds_read_b128 v[1:4], v182 offset:96
	ds_read_b128 v[140:143], v182 offset:112
	v_fma_f64 v[136:137], v[136:137], v[162:163], -v[146:147]
	v_fma_f64 v[138:139], v[138:139], v[162:163], v[148:149]
	s_waitcnt vmcnt(4) lgkmcnt(1)
	v_mul_f64 v[154:155], v[3:4], v[166:167]
	v_mul_f64 v[156:157], v[1:2], v[166:167]
	v_add_f64 v[133:134], v[133:134], v[150:151]
	v_add_f64 v[144:145], v[144:145], v[152:153]
	s_waitcnt vmcnt(2) lgkmcnt(0)
	v_mul_f64 v[146:147], v[142:143], v[168:169]
	v_mul_f64 v[148:149], v[140:141], v[168:169]
	s_waitcnt vmcnt(0)
	v_fma_f64 v[1:2], v[1:2], v[172:173], -v[154:155]
	v_fma_f64 v[3:4], v[3:4], v[172:173], v[156:157]
	v_add_f64 v[133:134], v[133:134], v[136:137]
	v_add_f64 v[136:137], v[144:145], v[138:139]
	v_fma_f64 v[138:139], v[140:141], v[170:171], -v[146:147]
	v_fma_f64 v[140:141], v[142:143], v[170:171], v[148:149]
	v_add_f64 v[1:2], v[133:134], v[1:2]
	v_add_f64 v[3:4], v[136:137], v[3:4]
	v_mov_b32_e32 v133, s74
	s_mov_b32 s74, s75
	v_add_f64 v[1:2], v[1:2], v[138:139]
	v_add_f64 v[3:4], v[3:4], v[140:141]
	s_andn2_b32 exec_lo, exec_lo, s71
	s_cbranch_execnz .LBB125_81
; %bb.82:
	s_or_b32 exec_lo, exec_lo, s71
.LBB125_83:
	s_or_b32 exec_lo, exec_lo, s5
	v_and_b32_e32 v131, 7, v131
	s_mov_b32 s71, 0
	s_mov_b32 s5, exec_lo
	v_cmpx_ne_u32_e32 0, v131
	s_cbranch_execz .LBB125_87
; %bb.84:
	v_lshlrev_b32_e32 v133, 4, v133
	v_add_nc_u32_e32 v132, 0x3e0, v133
	.p2align	6
.LBB125_85:                             ; =>This Inner Loop Header: Depth=1
	s_clause 0x3
	buffer_load_dword v140, v133, s[0:3], 0 offen offset:8
	buffer_load_dword v141, v133, s[0:3], 0 offen offset:12
	buffer_load_dword v142, v133, s[0:3], 0 offen
	buffer_load_dword v143, v133, s[0:3], 0 offen offset:4
	ds_read_b128 v[136:139], v132
	v_add_nc_u32_e32 v131, -1, v131
	v_add_nc_u32_e32 v132, 16, v132
	v_add_nc_u32_e32 v133, 16, v133
	v_cmp_eq_u32_e32 vcc_lo, 0, v131
	s_or_b32 s71, vcc_lo, s71
	s_waitcnt vmcnt(2) lgkmcnt(0)
	v_mul_f64 v[144:145], v[138:139], v[140:141]
	v_mul_f64 v[140:141], v[136:137], v[140:141]
	s_waitcnt vmcnt(0)
	v_fma_f64 v[136:137], v[136:137], v[142:143], -v[144:145]
	v_fma_f64 v[138:139], v[138:139], v[142:143], v[140:141]
	v_add_f64 v[1:2], v[1:2], v[136:137]
	v_add_f64 v[3:4], v[3:4], v[138:139]
	s_andn2_b32 exec_lo, exec_lo, s71
	s_cbranch_execnz .LBB125_85
; %bb.86:
	s_or_b32 exec_lo, exec_lo, s71
.LBB125_87:
	s_or_b32 exec_lo, exec_lo, s5
.LBB125_88:
	s_or_b32 exec_lo, exec_lo, s8
	v_mov_b32_e32 v131, 0
	ds_read_b128 v[131:134], v131 offset:864
	s_waitcnt lgkmcnt(0)
	v_mul_f64 v[136:137], v[3:4], v[133:134]
	v_mul_f64 v[133:134], v[1:2], v[133:134]
	v_fma_f64 v[1:2], v[1:2], v[131:132], -v[136:137]
	v_fma_f64 v[3:4], v[3:4], v[131:132], v[133:134]
	buffer_store_dword v2, off, s[0:3], 0 offset:868
	buffer_store_dword v1, off, s[0:3], 0 offset:864
	;; [unrolled: 1-line block ×4, first 2 shown]
.LBB125_89:
	s_or_b32 exec_lo, exec_lo, s6
	v_mov_b32_e32 v4, s17
	v_cmp_lt_u32_e64 s5, 53, v0
	s_clause 0x3
	buffer_load_dword v1, v4, s[0:3], 0 offen
	buffer_load_dword v2, v4, s[0:3], 0 offen offset:4
	buffer_load_dword v3, v4, s[0:3], 0 offen offset:8
	;; [unrolled: 1-line block ×3, first 2 shown]
	s_waitcnt vmcnt(0)
	ds_write_b128 v130, v[1:4]
	s_waitcnt lgkmcnt(0)
	s_waitcnt_vscnt null, 0x0
	s_barrier
	buffer_gl0_inv
	s_and_saveexec_b32 s6, s5
	s_cbranch_execz .LBB125_103
; %bb.90:
	ds_read_b128 v[1:4], v130
	s_andn2_b32 vcc_lo, exec_lo, s7
	s_cbranch_vccnz .LBB125_92
; %bb.91:
	s_clause 0x3
	buffer_load_dword v131, v129, s[0:3], 0 offen offset:8
	buffer_load_dword v132, v129, s[0:3], 0 offen offset:12
	buffer_load_dword v133, v129, s[0:3], 0 offen
	buffer_load_dword v134, v129, s[0:3], 0 offen offset:4
	s_waitcnt vmcnt(2) lgkmcnt(0)
	v_mul_f64 v[136:137], v[3:4], v[131:132]
	v_mul_f64 v[131:132], v[1:2], v[131:132]
	s_waitcnt vmcnt(0)
	v_fma_f64 v[1:2], v[1:2], v[133:134], -v[136:137]
	v_fma_f64 v[3:4], v[3:4], v[133:134], v[131:132]
.LBB125_92:
	s_and_saveexec_b32 s8, s4
	s_cbranch_execz .LBB125_102
; %bb.93:
	v_subrev_nc_u32_e32 v132, 55, v0
	v_mov_b32_e32 v133, 54
	v_subrev_nc_u32_e32 v131, 54, v0
	s_mov_b32 s4, exec_lo
	v_cmpx_lt_u32_e32 6, v132
	s_cbranch_execz .LBB125_97
; %bb.94:
	v_and_b32_e32 v132, -8, v131
	s_movk_i32 s72, 0x740
	s_mov_b32 s71, 0
	s_mov_b32 s73, s16
	s_mov_b32 s74, 0
.LBB125_95:                             ; =>This Inner Loop Header: Depth=1
	v_mov_b32_e32 v136, s73
	v_mov_b32_e32 v182, s72
	s_add_i32 s75, s74, 8
	s_add_i32 s74, s74, 62
	v_cmp_eq_u32_e32 vcc_lo, s75, v132
	s_clause 0x1f
	buffer_load_dword v133, v136, s[0:3], 0 offen offset:8
	buffer_load_dword v134, v136, s[0:3], 0 offen offset:12
	buffer_load_dword v144, v136, s[0:3], 0 offen
	buffer_load_dword v145, v136, s[0:3], 0 offen offset:4
	buffer_load_dword v146, v136, s[0:3], 0 offen offset:24
	;; [unrolled: 1-line block ×29, first 2 shown]
	ds_read_b128 v[136:139], v182
	ds_read_b128 v[140:143], v182 offset:16
	s_addk_i32 s72, 0x80
	s_addk_i32 s73, 0x80
	s_or_b32 s71, vcc_lo, s71
	s_waitcnt vmcnt(30) lgkmcnt(1)
	v_mul_f64 v[174:175], v[138:139], v[133:134]
	v_mul_f64 v[133:134], v[136:137], v[133:134]
	s_waitcnt vmcnt(26) lgkmcnt(0)
	v_mul_f64 v[176:177], v[142:143], v[146:147]
	v_mul_f64 v[178:179], v[140:141], v[146:147]
	v_fma_f64 v[174:175], v[136:137], v[144:145], -v[174:175]
	v_fma_f64 v[133:134], v[138:139], v[144:145], v[133:134]
	ds_read_b128 v[136:139], v182 offset:32
	ds_read_b128 v[144:147], v182 offset:48
	s_waitcnt vmcnt(24)
	v_fma_f64 v[140:141], v[140:141], v[148:149], -v[176:177]
	v_fma_f64 v[142:143], v[142:143], v[148:149], v[178:179]
	s_waitcnt vmcnt(22) lgkmcnt(1)
	v_mul_f64 v[180:181], v[138:139], v[150:151]
	v_mul_f64 v[150:151], v[136:137], v[150:151]
	v_add_f64 v[1:2], v[1:2], v[174:175]
	v_add_f64 v[3:4], v[3:4], v[133:134]
	s_waitcnt vmcnt(18) lgkmcnt(0)
	v_mul_f64 v[133:134], v[146:147], v[154:155]
	v_mul_f64 v[148:149], v[144:145], v[154:155]
	v_fma_f64 v[154:155], v[136:137], v[152:153], -v[180:181]
	v_fma_f64 v[150:151], v[138:139], v[152:153], v[150:151]
	v_add_f64 v[140:141], v[1:2], v[140:141]
	v_add_f64 v[142:143], v[3:4], v[142:143]
	ds_read_b128 v[1:4], v182 offset:64
	ds_read_b128 v[136:139], v182 offset:80
	s_waitcnt vmcnt(16)
	v_fma_f64 v[133:134], v[144:145], v[156:157], -v[133:134]
	v_fma_f64 v[144:145], v[146:147], v[156:157], v[148:149]
	s_waitcnt vmcnt(12) lgkmcnt(1)
	v_mul_f64 v[152:153], v[3:4], v[158:159]
	v_mul_f64 v[158:159], v[1:2], v[158:159]
	v_add_f64 v[140:141], v[140:141], v[154:155]
	v_add_f64 v[142:143], v[142:143], v[150:151]
	s_waitcnt vmcnt(10) lgkmcnt(0)
	v_mul_f64 v[146:147], v[138:139], v[160:161]
	v_mul_f64 v[148:149], v[136:137], v[160:161]
	s_waitcnt vmcnt(8)
	v_fma_f64 v[150:151], v[1:2], v[164:165], -v[152:153]
	v_fma_f64 v[152:153], v[3:4], v[164:165], v[158:159]
	v_add_f64 v[133:134], v[140:141], v[133:134]
	v_add_f64 v[144:145], v[142:143], v[144:145]
	ds_read_b128 v[1:4], v182 offset:96
	ds_read_b128 v[140:143], v182 offset:112
	v_fma_f64 v[136:137], v[136:137], v[162:163], -v[146:147]
	v_fma_f64 v[138:139], v[138:139], v[162:163], v[148:149]
	s_waitcnt vmcnt(4) lgkmcnt(1)
	v_mul_f64 v[154:155], v[3:4], v[166:167]
	v_mul_f64 v[156:157], v[1:2], v[166:167]
	v_add_f64 v[133:134], v[133:134], v[150:151]
	v_add_f64 v[144:145], v[144:145], v[152:153]
	s_waitcnt vmcnt(2) lgkmcnt(0)
	v_mul_f64 v[146:147], v[142:143], v[168:169]
	v_mul_f64 v[148:149], v[140:141], v[168:169]
	s_waitcnt vmcnt(0)
	v_fma_f64 v[1:2], v[1:2], v[172:173], -v[154:155]
	v_fma_f64 v[3:4], v[3:4], v[172:173], v[156:157]
	v_add_f64 v[133:134], v[133:134], v[136:137]
	v_add_f64 v[136:137], v[144:145], v[138:139]
	v_fma_f64 v[138:139], v[140:141], v[170:171], -v[146:147]
	v_fma_f64 v[140:141], v[142:143], v[170:171], v[148:149]
	v_add_f64 v[1:2], v[133:134], v[1:2]
	v_add_f64 v[3:4], v[136:137], v[3:4]
	v_mov_b32_e32 v133, s74
	s_mov_b32 s74, s75
	v_add_f64 v[1:2], v[1:2], v[138:139]
	v_add_f64 v[3:4], v[3:4], v[140:141]
	s_andn2_b32 exec_lo, exec_lo, s71
	s_cbranch_execnz .LBB125_95
; %bb.96:
	s_or_b32 exec_lo, exec_lo, s71
.LBB125_97:
	s_or_b32 exec_lo, exec_lo, s4
	v_and_b32_e32 v131, 7, v131
	s_mov_b32 s71, 0
	s_mov_b32 s4, exec_lo
	v_cmpx_ne_u32_e32 0, v131
	s_cbranch_execz .LBB125_101
; %bb.98:
	v_lshlrev_b32_e32 v133, 4, v133
	v_add_nc_u32_e32 v132, 0x3e0, v133
	.p2align	6
.LBB125_99:                             ; =>This Inner Loop Header: Depth=1
	s_clause 0x3
	buffer_load_dword v140, v133, s[0:3], 0 offen offset:8
	buffer_load_dword v141, v133, s[0:3], 0 offen offset:12
	buffer_load_dword v142, v133, s[0:3], 0 offen
	buffer_load_dword v143, v133, s[0:3], 0 offen offset:4
	ds_read_b128 v[136:139], v132
	v_add_nc_u32_e32 v131, -1, v131
	v_add_nc_u32_e32 v132, 16, v132
	v_add_nc_u32_e32 v133, 16, v133
	v_cmp_eq_u32_e32 vcc_lo, 0, v131
	s_or_b32 s71, vcc_lo, s71
	s_waitcnt vmcnt(2) lgkmcnt(0)
	v_mul_f64 v[144:145], v[138:139], v[140:141]
	v_mul_f64 v[140:141], v[136:137], v[140:141]
	s_waitcnt vmcnt(0)
	v_fma_f64 v[136:137], v[136:137], v[142:143], -v[144:145]
	v_fma_f64 v[138:139], v[138:139], v[142:143], v[140:141]
	v_add_f64 v[1:2], v[1:2], v[136:137]
	v_add_f64 v[3:4], v[3:4], v[138:139]
	s_andn2_b32 exec_lo, exec_lo, s71
	s_cbranch_execnz .LBB125_99
; %bb.100:
	s_or_b32 exec_lo, exec_lo, s71
.LBB125_101:
	s_or_b32 exec_lo, exec_lo, s4
.LBB125_102:
	s_or_b32 exec_lo, exec_lo, s8
	v_mov_b32_e32 v131, 0
	ds_read_b128 v[131:134], v131 offset:848
	s_waitcnt lgkmcnt(0)
	v_mul_f64 v[136:137], v[3:4], v[133:134]
	v_mul_f64 v[133:134], v[1:2], v[133:134]
	v_fma_f64 v[1:2], v[1:2], v[131:132], -v[136:137]
	v_fma_f64 v[3:4], v[3:4], v[131:132], v[133:134]
	buffer_store_dword v2, off, s[0:3], 0 offset:852
	buffer_store_dword v1, off, s[0:3], 0 offset:848
	buffer_store_dword v4, off, s[0:3], 0 offset:860
	buffer_store_dword v3, off, s[0:3], 0 offset:856
.LBB125_103:
	s_or_b32 exec_lo, exec_lo, s6
	v_mov_b32_e32 v4, s18
	v_cmp_lt_u32_e64 s4, 52, v0
	s_clause 0x3
	buffer_load_dword v1, v4, s[0:3], 0 offen
	buffer_load_dword v2, v4, s[0:3], 0 offen offset:4
	buffer_load_dword v3, v4, s[0:3], 0 offen offset:8
	buffer_load_dword v4, v4, s[0:3], 0 offen offset:12
	s_waitcnt vmcnt(0)
	ds_write_b128 v130, v[1:4]
	s_waitcnt lgkmcnt(0)
	s_waitcnt_vscnt null, 0x0
	s_barrier
	buffer_gl0_inv
	s_and_saveexec_b32 s6, s4
	s_cbranch_execz .LBB125_117
; %bb.104:
	ds_read_b128 v[1:4], v130
	s_andn2_b32 vcc_lo, exec_lo, s7
	s_cbranch_vccnz .LBB125_106
; %bb.105:
	s_clause 0x3
	buffer_load_dword v131, v129, s[0:3], 0 offen offset:8
	buffer_load_dword v132, v129, s[0:3], 0 offen offset:12
	buffer_load_dword v133, v129, s[0:3], 0 offen
	buffer_load_dword v134, v129, s[0:3], 0 offen offset:4
	s_waitcnt vmcnt(2) lgkmcnt(0)
	v_mul_f64 v[136:137], v[3:4], v[131:132]
	v_mul_f64 v[131:132], v[1:2], v[131:132]
	s_waitcnt vmcnt(0)
	v_fma_f64 v[1:2], v[1:2], v[133:134], -v[136:137]
	v_fma_f64 v[3:4], v[3:4], v[133:134], v[131:132]
.LBB125_106:
	s_and_saveexec_b32 s8, s5
	s_cbranch_execz .LBB125_116
; %bb.107:
	v_subrev_nc_u32_e32 v132, 54, v0
	v_mov_b32_e32 v133, 53
	v_subrev_nc_u32_e32 v131, 53, v0
	s_mov_b32 s5, exec_lo
	v_cmpx_lt_u32_e32 6, v132
	s_cbranch_execz .LBB125_111
; %bb.108:
	v_and_b32_e32 v132, -8, v131
	s_movk_i32 s72, 0x730
	s_mov_b32 s71, 0
	s_mov_b32 s73, s17
	;; [unrolled: 1-line block ×3, first 2 shown]
.LBB125_109:                            ; =>This Inner Loop Header: Depth=1
	v_mov_b32_e32 v136, s73
	v_mov_b32_e32 v182, s72
	s_add_i32 s75, s74, 8
	s_add_i32 s74, s74, 61
	v_cmp_eq_u32_e32 vcc_lo, s75, v132
	s_clause 0x1f
	buffer_load_dword v133, v136, s[0:3], 0 offen offset:8
	buffer_load_dword v134, v136, s[0:3], 0 offen offset:12
	buffer_load_dword v144, v136, s[0:3], 0 offen
	buffer_load_dword v145, v136, s[0:3], 0 offen offset:4
	buffer_load_dword v146, v136, s[0:3], 0 offen offset:24
	;; [unrolled: 1-line block ×29, first 2 shown]
	ds_read_b128 v[136:139], v182
	ds_read_b128 v[140:143], v182 offset:16
	s_addk_i32 s72, 0x80
	s_addk_i32 s73, 0x80
	s_or_b32 s71, vcc_lo, s71
	s_waitcnt vmcnt(30) lgkmcnt(1)
	v_mul_f64 v[174:175], v[138:139], v[133:134]
	v_mul_f64 v[133:134], v[136:137], v[133:134]
	s_waitcnt vmcnt(26) lgkmcnt(0)
	v_mul_f64 v[176:177], v[142:143], v[146:147]
	v_mul_f64 v[178:179], v[140:141], v[146:147]
	v_fma_f64 v[174:175], v[136:137], v[144:145], -v[174:175]
	v_fma_f64 v[133:134], v[138:139], v[144:145], v[133:134]
	ds_read_b128 v[136:139], v182 offset:32
	ds_read_b128 v[144:147], v182 offset:48
	s_waitcnt vmcnt(24)
	v_fma_f64 v[140:141], v[140:141], v[148:149], -v[176:177]
	v_fma_f64 v[142:143], v[142:143], v[148:149], v[178:179]
	s_waitcnt vmcnt(22) lgkmcnt(1)
	v_mul_f64 v[180:181], v[138:139], v[150:151]
	v_mul_f64 v[150:151], v[136:137], v[150:151]
	v_add_f64 v[1:2], v[1:2], v[174:175]
	v_add_f64 v[3:4], v[3:4], v[133:134]
	s_waitcnt vmcnt(18) lgkmcnt(0)
	v_mul_f64 v[133:134], v[146:147], v[154:155]
	v_mul_f64 v[148:149], v[144:145], v[154:155]
	v_fma_f64 v[154:155], v[136:137], v[152:153], -v[180:181]
	v_fma_f64 v[150:151], v[138:139], v[152:153], v[150:151]
	v_add_f64 v[140:141], v[1:2], v[140:141]
	v_add_f64 v[142:143], v[3:4], v[142:143]
	ds_read_b128 v[1:4], v182 offset:64
	ds_read_b128 v[136:139], v182 offset:80
	s_waitcnt vmcnt(16)
	v_fma_f64 v[133:134], v[144:145], v[156:157], -v[133:134]
	v_fma_f64 v[144:145], v[146:147], v[156:157], v[148:149]
	s_waitcnt vmcnt(12) lgkmcnt(1)
	v_mul_f64 v[152:153], v[3:4], v[158:159]
	v_mul_f64 v[158:159], v[1:2], v[158:159]
	v_add_f64 v[140:141], v[140:141], v[154:155]
	v_add_f64 v[142:143], v[142:143], v[150:151]
	s_waitcnt vmcnt(10) lgkmcnt(0)
	v_mul_f64 v[146:147], v[138:139], v[160:161]
	v_mul_f64 v[148:149], v[136:137], v[160:161]
	s_waitcnt vmcnt(8)
	v_fma_f64 v[150:151], v[1:2], v[164:165], -v[152:153]
	v_fma_f64 v[152:153], v[3:4], v[164:165], v[158:159]
	v_add_f64 v[133:134], v[140:141], v[133:134]
	v_add_f64 v[144:145], v[142:143], v[144:145]
	ds_read_b128 v[1:4], v182 offset:96
	ds_read_b128 v[140:143], v182 offset:112
	v_fma_f64 v[136:137], v[136:137], v[162:163], -v[146:147]
	v_fma_f64 v[138:139], v[138:139], v[162:163], v[148:149]
	s_waitcnt vmcnt(4) lgkmcnt(1)
	v_mul_f64 v[154:155], v[3:4], v[166:167]
	v_mul_f64 v[156:157], v[1:2], v[166:167]
	v_add_f64 v[133:134], v[133:134], v[150:151]
	v_add_f64 v[144:145], v[144:145], v[152:153]
	s_waitcnt vmcnt(2) lgkmcnt(0)
	v_mul_f64 v[146:147], v[142:143], v[168:169]
	v_mul_f64 v[148:149], v[140:141], v[168:169]
	s_waitcnt vmcnt(0)
	v_fma_f64 v[1:2], v[1:2], v[172:173], -v[154:155]
	v_fma_f64 v[3:4], v[3:4], v[172:173], v[156:157]
	v_add_f64 v[133:134], v[133:134], v[136:137]
	v_add_f64 v[136:137], v[144:145], v[138:139]
	v_fma_f64 v[138:139], v[140:141], v[170:171], -v[146:147]
	v_fma_f64 v[140:141], v[142:143], v[170:171], v[148:149]
	v_add_f64 v[1:2], v[133:134], v[1:2]
	v_add_f64 v[3:4], v[136:137], v[3:4]
	v_mov_b32_e32 v133, s74
	s_mov_b32 s74, s75
	v_add_f64 v[1:2], v[1:2], v[138:139]
	v_add_f64 v[3:4], v[3:4], v[140:141]
	s_andn2_b32 exec_lo, exec_lo, s71
	s_cbranch_execnz .LBB125_109
; %bb.110:
	s_or_b32 exec_lo, exec_lo, s71
.LBB125_111:
	s_or_b32 exec_lo, exec_lo, s5
	v_and_b32_e32 v131, 7, v131
	s_mov_b32 s71, 0
	s_mov_b32 s5, exec_lo
	v_cmpx_ne_u32_e32 0, v131
	s_cbranch_execz .LBB125_115
; %bb.112:
	v_lshlrev_b32_e32 v133, 4, v133
	v_add_nc_u32_e32 v132, 0x3e0, v133
	.p2align	6
.LBB125_113:                            ; =>This Inner Loop Header: Depth=1
	s_clause 0x3
	buffer_load_dword v140, v133, s[0:3], 0 offen offset:8
	buffer_load_dword v141, v133, s[0:3], 0 offen offset:12
	buffer_load_dword v142, v133, s[0:3], 0 offen
	buffer_load_dword v143, v133, s[0:3], 0 offen offset:4
	ds_read_b128 v[136:139], v132
	v_add_nc_u32_e32 v131, -1, v131
	v_add_nc_u32_e32 v132, 16, v132
	v_add_nc_u32_e32 v133, 16, v133
	v_cmp_eq_u32_e32 vcc_lo, 0, v131
	s_or_b32 s71, vcc_lo, s71
	s_waitcnt vmcnt(2) lgkmcnt(0)
	v_mul_f64 v[144:145], v[138:139], v[140:141]
	v_mul_f64 v[140:141], v[136:137], v[140:141]
	s_waitcnt vmcnt(0)
	v_fma_f64 v[136:137], v[136:137], v[142:143], -v[144:145]
	v_fma_f64 v[138:139], v[138:139], v[142:143], v[140:141]
	v_add_f64 v[1:2], v[1:2], v[136:137]
	v_add_f64 v[3:4], v[3:4], v[138:139]
	s_andn2_b32 exec_lo, exec_lo, s71
	s_cbranch_execnz .LBB125_113
; %bb.114:
	s_or_b32 exec_lo, exec_lo, s71
.LBB125_115:
	s_or_b32 exec_lo, exec_lo, s5
.LBB125_116:
	s_or_b32 exec_lo, exec_lo, s8
	v_mov_b32_e32 v131, 0
	ds_read_b128 v[131:134], v131 offset:832
	s_waitcnt lgkmcnt(0)
	v_mul_f64 v[136:137], v[3:4], v[133:134]
	v_mul_f64 v[133:134], v[1:2], v[133:134]
	v_fma_f64 v[1:2], v[1:2], v[131:132], -v[136:137]
	v_fma_f64 v[3:4], v[3:4], v[131:132], v[133:134]
	buffer_store_dword v2, off, s[0:3], 0 offset:836
	buffer_store_dword v1, off, s[0:3], 0 offset:832
	;; [unrolled: 1-line block ×4, first 2 shown]
.LBB125_117:
	s_or_b32 exec_lo, exec_lo, s6
	v_mov_b32_e32 v4, s19
	v_cmp_lt_u32_e64 s5, 51, v0
	s_clause 0x3
	buffer_load_dword v1, v4, s[0:3], 0 offen
	buffer_load_dword v2, v4, s[0:3], 0 offen offset:4
	buffer_load_dword v3, v4, s[0:3], 0 offen offset:8
	;; [unrolled: 1-line block ×3, first 2 shown]
	s_waitcnt vmcnt(0)
	ds_write_b128 v130, v[1:4]
	s_waitcnt lgkmcnt(0)
	s_waitcnt_vscnt null, 0x0
	s_barrier
	buffer_gl0_inv
	s_and_saveexec_b32 s6, s5
	s_cbranch_execz .LBB125_131
; %bb.118:
	ds_read_b128 v[1:4], v130
	s_andn2_b32 vcc_lo, exec_lo, s7
	s_cbranch_vccnz .LBB125_120
; %bb.119:
	s_clause 0x3
	buffer_load_dword v131, v129, s[0:3], 0 offen offset:8
	buffer_load_dword v132, v129, s[0:3], 0 offen offset:12
	buffer_load_dword v133, v129, s[0:3], 0 offen
	buffer_load_dword v134, v129, s[0:3], 0 offen offset:4
	s_waitcnt vmcnt(2) lgkmcnt(0)
	v_mul_f64 v[136:137], v[3:4], v[131:132]
	v_mul_f64 v[131:132], v[1:2], v[131:132]
	s_waitcnt vmcnt(0)
	v_fma_f64 v[1:2], v[1:2], v[133:134], -v[136:137]
	v_fma_f64 v[3:4], v[3:4], v[133:134], v[131:132]
.LBB125_120:
	s_and_saveexec_b32 s8, s4
	s_cbranch_execz .LBB125_130
; %bb.121:
	v_subrev_nc_u32_e32 v132, 53, v0
	v_mov_b32_e32 v133, 52
	v_subrev_nc_u32_e32 v131, 52, v0
	s_mov_b32 s4, exec_lo
	v_cmpx_lt_u32_e32 6, v132
	s_cbranch_execz .LBB125_125
; %bb.122:
	v_and_b32_e32 v132, -8, v131
	s_movk_i32 s72, 0x720
	s_mov_b32 s71, 0
	s_mov_b32 s73, s18
	s_mov_b32 s74, 0
.LBB125_123:                            ; =>This Inner Loop Header: Depth=1
	v_mov_b32_e32 v136, s73
	v_mov_b32_e32 v182, s72
	s_add_i32 s75, s74, 8
	s_add_i32 s74, s74, 60
	v_cmp_eq_u32_e32 vcc_lo, s75, v132
	s_clause 0x1f
	buffer_load_dword v133, v136, s[0:3], 0 offen offset:8
	buffer_load_dword v134, v136, s[0:3], 0 offen offset:12
	buffer_load_dword v144, v136, s[0:3], 0 offen
	buffer_load_dword v145, v136, s[0:3], 0 offen offset:4
	buffer_load_dword v146, v136, s[0:3], 0 offen offset:24
	buffer_load_dword v147, v136, s[0:3], 0 offen offset:28
	buffer_load_dword v148, v136, s[0:3], 0 offen offset:16
	buffer_load_dword v149, v136, s[0:3], 0 offen offset:20
	buffer_load_dword v150, v136, s[0:3], 0 offen offset:40
	buffer_load_dword v151, v136, s[0:3], 0 offen offset:44
	buffer_load_dword v152, v136, s[0:3], 0 offen offset:32
	buffer_load_dword v153, v136, s[0:3], 0 offen offset:36
	buffer_load_dword v154, v136, s[0:3], 0 offen offset:56
	buffer_load_dword v155, v136, s[0:3], 0 offen offset:60
	buffer_load_dword v156, v136, s[0:3], 0 offen offset:48
	buffer_load_dword v157, v136, s[0:3], 0 offen offset:52
	buffer_load_dword v159, v136, s[0:3], 0 offen offset:76
	buffer_load_dword v160, v136, s[0:3], 0 offen offset:88
	buffer_load_dword v162, v136, s[0:3], 0 offen offset:80
	buffer_load_dword v158, v136, s[0:3], 0 offen offset:72
	buffer_load_dword v163, v136, s[0:3], 0 offen offset:84
	buffer_load_dword v161, v136, s[0:3], 0 offen offset:92
	buffer_load_dword v165, v136, s[0:3], 0 offen offset:68
	buffer_load_dword v164, v136, s[0:3], 0 offen offset:64
	buffer_load_dword v167, v136, s[0:3], 0 offen offset:108
	buffer_load_dword v168, v136, s[0:3], 0 offen offset:120
	buffer_load_dword v170, v136, s[0:3], 0 offen offset:112
	buffer_load_dword v166, v136, s[0:3], 0 offen offset:104
	buffer_load_dword v171, v136, s[0:3], 0 offen offset:116
	buffer_load_dword v169, v136, s[0:3], 0 offen offset:124
	buffer_load_dword v173, v136, s[0:3], 0 offen offset:100
	buffer_load_dword v172, v136, s[0:3], 0 offen offset:96
	ds_read_b128 v[136:139], v182
	ds_read_b128 v[140:143], v182 offset:16
	s_addk_i32 s72, 0x80
	s_addk_i32 s73, 0x80
	s_or_b32 s71, vcc_lo, s71
	s_waitcnt vmcnt(30) lgkmcnt(1)
	v_mul_f64 v[174:175], v[138:139], v[133:134]
	v_mul_f64 v[133:134], v[136:137], v[133:134]
	s_waitcnt vmcnt(26) lgkmcnt(0)
	v_mul_f64 v[176:177], v[142:143], v[146:147]
	v_mul_f64 v[178:179], v[140:141], v[146:147]
	v_fma_f64 v[174:175], v[136:137], v[144:145], -v[174:175]
	v_fma_f64 v[133:134], v[138:139], v[144:145], v[133:134]
	ds_read_b128 v[136:139], v182 offset:32
	ds_read_b128 v[144:147], v182 offset:48
	s_waitcnt vmcnt(24)
	v_fma_f64 v[140:141], v[140:141], v[148:149], -v[176:177]
	v_fma_f64 v[142:143], v[142:143], v[148:149], v[178:179]
	s_waitcnt vmcnt(22) lgkmcnt(1)
	v_mul_f64 v[180:181], v[138:139], v[150:151]
	v_mul_f64 v[150:151], v[136:137], v[150:151]
	v_add_f64 v[1:2], v[1:2], v[174:175]
	v_add_f64 v[3:4], v[3:4], v[133:134]
	s_waitcnt vmcnt(18) lgkmcnt(0)
	v_mul_f64 v[133:134], v[146:147], v[154:155]
	v_mul_f64 v[148:149], v[144:145], v[154:155]
	v_fma_f64 v[154:155], v[136:137], v[152:153], -v[180:181]
	v_fma_f64 v[150:151], v[138:139], v[152:153], v[150:151]
	v_add_f64 v[140:141], v[1:2], v[140:141]
	v_add_f64 v[142:143], v[3:4], v[142:143]
	ds_read_b128 v[1:4], v182 offset:64
	ds_read_b128 v[136:139], v182 offset:80
	s_waitcnt vmcnt(16)
	v_fma_f64 v[133:134], v[144:145], v[156:157], -v[133:134]
	v_fma_f64 v[144:145], v[146:147], v[156:157], v[148:149]
	s_waitcnt vmcnt(12) lgkmcnt(1)
	v_mul_f64 v[152:153], v[3:4], v[158:159]
	v_mul_f64 v[158:159], v[1:2], v[158:159]
	v_add_f64 v[140:141], v[140:141], v[154:155]
	v_add_f64 v[142:143], v[142:143], v[150:151]
	s_waitcnt vmcnt(10) lgkmcnt(0)
	v_mul_f64 v[146:147], v[138:139], v[160:161]
	v_mul_f64 v[148:149], v[136:137], v[160:161]
	s_waitcnt vmcnt(8)
	v_fma_f64 v[150:151], v[1:2], v[164:165], -v[152:153]
	v_fma_f64 v[152:153], v[3:4], v[164:165], v[158:159]
	v_add_f64 v[133:134], v[140:141], v[133:134]
	v_add_f64 v[144:145], v[142:143], v[144:145]
	ds_read_b128 v[1:4], v182 offset:96
	ds_read_b128 v[140:143], v182 offset:112
	v_fma_f64 v[136:137], v[136:137], v[162:163], -v[146:147]
	v_fma_f64 v[138:139], v[138:139], v[162:163], v[148:149]
	s_waitcnt vmcnt(4) lgkmcnt(1)
	v_mul_f64 v[154:155], v[3:4], v[166:167]
	v_mul_f64 v[156:157], v[1:2], v[166:167]
	v_add_f64 v[133:134], v[133:134], v[150:151]
	v_add_f64 v[144:145], v[144:145], v[152:153]
	s_waitcnt vmcnt(2) lgkmcnt(0)
	v_mul_f64 v[146:147], v[142:143], v[168:169]
	v_mul_f64 v[148:149], v[140:141], v[168:169]
	s_waitcnt vmcnt(0)
	v_fma_f64 v[1:2], v[1:2], v[172:173], -v[154:155]
	v_fma_f64 v[3:4], v[3:4], v[172:173], v[156:157]
	v_add_f64 v[133:134], v[133:134], v[136:137]
	v_add_f64 v[136:137], v[144:145], v[138:139]
	v_fma_f64 v[138:139], v[140:141], v[170:171], -v[146:147]
	v_fma_f64 v[140:141], v[142:143], v[170:171], v[148:149]
	v_add_f64 v[1:2], v[133:134], v[1:2]
	v_add_f64 v[3:4], v[136:137], v[3:4]
	v_mov_b32_e32 v133, s74
	s_mov_b32 s74, s75
	v_add_f64 v[1:2], v[1:2], v[138:139]
	v_add_f64 v[3:4], v[3:4], v[140:141]
	s_andn2_b32 exec_lo, exec_lo, s71
	s_cbranch_execnz .LBB125_123
; %bb.124:
	s_or_b32 exec_lo, exec_lo, s71
.LBB125_125:
	s_or_b32 exec_lo, exec_lo, s4
	v_and_b32_e32 v131, 7, v131
	s_mov_b32 s71, 0
	s_mov_b32 s4, exec_lo
	v_cmpx_ne_u32_e32 0, v131
	s_cbranch_execz .LBB125_129
; %bb.126:
	v_lshlrev_b32_e32 v133, 4, v133
	v_add_nc_u32_e32 v132, 0x3e0, v133
	.p2align	6
.LBB125_127:                            ; =>This Inner Loop Header: Depth=1
	s_clause 0x3
	buffer_load_dword v140, v133, s[0:3], 0 offen offset:8
	buffer_load_dword v141, v133, s[0:3], 0 offen offset:12
	buffer_load_dword v142, v133, s[0:3], 0 offen
	buffer_load_dword v143, v133, s[0:3], 0 offen offset:4
	ds_read_b128 v[136:139], v132
	v_add_nc_u32_e32 v131, -1, v131
	v_add_nc_u32_e32 v132, 16, v132
	v_add_nc_u32_e32 v133, 16, v133
	v_cmp_eq_u32_e32 vcc_lo, 0, v131
	s_or_b32 s71, vcc_lo, s71
	s_waitcnt vmcnt(2) lgkmcnt(0)
	v_mul_f64 v[144:145], v[138:139], v[140:141]
	v_mul_f64 v[140:141], v[136:137], v[140:141]
	s_waitcnt vmcnt(0)
	v_fma_f64 v[136:137], v[136:137], v[142:143], -v[144:145]
	v_fma_f64 v[138:139], v[138:139], v[142:143], v[140:141]
	v_add_f64 v[1:2], v[1:2], v[136:137]
	v_add_f64 v[3:4], v[3:4], v[138:139]
	s_andn2_b32 exec_lo, exec_lo, s71
	s_cbranch_execnz .LBB125_127
; %bb.128:
	s_or_b32 exec_lo, exec_lo, s71
.LBB125_129:
	s_or_b32 exec_lo, exec_lo, s4
.LBB125_130:
	s_or_b32 exec_lo, exec_lo, s8
	v_mov_b32_e32 v131, 0
	ds_read_b128 v[131:134], v131 offset:816
	s_waitcnt lgkmcnt(0)
	v_mul_f64 v[136:137], v[3:4], v[133:134]
	v_mul_f64 v[133:134], v[1:2], v[133:134]
	v_fma_f64 v[1:2], v[1:2], v[131:132], -v[136:137]
	v_fma_f64 v[3:4], v[3:4], v[131:132], v[133:134]
	buffer_store_dword v2, off, s[0:3], 0 offset:820
	buffer_store_dword v1, off, s[0:3], 0 offset:816
	;; [unrolled: 1-line block ×4, first 2 shown]
.LBB125_131:
	s_or_b32 exec_lo, exec_lo, s6
	v_mov_b32_e32 v4, s20
	v_cmp_lt_u32_e64 s4, 50, v0
	s_clause 0x3
	buffer_load_dword v1, v4, s[0:3], 0 offen
	buffer_load_dword v2, v4, s[0:3], 0 offen offset:4
	buffer_load_dword v3, v4, s[0:3], 0 offen offset:8
	;; [unrolled: 1-line block ×3, first 2 shown]
	s_waitcnt vmcnt(0)
	ds_write_b128 v130, v[1:4]
	s_waitcnt lgkmcnt(0)
	s_waitcnt_vscnt null, 0x0
	s_barrier
	buffer_gl0_inv
	s_and_saveexec_b32 s6, s4
	s_cbranch_execz .LBB125_145
; %bb.132:
	ds_read_b128 v[1:4], v130
	s_andn2_b32 vcc_lo, exec_lo, s7
	s_cbranch_vccnz .LBB125_134
; %bb.133:
	s_clause 0x3
	buffer_load_dword v131, v129, s[0:3], 0 offen offset:8
	buffer_load_dword v132, v129, s[0:3], 0 offen offset:12
	buffer_load_dword v133, v129, s[0:3], 0 offen
	buffer_load_dword v134, v129, s[0:3], 0 offen offset:4
	s_waitcnt vmcnt(2) lgkmcnt(0)
	v_mul_f64 v[136:137], v[3:4], v[131:132]
	v_mul_f64 v[131:132], v[1:2], v[131:132]
	s_waitcnt vmcnt(0)
	v_fma_f64 v[1:2], v[1:2], v[133:134], -v[136:137]
	v_fma_f64 v[3:4], v[3:4], v[133:134], v[131:132]
.LBB125_134:
	s_and_saveexec_b32 s8, s5
	s_cbranch_execz .LBB125_144
; %bb.135:
	v_subrev_nc_u32_e32 v132, 52, v0
	v_mov_b32_e32 v133, 51
	v_subrev_nc_u32_e32 v131, 51, v0
	s_mov_b32 s5, exec_lo
	v_cmpx_lt_u32_e32 6, v132
	s_cbranch_execz .LBB125_139
; %bb.136:
	v_and_b32_e32 v132, -8, v131
	s_movk_i32 s72, 0x710
	s_mov_b32 s71, 0
	s_mov_b32 s73, s19
	;; [unrolled: 1-line block ×3, first 2 shown]
.LBB125_137:                            ; =>This Inner Loop Header: Depth=1
	v_mov_b32_e32 v136, s73
	v_mov_b32_e32 v182, s72
	s_add_i32 s75, s74, 8
	s_add_i32 s74, s74, 59
	v_cmp_eq_u32_e32 vcc_lo, s75, v132
	s_clause 0x1f
	buffer_load_dword v133, v136, s[0:3], 0 offen offset:8
	buffer_load_dword v134, v136, s[0:3], 0 offen offset:12
	buffer_load_dword v144, v136, s[0:3], 0 offen
	buffer_load_dword v145, v136, s[0:3], 0 offen offset:4
	buffer_load_dword v146, v136, s[0:3], 0 offen offset:24
	;; [unrolled: 1-line block ×29, first 2 shown]
	ds_read_b128 v[136:139], v182
	ds_read_b128 v[140:143], v182 offset:16
	s_addk_i32 s72, 0x80
	s_addk_i32 s73, 0x80
	s_or_b32 s71, vcc_lo, s71
	s_waitcnt vmcnt(30) lgkmcnt(1)
	v_mul_f64 v[174:175], v[138:139], v[133:134]
	v_mul_f64 v[133:134], v[136:137], v[133:134]
	s_waitcnt vmcnt(26) lgkmcnt(0)
	v_mul_f64 v[176:177], v[142:143], v[146:147]
	v_mul_f64 v[178:179], v[140:141], v[146:147]
	v_fma_f64 v[174:175], v[136:137], v[144:145], -v[174:175]
	v_fma_f64 v[133:134], v[138:139], v[144:145], v[133:134]
	ds_read_b128 v[136:139], v182 offset:32
	ds_read_b128 v[144:147], v182 offset:48
	s_waitcnt vmcnt(24)
	v_fma_f64 v[140:141], v[140:141], v[148:149], -v[176:177]
	v_fma_f64 v[142:143], v[142:143], v[148:149], v[178:179]
	s_waitcnt vmcnt(22) lgkmcnt(1)
	v_mul_f64 v[180:181], v[138:139], v[150:151]
	v_mul_f64 v[150:151], v[136:137], v[150:151]
	v_add_f64 v[1:2], v[1:2], v[174:175]
	v_add_f64 v[3:4], v[3:4], v[133:134]
	s_waitcnt vmcnt(18) lgkmcnt(0)
	v_mul_f64 v[133:134], v[146:147], v[154:155]
	v_mul_f64 v[148:149], v[144:145], v[154:155]
	v_fma_f64 v[154:155], v[136:137], v[152:153], -v[180:181]
	v_fma_f64 v[150:151], v[138:139], v[152:153], v[150:151]
	v_add_f64 v[140:141], v[1:2], v[140:141]
	v_add_f64 v[142:143], v[3:4], v[142:143]
	ds_read_b128 v[1:4], v182 offset:64
	ds_read_b128 v[136:139], v182 offset:80
	s_waitcnt vmcnt(16)
	v_fma_f64 v[133:134], v[144:145], v[156:157], -v[133:134]
	v_fma_f64 v[144:145], v[146:147], v[156:157], v[148:149]
	s_waitcnt vmcnt(12) lgkmcnt(1)
	v_mul_f64 v[152:153], v[3:4], v[158:159]
	v_mul_f64 v[158:159], v[1:2], v[158:159]
	v_add_f64 v[140:141], v[140:141], v[154:155]
	v_add_f64 v[142:143], v[142:143], v[150:151]
	s_waitcnt vmcnt(10) lgkmcnt(0)
	v_mul_f64 v[146:147], v[138:139], v[160:161]
	v_mul_f64 v[148:149], v[136:137], v[160:161]
	s_waitcnt vmcnt(8)
	v_fma_f64 v[150:151], v[1:2], v[164:165], -v[152:153]
	v_fma_f64 v[152:153], v[3:4], v[164:165], v[158:159]
	v_add_f64 v[133:134], v[140:141], v[133:134]
	v_add_f64 v[144:145], v[142:143], v[144:145]
	ds_read_b128 v[1:4], v182 offset:96
	ds_read_b128 v[140:143], v182 offset:112
	v_fma_f64 v[136:137], v[136:137], v[162:163], -v[146:147]
	v_fma_f64 v[138:139], v[138:139], v[162:163], v[148:149]
	s_waitcnt vmcnt(4) lgkmcnt(1)
	v_mul_f64 v[154:155], v[3:4], v[166:167]
	v_mul_f64 v[156:157], v[1:2], v[166:167]
	v_add_f64 v[133:134], v[133:134], v[150:151]
	v_add_f64 v[144:145], v[144:145], v[152:153]
	s_waitcnt vmcnt(2) lgkmcnt(0)
	v_mul_f64 v[146:147], v[142:143], v[168:169]
	v_mul_f64 v[148:149], v[140:141], v[168:169]
	s_waitcnt vmcnt(0)
	v_fma_f64 v[1:2], v[1:2], v[172:173], -v[154:155]
	v_fma_f64 v[3:4], v[3:4], v[172:173], v[156:157]
	v_add_f64 v[133:134], v[133:134], v[136:137]
	v_add_f64 v[136:137], v[144:145], v[138:139]
	v_fma_f64 v[138:139], v[140:141], v[170:171], -v[146:147]
	v_fma_f64 v[140:141], v[142:143], v[170:171], v[148:149]
	v_add_f64 v[1:2], v[133:134], v[1:2]
	v_add_f64 v[3:4], v[136:137], v[3:4]
	v_mov_b32_e32 v133, s74
	s_mov_b32 s74, s75
	v_add_f64 v[1:2], v[1:2], v[138:139]
	v_add_f64 v[3:4], v[3:4], v[140:141]
	s_andn2_b32 exec_lo, exec_lo, s71
	s_cbranch_execnz .LBB125_137
; %bb.138:
	s_or_b32 exec_lo, exec_lo, s71
.LBB125_139:
	s_or_b32 exec_lo, exec_lo, s5
	v_and_b32_e32 v131, 7, v131
	s_mov_b32 s71, 0
	s_mov_b32 s5, exec_lo
	v_cmpx_ne_u32_e32 0, v131
	s_cbranch_execz .LBB125_143
; %bb.140:
	v_lshlrev_b32_e32 v133, 4, v133
	v_add_nc_u32_e32 v132, 0x3e0, v133
	.p2align	6
.LBB125_141:                            ; =>This Inner Loop Header: Depth=1
	s_clause 0x3
	buffer_load_dword v140, v133, s[0:3], 0 offen offset:8
	buffer_load_dword v141, v133, s[0:3], 0 offen offset:12
	buffer_load_dword v142, v133, s[0:3], 0 offen
	buffer_load_dword v143, v133, s[0:3], 0 offen offset:4
	ds_read_b128 v[136:139], v132
	v_add_nc_u32_e32 v131, -1, v131
	v_add_nc_u32_e32 v132, 16, v132
	v_add_nc_u32_e32 v133, 16, v133
	v_cmp_eq_u32_e32 vcc_lo, 0, v131
	s_or_b32 s71, vcc_lo, s71
	s_waitcnt vmcnt(2) lgkmcnt(0)
	v_mul_f64 v[144:145], v[138:139], v[140:141]
	v_mul_f64 v[140:141], v[136:137], v[140:141]
	s_waitcnt vmcnt(0)
	v_fma_f64 v[136:137], v[136:137], v[142:143], -v[144:145]
	v_fma_f64 v[138:139], v[138:139], v[142:143], v[140:141]
	v_add_f64 v[1:2], v[1:2], v[136:137]
	v_add_f64 v[3:4], v[3:4], v[138:139]
	s_andn2_b32 exec_lo, exec_lo, s71
	s_cbranch_execnz .LBB125_141
; %bb.142:
	s_or_b32 exec_lo, exec_lo, s71
.LBB125_143:
	s_or_b32 exec_lo, exec_lo, s5
.LBB125_144:
	s_or_b32 exec_lo, exec_lo, s8
	v_mov_b32_e32 v131, 0
	ds_read_b128 v[131:134], v131 offset:800
	s_waitcnt lgkmcnt(0)
	v_mul_f64 v[136:137], v[3:4], v[133:134]
	v_mul_f64 v[133:134], v[1:2], v[133:134]
	v_fma_f64 v[1:2], v[1:2], v[131:132], -v[136:137]
	v_fma_f64 v[3:4], v[3:4], v[131:132], v[133:134]
	buffer_store_dword v2, off, s[0:3], 0 offset:804
	buffer_store_dword v1, off, s[0:3], 0 offset:800
	;; [unrolled: 1-line block ×4, first 2 shown]
.LBB125_145:
	s_or_b32 exec_lo, exec_lo, s6
	v_mov_b32_e32 v4, s21
	v_cmp_lt_u32_e64 s5, 49, v0
	s_clause 0x3
	buffer_load_dword v1, v4, s[0:3], 0 offen
	buffer_load_dword v2, v4, s[0:3], 0 offen offset:4
	buffer_load_dword v3, v4, s[0:3], 0 offen offset:8
	;; [unrolled: 1-line block ×3, first 2 shown]
	s_waitcnt vmcnt(0)
	ds_write_b128 v130, v[1:4]
	s_waitcnt lgkmcnt(0)
	s_waitcnt_vscnt null, 0x0
	s_barrier
	buffer_gl0_inv
	s_and_saveexec_b32 s6, s5
	s_cbranch_execz .LBB125_159
; %bb.146:
	ds_read_b128 v[1:4], v130
	s_andn2_b32 vcc_lo, exec_lo, s7
	s_cbranch_vccnz .LBB125_148
; %bb.147:
	s_clause 0x3
	buffer_load_dword v131, v129, s[0:3], 0 offen offset:8
	buffer_load_dword v132, v129, s[0:3], 0 offen offset:12
	buffer_load_dword v133, v129, s[0:3], 0 offen
	buffer_load_dword v134, v129, s[0:3], 0 offen offset:4
	s_waitcnt vmcnt(2) lgkmcnt(0)
	v_mul_f64 v[136:137], v[3:4], v[131:132]
	v_mul_f64 v[131:132], v[1:2], v[131:132]
	s_waitcnt vmcnt(0)
	v_fma_f64 v[1:2], v[1:2], v[133:134], -v[136:137]
	v_fma_f64 v[3:4], v[3:4], v[133:134], v[131:132]
.LBB125_148:
	s_and_saveexec_b32 s8, s4
	s_cbranch_execz .LBB125_158
; %bb.149:
	v_subrev_nc_u32_e32 v132, 51, v0
	v_mov_b32_e32 v133, 50
	v_subrev_nc_u32_e32 v131, 50, v0
	s_mov_b32 s4, exec_lo
	v_cmpx_lt_u32_e32 6, v132
	s_cbranch_execz .LBB125_153
; %bb.150:
	v_and_b32_e32 v132, -8, v131
	s_movk_i32 s72, 0x700
	s_mov_b32 s71, 0
	s_mov_b32 s73, s20
	;; [unrolled: 1-line block ×3, first 2 shown]
.LBB125_151:                            ; =>This Inner Loop Header: Depth=1
	v_mov_b32_e32 v136, s73
	v_mov_b32_e32 v182, s72
	s_add_i32 s75, s74, 8
	s_add_i32 s74, s74, 58
	v_cmp_eq_u32_e32 vcc_lo, s75, v132
	s_clause 0x1f
	buffer_load_dword v133, v136, s[0:3], 0 offen offset:8
	buffer_load_dword v134, v136, s[0:3], 0 offen offset:12
	buffer_load_dword v144, v136, s[0:3], 0 offen
	buffer_load_dword v145, v136, s[0:3], 0 offen offset:4
	buffer_load_dword v146, v136, s[0:3], 0 offen offset:24
	buffer_load_dword v147, v136, s[0:3], 0 offen offset:28
	buffer_load_dword v148, v136, s[0:3], 0 offen offset:16
	buffer_load_dword v149, v136, s[0:3], 0 offen offset:20
	buffer_load_dword v150, v136, s[0:3], 0 offen offset:40
	buffer_load_dword v151, v136, s[0:3], 0 offen offset:44
	buffer_load_dword v152, v136, s[0:3], 0 offen offset:32
	buffer_load_dword v153, v136, s[0:3], 0 offen offset:36
	buffer_load_dword v154, v136, s[0:3], 0 offen offset:56
	buffer_load_dword v155, v136, s[0:3], 0 offen offset:60
	buffer_load_dword v156, v136, s[0:3], 0 offen offset:48
	buffer_load_dword v157, v136, s[0:3], 0 offen offset:52
	buffer_load_dword v159, v136, s[0:3], 0 offen offset:76
	buffer_load_dword v160, v136, s[0:3], 0 offen offset:88
	buffer_load_dword v162, v136, s[0:3], 0 offen offset:80
	buffer_load_dword v158, v136, s[0:3], 0 offen offset:72
	buffer_load_dword v163, v136, s[0:3], 0 offen offset:84
	buffer_load_dword v161, v136, s[0:3], 0 offen offset:92
	buffer_load_dword v165, v136, s[0:3], 0 offen offset:68
	buffer_load_dword v164, v136, s[0:3], 0 offen offset:64
	buffer_load_dword v167, v136, s[0:3], 0 offen offset:108
	buffer_load_dword v168, v136, s[0:3], 0 offen offset:120
	buffer_load_dword v170, v136, s[0:3], 0 offen offset:112
	buffer_load_dword v166, v136, s[0:3], 0 offen offset:104
	buffer_load_dword v171, v136, s[0:3], 0 offen offset:116
	buffer_load_dword v169, v136, s[0:3], 0 offen offset:124
	buffer_load_dword v173, v136, s[0:3], 0 offen offset:100
	buffer_load_dword v172, v136, s[0:3], 0 offen offset:96
	ds_read_b128 v[136:139], v182
	ds_read_b128 v[140:143], v182 offset:16
	s_addk_i32 s72, 0x80
	s_addk_i32 s73, 0x80
	s_or_b32 s71, vcc_lo, s71
	s_waitcnt vmcnt(30) lgkmcnt(1)
	v_mul_f64 v[174:175], v[138:139], v[133:134]
	v_mul_f64 v[133:134], v[136:137], v[133:134]
	s_waitcnt vmcnt(26) lgkmcnt(0)
	v_mul_f64 v[176:177], v[142:143], v[146:147]
	v_mul_f64 v[178:179], v[140:141], v[146:147]
	v_fma_f64 v[174:175], v[136:137], v[144:145], -v[174:175]
	v_fma_f64 v[133:134], v[138:139], v[144:145], v[133:134]
	ds_read_b128 v[136:139], v182 offset:32
	ds_read_b128 v[144:147], v182 offset:48
	s_waitcnt vmcnt(24)
	v_fma_f64 v[140:141], v[140:141], v[148:149], -v[176:177]
	v_fma_f64 v[142:143], v[142:143], v[148:149], v[178:179]
	s_waitcnt vmcnt(22) lgkmcnt(1)
	v_mul_f64 v[180:181], v[138:139], v[150:151]
	v_mul_f64 v[150:151], v[136:137], v[150:151]
	v_add_f64 v[1:2], v[1:2], v[174:175]
	v_add_f64 v[3:4], v[3:4], v[133:134]
	s_waitcnt vmcnt(18) lgkmcnt(0)
	v_mul_f64 v[133:134], v[146:147], v[154:155]
	v_mul_f64 v[148:149], v[144:145], v[154:155]
	v_fma_f64 v[154:155], v[136:137], v[152:153], -v[180:181]
	v_fma_f64 v[150:151], v[138:139], v[152:153], v[150:151]
	v_add_f64 v[140:141], v[1:2], v[140:141]
	v_add_f64 v[142:143], v[3:4], v[142:143]
	ds_read_b128 v[1:4], v182 offset:64
	ds_read_b128 v[136:139], v182 offset:80
	s_waitcnt vmcnt(16)
	v_fma_f64 v[133:134], v[144:145], v[156:157], -v[133:134]
	v_fma_f64 v[144:145], v[146:147], v[156:157], v[148:149]
	s_waitcnt vmcnt(12) lgkmcnt(1)
	v_mul_f64 v[152:153], v[3:4], v[158:159]
	v_mul_f64 v[158:159], v[1:2], v[158:159]
	v_add_f64 v[140:141], v[140:141], v[154:155]
	v_add_f64 v[142:143], v[142:143], v[150:151]
	s_waitcnt vmcnt(10) lgkmcnt(0)
	v_mul_f64 v[146:147], v[138:139], v[160:161]
	v_mul_f64 v[148:149], v[136:137], v[160:161]
	s_waitcnt vmcnt(8)
	v_fma_f64 v[150:151], v[1:2], v[164:165], -v[152:153]
	v_fma_f64 v[152:153], v[3:4], v[164:165], v[158:159]
	v_add_f64 v[133:134], v[140:141], v[133:134]
	v_add_f64 v[144:145], v[142:143], v[144:145]
	ds_read_b128 v[1:4], v182 offset:96
	ds_read_b128 v[140:143], v182 offset:112
	v_fma_f64 v[136:137], v[136:137], v[162:163], -v[146:147]
	v_fma_f64 v[138:139], v[138:139], v[162:163], v[148:149]
	s_waitcnt vmcnt(4) lgkmcnt(1)
	v_mul_f64 v[154:155], v[3:4], v[166:167]
	v_mul_f64 v[156:157], v[1:2], v[166:167]
	v_add_f64 v[133:134], v[133:134], v[150:151]
	v_add_f64 v[144:145], v[144:145], v[152:153]
	s_waitcnt vmcnt(2) lgkmcnt(0)
	v_mul_f64 v[146:147], v[142:143], v[168:169]
	v_mul_f64 v[148:149], v[140:141], v[168:169]
	s_waitcnt vmcnt(0)
	v_fma_f64 v[1:2], v[1:2], v[172:173], -v[154:155]
	v_fma_f64 v[3:4], v[3:4], v[172:173], v[156:157]
	v_add_f64 v[133:134], v[133:134], v[136:137]
	v_add_f64 v[136:137], v[144:145], v[138:139]
	v_fma_f64 v[138:139], v[140:141], v[170:171], -v[146:147]
	v_fma_f64 v[140:141], v[142:143], v[170:171], v[148:149]
	v_add_f64 v[1:2], v[133:134], v[1:2]
	v_add_f64 v[3:4], v[136:137], v[3:4]
	v_mov_b32_e32 v133, s74
	s_mov_b32 s74, s75
	v_add_f64 v[1:2], v[1:2], v[138:139]
	v_add_f64 v[3:4], v[3:4], v[140:141]
	s_andn2_b32 exec_lo, exec_lo, s71
	s_cbranch_execnz .LBB125_151
; %bb.152:
	s_or_b32 exec_lo, exec_lo, s71
.LBB125_153:
	s_or_b32 exec_lo, exec_lo, s4
	v_and_b32_e32 v131, 7, v131
	s_mov_b32 s71, 0
	s_mov_b32 s4, exec_lo
	v_cmpx_ne_u32_e32 0, v131
	s_cbranch_execz .LBB125_157
; %bb.154:
	v_lshlrev_b32_e32 v133, 4, v133
	v_add_nc_u32_e32 v132, 0x3e0, v133
	.p2align	6
.LBB125_155:                            ; =>This Inner Loop Header: Depth=1
	s_clause 0x3
	buffer_load_dword v140, v133, s[0:3], 0 offen offset:8
	buffer_load_dword v141, v133, s[0:3], 0 offen offset:12
	buffer_load_dword v142, v133, s[0:3], 0 offen
	buffer_load_dword v143, v133, s[0:3], 0 offen offset:4
	ds_read_b128 v[136:139], v132
	v_add_nc_u32_e32 v131, -1, v131
	v_add_nc_u32_e32 v132, 16, v132
	v_add_nc_u32_e32 v133, 16, v133
	v_cmp_eq_u32_e32 vcc_lo, 0, v131
	s_or_b32 s71, vcc_lo, s71
	s_waitcnt vmcnt(2) lgkmcnt(0)
	v_mul_f64 v[144:145], v[138:139], v[140:141]
	v_mul_f64 v[140:141], v[136:137], v[140:141]
	s_waitcnt vmcnt(0)
	v_fma_f64 v[136:137], v[136:137], v[142:143], -v[144:145]
	v_fma_f64 v[138:139], v[138:139], v[142:143], v[140:141]
	v_add_f64 v[1:2], v[1:2], v[136:137]
	v_add_f64 v[3:4], v[3:4], v[138:139]
	s_andn2_b32 exec_lo, exec_lo, s71
	s_cbranch_execnz .LBB125_155
; %bb.156:
	s_or_b32 exec_lo, exec_lo, s71
.LBB125_157:
	s_or_b32 exec_lo, exec_lo, s4
.LBB125_158:
	s_or_b32 exec_lo, exec_lo, s8
	v_mov_b32_e32 v131, 0
	ds_read_b128 v[131:134], v131 offset:784
	s_waitcnt lgkmcnt(0)
	v_mul_f64 v[136:137], v[3:4], v[133:134]
	v_mul_f64 v[133:134], v[1:2], v[133:134]
	v_fma_f64 v[1:2], v[1:2], v[131:132], -v[136:137]
	v_fma_f64 v[3:4], v[3:4], v[131:132], v[133:134]
	buffer_store_dword v2, off, s[0:3], 0 offset:788
	buffer_store_dword v1, off, s[0:3], 0 offset:784
	;; [unrolled: 1-line block ×4, first 2 shown]
.LBB125_159:
	s_or_b32 exec_lo, exec_lo, s6
	v_mov_b32_e32 v4, s22
	v_cmp_lt_u32_e64 s4, 48, v0
	s_clause 0x3
	buffer_load_dword v1, v4, s[0:3], 0 offen
	buffer_load_dword v2, v4, s[0:3], 0 offen offset:4
	buffer_load_dword v3, v4, s[0:3], 0 offen offset:8
	;; [unrolled: 1-line block ×3, first 2 shown]
	s_waitcnt vmcnt(0)
	ds_write_b128 v130, v[1:4]
	s_waitcnt lgkmcnt(0)
	s_waitcnt_vscnt null, 0x0
	s_barrier
	buffer_gl0_inv
	s_and_saveexec_b32 s6, s4
	s_cbranch_execz .LBB125_173
; %bb.160:
	ds_read_b128 v[1:4], v130
	s_andn2_b32 vcc_lo, exec_lo, s7
	s_cbranch_vccnz .LBB125_162
; %bb.161:
	s_clause 0x3
	buffer_load_dword v131, v129, s[0:3], 0 offen offset:8
	buffer_load_dword v132, v129, s[0:3], 0 offen offset:12
	buffer_load_dword v133, v129, s[0:3], 0 offen
	buffer_load_dword v134, v129, s[0:3], 0 offen offset:4
	s_waitcnt vmcnt(2) lgkmcnt(0)
	v_mul_f64 v[136:137], v[3:4], v[131:132]
	v_mul_f64 v[131:132], v[1:2], v[131:132]
	s_waitcnt vmcnt(0)
	v_fma_f64 v[1:2], v[1:2], v[133:134], -v[136:137]
	v_fma_f64 v[3:4], v[3:4], v[133:134], v[131:132]
.LBB125_162:
	s_and_saveexec_b32 s8, s5
	s_cbranch_execz .LBB125_172
; %bb.163:
	v_subrev_nc_u32_e32 v132, 50, v0
	v_mov_b32_e32 v133, 49
	v_subrev_nc_u32_e32 v131, 49, v0
	s_mov_b32 s5, exec_lo
	v_cmpx_lt_u32_e32 6, v132
	s_cbranch_execz .LBB125_167
; %bb.164:
	v_and_b32_e32 v132, -8, v131
	s_movk_i32 s72, 0x6f0
	s_mov_b32 s71, 0
	s_mov_b32 s73, s21
	s_mov_b32 s74, 0
.LBB125_165:                            ; =>This Inner Loop Header: Depth=1
	v_mov_b32_e32 v136, s73
	v_mov_b32_e32 v182, s72
	s_add_i32 s75, s74, 8
	s_add_i32 s74, s74, 57
	v_cmp_eq_u32_e32 vcc_lo, s75, v132
	s_clause 0x1f
	buffer_load_dword v133, v136, s[0:3], 0 offen offset:8
	buffer_load_dword v134, v136, s[0:3], 0 offen offset:12
	buffer_load_dword v144, v136, s[0:3], 0 offen
	buffer_load_dword v145, v136, s[0:3], 0 offen offset:4
	buffer_load_dword v146, v136, s[0:3], 0 offen offset:24
	;; [unrolled: 1-line block ×29, first 2 shown]
	ds_read_b128 v[136:139], v182
	ds_read_b128 v[140:143], v182 offset:16
	s_addk_i32 s72, 0x80
	s_addk_i32 s73, 0x80
	s_or_b32 s71, vcc_lo, s71
	s_waitcnt vmcnt(30) lgkmcnt(1)
	v_mul_f64 v[174:175], v[138:139], v[133:134]
	v_mul_f64 v[133:134], v[136:137], v[133:134]
	s_waitcnt vmcnt(26) lgkmcnt(0)
	v_mul_f64 v[176:177], v[142:143], v[146:147]
	v_mul_f64 v[178:179], v[140:141], v[146:147]
	v_fma_f64 v[174:175], v[136:137], v[144:145], -v[174:175]
	v_fma_f64 v[133:134], v[138:139], v[144:145], v[133:134]
	ds_read_b128 v[136:139], v182 offset:32
	ds_read_b128 v[144:147], v182 offset:48
	s_waitcnt vmcnt(24)
	v_fma_f64 v[140:141], v[140:141], v[148:149], -v[176:177]
	v_fma_f64 v[142:143], v[142:143], v[148:149], v[178:179]
	s_waitcnt vmcnt(22) lgkmcnt(1)
	v_mul_f64 v[180:181], v[138:139], v[150:151]
	v_mul_f64 v[150:151], v[136:137], v[150:151]
	v_add_f64 v[1:2], v[1:2], v[174:175]
	v_add_f64 v[3:4], v[3:4], v[133:134]
	s_waitcnt vmcnt(18) lgkmcnt(0)
	v_mul_f64 v[133:134], v[146:147], v[154:155]
	v_mul_f64 v[148:149], v[144:145], v[154:155]
	v_fma_f64 v[154:155], v[136:137], v[152:153], -v[180:181]
	v_fma_f64 v[150:151], v[138:139], v[152:153], v[150:151]
	v_add_f64 v[140:141], v[1:2], v[140:141]
	v_add_f64 v[142:143], v[3:4], v[142:143]
	ds_read_b128 v[1:4], v182 offset:64
	ds_read_b128 v[136:139], v182 offset:80
	s_waitcnt vmcnt(16)
	v_fma_f64 v[133:134], v[144:145], v[156:157], -v[133:134]
	v_fma_f64 v[144:145], v[146:147], v[156:157], v[148:149]
	s_waitcnt vmcnt(12) lgkmcnt(1)
	v_mul_f64 v[152:153], v[3:4], v[158:159]
	v_mul_f64 v[158:159], v[1:2], v[158:159]
	v_add_f64 v[140:141], v[140:141], v[154:155]
	v_add_f64 v[142:143], v[142:143], v[150:151]
	s_waitcnt vmcnt(10) lgkmcnt(0)
	v_mul_f64 v[146:147], v[138:139], v[160:161]
	v_mul_f64 v[148:149], v[136:137], v[160:161]
	s_waitcnt vmcnt(8)
	v_fma_f64 v[150:151], v[1:2], v[164:165], -v[152:153]
	v_fma_f64 v[152:153], v[3:4], v[164:165], v[158:159]
	v_add_f64 v[133:134], v[140:141], v[133:134]
	v_add_f64 v[144:145], v[142:143], v[144:145]
	ds_read_b128 v[1:4], v182 offset:96
	ds_read_b128 v[140:143], v182 offset:112
	v_fma_f64 v[136:137], v[136:137], v[162:163], -v[146:147]
	v_fma_f64 v[138:139], v[138:139], v[162:163], v[148:149]
	s_waitcnt vmcnt(4) lgkmcnt(1)
	v_mul_f64 v[154:155], v[3:4], v[166:167]
	v_mul_f64 v[156:157], v[1:2], v[166:167]
	v_add_f64 v[133:134], v[133:134], v[150:151]
	v_add_f64 v[144:145], v[144:145], v[152:153]
	s_waitcnt vmcnt(2) lgkmcnt(0)
	v_mul_f64 v[146:147], v[142:143], v[168:169]
	v_mul_f64 v[148:149], v[140:141], v[168:169]
	s_waitcnt vmcnt(0)
	v_fma_f64 v[1:2], v[1:2], v[172:173], -v[154:155]
	v_fma_f64 v[3:4], v[3:4], v[172:173], v[156:157]
	v_add_f64 v[133:134], v[133:134], v[136:137]
	v_add_f64 v[136:137], v[144:145], v[138:139]
	v_fma_f64 v[138:139], v[140:141], v[170:171], -v[146:147]
	v_fma_f64 v[140:141], v[142:143], v[170:171], v[148:149]
	v_add_f64 v[1:2], v[133:134], v[1:2]
	v_add_f64 v[3:4], v[136:137], v[3:4]
	v_mov_b32_e32 v133, s74
	s_mov_b32 s74, s75
	v_add_f64 v[1:2], v[1:2], v[138:139]
	v_add_f64 v[3:4], v[3:4], v[140:141]
	s_andn2_b32 exec_lo, exec_lo, s71
	s_cbranch_execnz .LBB125_165
; %bb.166:
	s_or_b32 exec_lo, exec_lo, s71
.LBB125_167:
	s_or_b32 exec_lo, exec_lo, s5
	v_and_b32_e32 v131, 7, v131
	s_mov_b32 s71, 0
	s_mov_b32 s5, exec_lo
	v_cmpx_ne_u32_e32 0, v131
	s_cbranch_execz .LBB125_171
; %bb.168:
	v_lshlrev_b32_e32 v133, 4, v133
	v_add_nc_u32_e32 v132, 0x3e0, v133
	.p2align	6
.LBB125_169:                            ; =>This Inner Loop Header: Depth=1
	s_clause 0x3
	buffer_load_dword v140, v133, s[0:3], 0 offen offset:8
	buffer_load_dword v141, v133, s[0:3], 0 offen offset:12
	buffer_load_dword v142, v133, s[0:3], 0 offen
	buffer_load_dword v143, v133, s[0:3], 0 offen offset:4
	ds_read_b128 v[136:139], v132
	v_add_nc_u32_e32 v131, -1, v131
	v_add_nc_u32_e32 v132, 16, v132
	v_add_nc_u32_e32 v133, 16, v133
	v_cmp_eq_u32_e32 vcc_lo, 0, v131
	s_or_b32 s71, vcc_lo, s71
	s_waitcnt vmcnt(2) lgkmcnt(0)
	v_mul_f64 v[144:145], v[138:139], v[140:141]
	v_mul_f64 v[140:141], v[136:137], v[140:141]
	s_waitcnt vmcnt(0)
	v_fma_f64 v[136:137], v[136:137], v[142:143], -v[144:145]
	v_fma_f64 v[138:139], v[138:139], v[142:143], v[140:141]
	v_add_f64 v[1:2], v[1:2], v[136:137]
	v_add_f64 v[3:4], v[3:4], v[138:139]
	s_andn2_b32 exec_lo, exec_lo, s71
	s_cbranch_execnz .LBB125_169
; %bb.170:
	s_or_b32 exec_lo, exec_lo, s71
.LBB125_171:
	s_or_b32 exec_lo, exec_lo, s5
.LBB125_172:
	s_or_b32 exec_lo, exec_lo, s8
	v_mov_b32_e32 v131, 0
	ds_read_b128 v[131:134], v131 offset:768
	s_waitcnt lgkmcnt(0)
	v_mul_f64 v[136:137], v[3:4], v[133:134]
	v_mul_f64 v[133:134], v[1:2], v[133:134]
	v_fma_f64 v[1:2], v[1:2], v[131:132], -v[136:137]
	v_fma_f64 v[3:4], v[3:4], v[131:132], v[133:134]
	buffer_store_dword v2, off, s[0:3], 0 offset:772
	buffer_store_dword v1, off, s[0:3], 0 offset:768
	buffer_store_dword v4, off, s[0:3], 0 offset:780
	buffer_store_dword v3, off, s[0:3], 0 offset:776
.LBB125_173:
	s_or_b32 exec_lo, exec_lo, s6
	v_mov_b32_e32 v4, s23
	v_cmp_lt_u32_e64 s5, 47, v0
	s_clause 0x3
	buffer_load_dword v1, v4, s[0:3], 0 offen
	buffer_load_dword v2, v4, s[0:3], 0 offen offset:4
	buffer_load_dword v3, v4, s[0:3], 0 offen offset:8
	;; [unrolled: 1-line block ×3, first 2 shown]
	s_waitcnt vmcnt(0)
	ds_write_b128 v130, v[1:4]
	s_waitcnt lgkmcnt(0)
	s_waitcnt_vscnt null, 0x0
	s_barrier
	buffer_gl0_inv
	s_and_saveexec_b32 s6, s5
	s_cbranch_execz .LBB125_187
; %bb.174:
	ds_read_b128 v[1:4], v130
	s_andn2_b32 vcc_lo, exec_lo, s7
	s_cbranch_vccnz .LBB125_176
; %bb.175:
	s_clause 0x3
	buffer_load_dword v131, v129, s[0:3], 0 offen offset:8
	buffer_load_dword v132, v129, s[0:3], 0 offen offset:12
	buffer_load_dword v133, v129, s[0:3], 0 offen
	buffer_load_dword v134, v129, s[0:3], 0 offen offset:4
	s_waitcnt vmcnt(2) lgkmcnt(0)
	v_mul_f64 v[136:137], v[3:4], v[131:132]
	v_mul_f64 v[131:132], v[1:2], v[131:132]
	s_waitcnt vmcnt(0)
	v_fma_f64 v[1:2], v[1:2], v[133:134], -v[136:137]
	v_fma_f64 v[3:4], v[3:4], v[133:134], v[131:132]
.LBB125_176:
	s_and_saveexec_b32 s8, s4
	s_cbranch_execz .LBB125_186
; %bb.177:
	v_subrev_nc_u32_e32 v131, 49, v0
	v_cmp_lt_u32_e32 vcc_lo, 6, v131
	v_mov_b32_e32 v131, 48
	s_and_saveexec_b32 s4, vcc_lo
	s_cbranch_execz .LBB125_181
; %bb.178:
	v_and_b32_e32 v131, 56, v0
	s_mov_b32 s71, 48
	s_movk_i32 s73, 0x6e0
	s_mov_b32 s72, 0
	s_mov_b32 s74, s22
.LBB125_179:                            ; =>This Inner Loop Header: Depth=1
	v_mov_b32_e32 v134, s74
	s_add_i32 s71, s71, 8
	s_addk_i32 s74, 0x80
	v_cmp_eq_u32_e32 vcc_lo, s71, v131
	s_clause 0x1f
	buffer_load_dword v132, v134, s[0:3], 0 offen offset:8
	buffer_load_dword v133, v134, s[0:3], 0 offen offset:12
	buffer_load_dword v144, v134, s[0:3], 0 offen
	buffer_load_dword v145, v134, s[0:3], 0 offen offset:4
	buffer_load_dword v146, v134, s[0:3], 0 offen offset:24
	;; [unrolled: 1-line block ×29, first 2 shown]
	v_mov_b32_e32 v134, s73
	s_addk_i32 s73, 0x80
	s_or_b32 s72, vcc_lo, s72
	ds_read_b128 v[136:139], v134
	ds_read_b128 v[140:143], v134 offset:16
	s_waitcnt vmcnt(30) lgkmcnt(1)
	v_mul_f64 v[174:175], v[138:139], v[132:133]
	v_mul_f64 v[132:133], v[136:137], v[132:133]
	s_waitcnt vmcnt(26) lgkmcnt(0)
	v_mul_f64 v[176:177], v[142:143], v[146:147]
	v_mul_f64 v[178:179], v[140:141], v[146:147]
	v_fma_f64 v[174:175], v[136:137], v[144:145], -v[174:175]
	v_fma_f64 v[132:133], v[138:139], v[144:145], v[132:133]
	ds_read_b128 v[136:139], v134 offset:32
	ds_read_b128 v[144:147], v134 offset:48
	s_waitcnt vmcnt(24)
	v_fma_f64 v[140:141], v[140:141], v[148:149], -v[176:177]
	v_fma_f64 v[142:143], v[142:143], v[148:149], v[178:179]
	s_waitcnt vmcnt(22) lgkmcnt(1)
	v_mul_f64 v[180:181], v[138:139], v[150:151]
	v_mul_f64 v[150:151], v[136:137], v[150:151]
	v_add_f64 v[1:2], v[1:2], v[174:175]
	v_add_f64 v[3:4], v[3:4], v[132:133]
	s_waitcnt vmcnt(18) lgkmcnt(0)
	v_mul_f64 v[132:133], v[146:147], v[154:155]
	v_mul_f64 v[148:149], v[144:145], v[154:155]
	v_fma_f64 v[154:155], v[136:137], v[152:153], -v[180:181]
	v_fma_f64 v[150:151], v[138:139], v[152:153], v[150:151]
	v_add_f64 v[140:141], v[1:2], v[140:141]
	v_add_f64 v[142:143], v[3:4], v[142:143]
	ds_read_b128 v[1:4], v134 offset:64
	ds_read_b128 v[136:139], v134 offset:80
	s_waitcnt vmcnt(16)
	v_fma_f64 v[132:133], v[144:145], v[156:157], -v[132:133]
	v_fma_f64 v[144:145], v[146:147], v[156:157], v[148:149]
	s_waitcnt vmcnt(12) lgkmcnt(1)
	v_mul_f64 v[152:153], v[3:4], v[158:159]
	v_mul_f64 v[158:159], v[1:2], v[158:159]
	v_add_f64 v[140:141], v[140:141], v[154:155]
	v_add_f64 v[142:143], v[142:143], v[150:151]
	s_waitcnt vmcnt(10) lgkmcnt(0)
	v_mul_f64 v[146:147], v[138:139], v[160:161]
	v_mul_f64 v[148:149], v[136:137], v[160:161]
	s_waitcnt vmcnt(8)
	v_fma_f64 v[150:151], v[1:2], v[164:165], -v[152:153]
	v_fma_f64 v[152:153], v[3:4], v[164:165], v[158:159]
	v_add_f64 v[132:133], v[140:141], v[132:133]
	v_add_f64 v[144:145], v[142:143], v[144:145]
	ds_read_b128 v[1:4], v134 offset:96
	ds_read_b128 v[140:143], v134 offset:112
	v_fma_f64 v[136:137], v[136:137], v[162:163], -v[146:147]
	v_fma_f64 v[138:139], v[138:139], v[162:163], v[148:149]
	s_waitcnt vmcnt(4) lgkmcnt(1)
	v_mul_f64 v[154:155], v[3:4], v[166:167]
	v_mul_f64 v[156:157], v[1:2], v[166:167]
	v_add_f64 v[132:133], v[132:133], v[150:151]
	v_add_f64 v[144:145], v[144:145], v[152:153]
	s_waitcnt vmcnt(2) lgkmcnt(0)
	v_mul_f64 v[146:147], v[142:143], v[168:169]
	v_mul_f64 v[148:149], v[140:141], v[168:169]
	s_waitcnt vmcnt(0)
	v_fma_f64 v[1:2], v[1:2], v[172:173], -v[154:155]
	v_fma_f64 v[3:4], v[3:4], v[172:173], v[156:157]
	v_add_f64 v[132:133], v[132:133], v[136:137]
	v_add_f64 v[136:137], v[144:145], v[138:139]
	v_fma_f64 v[138:139], v[140:141], v[170:171], -v[146:147]
	v_fma_f64 v[140:141], v[142:143], v[170:171], v[148:149]
	v_add_f64 v[1:2], v[132:133], v[1:2]
	v_add_f64 v[3:4], v[136:137], v[3:4]
	;; [unrolled: 1-line block ×4, first 2 shown]
	s_andn2_b32 exec_lo, exec_lo, s72
	s_cbranch_execnz .LBB125_179
; %bb.180:
	s_or_b32 exec_lo, exec_lo, s72
.LBB125_181:
	s_or_b32 exec_lo, exec_lo, s4
	v_and_b32_e32 v132, 7, v0
	s_mov_b32 s71, 0
	s_mov_b32 s4, exec_lo
	v_cmpx_ne_u32_e32 0, v132
	s_cbranch_execz .LBB125_185
; %bb.182:
	v_lshlrev_b32_e32 v133, 4, v131
	v_add_nc_u32_e32 v131, 0x3e0, v133
	.p2align	6
.LBB125_183:                            ; =>This Inner Loop Header: Depth=1
	s_clause 0x3
	buffer_load_dword v140, v133, s[0:3], 0 offen offset:8
	buffer_load_dword v141, v133, s[0:3], 0 offen offset:12
	buffer_load_dword v142, v133, s[0:3], 0 offen
	buffer_load_dword v143, v133, s[0:3], 0 offen offset:4
	ds_read_b128 v[136:139], v131
	v_add_nc_u32_e32 v132, -1, v132
	v_add_nc_u32_e32 v131, 16, v131
	v_add_nc_u32_e32 v133, 16, v133
	v_cmp_eq_u32_e32 vcc_lo, 0, v132
	s_or_b32 s71, vcc_lo, s71
	s_waitcnt vmcnt(2) lgkmcnt(0)
	v_mul_f64 v[144:145], v[138:139], v[140:141]
	v_mul_f64 v[140:141], v[136:137], v[140:141]
	s_waitcnt vmcnt(0)
	v_fma_f64 v[136:137], v[136:137], v[142:143], -v[144:145]
	v_fma_f64 v[138:139], v[138:139], v[142:143], v[140:141]
	v_add_f64 v[1:2], v[1:2], v[136:137]
	v_add_f64 v[3:4], v[3:4], v[138:139]
	s_andn2_b32 exec_lo, exec_lo, s71
	s_cbranch_execnz .LBB125_183
; %bb.184:
	s_or_b32 exec_lo, exec_lo, s71
.LBB125_185:
	s_or_b32 exec_lo, exec_lo, s4
.LBB125_186:
	s_or_b32 exec_lo, exec_lo, s8
	v_mov_b32_e32 v131, 0
	ds_read_b128 v[131:134], v131 offset:752
	s_waitcnt lgkmcnt(0)
	v_mul_f64 v[136:137], v[3:4], v[133:134]
	v_mul_f64 v[133:134], v[1:2], v[133:134]
	v_fma_f64 v[1:2], v[1:2], v[131:132], -v[136:137]
	v_fma_f64 v[3:4], v[3:4], v[131:132], v[133:134]
	buffer_store_dword v2, off, s[0:3], 0 offset:756
	buffer_store_dword v1, off, s[0:3], 0 offset:752
	;; [unrolled: 1-line block ×4, first 2 shown]
.LBB125_187:
	s_or_b32 exec_lo, exec_lo, s6
	v_mov_b32_e32 v4, s24
	v_cmp_lt_u32_e64 s4, 46, v0
	s_clause 0x3
	buffer_load_dword v1, v4, s[0:3], 0 offen
	buffer_load_dword v2, v4, s[0:3], 0 offen offset:4
	buffer_load_dword v3, v4, s[0:3], 0 offen offset:8
	;; [unrolled: 1-line block ×3, first 2 shown]
	s_waitcnt vmcnt(0)
	ds_write_b128 v130, v[1:4]
	s_waitcnt lgkmcnt(0)
	s_waitcnt_vscnt null, 0x0
	s_barrier
	buffer_gl0_inv
	s_and_saveexec_b32 s6, s4
	s_cbranch_execz .LBB125_201
; %bb.188:
	ds_read_b128 v[1:4], v130
	s_andn2_b32 vcc_lo, exec_lo, s7
	s_cbranch_vccnz .LBB125_190
; %bb.189:
	s_clause 0x3
	buffer_load_dword v131, v129, s[0:3], 0 offen offset:8
	buffer_load_dword v132, v129, s[0:3], 0 offen offset:12
	buffer_load_dword v133, v129, s[0:3], 0 offen
	buffer_load_dword v134, v129, s[0:3], 0 offen offset:4
	s_waitcnt vmcnt(2) lgkmcnt(0)
	v_mul_f64 v[136:137], v[3:4], v[131:132]
	v_mul_f64 v[131:132], v[1:2], v[131:132]
	s_waitcnt vmcnt(0)
	v_fma_f64 v[1:2], v[1:2], v[133:134], -v[136:137]
	v_fma_f64 v[3:4], v[3:4], v[133:134], v[131:132]
.LBB125_190:
	s_and_saveexec_b32 s8, s5
	s_cbranch_execz .LBB125_200
; %bb.191:
	v_subrev_nc_u32_e32 v132, 48, v0
	v_mov_b32_e32 v133, 47
	v_subrev_nc_u32_e32 v131, 47, v0
	s_mov_b32 s5, exec_lo
	v_cmpx_lt_u32_e32 6, v132
	s_cbranch_execz .LBB125_195
; %bb.192:
	v_and_b32_e32 v132, -8, v131
	s_movk_i32 s72, 0x6d0
	s_mov_b32 s71, 0
	s_mov_b32 s73, s23
	;; [unrolled: 1-line block ×3, first 2 shown]
.LBB125_193:                            ; =>This Inner Loop Header: Depth=1
	v_mov_b32_e32 v136, s73
	v_mov_b32_e32 v182, s72
	s_add_i32 s75, s74, 8
	s_add_i32 s74, s74, 55
	v_cmp_eq_u32_e32 vcc_lo, s75, v132
	s_clause 0x1f
	buffer_load_dword v133, v136, s[0:3], 0 offen offset:8
	buffer_load_dword v134, v136, s[0:3], 0 offen offset:12
	buffer_load_dword v144, v136, s[0:3], 0 offen
	buffer_load_dword v145, v136, s[0:3], 0 offen offset:4
	buffer_load_dword v146, v136, s[0:3], 0 offen offset:24
	;; [unrolled: 1-line block ×29, first 2 shown]
	ds_read_b128 v[136:139], v182
	ds_read_b128 v[140:143], v182 offset:16
	s_addk_i32 s72, 0x80
	s_addk_i32 s73, 0x80
	s_or_b32 s71, vcc_lo, s71
	s_waitcnt vmcnt(30) lgkmcnt(1)
	v_mul_f64 v[174:175], v[138:139], v[133:134]
	v_mul_f64 v[133:134], v[136:137], v[133:134]
	s_waitcnt vmcnt(26) lgkmcnt(0)
	v_mul_f64 v[176:177], v[142:143], v[146:147]
	v_mul_f64 v[178:179], v[140:141], v[146:147]
	v_fma_f64 v[174:175], v[136:137], v[144:145], -v[174:175]
	v_fma_f64 v[133:134], v[138:139], v[144:145], v[133:134]
	ds_read_b128 v[136:139], v182 offset:32
	ds_read_b128 v[144:147], v182 offset:48
	s_waitcnt vmcnt(24)
	v_fma_f64 v[140:141], v[140:141], v[148:149], -v[176:177]
	v_fma_f64 v[142:143], v[142:143], v[148:149], v[178:179]
	s_waitcnt vmcnt(22) lgkmcnt(1)
	v_mul_f64 v[180:181], v[138:139], v[150:151]
	v_mul_f64 v[150:151], v[136:137], v[150:151]
	v_add_f64 v[1:2], v[1:2], v[174:175]
	v_add_f64 v[3:4], v[3:4], v[133:134]
	s_waitcnt vmcnt(18) lgkmcnt(0)
	v_mul_f64 v[133:134], v[146:147], v[154:155]
	v_mul_f64 v[148:149], v[144:145], v[154:155]
	v_fma_f64 v[154:155], v[136:137], v[152:153], -v[180:181]
	v_fma_f64 v[150:151], v[138:139], v[152:153], v[150:151]
	v_add_f64 v[140:141], v[1:2], v[140:141]
	v_add_f64 v[142:143], v[3:4], v[142:143]
	ds_read_b128 v[1:4], v182 offset:64
	ds_read_b128 v[136:139], v182 offset:80
	s_waitcnt vmcnt(16)
	v_fma_f64 v[133:134], v[144:145], v[156:157], -v[133:134]
	v_fma_f64 v[144:145], v[146:147], v[156:157], v[148:149]
	s_waitcnt vmcnt(12) lgkmcnt(1)
	v_mul_f64 v[152:153], v[3:4], v[158:159]
	v_mul_f64 v[158:159], v[1:2], v[158:159]
	v_add_f64 v[140:141], v[140:141], v[154:155]
	v_add_f64 v[142:143], v[142:143], v[150:151]
	s_waitcnt vmcnt(10) lgkmcnt(0)
	v_mul_f64 v[146:147], v[138:139], v[160:161]
	v_mul_f64 v[148:149], v[136:137], v[160:161]
	s_waitcnt vmcnt(8)
	v_fma_f64 v[150:151], v[1:2], v[164:165], -v[152:153]
	v_fma_f64 v[152:153], v[3:4], v[164:165], v[158:159]
	v_add_f64 v[133:134], v[140:141], v[133:134]
	v_add_f64 v[144:145], v[142:143], v[144:145]
	ds_read_b128 v[1:4], v182 offset:96
	ds_read_b128 v[140:143], v182 offset:112
	v_fma_f64 v[136:137], v[136:137], v[162:163], -v[146:147]
	v_fma_f64 v[138:139], v[138:139], v[162:163], v[148:149]
	s_waitcnt vmcnt(4) lgkmcnt(1)
	v_mul_f64 v[154:155], v[3:4], v[166:167]
	v_mul_f64 v[156:157], v[1:2], v[166:167]
	v_add_f64 v[133:134], v[133:134], v[150:151]
	v_add_f64 v[144:145], v[144:145], v[152:153]
	s_waitcnt vmcnt(2) lgkmcnt(0)
	v_mul_f64 v[146:147], v[142:143], v[168:169]
	v_mul_f64 v[148:149], v[140:141], v[168:169]
	s_waitcnt vmcnt(0)
	v_fma_f64 v[1:2], v[1:2], v[172:173], -v[154:155]
	v_fma_f64 v[3:4], v[3:4], v[172:173], v[156:157]
	v_add_f64 v[133:134], v[133:134], v[136:137]
	v_add_f64 v[136:137], v[144:145], v[138:139]
	v_fma_f64 v[138:139], v[140:141], v[170:171], -v[146:147]
	v_fma_f64 v[140:141], v[142:143], v[170:171], v[148:149]
	v_add_f64 v[1:2], v[133:134], v[1:2]
	v_add_f64 v[3:4], v[136:137], v[3:4]
	v_mov_b32_e32 v133, s74
	s_mov_b32 s74, s75
	v_add_f64 v[1:2], v[1:2], v[138:139]
	v_add_f64 v[3:4], v[3:4], v[140:141]
	s_andn2_b32 exec_lo, exec_lo, s71
	s_cbranch_execnz .LBB125_193
; %bb.194:
	s_or_b32 exec_lo, exec_lo, s71
.LBB125_195:
	s_or_b32 exec_lo, exec_lo, s5
	v_and_b32_e32 v131, 7, v131
	s_mov_b32 s71, 0
	s_mov_b32 s5, exec_lo
	v_cmpx_ne_u32_e32 0, v131
	s_cbranch_execz .LBB125_199
; %bb.196:
	v_lshlrev_b32_e32 v133, 4, v133
	v_add_nc_u32_e32 v132, 0x3e0, v133
	.p2align	6
.LBB125_197:                            ; =>This Inner Loop Header: Depth=1
	s_clause 0x3
	buffer_load_dword v140, v133, s[0:3], 0 offen offset:8
	buffer_load_dword v141, v133, s[0:3], 0 offen offset:12
	buffer_load_dword v142, v133, s[0:3], 0 offen
	buffer_load_dword v143, v133, s[0:3], 0 offen offset:4
	ds_read_b128 v[136:139], v132
	v_add_nc_u32_e32 v131, -1, v131
	v_add_nc_u32_e32 v132, 16, v132
	v_add_nc_u32_e32 v133, 16, v133
	v_cmp_eq_u32_e32 vcc_lo, 0, v131
	s_or_b32 s71, vcc_lo, s71
	s_waitcnt vmcnt(2) lgkmcnt(0)
	v_mul_f64 v[144:145], v[138:139], v[140:141]
	v_mul_f64 v[140:141], v[136:137], v[140:141]
	s_waitcnt vmcnt(0)
	v_fma_f64 v[136:137], v[136:137], v[142:143], -v[144:145]
	v_fma_f64 v[138:139], v[138:139], v[142:143], v[140:141]
	v_add_f64 v[1:2], v[1:2], v[136:137]
	v_add_f64 v[3:4], v[3:4], v[138:139]
	s_andn2_b32 exec_lo, exec_lo, s71
	s_cbranch_execnz .LBB125_197
; %bb.198:
	s_or_b32 exec_lo, exec_lo, s71
.LBB125_199:
	s_or_b32 exec_lo, exec_lo, s5
.LBB125_200:
	s_or_b32 exec_lo, exec_lo, s8
	v_mov_b32_e32 v131, 0
	ds_read_b128 v[131:134], v131 offset:736
	s_waitcnt lgkmcnt(0)
	v_mul_f64 v[136:137], v[3:4], v[133:134]
	v_mul_f64 v[133:134], v[1:2], v[133:134]
	v_fma_f64 v[1:2], v[1:2], v[131:132], -v[136:137]
	v_fma_f64 v[3:4], v[3:4], v[131:132], v[133:134]
	buffer_store_dword v2, off, s[0:3], 0 offset:740
	buffer_store_dword v1, off, s[0:3], 0 offset:736
	;; [unrolled: 1-line block ×4, first 2 shown]
.LBB125_201:
	s_or_b32 exec_lo, exec_lo, s6
	v_mov_b32_e32 v4, s25
	v_cmp_lt_u32_e64 s5, 45, v0
	s_clause 0x3
	buffer_load_dword v1, v4, s[0:3], 0 offen
	buffer_load_dword v2, v4, s[0:3], 0 offen offset:4
	buffer_load_dword v3, v4, s[0:3], 0 offen offset:8
	;; [unrolled: 1-line block ×3, first 2 shown]
	s_waitcnt vmcnt(0)
	ds_write_b128 v130, v[1:4]
	s_waitcnt lgkmcnt(0)
	s_waitcnt_vscnt null, 0x0
	s_barrier
	buffer_gl0_inv
	s_and_saveexec_b32 s6, s5
	s_cbranch_execz .LBB125_215
; %bb.202:
	ds_read_b128 v[1:4], v130
	s_andn2_b32 vcc_lo, exec_lo, s7
	s_cbranch_vccnz .LBB125_204
; %bb.203:
	s_clause 0x3
	buffer_load_dword v131, v129, s[0:3], 0 offen offset:8
	buffer_load_dword v132, v129, s[0:3], 0 offen offset:12
	buffer_load_dword v133, v129, s[0:3], 0 offen
	buffer_load_dword v134, v129, s[0:3], 0 offen offset:4
	s_waitcnt vmcnt(2) lgkmcnt(0)
	v_mul_f64 v[136:137], v[3:4], v[131:132]
	v_mul_f64 v[131:132], v[1:2], v[131:132]
	s_waitcnt vmcnt(0)
	v_fma_f64 v[1:2], v[1:2], v[133:134], -v[136:137]
	v_fma_f64 v[3:4], v[3:4], v[133:134], v[131:132]
.LBB125_204:
	s_and_saveexec_b32 s8, s4
	s_cbranch_execz .LBB125_214
; %bb.205:
	v_subrev_nc_u32_e32 v132, 47, v0
	v_mov_b32_e32 v133, 46
	v_subrev_nc_u32_e32 v131, 46, v0
	s_mov_b32 s4, exec_lo
	v_cmpx_lt_u32_e32 6, v132
	s_cbranch_execz .LBB125_209
; %bb.206:
	v_and_b32_e32 v132, -8, v131
	s_movk_i32 s72, 0x6c0
	s_mov_b32 s71, 0
	s_mov_b32 s73, s24
	;; [unrolled: 1-line block ×3, first 2 shown]
.LBB125_207:                            ; =>This Inner Loop Header: Depth=1
	v_mov_b32_e32 v136, s73
	v_mov_b32_e32 v182, s72
	s_add_i32 s75, s74, 8
	s_add_i32 s74, s74, 54
	v_cmp_eq_u32_e32 vcc_lo, s75, v132
	s_clause 0x1f
	buffer_load_dword v133, v136, s[0:3], 0 offen offset:8
	buffer_load_dword v134, v136, s[0:3], 0 offen offset:12
	buffer_load_dword v144, v136, s[0:3], 0 offen
	buffer_load_dword v145, v136, s[0:3], 0 offen offset:4
	buffer_load_dword v146, v136, s[0:3], 0 offen offset:24
	;; [unrolled: 1-line block ×29, first 2 shown]
	ds_read_b128 v[136:139], v182
	ds_read_b128 v[140:143], v182 offset:16
	s_addk_i32 s72, 0x80
	s_addk_i32 s73, 0x80
	s_or_b32 s71, vcc_lo, s71
	s_waitcnt vmcnt(30) lgkmcnt(1)
	v_mul_f64 v[174:175], v[138:139], v[133:134]
	v_mul_f64 v[133:134], v[136:137], v[133:134]
	s_waitcnt vmcnt(26) lgkmcnt(0)
	v_mul_f64 v[176:177], v[142:143], v[146:147]
	v_mul_f64 v[178:179], v[140:141], v[146:147]
	v_fma_f64 v[174:175], v[136:137], v[144:145], -v[174:175]
	v_fma_f64 v[133:134], v[138:139], v[144:145], v[133:134]
	ds_read_b128 v[136:139], v182 offset:32
	ds_read_b128 v[144:147], v182 offset:48
	s_waitcnt vmcnt(24)
	v_fma_f64 v[140:141], v[140:141], v[148:149], -v[176:177]
	v_fma_f64 v[142:143], v[142:143], v[148:149], v[178:179]
	s_waitcnt vmcnt(22) lgkmcnt(1)
	v_mul_f64 v[180:181], v[138:139], v[150:151]
	v_mul_f64 v[150:151], v[136:137], v[150:151]
	v_add_f64 v[1:2], v[1:2], v[174:175]
	v_add_f64 v[3:4], v[3:4], v[133:134]
	s_waitcnt vmcnt(18) lgkmcnt(0)
	v_mul_f64 v[133:134], v[146:147], v[154:155]
	v_mul_f64 v[148:149], v[144:145], v[154:155]
	v_fma_f64 v[154:155], v[136:137], v[152:153], -v[180:181]
	v_fma_f64 v[150:151], v[138:139], v[152:153], v[150:151]
	v_add_f64 v[140:141], v[1:2], v[140:141]
	v_add_f64 v[142:143], v[3:4], v[142:143]
	ds_read_b128 v[1:4], v182 offset:64
	ds_read_b128 v[136:139], v182 offset:80
	s_waitcnt vmcnt(16)
	v_fma_f64 v[133:134], v[144:145], v[156:157], -v[133:134]
	v_fma_f64 v[144:145], v[146:147], v[156:157], v[148:149]
	s_waitcnt vmcnt(12) lgkmcnt(1)
	v_mul_f64 v[152:153], v[3:4], v[158:159]
	v_mul_f64 v[158:159], v[1:2], v[158:159]
	v_add_f64 v[140:141], v[140:141], v[154:155]
	v_add_f64 v[142:143], v[142:143], v[150:151]
	s_waitcnt vmcnt(10) lgkmcnt(0)
	v_mul_f64 v[146:147], v[138:139], v[160:161]
	v_mul_f64 v[148:149], v[136:137], v[160:161]
	s_waitcnt vmcnt(8)
	v_fma_f64 v[150:151], v[1:2], v[164:165], -v[152:153]
	v_fma_f64 v[152:153], v[3:4], v[164:165], v[158:159]
	v_add_f64 v[133:134], v[140:141], v[133:134]
	v_add_f64 v[144:145], v[142:143], v[144:145]
	ds_read_b128 v[1:4], v182 offset:96
	ds_read_b128 v[140:143], v182 offset:112
	v_fma_f64 v[136:137], v[136:137], v[162:163], -v[146:147]
	v_fma_f64 v[138:139], v[138:139], v[162:163], v[148:149]
	s_waitcnt vmcnt(4) lgkmcnt(1)
	v_mul_f64 v[154:155], v[3:4], v[166:167]
	v_mul_f64 v[156:157], v[1:2], v[166:167]
	v_add_f64 v[133:134], v[133:134], v[150:151]
	v_add_f64 v[144:145], v[144:145], v[152:153]
	s_waitcnt vmcnt(2) lgkmcnt(0)
	v_mul_f64 v[146:147], v[142:143], v[168:169]
	v_mul_f64 v[148:149], v[140:141], v[168:169]
	s_waitcnt vmcnt(0)
	v_fma_f64 v[1:2], v[1:2], v[172:173], -v[154:155]
	v_fma_f64 v[3:4], v[3:4], v[172:173], v[156:157]
	v_add_f64 v[133:134], v[133:134], v[136:137]
	v_add_f64 v[136:137], v[144:145], v[138:139]
	v_fma_f64 v[138:139], v[140:141], v[170:171], -v[146:147]
	v_fma_f64 v[140:141], v[142:143], v[170:171], v[148:149]
	v_add_f64 v[1:2], v[133:134], v[1:2]
	v_add_f64 v[3:4], v[136:137], v[3:4]
	v_mov_b32_e32 v133, s74
	s_mov_b32 s74, s75
	v_add_f64 v[1:2], v[1:2], v[138:139]
	v_add_f64 v[3:4], v[3:4], v[140:141]
	s_andn2_b32 exec_lo, exec_lo, s71
	s_cbranch_execnz .LBB125_207
; %bb.208:
	s_or_b32 exec_lo, exec_lo, s71
.LBB125_209:
	s_or_b32 exec_lo, exec_lo, s4
	v_and_b32_e32 v131, 7, v131
	s_mov_b32 s71, 0
	s_mov_b32 s4, exec_lo
	v_cmpx_ne_u32_e32 0, v131
	s_cbranch_execz .LBB125_213
; %bb.210:
	v_lshlrev_b32_e32 v133, 4, v133
	v_add_nc_u32_e32 v132, 0x3e0, v133
	.p2align	6
.LBB125_211:                            ; =>This Inner Loop Header: Depth=1
	s_clause 0x3
	buffer_load_dword v140, v133, s[0:3], 0 offen offset:8
	buffer_load_dword v141, v133, s[0:3], 0 offen offset:12
	buffer_load_dword v142, v133, s[0:3], 0 offen
	buffer_load_dword v143, v133, s[0:3], 0 offen offset:4
	ds_read_b128 v[136:139], v132
	v_add_nc_u32_e32 v131, -1, v131
	v_add_nc_u32_e32 v132, 16, v132
	v_add_nc_u32_e32 v133, 16, v133
	v_cmp_eq_u32_e32 vcc_lo, 0, v131
	s_or_b32 s71, vcc_lo, s71
	s_waitcnt vmcnt(2) lgkmcnt(0)
	v_mul_f64 v[144:145], v[138:139], v[140:141]
	v_mul_f64 v[140:141], v[136:137], v[140:141]
	s_waitcnt vmcnt(0)
	v_fma_f64 v[136:137], v[136:137], v[142:143], -v[144:145]
	v_fma_f64 v[138:139], v[138:139], v[142:143], v[140:141]
	v_add_f64 v[1:2], v[1:2], v[136:137]
	v_add_f64 v[3:4], v[3:4], v[138:139]
	s_andn2_b32 exec_lo, exec_lo, s71
	s_cbranch_execnz .LBB125_211
; %bb.212:
	s_or_b32 exec_lo, exec_lo, s71
.LBB125_213:
	s_or_b32 exec_lo, exec_lo, s4
.LBB125_214:
	s_or_b32 exec_lo, exec_lo, s8
	v_mov_b32_e32 v131, 0
	ds_read_b128 v[131:134], v131 offset:720
	s_waitcnt lgkmcnt(0)
	v_mul_f64 v[136:137], v[3:4], v[133:134]
	v_mul_f64 v[133:134], v[1:2], v[133:134]
	v_fma_f64 v[1:2], v[1:2], v[131:132], -v[136:137]
	v_fma_f64 v[3:4], v[3:4], v[131:132], v[133:134]
	buffer_store_dword v2, off, s[0:3], 0 offset:724
	buffer_store_dword v1, off, s[0:3], 0 offset:720
	;; [unrolled: 1-line block ×4, first 2 shown]
.LBB125_215:
	s_or_b32 exec_lo, exec_lo, s6
	v_mov_b32_e32 v4, s26
	v_cmp_lt_u32_e64 s4, 44, v0
	s_clause 0x3
	buffer_load_dword v1, v4, s[0:3], 0 offen
	buffer_load_dword v2, v4, s[0:3], 0 offen offset:4
	buffer_load_dword v3, v4, s[0:3], 0 offen offset:8
	;; [unrolled: 1-line block ×3, first 2 shown]
	s_waitcnt vmcnt(0)
	ds_write_b128 v130, v[1:4]
	s_waitcnt lgkmcnt(0)
	s_waitcnt_vscnt null, 0x0
	s_barrier
	buffer_gl0_inv
	s_and_saveexec_b32 s6, s4
	s_cbranch_execz .LBB125_229
; %bb.216:
	ds_read_b128 v[1:4], v130
	s_andn2_b32 vcc_lo, exec_lo, s7
	s_cbranch_vccnz .LBB125_218
; %bb.217:
	s_clause 0x3
	buffer_load_dword v131, v129, s[0:3], 0 offen offset:8
	buffer_load_dword v132, v129, s[0:3], 0 offen offset:12
	buffer_load_dword v133, v129, s[0:3], 0 offen
	buffer_load_dword v134, v129, s[0:3], 0 offen offset:4
	s_waitcnt vmcnt(2) lgkmcnt(0)
	v_mul_f64 v[136:137], v[3:4], v[131:132]
	v_mul_f64 v[131:132], v[1:2], v[131:132]
	s_waitcnt vmcnt(0)
	v_fma_f64 v[1:2], v[1:2], v[133:134], -v[136:137]
	v_fma_f64 v[3:4], v[3:4], v[133:134], v[131:132]
.LBB125_218:
	s_and_saveexec_b32 s8, s5
	s_cbranch_execz .LBB125_228
; %bb.219:
	v_subrev_nc_u32_e32 v132, 46, v0
	v_mov_b32_e32 v133, 45
	v_subrev_nc_u32_e32 v131, 45, v0
	s_mov_b32 s5, exec_lo
	v_cmpx_lt_u32_e32 6, v132
	s_cbranch_execz .LBB125_223
; %bb.220:
	v_and_b32_e32 v132, -8, v131
	s_movk_i32 s72, 0x6b0
	s_mov_b32 s71, 0
	s_mov_b32 s73, s25
	;; [unrolled: 1-line block ×3, first 2 shown]
.LBB125_221:                            ; =>This Inner Loop Header: Depth=1
	v_mov_b32_e32 v136, s73
	v_mov_b32_e32 v182, s72
	s_add_i32 s75, s74, 8
	s_add_i32 s74, s74, 53
	v_cmp_eq_u32_e32 vcc_lo, s75, v132
	s_clause 0x1f
	buffer_load_dword v133, v136, s[0:3], 0 offen offset:8
	buffer_load_dword v134, v136, s[0:3], 0 offen offset:12
	buffer_load_dword v144, v136, s[0:3], 0 offen
	buffer_load_dword v145, v136, s[0:3], 0 offen offset:4
	buffer_load_dword v146, v136, s[0:3], 0 offen offset:24
	;; [unrolled: 1-line block ×29, first 2 shown]
	ds_read_b128 v[136:139], v182
	ds_read_b128 v[140:143], v182 offset:16
	s_addk_i32 s72, 0x80
	s_addk_i32 s73, 0x80
	s_or_b32 s71, vcc_lo, s71
	s_waitcnt vmcnt(30) lgkmcnt(1)
	v_mul_f64 v[174:175], v[138:139], v[133:134]
	v_mul_f64 v[133:134], v[136:137], v[133:134]
	s_waitcnt vmcnt(26) lgkmcnt(0)
	v_mul_f64 v[176:177], v[142:143], v[146:147]
	v_mul_f64 v[178:179], v[140:141], v[146:147]
	v_fma_f64 v[174:175], v[136:137], v[144:145], -v[174:175]
	v_fma_f64 v[133:134], v[138:139], v[144:145], v[133:134]
	ds_read_b128 v[136:139], v182 offset:32
	ds_read_b128 v[144:147], v182 offset:48
	s_waitcnt vmcnt(24)
	v_fma_f64 v[140:141], v[140:141], v[148:149], -v[176:177]
	v_fma_f64 v[142:143], v[142:143], v[148:149], v[178:179]
	s_waitcnt vmcnt(22) lgkmcnt(1)
	v_mul_f64 v[180:181], v[138:139], v[150:151]
	v_mul_f64 v[150:151], v[136:137], v[150:151]
	v_add_f64 v[1:2], v[1:2], v[174:175]
	v_add_f64 v[3:4], v[3:4], v[133:134]
	s_waitcnt vmcnt(18) lgkmcnt(0)
	v_mul_f64 v[133:134], v[146:147], v[154:155]
	v_mul_f64 v[148:149], v[144:145], v[154:155]
	v_fma_f64 v[154:155], v[136:137], v[152:153], -v[180:181]
	v_fma_f64 v[150:151], v[138:139], v[152:153], v[150:151]
	v_add_f64 v[140:141], v[1:2], v[140:141]
	v_add_f64 v[142:143], v[3:4], v[142:143]
	ds_read_b128 v[1:4], v182 offset:64
	ds_read_b128 v[136:139], v182 offset:80
	s_waitcnt vmcnt(16)
	v_fma_f64 v[133:134], v[144:145], v[156:157], -v[133:134]
	v_fma_f64 v[144:145], v[146:147], v[156:157], v[148:149]
	s_waitcnt vmcnt(12) lgkmcnt(1)
	v_mul_f64 v[152:153], v[3:4], v[158:159]
	v_mul_f64 v[158:159], v[1:2], v[158:159]
	v_add_f64 v[140:141], v[140:141], v[154:155]
	v_add_f64 v[142:143], v[142:143], v[150:151]
	s_waitcnt vmcnt(10) lgkmcnt(0)
	v_mul_f64 v[146:147], v[138:139], v[160:161]
	v_mul_f64 v[148:149], v[136:137], v[160:161]
	s_waitcnt vmcnt(8)
	v_fma_f64 v[150:151], v[1:2], v[164:165], -v[152:153]
	v_fma_f64 v[152:153], v[3:4], v[164:165], v[158:159]
	v_add_f64 v[133:134], v[140:141], v[133:134]
	v_add_f64 v[144:145], v[142:143], v[144:145]
	ds_read_b128 v[1:4], v182 offset:96
	ds_read_b128 v[140:143], v182 offset:112
	v_fma_f64 v[136:137], v[136:137], v[162:163], -v[146:147]
	v_fma_f64 v[138:139], v[138:139], v[162:163], v[148:149]
	s_waitcnt vmcnt(4) lgkmcnt(1)
	v_mul_f64 v[154:155], v[3:4], v[166:167]
	v_mul_f64 v[156:157], v[1:2], v[166:167]
	v_add_f64 v[133:134], v[133:134], v[150:151]
	v_add_f64 v[144:145], v[144:145], v[152:153]
	s_waitcnt vmcnt(2) lgkmcnt(0)
	v_mul_f64 v[146:147], v[142:143], v[168:169]
	v_mul_f64 v[148:149], v[140:141], v[168:169]
	s_waitcnt vmcnt(0)
	v_fma_f64 v[1:2], v[1:2], v[172:173], -v[154:155]
	v_fma_f64 v[3:4], v[3:4], v[172:173], v[156:157]
	v_add_f64 v[133:134], v[133:134], v[136:137]
	v_add_f64 v[136:137], v[144:145], v[138:139]
	v_fma_f64 v[138:139], v[140:141], v[170:171], -v[146:147]
	v_fma_f64 v[140:141], v[142:143], v[170:171], v[148:149]
	v_add_f64 v[1:2], v[133:134], v[1:2]
	v_add_f64 v[3:4], v[136:137], v[3:4]
	v_mov_b32_e32 v133, s74
	s_mov_b32 s74, s75
	v_add_f64 v[1:2], v[1:2], v[138:139]
	v_add_f64 v[3:4], v[3:4], v[140:141]
	s_andn2_b32 exec_lo, exec_lo, s71
	s_cbranch_execnz .LBB125_221
; %bb.222:
	s_or_b32 exec_lo, exec_lo, s71
.LBB125_223:
	s_or_b32 exec_lo, exec_lo, s5
	v_and_b32_e32 v131, 7, v131
	s_mov_b32 s71, 0
	s_mov_b32 s5, exec_lo
	v_cmpx_ne_u32_e32 0, v131
	s_cbranch_execz .LBB125_227
; %bb.224:
	v_lshlrev_b32_e32 v133, 4, v133
	v_add_nc_u32_e32 v132, 0x3e0, v133
	.p2align	6
.LBB125_225:                            ; =>This Inner Loop Header: Depth=1
	s_clause 0x3
	buffer_load_dword v140, v133, s[0:3], 0 offen offset:8
	buffer_load_dword v141, v133, s[0:3], 0 offen offset:12
	buffer_load_dword v142, v133, s[0:3], 0 offen
	buffer_load_dword v143, v133, s[0:3], 0 offen offset:4
	ds_read_b128 v[136:139], v132
	v_add_nc_u32_e32 v131, -1, v131
	v_add_nc_u32_e32 v132, 16, v132
	v_add_nc_u32_e32 v133, 16, v133
	v_cmp_eq_u32_e32 vcc_lo, 0, v131
	s_or_b32 s71, vcc_lo, s71
	s_waitcnt vmcnt(2) lgkmcnt(0)
	v_mul_f64 v[144:145], v[138:139], v[140:141]
	v_mul_f64 v[140:141], v[136:137], v[140:141]
	s_waitcnt vmcnt(0)
	v_fma_f64 v[136:137], v[136:137], v[142:143], -v[144:145]
	v_fma_f64 v[138:139], v[138:139], v[142:143], v[140:141]
	v_add_f64 v[1:2], v[1:2], v[136:137]
	v_add_f64 v[3:4], v[3:4], v[138:139]
	s_andn2_b32 exec_lo, exec_lo, s71
	s_cbranch_execnz .LBB125_225
; %bb.226:
	s_or_b32 exec_lo, exec_lo, s71
.LBB125_227:
	s_or_b32 exec_lo, exec_lo, s5
.LBB125_228:
	s_or_b32 exec_lo, exec_lo, s8
	v_mov_b32_e32 v131, 0
	ds_read_b128 v[131:134], v131 offset:704
	s_waitcnt lgkmcnt(0)
	v_mul_f64 v[136:137], v[3:4], v[133:134]
	v_mul_f64 v[133:134], v[1:2], v[133:134]
	v_fma_f64 v[1:2], v[1:2], v[131:132], -v[136:137]
	v_fma_f64 v[3:4], v[3:4], v[131:132], v[133:134]
	buffer_store_dword v2, off, s[0:3], 0 offset:708
	buffer_store_dword v1, off, s[0:3], 0 offset:704
	;; [unrolled: 1-line block ×4, first 2 shown]
.LBB125_229:
	s_or_b32 exec_lo, exec_lo, s6
	v_mov_b32_e32 v4, s27
	v_cmp_lt_u32_e64 s5, 43, v0
	s_clause 0x3
	buffer_load_dword v1, v4, s[0:3], 0 offen
	buffer_load_dword v2, v4, s[0:3], 0 offen offset:4
	buffer_load_dword v3, v4, s[0:3], 0 offen offset:8
	;; [unrolled: 1-line block ×3, first 2 shown]
	s_waitcnt vmcnt(0)
	ds_write_b128 v130, v[1:4]
	s_waitcnt lgkmcnt(0)
	s_waitcnt_vscnt null, 0x0
	s_barrier
	buffer_gl0_inv
	s_and_saveexec_b32 s6, s5
	s_cbranch_execz .LBB125_243
; %bb.230:
	ds_read_b128 v[1:4], v130
	s_andn2_b32 vcc_lo, exec_lo, s7
	s_cbranch_vccnz .LBB125_232
; %bb.231:
	s_clause 0x3
	buffer_load_dword v131, v129, s[0:3], 0 offen offset:8
	buffer_load_dword v132, v129, s[0:3], 0 offen offset:12
	buffer_load_dword v133, v129, s[0:3], 0 offen
	buffer_load_dword v134, v129, s[0:3], 0 offen offset:4
	s_waitcnt vmcnt(2) lgkmcnt(0)
	v_mul_f64 v[136:137], v[3:4], v[131:132]
	v_mul_f64 v[131:132], v[1:2], v[131:132]
	s_waitcnt vmcnt(0)
	v_fma_f64 v[1:2], v[1:2], v[133:134], -v[136:137]
	v_fma_f64 v[3:4], v[3:4], v[133:134], v[131:132]
.LBB125_232:
	s_and_saveexec_b32 s8, s4
	s_cbranch_execz .LBB125_242
; %bb.233:
	v_subrev_nc_u32_e32 v132, 45, v0
	v_mov_b32_e32 v133, 44
	v_subrev_nc_u32_e32 v131, 44, v0
	s_mov_b32 s4, exec_lo
	v_cmpx_lt_u32_e32 6, v132
	s_cbranch_execz .LBB125_237
; %bb.234:
	v_and_b32_e32 v132, -8, v131
	s_movk_i32 s72, 0x6a0
	s_mov_b32 s71, 0
	s_mov_b32 s73, s26
	;; [unrolled: 1-line block ×3, first 2 shown]
.LBB125_235:                            ; =>This Inner Loop Header: Depth=1
	v_mov_b32_e32 v136, s73
	v_mov_b32_e32 v182, s72
	s_add_i32 s75, s74, 8
	s_add_i32 s74, s74, 52
	v_cmp_eq_u32_e32 vcc_lo, s75, v132
	s_clause 0x1f
	buffer_load_dword v133, v136, s[0:3], 0 offen offset:8
	buffer_load_dword v134, v136, s[0:3], 0 offen offset:12
	buffer_load_dword v144, v136, s[0:3], 0 offen
	buffer_load_dword v145, v136, s[0:3], 0 offen offset:4
	buffer_load_dword v146, v136, s[0:3], 0 offen offset:24
	;; [unrolled: 1-line block ×29, first 2 shown]
	ds_read_b128 v[136:139], v182
	ds_read_b128 v[140:143], v182 offset:16
	s_addk_i32 s72, 0x80
	s_addk_i32 s73, 0x80
	s_or_b32 s71, vcc_lo, s71
	s_waitcnt vmcnt(30) lgkmcnt(1)
	v_mul_f64 v[174:175], v[138:139], v[133:134]
	v_mul_f64 v[133:134], v[136:137], v[133:134]
	s_waitcnt vmcnt(26) lgkmcnt(0)
	v_mul_f64 v[176:177], v[142:143], v[146:147]
	v_mul_f64 v[178:179], v[140:141], v[146:147]
	v_fma_f64 v[174:175], v[136:137], v[144:145], -v[174:175]
	v_fma_f64 v[133:134], v[138:139], v[144:145], v[133:134]
	ds_read_b128 v[136:139], v182 offset:32
	ds_read_b128 v[144:147], v182 offset:48
	s_waitcnt vmcnt(24)
	v_fma_f64 v[140:141], v[140:141], v[148:149], -v[176:177]
	v_fma_f64 v[142:143], v[142:143], v[148:149], v[178:179]
	s_waitcnt vmcnt(22) lgkmcnt(1)
	v_mul_f64 v[180:181], v[138:139], v[150:151]
	v_mul_f64 v[150:151], v[136:137], v[150:151]
	v_add_f64 v[1:2], v[1:2], v[174:175]
	v_add_f64 v[3:4], v[3:4], v[133:134]
	s_waitcnt vmcnt(18) lgkmcnt(0)
	v_mul_f64 v[133:134], v[146:147], v[154:155]
	v_mul_f64 v[148:149], v[144:145], v[154:155]
	v_fma_f64 v[154:155], v[136:137], v[152:153], -v[180:181]
	v_fma_f64 v[150:151], v[138:139], v[152:153], v[150:151]
	v_add_f64 v[140:141], v[1:2], v[140:141]
	v_add_f64 v[142:143], v[3:4], v[142:143]
	ds_read_b128 v[1:4], v182 offset:64
	ds_read_b128 v[136:139], v182 offset:80
	s_waitcnt vmcnt(16)
	v_fma_f64 v[133:134], v[144:145], v[156:157], -v[133:134]
	v_fma_f64 v[144:145], v[146:147], v[156:157], v[148:149]
	s_waitcnt vmcnt(12) lgkmcnt(1)
	v_mul_f64 v[152:153], v[3:4], v[158:159]
	v_mul_f64 v[158:159], v[1:2], v[158:159]
	v_add_f64 v[140:141], v[140:141], v[154:155]
	v_add_f64 v[142:143], v[142:143], v[150:151]
	s_waitcnt vmcnt(10) lgkmcnt(0)
	v_mul_f64 v[146:147], v[138:139], v[160:161]
	v_mul_f64 v[148:149], v[136:137], v[160:161]
	s_waitcnt vmcnt(8)
	v_fma_f64 v[150:151], v[1:2], v[164:165], -v[152:153]
	v_fma_f64 v[152:153], v[3:4], v[164:165], v[158:159]
	v_add_f64 v[133:134], v[140:141], v[133:134]
	v_add_f64 v[144:145], v[142:143], v[144:145]
	ds_read_b128 v[1:4], v182 offset:96
	ds_read_b128 v[140:143], v182 offset:112
	v_fma_f64 v[136:137], v[136:137], v[162:163], -v[146:147]
	v_fma_f64 v[138:139], v[138:139], v[162:163], v[148:149]
	s_waitcnt vmcnt(4) lgkmcnt(1)
	v_mul_f64 v[154:155], v[3:4], v[166:167]
	v_mul_f64 v[156:157], v[1:2], v[166:167]
	v_add_f64 v[133:134], v[133:134], v[150:151]
	v_add_f64 v[144:145], v[144:145], v[152:153]
	s_waitcnt vmcnt(2) lgkmcnt(0)
	v_mul_f64 v[146:147], v[142:143], v[168:169]
	v_mul_f64 v[148:149], v[140:141], v[168:169]
	s_waitcnt vmcnt(0)
	v_fma_f64 v[1:2], v[1:2], v[172:173], -v[154:155]
	v_fma_f64 v[3:4], v[3:4], v[172:173], v[156:157]
	v_add_f64 v[133:134], v[133:134], v[136:137]
	v_add_f64 v[136:137], v[144:145], v[138:139]
	v_fma_f64 v[138:139], v[140:141], v[170:171], -v[146:147]
	v_fma_f64 v[140:141], v[142:143], v[170:171], v[148:149]
	v_add_f64 v[1:2], v[133:134], v[1:2]
	v_add_f64 v[3:4], v[136:137], v[3:4]
	v_mov_b32_e32 v133, s74
	s_mov_b32 s74, s75
	v_add_f64 v[1:2], v[1:2], v[138:139]
	v_add_f64 v[3:4], v[3:4], v[140:141]
	s_andn2_b32 exec_lo, exec_lo, s71
	s_cbranch_execnz .LBB125_235
; %bb.236:
	s_or_b32 exec_lo, exec_lo, s71
.LBB125_237:
	s_or_b32 exec_lo, exec_lo, s4
	v_and_b32_e32 v131, 7, v131
	s_mov_b32 s71, 0
	s_mov_b32 s4, exec_lo
	v_cmpx_ne_u32_e32 0, v131
	s_cbranch_execz .LBB125_241
; %bb.238:
	v_lshlrev_b32_e32 v133, 4, v133
	v_add_nc_u32_e32 v132, 0x3e0, v133
	.p2align	6
.LBB125_239:                            ; =>This Inner Loop Header: Depth=1
	s_clause 0x3
	buffer_load_dword v140, v133, s[0:3], 0 offen offset:8
	buffer_load_dword v141, v133, s[0:3], 0 offen offset:12
	buffer_load_dword v142, v133, s[0:3], 0 offen
	buffer_load_dword v143, v133, s[0:3], 0 offen offset:4
	ds_read_b128 v[136:139], v132
	v_add_nc_u32_e32 v131, -1, v131
	v_add_nc_u32_e32 v132, 16, v132
	v_add_nc_u32_e32 v133, 16, v133
	v_cmp_eq_u32_e32 vcc_lo, 0, v131
	s_or_b32 s71, vcc_lo, s71
	s_waitcnt vmcnt(2) lgkmcnt(0)
	v_mul_f64 v[144:145], v[138:139], v[140:141]
	v_mul_f64 v[140:141], v[136:137], v[140:141]
	s_waitcnt vmcnt(0)
	v_fma_f64 v[136:137], v[136:137], v[142:143], -v[144:145]
	v_fma_f64 v[138:139], v[138:139], v[142:143], v[140:141]
	v_add_f64 v[1:2], v[1:2], v[136:137]
	v_add_f64 v[3:4], v[3:4], v[138:139]
	s_andn2_b32 exec_lo, exec_lo, s71
	s_cbranch_execnz .LBB125_239
; %bb.240:
	s_or_b32 exec_lo, exec_lo, s71
.LBB125_241:
	s_or_b32 exec_lo, exec_lo, s4
.LBB125_242:
	s_or_b32 exec_lo, exec_lo, s8
	v_mov_b32_e32 v131, 0
	ds_read_b128 v[131:134], v131 offset:688
	s_waitcnt lgkmcnt(0)
	v_mul_f64 v[136:137], v[3:4], v[133:134]
	v_mul_f64 v[133:134], v[1:2], v[133:134]
	v_fma_f64 v[1:2], v[1:2], v[131:132], -v[136:137]
	v_fma_f64 v[3:4], v[3:4], v[131:132], v[133:134]
	buffer_store_dword v2, off, s[0:3], 0 offset:692
	buffer_store_dword v1, off, s[0:3], 0 offset:688
	;; [unrolled: 1-line block ×4, first 2 shown]
.LBB125_243:
	s_or_b32 exec_lo, exec_lo, s6
	v_mov_b32_e32 v4, s28
	v_cmp_lt_u32_e64 s4, 42, v0
	s_clause 0x3
	buffer_load_dword v1, v4, s[0:3], 0 offen
	buffer_load_dword v2, v4, s[0:3], 0 offen offset:4
	buffer_load_dword v3, v4, s[0:3], 0 offen offset:8
	;; [unrolled: 1-line block ×3, first 2 shown]
	s_waitcnt vmcnt(0)
	ds_write_b128 v130, v[1:4]
	s_waitcnt lgkmcnt(0)
	s_waitcnt_vscnt null, 0x0
	s_barrier
	buffer_gl0_inv
	s_and_saveexec_b32 s6, s4
	s_cbranch_execz .LBB125_257
; %bb.244:
	ds_read_b128 v[1:4], v130
	s_andn2_b32 vcc_lo, exec_lo, s7
	s_cbranch_vccnz .LBB125_246
; %bb.245:
	s_clause 0x3
	buffer_load_dword v131, v129, s[0:3], 0 offen offset:8
	buffer_load_dword v132, v129, s[0:3], 0 offen offset:12
	buffer_load_dword v133, v129, s[0:3], 0 offen
	buffer_load_dword v134, v129, s[0:3], 0 offen offset:4
	s_waitcnt vmcnt(2) lgkmcnt(0)
	v_mul_f64 v[136:137], v[3:4], v[131:132]
	v_mul_f64 v[131:132], v[1:2], v[131:132]
	s_waitcnt vmcnt(0)
	v_fma_f64 v[1:2], v[1:2], v[133:134], -v[136:137]
	v_fma_f64 v[3:4], v[3:4], v[133:134], v[131:132]
.LBB125_246:
	s_and_saveexec_b32 s8, s5
	s_cbranch_execz .LBB125_256
; %bb.247:
	v_subrev_nc_u32_e32 v132, 44, v0
	v_mov_b32_e32 v133, 43
	v_subrev_nc_u32_e32 v131, 43, v0
	s_mov_b32 s5, exec_lo
	v_cmpx_lt_u32_e32 6, v132
	s_cbranch_execz .LBB125_251
; %bb.248:
	v_and_b32_e32 v132, -8, v131
	s_movk_i32 s72, 0x690
	s_mov_b32 s71, 0
	s_mov_b32 s73, s27
	;; [unrolled: 1-line block ×3, first 2 shown]
.LBB125_249:                            ; =>This Inner Loop Header: Depth=1
	v_mov_b32_e32 v136, s73
	v_mov_b32_e32 v182, s72
	s_add_i32 s75, s74, 8
	s_add_i32 s74, s74, 51
	v_cmp_eq_u32_e32 vcc_lo, s75, v132
	s_clause 0x1f
	buffer_load_dword v133, v136, s[0:3], 0 offen offset:8
	buffer_load_dword v134, v136, s[0:3], 0 offen offset:12
	buffer_load_dword v144, v136, s[0:3], 0 offen
	buffer_load_dword v145, v136, s[0:3], 0 offen offset:4
	buffer_load_dword v146, v136, s[0:3], 0 offen offset:24
	;; [unrolled: 1-line block ×29, first 2 shown]
	ds_read_b128 v[136:139], v182
	ds_read_b128 v[140:143], v182 offset:16
	s_addk_i32 s72, 0x80
	s_addk_i32 s73, 0x80
	s_or_b32 s71, vcc_lo, s71
	s_waitcnt vmcnt(30) lgkmcnt(1)
	v_mul_f64 v[174:175], v[138:139], v[133:134]
	v_mul_f64 v[133:134], v[136:137], v[133:134]
	s_waitcnt vmcnt(26) lgkmcnt(0)
	v_mul_f64 v[176:177], v[142:143], v[146:147]
	v_mul_f64 v[178:179], v[140:141], v[146:147]
	v_fma_f64 v[174:175], v[136:137], v[144:145], -v[174:175]
	v_fma_f64 v[133:134], v[138:139], v[144:145], v[133:134]
	ds_read_b128 v[136:139], v182 offset:32
	ds_read_b128 v[144:147], v182 offset:48
	s_waitcnt vmcnt(24)
	v_fma_f64 v[140:141], v[140:141], v[148:149], -v[176:177]
	v_fma_f64 v[142:143], v[142:143], v[148:149], v[178:179]
	s_waitcnt vmcnt(22) lgkmcnt(1)
	v_mul_f64 v[180:181], v[138:139], v[150:151]
	v_mul_f64 v[150:151], v[136:137], v[150:151]
	v_add_f64 v[1:2], v[1:2], v[174:175]
	v_add_f64 v[3:4], v[3:4], v[133:134]
	s_waitcnt vmcnt(18) lgkmcnt(0)
	v_mul_f64 v[133:134], v[146:147], v[154:155]
	v_mul_f64 v[148:149], v[144:145], v[154:155]
	v_fma_f64 v[154:155], v[136:137], v[152:153], -v[180:181]
	v_fma_f64 v[150:151], v[138:139], v[152:153], v[150:151]
	v_add_f64 v[140:141], v[1:2], v[140:141]
	v_add_f64 v[142:143], v[3:4], v[142:143]
	ds_read_b128 v[1:4], v182 offset:64
	ds_read_b128 v[136:139], v182 offset:80
	s_waitcnt vmcnt(16)
	v_fma_f64 v[133:134], v[144:145], v[156:157], -v[133:134]
	v_fma_f64 v[144:145], v[146:147], v[156:157], v[148:149]
	s_waitcnt vmcnt(12) lgkmcnt(1)
	v_mul_f64 v[152:153], v[3:4], v[158:159]
	v_mul_f64 v[158:159], v[1:2], v[158:159]
	v_add_f64 v[140:141], v[140:141], v[154:155]
	v_add_f64 v[142:143], v[142:143], v[150:151]
	s_waitcnt vmcnt(10) lgkmcnt(0)
	v_mul_f64 v[146:147], v[138:139], v[160:161]
	v_mul_f64 v[148:149], v[136:137], v[160:161]
	s_waitcnt vmcnt(8)
	v_fma_f64 v[150:151], v[1:2], v[164:165], -v[152:153]
	v_fma_f64 v[152:153], v[3:4], v[164:165], v[158:159]
	v_add_f64 v[133:134], v[140:141], v[133:134]
	v_add_f64 v[144:145], v[142:143], v[144:145]
	ds_read_b128 v[1:4], v182 offset:96
	ds_read_b128 v[140:143], v182 offset:112
	v_fma_f64 v[136:137], v[136:137], v[162:163], -v[146:147]
	v_fma_f64 v[138:139], v[138:139], v[162:163], v[148:149]
	s_waitcnt vmcnt(4) lgkmcnt(1)
	v_mul_f64 v[154:155], v[3:4], v[166:167]
	v_mul_f64 v[156:157], v[1:2], v[166:167]
	v_add_f64 v[133:134], v[133:134], v[150:151]
	v_add_f64 v[144:145], v[144:145], v[152:153]
	s_waitcnt vmcnt(2) lgkmcnt(0)
	v_mul_f64 v[146:147], v[142:143], v[168:169]
	v_mul_f64 v[148:149], v[140:141], v[168:169]
	s_waitcnt vmcnt(0)
	v_fma_f64 v[1:2], v[1:2], v[172:173], -v[154:155]
	v_fma_f64 v[3:4], v[3:4], v[172:173], v[156:157]
	v_add_f64 v[133:134], v[133:134], v[136:137]
	v_add_f64 v[136:137], v[144:145], v[138:139]
	v_fma_f64 v[138:139], v[140:141], v[170:171], -v[146:147]
	v_fma_f64 v[140:141], v[142:143], v[170:171], v[148:149]
	v_add_f64 v[1:2], v[133:134], v[1:2]
	v_add_f64 v[3:4], v[136:137], v[3:4]
	v_mov_b32_e32 v133, s74
	s_mov_b32 s74, s75
	v_add_f64 v[1:2], v[1:2], v[138:139]
	v_add_f64 v[3:4], v[3:4], v[140:141]
	s_andn2_b32 exec_lo, exec_lo, s71
	s_cbranch_execnz .LBB125_249
; %bb.250:
	s_or_b32 exec_lo, exec_lo, s71
.LBB125_251:
	s_or_b32 exec_lo, exec_lo, s5
	v_and_b32_e32 v131, 7, v131
	s_mov_b32 s71, 0
	s_mov_b32 s5, exec_lo
	v_cmpx_ne_u32_e32 0, v131
	s_cbranch_execz .LBB125_255
; %bb.252:
	v_lshlrev_b32_e32 v133, 4, v133
	v_add_nc_u32_e32 v132, 0x3e0, v133
	.p2align	6
.LBB125_253:                            ; =>This Inner Loop Header: Depth=1
	s_clause 0x3
	buffer_load_dword v140, v133, s[0:3], 0 offen offset:8
	buffer_load_dword v141, v133, s[0:3], 0 offen offset:12
	buffer_load_dword v142, v133, s[0:3], 0 offen
	buffer_load_dword v143, v133, s[0:3], 0 offen offset:4
	ds_read_b128 v[136:139], v132
	v_add_nc_u32_e32 v131, -1, v131
	v_add_nc_u32_e32 v132, 16, v132
	v_add_nc_u32_e32 v133, 16, v133
	v_cmp_eq_u32_e32 vcc_lo, 0, v131
	s_or_b32 s71, vcc_lo, s71
	s_waitcnt vmcnt(2) lgkmcnt(0)
	v_mul_f64 v[144:145], v[138:139], v[140:141]
	v_mul_f64 v[140:141], v[136:137], v[140:141]
	s_waitcnt vmcnt(0)
	v_fma_f64 v[136:137], v[136:137], v[142:143], -v[144:145]
	v_fma_f64 v[138:139], v[138:139], v[142:143], v[140:141]
	v_add_f64 v[1:2], v[1:2], v[136:137]
	v_add_f64 v[3:4], v[3:4], v[138:139]
	s_andn2_b32 exec_lo, exec_lo, s71
	s_cbranch_execnz .LBB125_253
; %bb.254:
	s_or_b32 exec_lo, exec_lo, s71
.LBB125_255:
	s_or_b32 exec_lo, exec_lo, s5
.LBB125_256:
	s_or_b32 exec_lo, exec_lo, s8
	v_mov_b32_e32 v131, 0
	ds_read_b128 v[131:134], v131 offset:672
	s_waitcnt lgkmcnt(0)
	v_mul_f64 v[136:137], v[3:4], v[133:134]
	v_mul_f64 v[133:134], v[1:2], v[133:134]
	v_fma_f64 v[1:2], v[1:2], v[131:132], -v[136:137]
	v_fma_f64 v[3:4], v[3:4], v[131:132], v[133:134]
	buffer_store_dword v2, off, s[0:3], 0 offset:676
	buffer_store_dword v1, off, s[0:3], 0 offset:672
	buffer_store_dword v4, off, s[0:3], 0 offset:684
	buffer_store_dword v3, off, s[0:3], 0 offset:680
.LBB125_257:
	s_or_b32 exec_lo, exec_lo, s6
	v_mov_b32_e32 v4, s29
	v_cmp_lt_u32_e64 s5, 41, v0
	s_clause 0x3
	buffer_load_dword v1, v4, s[0:3], 0 offen
	buffer_load_dword v2, v4, s[0:3], 0 offen offset:4
	buffer_load_dword v3, v4, s[0:3], 0 offen offset:8
	;; [unrolled: 1-line block ×3, first 2 shown]
	s_waitcnt vmcnt(0)
	ds_write_b128 v130, v[1:4]
	s_waitcnt lgkmcnt(0)
	s_waitcnt_vscnt null, 0x0
	s_barrier
	buffer_gl0_inv
	s_and_saveexec_b32 s6, s5
	s_cbranch_execz .LBB125_271
; %bb.258:
	ds_read_b128 v[1:4], v130
	s_andn2_b32 vcc_lo, exec_lo, s7
	s_cbranch_vccnz .LBB125_260
; %bb.259:
	s_clause 0x3
	buffer_load_dword v131, v129, s[0:3], 0 offen offset:8
	buffer_load_dword v132, v129, s[0:3], 0 offen offset:12
	buffer_load_dword v133, v129, s[0:3], 0 offen
	buffer_load_dword v134, v129, s[0:3], 0 offen offset:4
	s_waitcnt vmcnt(2) lgkmcnt(0)
	v_mul_f64 v[136:137], v[3:4], v[131:132]
	v_mul_f64 v[131:132], v[1:2], v[131:132]
	s_waitcnt vmcnt(0)
	v_fma_f64 v[1:2], v[1:2], v[133:134], -v[136:137]
	v_fma_f64 v[3:4], v[3:4], v[133:134], v[131:132]
.LBB125_260:
	s_and_saveexec_b32 s8, s4
	s_cbranch_execz .LBB125_270
; %bb.261:
	v_subrev_nc_u32_e32 v132, 43, v0
	v_mov_b32_e32 v133, 42
	v_subrev_nc_u32_e32 v131, 42, v0
	s_mov_b32 s4, exec_lo
	v_cmpx_lt_u32_e32 6, v132
	s_cbranch_execz .LBB125_265
; %bb.262:
	v_and_b32_e32 v132, -8, v131
	s_movk_i32 s72, 0x680
	s_mov_b32 s71, 0
	s_mov_b32 s73, s28
	;; [unrolled: 1-line block ×3, first 2 shown]
.LBB125_263:                            ; =>This Inner Loop Header: Depth=1
	v_mov_b32_e32 v136, s73
	v_mov_b32_e32 v182, s72
	s_add_i32 s75, s74, 8
	s_add_i32 s74, s74, 50
	v_cmp_eq_u32_e32 vcc_lo, s75, v132
	s_clause 0x1f
	buffer_load_dword v133, v136, s[0:3], 0 offen offset:8
	buffer_load_dword v134, v136, s[0:3], 0 offen offset:12
	buffer_load_dword v144, v136, s[0:3], 0 offen
	buffer_load_dword v145, v136, s[0:3], 0 offen offset:4
	buffer_load_dword v146, v136, s[0:3], 0 offen offset:24
	;; [unrolled: 1-line block ×29, first 2 shown]
	ds_read_b128 v[136:139], v182
	ds_read_b128 v[140:143], v182 offset:16
	s_addk_i32 s72, 0x80
	s_addk_i32 s73, 0x80
	s_or_b32 s71, vcc_lo, s71
	s_waitcnt vmcnt(30) lgkmcnt(1)
	v_mul_f64 v[174:175], v[138:139], v[133:134]
	v_mul_f64 v[133:134], v[136:137], v[133:134]
	s_waitcnt vmcnt(26) lgkmcnt(0)
	v_mul_f64 v[176:177], v[142:143], v[146:147]
	v_mul_f64 v[178:179], v[140:141], v[146:147]
	v_fma_f64 v[174:175], v[136:137], v[144:145], -v[174:175]
	v_fma_f64 v[133:134], v[138:139], v[144:145], v[133:134]
	ds_read_b128 v[136:139], v182 offset:32
	ds_read_b128 v[144:147], v182 offset:48
	s_waitcnt vmcnt(24)
	v_fma_f64 v[140:141], v[140:141], v[148:149], -v[176:177]
	v_fma_f64 v[142:143], v[142:143], v[148:149], v[178:179]
	s_waitcnt vmcnt(22) lgkmcnt(1)
	v_mul_f64 v[180:181], v[138:139], v[150:151]
	v_mul_f64 v[150:151], v[136:137], v[150:151]
	v_add_f64 v[1:2], v[1:2], v[174:175]
	v_add_f64 v[3:4], v[3:4], v[133:134]
	s_waitcnt vmcnt(18) lgkmcnt(0)
	v_mul_f64 v[133:134], v[146:147], v[154:155]
	v_mul_f64 v[148:149], v[144:145], v[154:155]
	v_fma_f64 v[154:155], v[136:137], v[152:153], -v[180:181]
	v_fma_f64 v[150:151], v[138:139], v[152:153], v[150:151]
	v_add_f64 v[140:141], v[1:2], v[140:141]
	v_add_f64 v[142:143], v[3:4], v[142:143]
	ds_read_b128 v[1:4], v182 offset:64
	ds_read_b128 v[136:139], v182 offset:80
	s_waitcnt vmcnt(16)
	v_fma_f64 v[133:134], v[144:145], v[156:157], -v[133:134]
	v_fma_f64 v[144:145], v[146:147], v[156:157], v[148:149]
	s_waitcnt vmcnt(12) lgkmcnt(1)
	v_mul_f64 v[152:153], v[3:4], v[158:159]
	v_mul_f64 v[158:159], v[1:2], v[158:159]
	v_add_f64 v[140:141], v[140:141], v[154:155]
	v_add_f64 v[142:143], v[142:143], v[150:151]
	s_waitcnt vmcnt(10) lgkmcnt(0)
	v_mul_f64 v[146:147], v[138:139], v[160:161]
	v_mul_f64 v[148:149], v[136:137], v[160:161]
	s_waitcnt vmcnt(8)
	v_fma_f64 v[150:151], v[1:2], v[164:165], -v[152:153]
	v_fma_f64 v[152:153], v[3:4], v[164:165], v[158:159]
	v_add_f64 v[133:134], v[140:141], v[133:134]
	v_add_f64 v[144:145], v[142:143], v[144:145]
	ds_read_b128 v[1:4], v182 offset:96
	ds_read_b128 v[140:143], v182 offset:112
	v_fma_f64 v[136:137], v[136:137], v[162:163], -v[146:147]
	v_fma_f64 v[138:139], v[138:139], v[162:163], v[148:149]
	s_waitcnt vmcnt(4) lgkmcnt(1)
	v_mul_f64 v[154:155], v[3:4], v[166:167]
	v_mul_f64 v[156:157], v[1:2], v[166:167]
	v_add_f64 v[133:134], v[133:134], v[150:151]
	v_add_f64 v[144:145], v[144:145], v[152:153]
	s_waitcnt vmcnt(2) lgkmcnt(0)
	v_mul_f64 v[146:147], v[142:143], v[168:169]
	v_mul_f64 v[148:149], v[140:141], v[168:169]
	s_waitcnt vmcnt(0)
	v_fma_f64 v[1:2], v[1:2], v[172:173], -v[154:155]
	v_fma_f64 v[3:4], v[3:4], v[172:173], v[156:157]
	v_add_f64 v[133:134], v[133:134], v[136:137]
	v_add_f64 v[136:137], v[144:145], v[138:139]
	v_fma_f64 v[138:139], v[140:141], v[170:171], -v[146:147]
	v_fma_f64 v[140:141], v[142:143], v[170:171], v[148:149]
	v_add_f64 v[1:2], v[133:134], v[1:2]
	v_add_f64 v[3:4], v[136:137], v[3:4]
	v_mov_b32_e32 v133, s74
	s_mov_b32 s74, s75
	v_add_f64 v[1:2], v[1:2], v[138:139]
	v_add_f64 v[3:4], v[3:4], v[140:141]
	s_andn2_b32 exec_lo, exec_lo, s71
	s_cbranch_execnz .LBB125_263
; %bb.264:
	s_or_b32 exec_lo, exec_lo, s71
.LBB125_265:
	s_or_b32 exec_lo, exec_lo, s4
	v_and_b32_e32 v131, 7, v131
	s_mov_b32 s71, 0
	s_mov_b32 s4, exec_lo
	v_cmpx_ne_u32_e32 0, v131
	s_cbranch_execz .LBB125_269
; %bb.266:
	v_lshlrev_b32_e32 v133, 4, v133
	v_add_nc_u32_e32 v132, 0x3e0, v133
	.p2align	6
.LBB125_267:                            ; =>This Inner Loop Header: Depth=1
	s_clause 0x3
	buffer_load_dword v140, v133, s[0:3], 0 offen offset:8
	buffer_load_dword v141, v133, s[0:3], 0 offen offset:12
	buffer_load_dword v142, v133, s[0:3], 0 offen
	buffer_load_dword v143, v133, s[0:3], 0 offen offset:4
	ds_read_b128 v[136:139], v132
	v_add_nc_u32_e32 v131, -1, v131
	v_add_nc_u32_e32 v132, 16, v132
	v_add_nc_u32_e32 v133, 16, v133
	v_cmp_eq_u32_e32 vcc_lo, 0, v131
	s_or_b32 s71, vcc_lo, s71
	s_waitcnt vmcnt(2) lgkmcnt(0)
	v_mul_f64 v[144:145], v[138:139], v[140:141]
	v_mul_f64 v[140:141], v[136:137], v[140:141]
	s_waitcnt vmcnt(0)
	v_fma_f64 v[136:137], v[136:137], v[142:143], -v[144:145]
	v_fma_f64 v[138:139], v[138:139], v[142:143], v[140:141]
	v_add_f64 v[1:2], v[1:2], v[136:137]
	v_add_f64 v[3:4], v[3:4], v[138:139]
	s_andn2_b32 exec_lo, exec_lo, s71
	s_cbranch_execnz .LBB125_267
; %bb.268:
	s_or_b32 exec_lo, exec_lo, s71
.LBB125_269:
	s_or_b32 exec_lo, exec_lo, s4
.LBB125_270:
	s_or_b32 exec_lo, exec_lo, s8
	v_mov_b32_e32 v131, 0
	ds_read_b128 v[131:134], v131 offset:656
	s_waitcnt lgkmcnt(0)
	v_mul_f64 v[136:137], v[3:4], v[133:134]
	v_mul_f64 v[133:134], v[1:2], v[133:134]
	v_fma_f64 v[1:2], v[1:2], v[131:132], -v[136:137]
	v_fma_f64 v[3:4], v[3:4], v[131:132], v[133:134]
	buffer_store_dword v2, off, s[0:3], 0 offset:660
	buffer_store_dword v1, off, s[0:3], 0 offset:656
	;; [unrolled: 1-line block ×4, first 2 shown]
.LBB125_271:
	s_or_b32 exec_lo, exec_lo, s6
	v_mov_b32_e32 v4, s30
	v_cmp_lt_u32_e64 s4, 40, v0
	s_clause 0x3
	buffer_load_dword v1, v4, s[0:3], 0 offen
	buffer_load_dword v2, v4, s[0:3], 0 offen offset:4
	buffer_load_dword v3, v4, s[0:3], 0 offen offset:8
	;; [unrolled: 1-line block ×3, first 2 shown]
	s_waitcnt vmcnt(0)
	ds_write_b128 v130, v[1:4]
	s_waitcnt lgkmcnt(0)
	s_waitcnt_vscnt null, 0x0
	s_barrier
	buffer_gl0_inv
	s_and_saveexec_b32 s6, s4
	s_cbranch_execz .LBB125_285
; %bb.272:
	ds_read_b128 v[1:4], v130
	s_andn2_b32 vcc_lo, exec_lo, s7
	s_cbranch_vccnz .LBB125_274
; %bb.273:
	s_clause 0x3
	buffer_load_dword v131, v129, s[0:3], 0 offen offset:8
	buffer_load_dword v132, v129, s[0:3], 0 offen offset:12
	buffer_load_dword v133, v129, s[0:3], 0 offen
	buffer_load_dword v134, v129, s[0:3], 0 offen offset:4
	s_waitcnt vmcnt(2) lgkmcnt(0)
	v_mul_f64 v[136:137], v[3:4], v[131:132]
	v_mul_f64 v[131:132], v[1:2], v[131:132]
	s_waitcnt vmcnt(0)
	v_fma_f64 v[1:2], v[1:2], v[133:134], -v[136:137]
	v_fma_f64 v[3:4], v[3:4], v[133:134], v[131:132]
.LBB125_274:
	s_and_saveexec_b32 s8, s5
	s_cbranch_execz .LBB125_284
; %bb.275:
	v_subrev_nc_u32_e32 v132, 42, v0
	v_mov_b32_e32 v133, 41
	v_subrev_nc_u32_e32 v131, 41, v0
	s_mov_b32 s5, exec_lo
	v_cmpx_lt_u32_e32 6, v132
	s_cbranch_execz .LBB125_279
; %bb.276:
	v_and_b32_e32 v132, -8, v131
	s_movk_i32 s72, 0x670
	s_mov_b32 s71, 0
	s_mov_b32 s73, s29
	;; [unrolled: 1-line block ×3, first 2 shown]
.LBB125_277:                            ; =>This Inner Loop Header: Depth=1
	v_mov_b32_e32 v136, s73
	v_mov_b32_e32 v182, s72
	s_add_i32 s75, s74, 8
	s_add_i32 s74, s74, 49
	v_cmp_eq_u32_e32 vcc_lo, s75, v132
	s_clause 0x1f
	buffer_load_dword v133, v136, s[0:3], 0 offen offset:8
	buffer_load_dword v134, v136, s[0:3], 0 offen offset:12
	buffer_load_dword v144, v136, s[0:3], 0 offen
	buffer_load_dword v145, v136, s[0:3], 0 offen offset:4
	buffer_load_dword v146, v136, s[0:3], 0 offen offset:24
	;; [unrolled: 1-line block ×29, first 2 shown]
	ds_read_b128 v[136:139], v182
	ds_read_b128 v[140:143], v182 offset:16
	s_addk_i32 s72, 0x80
	s_addk_i32 s73, 0x80
	s_or_b32 s71, vcc_lo, s71
	s_waitcnt vmcnt(30) lgkmcnt(1)
	v_mul_f64 v[174:175], v[138:139], v[133:134]
	v_mul_f64 v[133:134], v[136:137], v[133:134]
	s_waitcnt vmcnt(26) lgkmcnt(0)
	v_mul_f64 v[176:177], v[142:143], v[146:147]
	v_mul_f64 v[178:179], v[140:141], v[146:147]
	v_fma_f64 v[174:175], v[136:137], v[144:145], -v[174:175]
	v_fma_f64 v[133:134], v[138:139], v[144:145], v[133:134]
	ds_read_b128 v[136:139], v182 offset:32
	ds_read_b128 v[144:147], v182 offset:48
	s_waitcnt vmcnt(24)
	v_fma_f64 v[140:141], v[140:141], v[148:149], -v[176:177]
	v_fma_f64 v[142:143], v[142:143], v[148:149], v[178:179]
	s_waitcnt vmcnt(22) lgkmcnt(1)
	v_mul_f64 v[180:181], v[138:139], v[150:151]
	v_mul_f64 v[150:151], v[136:137], v[150:151]
	v_add_f64 v[1:2], v[1:2], v[174:175]
	v_add_f64 v[3:4], v[3:4], v[133:134]
	s_waitcnt vmcnt(18) lgkmcnt(0)
	v_mul_f64 v[133:134], v[146:147], v[154:155]
	v_mul_f64 v[148:149], v[144:145], v[154:155]
	v_fma_f64 v[154:155], v[136:137], v[152:153], -v[180:181]
	v_fma_f64 v[150:151], v[138:139], v[152:153], v[150:151]
	v_add_f64 v[140:141], v[1:2], v[140:141]
	v_add_f64 v[142:143], v[3:4], v[142:143]
	ds_read_b128 v[1:4], v182 offset:64
	ds_read_b128 v[136:139], v182 offset:80
	s_waitcnt vmcnt(16)
	v_fma_f64 v[133:134], v[144:145], v[156:157], -v[133:134]
	v_fma_f64 v[144:145], v[146:147], v[156:157], v[148:149]
	s_waitcnt vmcnt(12) lgkmcnt(1)
	v_mul_f64 v[152:153], v[3:4], v[158:159]
	v_mul_f64 v[158:159], v[1:2], v[158:159]
	v_add_f64 v[140:141], v[140:141], v[154:155]
	v_add_f64 v[142:143], v[142:143], v[150:151]
	s_waitcnt vmcnt(10) lgkmcnt(0)
	v_mul_f64 v[146:147], v[138:139], v[160:161]
	v_mul_f64 v[148:149], v[136:137], v[160:161]
	s_waitcnt vmcnt(8)
	v_fma_f64 v[150:151], v[1:2], v[164:165], -v[152:153]
	v_fma_f64 v[152:153], v[3:4], v[164:165], v[158:159]
	v_add_f64 v[133:134], v[140:141], v[133:134]
	v_add_f64 v[144:145], v[142:143], v[144:145]
	ds_read_b128 v[1:4], v182 offset:96
	ds_read_b128 v[140:143], v182 offset:112
	v_fma_f64 v[136:137], v[136:137], v[162:163], -v[146:147]
	v_fma_f64 v[138:139], v[138:139], v[162:163], v[148:149]
	s_waitcnt vmcnt(4) lgkmcnt(1)
	v_mul_f64 v[154:155], v[3:4], v[166:167]
	v_mul_f64 v[156:157], v[1:2], v[166:167]
	v_add_f64 v[133:134], v[133:134], v[150:151]
	v_add_f64 v[144:145], v[144:145], v[152:153]
	s_waitcnt vmcnt(2) lgkmcnt(0)
	v_mul_f64 v[146:147], v[142:143], v[168:169]
	v_mul_f64 v[148:149], v[140:141], v[168:169]
	s_waitcnt vmcnt(0)
	v_fma_f64 v[1:2], v[1:2], v[172:173], -v[154:155]
	v_fma_f64 v[3:4], v[3:4], v[172:173], v[156:157]
	v_add_f64 v[133:134], v[133:134], v[136:137]
	v_add_f64 v[136:137], v[144:145], v[138:139]
	v_fma_f64 v[138:139], v[140:141], v[170:171], -v[146:147]
	v_fma_f64 v[140:141], v[142:143], v[170:171], v[148:149]
	v_add_f64 v[1:2], v[133:134], v[1:2]
	v_add_f64 v[3:4], v[136:137], v[3:4]
	v_mov_b32_e32 v133, s74
	s_mov_b32 s74, s75
	v_add_f64 v[1:2], v[1:2], v[138:139]
	v_add_f64 v[3:4], v[3:4], v[140:141]
	s_andn2_b32 exec_lo, exec_lo, s71
	s_cbranch_execnz .LBB125_277
; %bb.278:
	s_or_b32 exec_lo, exec_lo, s71
.LBB125_279:
	s_or_b32 exec_lo, exec_lo, s5
	v_and_b32_e32 v131, 7, v131
	s_mov_b32 s71, 0
	s_mov_b32 s5, exec_lo
	v_cmpx_ne_u32_e32 0, v131
	s_cbranch_execz .LBB125_283
; %bb.280:
	v_lshlrev_b32_e32 v133, 4, v133
	v_add_nc_u32_e32 v132, 0x3e0, v133
	.p2align	6
.LBB125_281:                            ; =>This Inner Loop Header: Depth=1
	s_clause 0x3
	buffer_load_dword v140, v133, s[0:3], 0 offen offset:8
	buffer_load_dword v141, v133, s[0:3], 0 offen offset:12
	buffer_load_dword v142, v133, s[0:3], 0 offen
	buffer_load_dword v143, v133, s[0:3], 0 offen offset:4
	ds_read_b128 v[136:139], v132
	v_add_nc_u32_e32 v131, -1, v131
	v_add_nc_u32_e32 v132, 16, v132
	v_add_nc_u32_e32 v133, 16, v133
	v_cmp_eq_u32_e32 vcc_lo, 0, v131
	s_or_b32 s71, vcc_lo, s71
	s_waitcnt vmcnt(2) lgkmcnt(0)
	v_mul_f64 v[144:145], v[138:139], v[140:141]
	v_mul_f64 v[140:141], v[136:137], v[140:141]
	s_waitcnt vmcnt(0)
	v_fma_f64 v[136:137], v[136:137], v[142:143], -v[144:145]
	v_fma_f64 v[138:139], v[138:139], v[142:143], v[140:141]
	v_add_f64 v[1:2], v[1:2], v[136:137]
	v_add_f64 v[3:4], v[3:4], v[138:139]
	s_andn2_b32 exec_lo, exec_lo, s71
	s_cbranch_execnz .LBB125_281
; %bb.282:
	s_or_b32 exec_lo, exec_lo, s71
.LBB125_283:
	s_or_b32 exec_lo, exec_lo, s5
.LBB125_284:
	s_or_b32 exec_lo, exec_lo, s8
	v_mov_b32_e32 v131, 0
	ds_read_b128 v[131:134], v131 offset:640
	s_waitcnt lgkmcnt(0)
	v_mul_f64 v[136:137], v[3:4], v[133:134]
	v_mul_f64 v[133:134], v[1:2], v[133:134]
	v_fma_f64 v[1:2], v[1:2], v[131:132], -v[136:137]
	v_fma_f64 v[3:4], v[3:4], v[131:132], v[133:134]
	buffer_store_dword v2, off, s[0:3], 0 offset:644
	buffer_store_dword v1, off, s[0:3], 0 offset:640
	;; [unrolled: 1-line block ×4, first 2 shown]
.LBB125_285:
	s_or_b32 exec_lo, exec_lo, s6
	v_mov_b32_e32 v4, s31
	v_cmp_lt_u32_e64 s5, 39, v0
	s_clause 0x3
	buffer_load_dword v1, v4, s[0:3], 0 offen
	buffer_load_dword v2, v4, s[0:3], 0 offen offset:4
	buffer_load_dword v3, v4, s[0:3], 0 offen offset:8
	;; [unrolled: 1-line block ×3, first 2 shown]
	s_waitcnt vmcnt(0)
	ds_write_b128 v130, v[1:4]
	s_waitcnt lgkmcnt(0)
	s_waitcnt_vscnt null, 0x0
	s_barrier
	buffer_gl0_inv
	s_and_saveexec_b32 s6, s5
	s_cbranch_execz .LBB125_299
; %bb.286:
	ds_read_b128 v[1:4], v130
	s_andn2_b32 vcc_lo, exec_lo, s7
	s_cbranch_vccnz .LBB125_288
; %bb.287:
	s_clause 0x3
	buffer_load_dword v131, v129, s[0:3], 0 offen offset:8
	buffer_load_dword v132, v129, s[0:3], 0 offen offset:12
	buffer_load_dword v133, v129, s[0:3], 0 offen
	buffer_load_dword v134, v129, s[0:3], 0 offen offset:4
	s_waitcnt vmcnt(2) lgkmcnt(0)
	v_mul_f64 v[136:137], v[3:4], v[131:132]
	v_mul_f64 v[131:132], v[1:2], v[131:132]
	s_waitcnt vmcnt(0)
	v_fma_f64 v[1:2], v[1:2], v[133:134], -v[136:137]
	v_fma_f64 v[3:4], v[3:4], v[133:134], v[131:132]
.LBB125_288:
	s_and_saveexec_b32 s8, s4
	s_cbranch_execz .LBB125_298
; %bb.289:
	v_subrev_nc_u32_e32 v131, 41, v0
	v_cmp_lt_u32_e32 vcc_lo, 6, v131
	v_mov_b32_e32 v131, 40
	s_and_saveexec_b32 s4, vcc_lo
	s_cbranch_execz .LBB125_293
; %bb.290:
	v_and_b32_e32 v131, 56, v0
	s_mov_b32 s71, 40
	s_movk_i32 s73, 0x660
	s_mov_b32 s72, 0
	s_mov_b32 s74, s30
.LBB125_291:                            ; =>This Inner Loop Header: Depth=1
	v_mov_b32_e32 v134, s74
	s_add_i32 s71, s71, 8
	s_addk_i32 s74, 0x80
	v_cmp_eq_u32_e32 vcc_lo, s71, v131
	s_clause 0x1f
	buffer_load_dword v132, v134, s[0:3], 0 offen offset:8
	buffer_load_dword v133, v134, s[0:3], 0 offen offset:12
	buffer_load_dword v144, v134, s[0:3], 0 offen
	buffer_load_dword v145, v134, s[0:3], 0 offen offset:4
	buffer_load_dword v146, v134, s[0:3], 0 offen offset:24
	;; [unrolled: 1-line block ×29, first 2 shown]
	v_mov_b32_e32 v134, s73
	s_addk_i32 s73, 0x80
	s_or_b32 s72, vcc_lo, s72
	ds_read_b128 v[136:139], v134
	ds_read_b128 v[140:143], v134 offset:16
	s_waitcnt vmcnt(30) lgkmcnt(1)
	v_mul_f64 v[174:175], v[138:139], v[132:133]
	v_mul_f64 v[132:133], v[136:137], v[132:133]
	s_waitcnt vmcnt(26) lgkmcnt(0)
	v_mul_f64 v[176:177], v[142:143], v[146:147]
	v_mul_f64 v[178:179], v[140:141], v[146:147]
	v_fma_f64 v[174:175], v[136:137], v[144:145], -v[174:175]
	v_fma_f64 v[132:133], v[138:139], v[144:145], v[132:133]
	ds_read_b128 v[136:139], v134 offset:32
	ds_read_b128 v[144:147], v134 offset:48
	s_waitcnt vmcnt(24)
	v_fma_f64 v[140:141], v[140:141], v[148:149], -v[176:177]
	v_fma_f64 v[142:143], v[142:143], v[148:149], v[178:179]
	s_waitcnt vmcnt(22) lgkmcnt(1)
	v_mul_f64 v[180:181], v[138:139], v[150:151]
	v_mul_f64 v[150:151], v[136:137], v[150:151]
	v_add_f64 v[1:2], v[1:2], v[174:175]
	v_add_f64 v[3:4], v[3:4], v[132:133]
	s_waitcnt vmcnt(18) lgkmcnt(0)
	v_mul_f64 v[132:133], v[146:147], v[154:155]
	v_mul_f64 v[148:149], v[144:145], v[154:155]
	v_fma_f64 v[154:155], v[136:137], v[152:153], -v[180:181]
	v_fma_f64 v[150:151], v[138:139], v[152:153], v[150:151]
	v_add_f64 v[140:141], v[1:2], v[140:141]
	v_add_f64 v[142:143], v[3:4], v[142:143]
	ds_read_b128 v[1:4], v134 offset:64
	ds_read_b128 v[136:139], v134 offset:80
	s_waitcnt vmcnt(16)
	v_fma_f64 v[132:133], v[144:145], v[156:157], -v[132:133]
	v_fma_f64 v[144:145], v[146:147], v[156:157], v[148:149]
	s_waitcnt vmcnt(12) lgkmcnt(1)
	v_mul_f64 v[152:153], v[3:4], v[158:159]
	v_mul_f64 v[158:159], v[1:2], v[158:159]
	v_add_f64 v[140:141], v[140:141], v[154:155]
	v_add_f64 v[142:143], v[142:143], v[150:151]
	s_waitcnt vmcnt(10) lgkmcnt(0)
	v_mul_f64 v[146:147], v[138:139], v[160:161]
	v_mul_f64 v[148:149], v[136:137], v[160:161]
	s_waitcnt vmcnt(8)
	v_fma_f64 v[150:151], v[1:2], v[164:165], -v[152:153]
	v_fma_f64 v[152:153], v[3:4], v[164:165], v[158:159]
	v_add_f64 v[132:133], v[140:141], v[132:133]
	v_add_f64 v[144:145], v[142:143], v[144:145]
	ds_read_b128 v[1:4], v134 offset:96
	ds_read_b128 v[140:143], v134 offset:112
	v_fma_f64 v[136:137], v[136:137], v[162:163], -v[146:147]
	v_fma_f64 v[138:139], v[138:139], v[162:163], v[148:149]
	s_waitcnt vmcnt(4) lgkmcnt(1)
	v_mul_f64 v[154:155], v[3:4], v[166:167]
	v_mul_f64 v[156:157], v[1:2], v[166:167]
	v_add_f64 v[132:133], v[132:133], v[150:151]
	v_add_f64 v[144:145], v[144:145], v[152:153]
	s_waitcnt vmcnt(2) lgkmcnt(0)
	v_mul_f64 v[146:147], v[142:143], v[168:169]
	v_mul_f64 v[148:149], v[140:141], v[168:169]
	s_waitcnt vmcnt(0)
	v_fma_f64 v[1:2], v[1:2], v[172:173], -v[154:155]
	v_fma_f64 v[3:4], v[3:4], v[172:173], v[156:157]
	v_add_f64 v[132:133], v[132:133], v[136:137]
	v_add_f64 v[136:137], v[144:145], v[138:139]
	v_fma_f64 v[138:139], v[140:141], v[170:171], -v[146:147]
	v_fma_f64 v[140:141], v[142:143], v[170:171], v[148:149]
	v_add_f64 v[1:2], v[132:133], v[1:2]
	v_add_f64 v[3:4], v[136:137], v[3:4]
	;; [unrolled: 1-line block ×4, first 2 shown]
	s_andn2_b32 exec_lo, exec_lo, s72
	s_cbranch_execnz .LBB125_291
; %bb.292:
	s_or_b32 exec_lo, exec_lo, s72
.LBB125_293:
	s_or_b32 exec_lo, exec_lo, s4
	v_and_b32_e32 v132, 7, v0
	s_mov_b32 s71, 0
	s_mov_b32 s4, exec_lo
	v_cmpx_ne_u32_e32 0, v132
	s_cbranch_execz .LBB125_297
; %bb.294:
	v_lshlrev_b32_e32 v133, 4, v131
	v_add_nc_u32_e32 v131, 0x3e0, v133
	.p2align	6
.LBB125_295:                            ; =>This Inner Loop Header: Depth=1
	s_clause 0x3
	buffer_load_dword v140, v133, s[0:3], 0 offen offset:8
	buffer_load_dword v141, v133, s[0:3], 0 offen offset:12
	buffer_load_dword v142, v133, s[0:3], 0 offen
	buffer_load_dword v143, v133, s[0:3], 0 offen offset:4
	ds_read_b128 v[136:139], v131
	v_add_nc_u32_e32 v132, -1, v132
	v_add_nc_u32_e32 v131, 16, v131
	v_add_nc_u32_e32 v133, 16, v133
	v_cmp_eq_u32_e32 vcc_lo, 0, v132
	s_or_b32 s71, vcc_lo, s71
	s_waitcnt vmcnt(2) lgkmcnt(0)
	v_mul_f64 v[144:145], v[138:139], v[140:141]
	v_mul_f64 v[140:141], v[136:137], v[140:141]
	s_waitcnt vmcnt(0)
	v_fma_f64 v[136:137], v[136:137], v[142:143], -v[144:145]
	v_fma_f64 v[138:139], v[138:139], v[142:143], v[140:141]
	v_add_f64 v[1:2], v[1:2], v[136:137]
	v_add_f64 v[3:4], v[3:4], v[138:139]
	s_andn2_b32 exec_lo, exec_lo, s71
	s_cbranch_execnz .LBB125_295
; %bb.296:
	s_or_b32 exec_lo, exec_lo, s71
.LBB125_297:
	s_or_b32 exec_lo, exec_lo, s4
.LBB125_298:
	s_or_b32 exec_lo, exec_lo, s8
	v_mov_b32_e32 v131, 0
	ds_read_b128 v[131:134], v131 offset:624
	s_waitcnt lgkmcnt(0)
	v_mul_f64 v[136:137], v[3:4], v[133:134]
	v_mul_f64 v[133:134], v[1:2], v[133:134]
	v_fma_f64 v[1:2], v[1:2], v[131:132], -v[136:137]
	v_fma_f64 v[3:4], v[3:4], v[131:132], v[133:134]
	buffer_store_dword v2, off, s[0:3], 0 offset:628
	buffer_store_dword v1, off, s[0:3], 0 offset:624
	;; [unrolled: 1-line block ×4, first 2 shown]
.LBB125_299:
	s_or_b32 exec_lo, exec_lo, s6
	v_mov_b32_e32 v4, s33
	v_cmp_lt_u32_e64 s4, 38, v0
	s_clause 0x3
	buffer_load_dword v1, v4, s[0:3], 0 offen
	buffer_load_dword v2, v4, s[0:3], 0 offen offset:4
	buffer_load_dword v3, v4, s[0:3], 0 offen offset:8
	;; [unrolled: 1-line block ×3, first 2 shown]
	s_waitcnt vmcnt(0)
	ds_write_b128 v130, v[1:4]
	s_waitcnt lgkmcnt(0)
	s_waitcnt_vscnt null, 0x0
	s_barrier
	buffer_gl0_inv
	s_and_saveexec_b32 s6, s4
	s_cbranch_execz .LBB125_313
; %bb.300:
	ds_read_b128 v[1:4], v130
	s_andn2_b32 vcc_lo, exec_lo, s7
	s_cbranch_vccnz .LBB125_302
; %bb.301:
	s_clause 0x3
	buffer_load_dword v131, v129, s[0:3], 0 offen offset:8
	buffer_load_dword v132, v129, s[0:3], 0 offen offset:12
	buffer_load_dword v133, v129, s[0:3], 0 offen
	buffer_load_dword v134, v129, s[0:3], 0 offen offset:4
	s_waitcnt vmcnt(2) lgkmcnt(0)
	v_mul_f64 v[136:137], v[3:4], v[131:132]
	v_mul_f64 v[131:132], v[1:2], v[131:132]
	s_waitcnt vmcnt(0)
	v_fma_f64 v[1:2], v[1:2], v[133:134], -v[136:137]
	v_fma_f64 v[3:4], v[3:4], v[133:134], v[131:132]
.LBB125_302:
	s_and_saveexec_b32 s8, s5
	s_cbranch_execz .LBB125_312
; %bb.303:
	v_subrev_nc_u32_e32 v132, 40, v0
	v_mov_b32_e32 v133, 39
	v_subrev_nc_u32_e32 v131, 39, v0
	s_mov_b32 s5, exec_lo
	v_cmpx_lt_u32_e32 6, v132
	s_cbranch_execz .LBB125_307
; %bb.304:
	v_and_b32_e32 v132, -8, v131
	s_movk_i32 s72, 0x650
	s_mov_b32 s71, 0
	s_mov_b32 s73, s31
	;; [unrolled: 1-line block ×3, first 2 shown]
.LBB125_305:                            ; =>This Inner Loop Header: Depth=1
	v_mov_b32_e32 v136, s73
	v_mov_b32_e32 v182, s72
	s_add_i32 s75, s74, 8
	s_add_i32 s74, s74, 47
	v_cmp_eq_u32_e32 vcc_lo, s75, v132
	s_clause 0x1f
	buffer_load_dword v133, v136, s[0:3], 0 offen offset:8
	buffer_load_dword v134, v136, s[0:3], 0 offen offset:12
	buffer_load_dword v144, v136, s[0:3], 0 offen
	buffer_load_dword v145, v136, s[0:3], 0 offen offset:4
	buffer_load_dword v146, v136, s[0:3], 0 offen offset:24
	;; [unrolled: 1-line block ×29, first 2 shown]
	ds_read_b128 v[136:139], v182
	ds_read_b128 v[140:143], v182 offset:16
	s_addk_i32 s72, 0x80
	s_addk_i32 s73, 0x80
	s_or_b32 s71, vcc_lo, s71
	s_waitcnt vmcnt(30) lgkmcnt(1)
	v_mul_f64 v[174:175], v[138:139], v[133:134]
	v_mul_f64 v[133:134], v[136:137], v[133:134]
	s_waitcnt vmcnt(26) lgkmcnt(0)
	v_mul_f64 v[176:177], v[142:143], v[146:147]
	v_mul_f64 v[178:179], v[140:141], v[146:147]
	v_fma_f64 v[174:175], v[136:137], v[144:145], -v[174:175]
	v_fma_f64 v[133:134], v[138:139], v[144:145], v[133:134]
	ds_read_b128 v[136:139], v182 offset:32
	ds_read_b128 v[144:147], v182 offset:48
	s_waitcnt vmcnt(24)
	v_fma_f64 v[140:141], v[140:141], v[148:149], -v[176:177]
	v_fma_f64 v[142:143], v[142:143], v[148:149], v[178:179]
	s_waitcnt vmcnt(22) lgkmcnt(1)
	v_mul_f64 v[180:181], v[138:139], v[150:151]
	v_mul_f64 v[150:151], v[136:137], v[150:151]
	v_add_f64 v[1:2], v[1:2], v[174:175]
	v_add_f64 v[3:4], v[3:4], v[133:134]
	s_waitcnt vmcnt(18) lgkmcnt(0)
	v_mul_f64 v[133:134], v[146:147], v[154:155]
	v_mul_f64 v[148:149], v[144:145], v[154:155]
	v_fma_f64 v[154:155], v[136:137], v[152:153], -v[180:181]
	v_fma_f64 v[150:151], v[138:139], v[152:153], v[150:151]
	v_add_f64 v[140:141], v[1:2], v[140:141]
	v_add_f64 v[142:143], v[3:4], v[142:143]
	ds_read_b128 v[1:4], v182 offset:64
	ds_read_b128 v[136:139], v182 offset:80
	s_waitcnt vmcnt(16)
	v_fma_f64 v[133:134], v[144:145], v[156:157], -v[133:134]
	v_fma_f64 v[144:145], v[146:147], v[156:157], v[148:149]
	s_waitcnt vmcnt(12) lgkmcnt(1)
	v_mul_f64 v[152:153], v[3:4], v[158:159]
	v_mul_f64 v[158:159], v[1:2], v[158:159]
	v_add_f64 v[140:141], v[140:141], v[154:155]
	v_add_f64 v[142:143], v[142:143], v[150:151]
	s_waitcnt vmcnt(10) lgkmcnt(0)
	v_mul_f64 v[146:147], v[138:139], v[160:161]
	v_mul_f64 v[148:149], v[136:137], v[160:161]
	s_waitcnt vmcnt(8)
	v_fma_f64 v[150:151], v[1:2], v[164:165], -v[152:153]
	v_fma_f64 v[152:153], v[3:4], v[164:165], v[158:159]
	v_add_f64 v[133:134], v[140:141], v[133:134]
	v_add_f64 v[144:145], v[142:143], v[144:145]
	ds_read_b128 v[1:4], v182 offset:96
	ds_read_b128 v[140:143], v182 offset:112
	v_fma_f64 v[136:137], v[136:137], v[162:163], -v[146:147]
	v_fma_f64 v[138:139], v[138:139], v[162:163], v[148:149]
	s_waitcnt vmcnt(4) lgkmcnt(1)
	v_mul_f64 v[154:155], v[3:4], v[166:167]
	v_mul_f64 v[156:157], v[1:2], v[166:167]
	v_add_f64 v[133:134], v[133:134], v[150:151]
	v_add_f64 v[144:145], v[144:145], v[152:153]
	s_waitcnt vmcnt(2) lgkmcnt(0)
	v_mul_f64 v[146:147], v[142:143], v[168:169]
	v_mul_f64 v[148:149], v[140:141], v[168:169]
	s_waitcnt vmcnt(0)
	v_fma_f64 v[1:2], v[1:2], v[172:173], -v[154:155]
	v_fma_f64 v[3:4], v[3:4], v[172:173], v[156:157]
	v_add_f64 v[133:134], v[133:134], v[136:137]
	v_add_f64 v[136:137], v[144:145], v[138:139]
	v_fma_f64 v[138:139], v[140:141], v[170:171], -v[146:147]
	v_fma_f64 v[140:141], v[142:143], v[170:171], v[148:149]
	v_add_f64 v[1:2], v[133:134], v[1:2]
	v_add_f64 v[3:4], v[136:137], v[3:4]
	v_mov_b32_e32 v133, s74
	s_mov_b32 s74, s75
	v_add_f64 v[1:2], v[1:2], v[138:139]
	v_add_f64 v[3:4], v[3:4], v[140:141]
	s_andn2_b32 exec_lo, exec_lo, s71
	s_cbranch_execnz .LBB125_305
; %bb.306:
	s_or_b32 exec_lo, exec_lo, s71
.LBB125_307:
	s_or_b32 exec_lo, exec_lo, s5
	v_and_b32_e32 v131, 7, v131
	s_mov_b32 s71, 0
	s_mov_b32 s5, exec_lo
	v_cmpx_ne_u32_e32 0, v131
	s_cbranch_execz .LBB125_311
; %bb.308:
	v_lshlrev_b32_e32 v133, 4, v133
	v_add_nc_u32_e32 v132, 0x3e0, v133
	.p2align	6
.LBB125_309:                            ; =>This Inner Loop Header: Depth=1
	s_clause 0x3
	buffer_load_dword v140, v133, s[0:3], 0 offen offset:8
	buffer_load_dword v141, v133, s[0:3], 0 offen offset:12
	buffer_load_dword v142, v133, s[0:3], 0 offen
	buffer_load_dword v143, v133, s[0:3], 0 offen offset:4
	ds_read_b128 v[136:139], v132
	v_add_nc_u32_e32 v131, -1, v131
	v_add_nc_u32_e32 v132, 16, v132
	v_add_nc_u32_e32 v133, 16, v133
	v_cmp_eq_u32_e32 vcc_lo, 0, v131
	s_or_b32 s71, vcc_lo, s71
	s_waitcnt vmcnt(2) lgkmcnt(0)
	v_mul_f64 v[144:145], v[138:139], v[140:141]
	v_mul_f64 v[140:141], v[136:137], v[140:141]
	s_waitcnt vmcnt(0)
	v_fma_f64 v[136:137], v[136:137], v[142:143], -v[144:145]
	v_fma_f64 v[138:139], v[138:139], v[142:143], v[140:141]
	v_add_f64 v[1:2], v[1:2], v[136:137]
	v_add_f64 v[3:4], v[3:4], v[138:139]
	s_andn2_b32 exec_lo, exec_lo, s71
	s_cbranch_execnz .LBB125_309
; %bb.310:
	s_or_b32 exec_lo, exec_lo, s71
.LBB125_311:
	s_or_b32 exec_lo, exec_lo, s5
.LBB125_312:
	s_or_b32 exec_lo, exec_lo, s8
	v_mov_b32_e32 v131, 0
	ds_read_b128 v[131:134], v131 offset:608
	s_waitcnt lgkmcnt(0)
	v_mul_f64 v[136:137], v[3:4], v[133:134]
	v_mul_f64 v[133:134], v[1:2], v[133:134]
	v_fma_f64 v[1:2], v[1:2], v[131:132], -v[136:137]
	v_fma_f64 v[3:4], v[3:4], v[131:132], v[133:134]
	buffer_store_dword v2, off, s[0:3], 0 offset:612
	buffer_store_dword v1, off, s[0:3], 0 offset:608
	;; [unrolled: 1-line block ×4, first 2 shown]
.LBB125_313:
	s_or_b32 exec_lo, exec_lo, s6
	v_mov_b32_e32 v4, s34
	v_cmp_lt_u32_e64 s5, 37, v0
	s_clause 0x3
	buffer_load_dword v1, v4, s[0:3], 0 offen
	buffer_load_dword v2, v4, s[0:3], 0 offen offset:4
	buffer_load_dword v3, v4, s[0:3], 0 offen offset:8
	;; [unrolled: 1-line block ×3, first 2 shown]
	s_waitcnt vmcnt(0)
	ds_write_b128 v130, v[1:4]
	s_waitcnt lgkmcnt(0)
	s_waitcnt_vscnt null, 0x0
	s_barrier
	buffer_gl0_inv
	s_and_saveexec_b32 s6, s5
	s_cbranch_execz .LBB125_327
; %bb.314:
	ds_read_b128 v[1:4], v130
	s_andn2_b32 vcc_lo, exec_lo, s7
	s_cbranch_vccnz .LBB125_316
; %bb.315:
	s_clause 0x3
	buffer_load_dword v131, v129, s[0:3], 0 offen offset:8
	buffer_load_dword v132, v129, s[0:3], 0 offen offset:12
	buffer_load_dword v133, v129, s[0:3], 0 offen
	buffer_load_dword v134, v129, s[0:3], 0 offen offset:4
	s_waitcnt vmcnt(2) lgkmcnt(0)
	v_mul_f64 v[136:137], v[3:4], v[131:132]
	v_mul_f64 v[131:132], v[1:2], v[131:132]
	s_waitcnt vmcnt(0)
	v_fma_f64 v[1:2], v[1:2], v[133:134], -v[136:137]
	v_fma_f64 v[3:4], v[3:4], v[133:134], v[131:132]
.LBB125_316:
	s_and_saveexec_b32 s8, s4
	s_cbranch_execz .LBB125_326
; %bb.317:
	v_subrev_nc_u32_e32 v132, 39, v0
	v_mov_b32_e32 v133, 38
	v_subrev_nc_u32_e32 v131, 38, v0
	s_mov_b32 s4, exec_lo
	v_cmpx_lt_u32_e32 6, v132
	s_cbranch_execz .LBB125_321
; %bb.318:
	v_and_b32_e32 v132, -8, v131
	s_movk_i32 s72, 0x640
	s_mov_b32 s71, 0
	s_mov_b32 s73, s33
	s_mov_b32 s74, 0
.LBB125_319:                            ; =>This Inner Loop Header: Depth=1
	v_mov_b32_e32 v136, s73
	v_mov_b32_e32 v182, s72
	s_add_i32 s75, s74, 8
	s_add_i32 s74, s74, 46
	v_cmp_eq_u32_e32 vcc_lo, s75, v132
	s_clause 0x1f
	buffer_load_dword v133, v136, s[0:3], 0 offen offset:8
	buffer_load_dword v134, v136, s[0:3], 0 offen offset:12
	buffer_load_dword v144, v136, s[0:3], 0 offen
	buffer_load_dword v145, v136, s[0:3], 0 offen offset:4
	buffer_load_dword v146, v136, s[0:3], 0 offen offset:24
	;; [unrolled: 1-line block ×29, first 2 shown]
	ds_read_b128 v[136:139], v182
	ds_read_b128 v[140:143], v182 offset:16
	s_addk_i32 s72, 0x80
	s_addk_i32 s73, 0x80
	s_or_b32 s71, vcc_lo, s71
	s_waitcnt vmcnt(30) lgkmcnt(1)
	v_mul_f64 v[174:175], v[138:139], v[133:134]
	v_mul_f64 v[133:134], v[136:137], v[133:134]
	s_waitcnt vmcnt(26) lgkmcnt(0)
	v_mul_f64 v[176:177], v[142:143], v[146:147]
	v_mul_f64 v[178:179], v[140:141], v[146:147]
	v_fma_f64 v[174:175], v[136:137], v[144:145], -v[174:175]
	v_fma_f64 v[133:134], v[138:139], v[144:145], v[133:134]
	ds_read_b128 v[136:139], v182 offset:32
	ds_read_b128 v[144:147], v182 offset:48
	s_waitcnt vmcnt(24)
	v_fma_f64 v[140:141], v[140:141], v[148:149], -v[176:177]
	v_fma_f64 v[142:143], v[142:143], v[148:149], v[178:179]
	s_waitcnt vmcnt(22) lgkmcnt(1)
	v_mul_f64 v[180:181], v[138:139], v[150:151]
	v_mul_f64 v[150:151], v[136:137], v[150:151]
	v_add_f64 v[1:2], v[1:2], v[174:175]
	v_add_f64 v[3:4], v[3:4], v[133:134]
	s_waitcnt vmcnt(18) lgkmcnt(0)
	v_mul_f64 v[133:134], v[146:147], v[154:155]
	v_mul_f64 v[148:149], v[144:145], v[154:155]
	v_fma_f64 v[154:155], v[136:137], v[152:153], -v[180:181]
	v_fma_f64 v[150:151], v[138:139], v[152:153], v[150:151]
	v_add_f64 v[140:141], v[1:2], v[140:141]
	v_add_f64 v[142:143], v[3:4], v[142:143]
	ds_read_b128 v[1:4], v182 offset:64
	ds_read_b128 v[136:139], v182 offset:80
	s_waitcnt vmcnt(16)
	v_fma_f64 v[133:134], v[144:145], v[156:157], -v[133:134]
	v_fma_f64 v[144:145], v[146:147], v[156:157], v[148:149]
	s_waitcnt vmcnt(12) lgkmcnt(1)
	v_mul_f64 v[152:153], v[3:4], v[158:159]
	v_mul_f64 v[158:159], v[1:2], v[158:159]
	v_add_f64 v[140:141], v[140:141], v[154:155]
	v_add_f64 v[142:143], v[142:143], v[150:151]
	s_waitcnt vmcnt(10) lgkmcnt(0)
	v_mul_f64 v[146:147], v[138:139], v[160:161]
	v_mul_f64 v[148:149], v[136:137], v[160:161]
	s_waitcnt vmcnt(8)
	v_fma_f64 v[150:151], v[1:2], v[164:165], -v[152:153]
	v_fma_f64 v[152:153], v[3:4], v[164:165], v[158:159]
	v_add_f64 v[133:134], v[140:141], v[133:134]
	v_add_f64 v[144:145], v[142:143], v[144:145]
	ds_read_b128 v[1:4], v182 offset:96
	ds_read_b128 v[140:143], v182 offset:112
	v_fma_f64 v[136:137], v[136:137], v[162:163], -v[146:147]
	v_fma_f64 v[138:139], v[138:139], v[162:163], v[148:149]
	s_waitcnt vmcnt(4) lgkmcnt(1)
	v_mul_f64 v[154:155], v[3:4], v[166:167]
	v_mul_f64 v[156:157], v[1:2], v[166:167]
	v_add_f64 v[133:134], v[133:134], v[150:151]
	v_add_f64 v[144:145], v[144:145], v[152:153]
	s_waitcnt vmcnt(2) lgkmcnt(0)
	v_mul_f64 v[146:147], v[142:143], v[168:169]
	v_mul_f64 v[148:149], v[140:141], v[168:169]
	s_waitcnt vmcnt(0)
	v_fma_f64 v[1:2], v[1:2], v[172:173], -v[154:155]
	v_fma_f64 v[3:4], v[3:4], v[172:173], v[156:157]
	v_add_f64 v[133:134], v[133:134], v[136:137]
	v_add_f64 v[136:137], v[144:145], v[138:139]
	v_fma_f64 v[138:139], v[140:141], v[170:171], -v[146:147]
	v_fma_f64 v[140:141], v[142:143], v[170:171], v[148:149]
	v_add_f64 v[1:2], v[133:134], v[1:2]
	v_add_f64 v[3:4], v[136:137], v[3:4]
	v_mov_b32_e32 v133, s74
	s_mov_b32 s74, s75
	v_add_f64 v[1:2], v[1:2], v[138:139]
	v_add_f64 v[3:4], v[3:4], v[140:141]
	s_andn2_b32 exec_lo, exec_lo, s71
	s_cbranch_execnz .LBB125_319
; %bb.320:
	s_or_b32 exec_lo, exec_lo, s71
.LBB125_321:
	s_or_b32 exec_lo, exec_lo, s4
	v_and_b32_e32 v131, 7, v131
	s_mov_b32 s71, 0
	s_mov_b32 s4, exec_lo
	v_cmpx_ne_u32_e32 0, v131
	s_cbranch_execz .LBB125_325
; %bb.322:
	v_lshlrev_b32_e32 v133, 4, v133
	v_add_nc_u32_e32 v132, 0x3e0, v133
	.p2align	6
.LBB125_323:                            ; =>This Inner Loop Header: Depth=1
	s_clause 0x3
	buffer_load_dword v140, v133, s[0:3], 0 offen offset:8
	buffer_load_dword v141, v133, s[0:3], 0 offen offset:12
	buffer_load_dword v142, v133, s[0:3], 0 offen
	buffer_load_dword v143, v133, s[0:3], 0 offen offset:4
	ds_read_b128 v[136:139], v132
	v_add_nc_u32_e32 v131, -1, v131
	v_add_nc_u32_e32 v132, 16, v132
	v_add_nc_u32_e32 v133, 16, v133
	v_cmp_eq_u32_e32 vcc_lo, 0, v131
	s_or_b32 s71, vcc_lo, s71
	s_waitcnt vmcnt(2) lgkmcnt(0)
	v_mul_f64 v[144:145], v[138:139], v[140:141]
	v_mul_f64 v[140:141], v[136:137], v[140:141]
	s_waitcnt vmcnt(0)
	v_fma_f64 v[136:137], v[136:137], v[142:143], -v[144:145]
	v_fma_f64 v[138:139], v[138:139], v[142:143], v[140:141]
	v_add_f64 v[1:2], v[1:2], v[136:137]
	v_add_f64 v[3:4], v[3:4], v[138:139]
	s_andn2_b32 exec_lo, exec_lo, s71
	s_cbranch_execnz .LBB125_323
; %bb.324:
	s_or_b32 exec_lo, exec_lo, s71
.LBB125_325:
	s_or_b32 exec_lo, exec_lo, s4
.LBB125_326:
	s_or_b32 exec_lo, exec_lo, s8
	v_mov_b32_e32 v131, 0
	ds_read_b128 v[131:134], v131 offset:592
	s_waitcnt lgkmcnt(0)
	v_mul_f64 v[136:137], v[3:4], v[133:134]
	v_mul_f64 v[133:134], v[1:2], v[133:134]
	v_fma_f64 v[1:2], v[1:2], v[131:132], -v[136:137]
	v_fma_f64 v[3:4], v[3:4], v[131:132], v[133:134]
	buffer_store_dword v2, off, s[0:3], 0 offset:596
	buffer_store_dword v1, off, s[0:3], 0 offset:592
	;; [unrolled: 1-line block ×4, first 2 shown]
.LBB125_327:
	s_or_b32 exec_lo, exec_lo, s6
	v_mov_b32_e32 v4, s35
	v_cmp_lt_u32_e64 s4, 36, v0
	s_clause 0x3
	buffer_load_dword v1, v4, s[0:3], 0 offen
	buffer_load_dword v2, v4, s[0:3], 0 offen offset:4
	buffer_load_dword v3, v4, s[0:3], 0 offen offset:8
	;; [unrolled: 1-line block ×3, first 2 shown]
	s_waitcnt vmcnt(0)
	ds_write_b128 v130, v[1:4]
	s_waitcnt lgkmcnt(0)
	s_waitcnt_vscnt null, 0x0
	s_barrier
	buffer_gl0_inv
	s_and_saveexec_b32 s6, s4
	s_cbranch_execz .LBB125_341
; %bb.328:
	ds_read_b128 v[1:4], v130
	s_andn2_b32 vcc_lo, exec_lo, s7
	s_cbranch_vccnz .LBB125_330
; %bb.329:
	s_clause 0x3
	buffer_load_dword v131, v129, s[0:3], 0 offen offset:8
	buffer_load_dword v132, v129, s[0:3], 0 offen offset:12
	buffer_load_dword v133, v129, s[0:3], 0 offen
	buffer_load_dword v134, v129, s[0:3], 0 offen offset:4
	s_waitcnt vmcnt(2) lgkmcnt(0)
	v_mul_f64 v[136:137], v[3:4], v[131:132]
	v_mul_f64 v[131:132], v[1:2], v[131:132]
	s_waitcnt vmcnt(0)
	v_fma_f64 v[1:2], v[1:2], v[133:134], -v[136:137]
	v_fma_f64 v[3:4], v[3:4], v[133:134], v[131:132]
.LBB125_330:
	s_and_saveexec_b32 s8, s5
	s_cbranch_execz .LBB125_340
; %bb.331:
	v_subrev_nc_u32_e32 v132, 38, v0
	v_mov_b32_e32 v133, 37
	v_subrev_nc_u32_e32 v131, 37, v0
	s_mov_b32 s5, exec_lo
	v_cmpx_lt_u32_e32 6, v132
	s_cbranch_execz .LBB125_335
; %bb.332:
	v_and_b32_e32 v132, -8, v131
	s_movk_i32 s72, 0x630
	s_mov_b32 s71, 0
	s_mov_b32 s73, s34
	;; [unrolled: 1-line block ×3, first 2 shown]
.LBB125_333:                            ; =>This Inner Loop Header: Depth=1
	v_mov_b32_e32 v136, s73
	v_mov_b32_e32 v182, s72
	s_add_i32 s75, s74, 8
	s_add_i32 s74, s74, 45
	v_cmp_eq_u32_e32 vcc_lo, s75, v132
	s_clause 0x1f
	buffer_load_dword v133, v136, s[0:3], 0 offen offset:8
	buffer_load_dword v134, v136, s[0:3], 0 offen offset:12
	buffer_load_dword v144, v136, s[0:3], 0 offen
	buffer_load_dword v145, v136, s[0:3], 0 offen offset:4
	buffer_load_dword v146, v136, s[0:3], 0 offen offset:24
	buffer_load_dword v147, v136, s[0:3], 0 offen offset:28
	buffer_load_dword v148, v136, s[0:3], 0 offen offset:16
	buffer_load_dword v149, v136, s[0:3], 0 offen offset:20
	buffer_load_dword v150, v136, s[0:3], 0 offen offset:40
	buffer_load_dword v151, v136, s[0:3], 0 offen offset:44
	buffer_load_dword v152, v136, s[0:3], 0 offen offset:32
	buffer_load_dword v153, v136, s[0:3], 0 offen offset:36
	buffer_load_dword v154, v136, s[0:3], 0 offen offset:56
	buffer_load_dword v155, v136, s[0:3], 0 offen offset:60
	buffer_load_dword v156, v136, s[0:3], 0 offen offset:48
	buffer_load_dword v157, v136, s[0:3], 0 offen offset:52
	buffer_load_dword v159, v136, s[0:3], 0 offen offset:76
	buffer_load_dword v160, v136, s[0:3], 0 offen offset:88
	buffer_load_dword v162, v136, s[0:3], 0 offen offset:80
	buffer_load_dword v158, v136, s[0:3], 0 offen offset:72
	buffer_load_dword v163, v136, s[0:3], 0 offen offset:84
	buffer_load_dword v161, v136, s[0:3], 0 offen offset:92
	buffer_load_dword v165, v136, s[0:3], 0 offen offset:68
	buffer_load_dword v164, v136, s[0:3], 0 offen offset:64
	buffer_load_dword v167, v136, s[0:3], 0 offen offset:108
	buffer_load_dword v168, v136, s[0:3], 0 offen offset:120
	buffer_load_dword v170, v136, s[0:3], 0 offen offset:112
	buffer_load_dword v166, v136, s[0:3], 0 offen offset:104
	buffer_load_dword v171, v136, s[0:3], 0 offen offset:116
	buffer_load_dword v169, v136, s[0:3], 0 offen offset:124
	buffer_load_dword v173, v136, s[0:3], 0 offen offset:100
	buffer_load_dword v172, v136, s[0:3], 0 offen offset:96
	ds_read_b128 v[136:139], v182
	ds_read_b128 v[140:143], v182 offset:16
	s_addk_i32 s72, 0x80
	s_addk_i32 s73, 0x80
	s_or_b32 s71, vcc_lo, s71
	s_waitcnt vmcnt(30) lgkmcnt(1)
	v_mul_f64 v[174:175], v[138:139], v[133:134]
	v_mul_f64 v[133:134], v[136:137], v[133:134]
	s_waitcnt vmcnt(26) lgkmcnt(0)
	v_mul_f64 v[176:177], v[142:143], v[146:147]
	v_mul_f64 v[178:179], v[140:141], v[146:147]
	v_fma_f64 v[174:175], v[136:137], v[144:145], -v[174:175]
	v_fma_f64 v[133:134], v[138:139], v[144:145], v[133:134]
	ds_read_b128 v[136:139], v182 offset:32
	ds_read_b128 v[144:147], v182 offset:48
	s_waitcnt vmcnt(24)
	v_fma_f64 v[140:141], v[140:141], v[148:149], -v[176:177]
	v_fma_f64 v[142:143], v[142:143], v[148:149], v[178:179]
	s_waitcnt vmcnt(22) lgkmcnt(1)
	v_mul_f64 v[180:181], v[138:139], v[150:151]
	v_mul_f64 v[150:151], v[136:137], v[150:151]
	v_add_f64 v[1:2], v[1:2], v[174:175]
	v_add_f64 v[3:4], v[3:4], v[133:134]
	s_waitcnt vmcnt(18) lgkmcnt(0)
	v_mul_f64 v[133:134], v[146:147], v[154:155]
	v_mul_f64 v[148:149], v[144:145], v[154:155]
	v_fma_f64 v[154:155], v[136:137], v[152:153], -v[180:181]
	v_fma_f64 v[150:151], v[138:139], v[152:153], v[150:151]
	v_add_f64 v[140:141], v[1:2], v[140:141]
	v_add_f64 v[142:143], v[3:4], v[142:143]
	ds_read_b128 v[1:4], v182 offset:64
	ds_read_b128 v[136:139], v182 offset:80
	s_waitcnt vmcnt(16)
	v_fma_f64 v[133:134], v[144:145], v[156:157], -v[133:134]
	v_fma_f64 v[144:145], v[146:147], v[156:157], v[148:149]
	s_waitcnt vmcnt(12) lgkmcnt(1)
	v_mul_f64 v[152:153], v[3:4], v[158:159]
	v_mul_f64 v[158:159], v[1:2], v[158:159]
	v_add_f64 v[140:141], v[140:141], v[154:155]
	v_add_f64 v[142:143], v[142:143], v[150:151]
	s_waitcnt vmcnt(10) lgkmcnt(0)
	v_mul_f64 v[146:147], v[138:139], v[160:161]
	v_mul_f64 v[148:149], v[136:137], v[160:161]
	s_waitcnt vmcnt(8)
	v_fma_f64 v[150:151], v[1:2], v[164:165], -v[152:153]
	v_fma_f64 v[152:153], v[3:4], v[164:165], v[158:159]
	v_add_f64 v[133:134], v[140:141], v[133:134]
	v_add_f64 v[144:145], v[142:143], v[144:145]
	ds_read_b128 v[1:4], v182 offset:96
	ds_read_b128 v[140:143], v182 offset:112
	v_fma_f64 v[136:137], v[136:137], v[162:163], -v[146:147]
	v_fma_f64 v[138:139], v[138:139], v[162:163], v[148:149]
	s_waitcnt vmcnt(4) lgkmcnt(1)
	v_mul_f64 v[154:155], v[3:4], v[166:167]
	v_mul_f64 v[156:157], v[1:2], v[166:167]
	v_add_f64 v[133:134], v[133:134], v[150:151]
	v_add_f64 v[144:145], v[144:145], v[152:153]
	s_waitcnt vmcnt(2) lgkmcnt(0)
	v_mul_f64 v[146:147], v[142:143], v[168:169]
	v_mul_f64 v[148:149], v[140:141], v[168:169]
	s_waitcnt vmcnt(0)
	v_fma_f64 v[1:2], v[1:2], v[172:173], -v[154:155]
	v_fma_f64 v[3:4], v[3:4], v[172:173], v[156:157]
	v_add_f64 v[133:134], v[133:134], v[136:137]
	v_add_f64 v[136:137], v[144:145], v[138:139]
	v_fma_f64 v[138:139], v[140:141], v[170:171], -v[146:147]
	v_fma_f64 v[140:141], v[142:143], v[170:171], v[148:149]
	v_add_f64 v[1:2], v[133:134], v[1:2]
	v_add_f64 v[3:4], v[136:137], v[3:4]
	v_mov_b32_e32 v133, s74
	s_mov_b32 s74, s75
	v_add_f64 v[1:2], v[1:2], v[138:139]
	v_add_f64 v[3:4], v[3:4], v[140:141]
	s_andn2_b32 exec_lo, exec_lo, s71
	s_cbranch_execnz .LBB125_333
; %bb.334:
	s_or_b32 exec_lo, exec_lo, s71
.LBB125_335:
	s_or_b32 exec_lo, exec_lo, s5
	v_and_b32_e32 v131, 7, v131
	s_mov_b32 s71, 0
	s_mov_b32 s5, exec_lo
	v_cmpx_ne_u32_e32 0, v131
	s_cbranch_execz .LBB125_339
; %bb.336:
	v_lshlrev_b32_e32 v133, 4, v133
	v_add_nc_u32_e32 v132, 0x3e0, v133
	.p2align	6
.LBB125_337:                            ; =>This Inner Loop Header: Depth=1
	s_clause 0x3
	buffer_load_dword v140, v133, s[0:3], 0 offen offset:8
	buffer_load_dword v141, v133, s[0:3], 0 offen offset:12
	buffer_load_dword v142, v133, s[0:3], 0 offen
	buffer_load_dword v143, v133, s[0:3], 0 offen offset:4
	ds_read_b128 v[136:139], v132
	v_add_nc_u32_e32 v131, -1, v131
	v_add_nc_u32_e32 v132, 16, v132
	v_add_nc_u32_e32 v133, 16, v133
	v_cmp_eq_u32_e32 vcc_lo, 0, v131
	s_or_b32 s71, vcc_lo, s71
	s_waitcnt vmcnt(2) lgkmcnt(0)
	v_mul_f64 v[144:145], v[138:139], v[140:141]
	v_mul_f64 v[140:141], v[136:137], v[140:141]
	s_waitcnt vmcnt(0)
	v_fma_f64 v[136:137], v[136:137], v[142:143], -v[144:145]
	v_fma_f64 v[138:139], v[138:139], v[142:143], v[140:141]
	v_add_f64 v[1:2], v[1:2], v[136:137]
	v_add_f64 v[3:4], v[3:4], v[138:139]
	s_andn2_b32 exec_lo, exec_lo, s71
	s_cbranch_execnz .LBB125_337
; %bb.338:
	s_or_b32 exec_lo, exec_lo, s71
.LBB125_339:
	s_or_b32 exec_lo, exec_lo, s5
.LBB125_340:
	s_or_b32 exec_lo, exec_lo, s8
	v_mov_b32_e32 v131, 0
	ds_read_b128 v[131:134], v131 offset:576
	s_waitcnt lgkmcnt(0)
	v_mul_f64 v[136:137], v[3:4], v[133:134]
	v_mul_f64 v[133:134], v[1:2], v[133:134]
	v_fma_f64 v[1:2], v[1:2], v[131:132], -v[136:137]
	v_fma_f64 v[3:4], v[3:4], v[131:132], v[133:134]
	buffer_store_dword v2, off, s[0:3], 0 offset:580
	buffer_store_dword v1, off, s[0:3], 0 offset:576
	;; [unrolled: 1-line block ×4, first 2 shown]
.LBB125_341:
	s_or_b32 exec_lo, exec_lo, s6
	v_mov_b32_e32 v4, s36
	v_cmp_lt_u32_e64 s5, 35, v0
	s_clause 0x3
	buffer_load_dword v1, v4, s[0:3], 0 offen
	buffer_load_dword v2, v4, s[0:3], 0 offen offset:4
	buffer_load_dword v3, v4, s[0:3], 0 offen offset:8
	;; [unrolled: 1-line block ×3, first 2 shown]
	s_waitcnt vmcnt(0)
	ds_write_b128 v130, v[1:4]
	s_waitcnt lgkmcnt(0)
	s_waitcnt_vscnt null, 0x0
	s_barrier
	buffer_gl0_inv
	s_and_saveexec_b32 s6, s5
	s_cbranch_execz .LBB125_355
; %bb.342:
	ds_read_b128 v[1:4], v130
	s_andn2_b32 vcc_lo, exec_lo, s7
	s_cbranch_vccnz .LBB125_344
; %bb.343:
	s_clause 0x3
	buffer_load_dword v131, v129, s[0:3], 0 offen offset:8
	buffer_load_dword v132, v129, s[0:3], 0 offen offset:12
	buffer_load_dword v133, v129, s[0:3], 0 offen
	buffer_load_dword v134, v129, s[0:3], 0 offen offset:4
	s_waitcnt vmcnt(2) lgkmcnt(0)
	v_mul_f64 v[136:137], v[3:4], v[131:132]
	v_mul_f64 v[131:132], v[1:2], v[131:132]
	s_waitcnt vmcnt(0)
	v_fma_f64 v[1:2], v[1:2], v[133:134], -v[136:137]
	v_fma_f64 v[3:4], v[3:4], v[133:134], v[131:132]
.LBB125_344:
	s_and_saveexec_b32 s8, s4
	s_cbranch_execz .LBB125_354
; %bb.345:
	v_subrev_nc_u32_e32 v132, 37, v0
	v_mov_b32_e32 v133, 36
	v_subrev_nc_u32_e32 v131, 36, v0
	s_mov_b32 s4, exec_lo
	v_cmpx_lt_u32_e32 6, v132
	s_cbranch_execz .LBB125_349
; %bb.346:
	v_and_b32_e32 v132, -8, v131
	s_movk_i32 s72, 0x620
	s_mov_b32 s71, 0
	s_mov_b32 s73, s35
	;; [unrolled: 1-line block ×3, first 2 shown]
.LBB125_347:                            ; =>This Inner Loop Header: Depth=1
	v_mov_b32_e32 v136, s73
	v_mov_b32_e32 v182, s72
	s_add_i32 s75, s74, 8
	s_add_i32 s74, s74, 44
	v_cmp_eq_u32_e32 vcc_lo, s75, v132
	s_clause 0x1f
	buffer_load_dword v133, v136, s[0:3], 0 offen offset:8
	buffer_load_dword v134, v136, s[0:3], 0 offen offset:12
	buffer_load_dword v144, v136, s[0:3], 0 offen
	buffer_load_dword v145, v136, s[0:3], 0 offen offset:4
	buffer_load_dword v146, v136, s[0:3], 0 offen offset:24
	;; [unrolled: 1-line block ×29, first 2 shown]
	ds_read_b128 v[136:139], v182
	ds_read_b128 v[140:143], v182 offset:16
	s_addk_i32 s72, 0x80
	s_addk_i32 s73, 0x80
	s_or_b32 s71, vcc_lo, s71
	s_waitcnt vmcnt(30) lgkmcnt(1)
	v_mul_f64 v[174:175], v[138:139], v[133:134]
	v_mul_f64 v[133:134], v[136:137], v[133:134]
	s_waitcnt vmcnt(26) lgkmcnt(0)
	v_mul_f64 v[176:177], v[142:143], v[146:147]
	v_mul_f64 v[178:179], v[140:141], v[146:147]
	v_fma_f64 v[174:175], v[136:137], v[144:145], -v[174:175]
	v_fma_f64 v[133:134], v[138:139], v[144:145], v[133:134]
	ds_read_b128 v[136:139], v182 offset:32
	ds_read_b128 v[144:147], v182 offset:48
	s_waitcnt vmcnt(24)
	v_fma_f64 v[140:141], v[140:141], v[148:149], -v[176:177]
	v_fma_f64 v[142:143], v[142:143], v[148:149], v[178:179]
	s_waitcnt vmcnt(22) lgkmcnt(1)
	v_mul_f64 v[180:181], v[138:139], v[150:151]
	v_mul_f64 v[150:151], v[136:137], v[150:151]
	v_add_f64 v[1:2], v[1:2], v[174:175]
	v_add_f64 v[3:4], v[3:4], v[133:134]
	s_waitcnt vmcnt(18) lgkmcnt(0)
	v_mul_f64 v[133:134], v[146:147], v[154:155]
	v_mul_f64 v[148:149], v[144:145], v[154:155]
	v_fma_f64 v[154:155], v[136:137], v[152:153], -v[180:181]
	v_fma_f64 v[150:151], v[138:139], v[152:153], v[150:151]
	v_add_f64 v[140:141], v[1:2], v[140:141]
	v_add_f64 v[142:143], v[3:4], v[142:143]
	ds_read_b128 v[1:4], v182 offset:64
	ds_read_b128 v[136:139], v182 offset:80
	s_waitcnt vmcnt(16)
	v_fma_f64 v[133:134], v[144:145], v[156:157], -v[133:134]
	v_fma_f64 v[144:145], v[146:147], v[156:157], v[148:149]
	s_waitcnt vmcnt(12) lgkmcnt(1)
	v_mul_f64 v[152:153], v[3:4], v[158:159]
	v_mul_f64 v[158:159], v[1:2], v[158:159]
	v_add_f64 v[140:141], v[140:141], v[154:155]
	v_add_f64 v[142:143], v[142:143], v[150:151]
	s_waitcnt vmcnt(10) lgkmcnt(0)
	v_mul_f64 v[146:147], v[138:139], v[160:161]
	v_mul_f64 v[148:149], v[136:137], v[160:161]
	s_waitcnt vmcnt(8)
	v_fma_f64 v[150:151], v[1:2], v[164:165], -v[152:153]
	v_fma_f64 v[152:153], v[3:4], v[164:165], v[158:159]
	v_add_f64 v[133:134], v[140:141], v[133:134]
	v_add_f64 v[144:145], v[142:143], v[144:145]
	ds_read_b128 v[1:4], v182 offset:96
	ds_read_b128 v[140:143], v182 offset:112
	v_fma_f64 v[136:137], v[136:137], v[162:163], -v[146:147]
	v_fma_f64 v[138:139], v[138:139], v[162:163], v[148:149]
	s_waitcnt vmcnt(4) lgkmcnt(1)
	v_mul_f64 v[154:155], v[3:4], v[166:167]
	v_mul_f64 v[156:157], v[1:2], v[166:167]
	v_add_f64 v[133:134], v[133:134], v[150:151]
	v_add_f64 v[144:145], v[144:145], v[152:153]
	s_waitcnt vmcnt(2) lgkmcnt(0)
	v_mul_f64 v[146:147], v[142:143], v[168:169]
	v_mul_f64 v[148:149], v[140:141], v[168:169]
	s_waitcnt vmcnt(0)
	v_fma_f64 v[1:2], v[1:2], v[172:173], -v[154:155]
	v_fma_f64 v[3:4], v[3:4], v[172:173], v[156:157]
	v_add_f64 v[133:134], v[133:134], v[136:137]
	v_add_f64 v[136:137], v[144:145], v[138:139]
	v_fma_f64 v[138:139], v[140:141], v[170:171], -v[146:147]
	v_fma_f64 v[140:141], v[142:143], v[170:171], v[148:149]
	v_add_f64 v[1:2], v[133:134], v[1:2]
	v_add_f64 v[3:4], v[136:137], v[3:4]
	v_mov_b32_e32 v133, s74
	s_mov_b32 s74, s75
	v_add_f64 v[1:2], v[1:2], v[138:139]
	v_add_f64 v[3:4], v[3:4], v[140:141]
	s_andn2_b32 exec_lo, exec_lo, s71
	s_cbranch_execnz .LBB125_347
; %bb.348:
	s_or_b32 exec_lo, exec_lo, s71
.LBB125_349:
	s_or_b32 exec_lo, exec_lo, s4
	v_and_b32_e32 v131, 7, v131
	s_mov_b32 s71, 0
	s_mov_b32 s4, exec_lo
	v_cmpx_ne_u32_e32 0, v131
	s_cbranch_execz .LBB125_353
; %bb.350:
	v_lshlrev_b32_e32 v133, 4, v133
	v_add_nc_u32_e32 v132, 0x3e0, v133
	.p2align	6
.LBB125_351:                            ; =>This Inner Loop Header: Depth=1
	s_clause 0x3
	buffer_load_dword v140, v133, s[0:3], 0 offen offset:8
	buffer_load_dword v141, v133, s[0:3], 0 offen offset:12
	buffer_load_dword v142, v133, s[0:3], 0 offen
	buffer_load_dword v143, v133, s[0:3], 0 offen offset:4
	ds_read_b128 v[136:139], v132
	v_add_nc_u32_e32 v131, -1, v131
	v_add_nc_u32_e32 v132, 16, v132
	v_add_nc_u32_e32 v133, 16, v133
	v_cmp_eq_u32_e32 vcc_lo, 0, v131
	s_or_b32 s71, vcc_lo, s71
	s_waitcnt vmcnt(2) lgkmcnt(0)
	v_mul_f64 v[144:145], v[138:139], v[140:141]
	v_mul_f64 v[140:141], v[136:137], v[140:141]
	s_waitcnt vmcnt(0)
	v_fma_f64 v[136:137], v[136:137], v[142:143], -v[144:145]
	v_fma_f64 v[138:139], v[138:139], v[142:143], v[140:141]
	v_add_f64 v[1:2], v[1:2], v[136:137]
	v_add_f64 v[3:4], v[3:4], v[138:139]
	s_andn2_b32 exec_lo, exec_lo, s71
	s_cbranch_execnz .LBB125_351
; %bb.352:
	s_or_b32 exec_lo, exec_lo, s71
.LBB125_353:
	s_or_b32 exec_lo, exec_lo, s4
.LBB125_354:
	s_or_b32 exec_lo, exec_lo, s8
	v_mov_b32_e32 v131, 0
	ds_read_b128 v[131:134], v131 offset:560
	s_waitcnt lgkmcnt(0)
	v_mul_f64 v[136:137], v[3:4], v[133:134]
	v_mul_f64 v[133:134], v[1:2], v[133:134]
	v_fma_f64 v[1:2], v[1:2], v[131:132], -v[136:137]
	v_fma_f64 v[3:4], v[3:4], v[131:132], v[133:134]
	buffer_store_dword v2, off, s[0:3], 0 offset:564
	buffer_store_dword v1, off, s[0:3], 0 offset:560
	;; [unrolled: 1-line block ×4, first 2 shown]
.LBB125_355:
	s_or_b32 exec_lo, exec_lo, s6
	v_mov_b32_e32 v4, s37
	v_cmp_lt_u32_e64 s4, 34, v0
	s_clause 0x3
	buffer_load_dword v1, v4, s[0:3], 0 offen
	buffer_load_dword v2, v4, s[0:3], 0 offen offset:4
	buffer_load_dword v3, v4, s[0:3], 0 offen offset:8
	;; [unrolled: 1-line block ×3, first 2 shown]
	s_waitcnt vmcnt(0)
	ds_write_b128 v130, v[1:4]
	s_waitcnt lgkmcnt(0)
	s_waitcnt_vscnt null, 0x0
	s_barrier
	buffer_gl0_inv
	s_and_saveexec_b32 s6, s4
	s_cbranch_execz .LBB125_369
; %bb.356:
	ds_read_b128 v[1:4], v130
	s_andn2_b32 vcc_lo, exec_lo, s7
	s_cbranch_vccnz .LBB125_358
; %bb.357:
	s_clause 0x3
	buffer_load_dword v131, v129, s[0:3], 0 offen offset:8
	buffer_load_dword v132, v129, s[0:3], 0 offen offset:12
	buffer_load_dword v133, v129, s[0:3], 0 offen
	buffer_load_dword v134, v129, s[0:3], 0 offen offset:4
	s_waitcnt vmcnt(2) lgkmcnt(0)
	v_mul_f64 v[136:137], v[3:4], v[131:132]
	v_mul_f64 v[131:132], v[1:2], v[131:132]
	s_waitcnt vmcnt(0)
	v_fma_f64 v[1:2], v[1:2], v[133:134], -v[136:137]
	v_fma_f64 v[3:4], v[3:4], v[133:134], v[131:132]
.LBB125_358:
	s_and_saveexec_b32 s8, s5
	s_cbranch_execz .LBB125_368
; %bb.359:
	v_subrev_nc_u32_e32 v132, 36, v0
	v_mov_b32_e32 v133, 35
	v_subrev_nc_u32_e32 v131, 35, v0
	s_mov_b32 s5, exec_lo
	v_cmpx_lt_u32_e32 6, v132
	s_cbranch_execz .LBB125_363
; %bb.360:
	v_and_b32_e32 v132, -8, v131
	s_movk_i32 s72, 0x610
	s_mov_b32 s71, 0
	s_mov_b32 s73, s36
	;; [unrolled: 1-line block ×3, first 2 shown]
.LBB125_361:                            ; =>This Inner Loop Header: Depth=1
	v_mov_b32_e32 v136, s73
	v_mov_b32_e32 v182, s72
	s_add_i32 s75, s74, 8
	s_add_i32 s74, s74, 43
	v_cmp_eq_u32_e32 vcc_lo, s75, v132
	s_clause 0x1f
	buffer_load_dword v133, v136, s[0:3], 0 offen offset:8
	buffer_load_dword v134, v136, s[0:3], 0 offen offset:12
	buffer_load_dword v144, v136, s[0:3], 0 offen
	buffer_load_dword v145, v136, s[0:3], 0 offen offset:4
	buffer_load_dword v146, v136, s[0:3], 0 offen offset:24
	;; [unrolled: 1-line block ×29, first 2 shown]
	ds_read_b128 v[136:139], v182
	ds_read_b128 v[140:143], v182 offset:16
	s_addk_i32 s72, 0x80
	s_addk_i32 s73, 0x80
	s_or_b32 s71, vcc_lo, s71
	s_waitcnt vmcnt(30) lgkmcnt(1)
	v_mul_f64 v[174:175], v[138:139], v[133:134]
	v_mul_f64 v[133:134], v[136:137], v[133:134]
	s_waitcnt vmcnt(26) lgkmcnt(0)
	v_mul_f64 v[176:177], v[142:143], v[146:147]
	v_mul_f64 v[178:179], v[140:141], v[146:147]
	v_fma_f64 v[174:175], v[136:137], v[144:145], -v[174:175]
	v_fma_f64 v[133:134], v[138:139], v[144:145], v[133:134]
	ds_read_b128 v[136:139], v182 offset:32
	ds_read_b128 v[144:147], v182 offset:48
	s_waitcnt vmcnt(24)
	v_fma_f64 v[140:141], v[140:141], v[148:149], -v[176:177]
	v_fma_f64 v[142:143], v[142:143], v[148:149], v[178:179]
	s_waitcnt vmcnt(22) lgkmcnt(1)
	v_mul_f64 v[180:181], v[138:139], v[150:151]
	v_mul_f64 v[150:151], v[136:137], v[150:151]
	v_add_f64 v[1:2], v[1:2], v[174:175]
	v_add_f64 v[3:4], v[3:4], v[133:134]
	s_waitcnt vmcnt(18) lgkmcnt(0)
	v_mul_f64 v[133:134], v[146:147], v[154:155]
	v_mul_f64 v[148:149], v[144:145], v[154:155]
	v_fma_f64 v[154:155], v[136:137], v[152:153], -v[180:181]
	v_fma_f64 v[150:151], v[138:139], v[152:153], v[150:151]
	v_add_f64 v[140:141], v[1:2], v[140:141]
	v_add_f64 v[142:143], v[3:4], v[142:143]
	ds_read_b128 v[1:4], v182 offset:64
	ds_read_b128 v[136:139], v182 offset:80
	s_waitcnt vmcnt(16)
	v_fma_f64 v[133:134], v[144:145], v[156:157], -v[133:134]
	v_fma_f64 v[144:145], v[146:147], v[156:157], v[148:149]
	s_waitcnt vmcnt(12) lgkmcnt(1)
	v_mul_f64 v[152:153], v[3:4], v[158:159]
	v_mul_f64 v[158:159], v[1:2], v[158:159]
	v_add_f64 v[140:141], v[140:141], v[154:155]
	v_add_f64 v[142:143], v[142:143], v[150:151]
	s_waitcnt vmcnt(10) lgkmcnt(0)
	v_mul_f64 v[146:147], v[138:139], v[160:161]
	v_mul_f64 v[148:149], v[136:137], v[160:161]
	s_waitcnt vmcnt(8)
	v_fma_f64 v[150:151], v[1:2], v[164:165], -v[152:153]
	v_fma_f64 v[152:153], v[3:4], v[164:165], v[158:159]
	v_add_f64 v[133:134], v[140:141], v[133:134]
	v_add_f64 v[144:145], v[142:143], v[144:145]
	ds_read_b128 v[1:4], v182 offset:96
	ds_read_b128 v[140:143], v182 offset:112
	v_fma_f64 v[136:137], v[136:137], v[162:163], -v[146:147]
	v_fma_f64 v[138:139], v[138:139], v[162:163], v[148:149]
	s_waitcnt vmcnt(4) lgkmcnt(1)
	v_mul_f64 v[154:155], v[3:4], v[166:167]
	v_mul_f64 v[156:157], v[1:2], v[166:167]
	v_add_f64 v[133:134], v[133:134], v[150:151]
	v_add_f64 v[144:145], v[144:145], v[152:153]
	s_waitcnt vmcnt(2) lgkmcnt(0)
	v_mul_f64 v[146:147], v[142:143], v[168:169]
	v_mul_f64 v[148:149], v[140:141], v[168:169]
	s_waitcnt vmcnt(0)
	v_fma_f64 v[1:2], v[1:2], v[172:173], -v[154:155]
	v_fma_f64 v[3:4], v[3:4], v[172:173], v[156:157]
	v_add_f64 v[133:134], v[133:134], v[136:137]
	v_add_f64 v[136:137], v[144:145], v[138:139]
	v_fma_f64 v[138:139], v[140:141], v[170:171], -v[146:147]
	v_fma_f64 v[140:141], v[142:143], v[170:171], v[148:149]
	v_add_f64 v[1:2], v[133:134], v[1:2]
	v_add_f64 v[3:4], v[136:137], v[3:4]
	v_mov_b32_e32 v133, s74
	s_mov_b32 s74, s75
	v_add_f64 v[1:2], v[1:2], v[138:139]
	v_add_f64 v[3:4], v[3:4], v[140:141]
	s_andn2_b32 exec_lo, exec_lo, s71
	s_cbranch_execnz .LBB125_361
; %bb.362:
	s_or_b32 exec_lo, exec_lo, s71
.LBB125_363:
	s_or_b32 exec_lo, exec_lo, s5
	v_and_b32_e32 v131, 7, v131
	s_mov_b32 s71, 0
	s_mov_b32 s5, exec_lo
	v_cmpx_ne_u32_e32 0, v131
	s_cbranch_execz .LBB125_367
; %bb.364:
	v_lshlrev_b32_e32 v133, 4, v133
	v_add_nc_u32_e32 v132, 0x3e0, v133
	.p2align	6
.LBB125_365:                            ; =>This Inner Loop Header: Depth=1
	s_clause 0x3
	buffer_load_dword v140, v133, s[0:3], 0 offen offset:8
	buffer_load_dword v141, v133, s[0:3], 0 offen offset:12
	buffer_load_dword v142, v133, s[0:3], 0 offen
	buffer_load_dword v143, v133, s[0:3], 0 offen offset:4
	ds_read_b128 v[136:139], v132
	v_add_nc_u32_e32 v131, -1, v131
	v_add_nc_u32_e32 v132, 16, v132
	v_add_nc_u32_e32 v133, 16, v133
	v_cmp_eq_u32_e32 vcc_lo, 0, v131
	s_or_b32 s71, vcc_lo, s71
	s_waitcnt vmcnt(2) lgkmcnt(0)
	v_mul_f64 v[144:145], v[138:139], v[140:141]
	v_mul_f64 v[140:141], v[136:137], v[140:141]
	s_waitcnt vmcnt(0)
	v_fma_f64 v[136:137], v[136:137], v[142:143], -v[144:145]
	v_fma_f64 v[138:139], v[138:139], v[142:143], v[140:141]
	v_add_f64 v[1:2], v[1:2], v[136:137]
	v_add_f64 v[3:4], v[3:4], v[138:139]
	s_andn2_b32 exec_lo, exec_lo, s71
	s_cbranch_execnz .LBB125_365
; %bb.366:
	s_or_b32 exec_lo, exec_lo, s71
.LBB125_367:
	s_or_b32 exec_lo, exec_lo, s5
.LBB125_368:
	s_or_b32 exec_lo, exec_lo, s8
	v_mov_b32_e32 v131, 0
	ds_read_b128 v[131:134], v131 offset:544
	s_waitcnt lgkmcnt(0)
	v_mul_f64 v[136:137], v[3:4], v[133:134]
	v_mul_f64 v[133:134], v[1:2], v[133:134]
	v_fma_f64 v[1:2], v[1:2], v[131:132], -v[136:137]
	v_fma_f64 v[3:4], v[3:4], v[131:132], v[133:134]
	buffer_store_dword v2, off, s[0:3], 0 offset:548
	buffer_store_dword v1, off, s[0:3], 0 offset:544
	;; [unrolled: 1-line block ×4, first 2 shown]
.LBB125_369:
	s_or_b32 exec_lo, exec_lo, s6
	v_mov_b32_e32 v4, s38
	v_cmp_lt_u32_e64 s5, 33, v0
	s_clause 0x3
	buffer_load_dword v1, v4, s[0:3], 0 offen
	buffer_load_dword v2, v4, s[0:3], 0 offen offset:4
	buffer_load_dword v3, v4, s[0:3], 0 offen offset:8
	;; [unrolled: 1-line block ×3, first 2 shown]
	s_waitcnt vmcnt(0)
	ds_write_b128 v130, v[1:4]
	s_waitcnt lgkmcnt(0)
	s_waitcnt_vscnt null, 0x0
	s_barrier
	buffer_gl0_inv
	s_and_saveexec_b32 s6, s5
	s_cbranch_execz .LBB125_383
; %bb.370:
	ds_read_b128 v[1:4], v130
	s_andn2_b32 vcc_lo, exec_lo, s7
	s_cbranch_vccnz .LBB125_372
; %bb.371:
	s_clause 0x3
	buffer_load_dword v131, v129, s[0:3], 0 offen offset:8
	buffer_load_dword v132, v129, s[0:3], 0 offen offset:12
	buffer_load_dword v133, v129, s[0:3], 0 offen
	buffer_load_dword v134, v129, s[0:3], 0 offen offset:4
	s_waitcnt vmcnt(2) lgkmcnt(0)
	v_mul_f64 v[136:137], v[3:4], v[131:132]
	v_mul_f64 v[131:132], v[1:2], v[131:132]
	s_waitcnt vmcnt(0)
	v_fma_f64 v[1:2], v[1:2], v[133:134], -v[136:137]
	v_fma_f64 v[3:4], v[3:4], v[133:134], v[131:132]
.LBB125_372:
	s_and_saveexec_b32 s8, s4
	s_cbranch_execz .LBB125_382
; %bb.373:
	v_subrev_nc_u32_e32 v132, 35, v0
	v_mov_b32_e32 v133, 34
	v_subrev_nc_u32_e32 v131, 34, v0
	s_mov_b32 s4, exec_lo
	v_cmpx_lt_u32_e32 6, v132
	s_cbranch_execz .LBB125_377
; %bb.374:
	v_and_b32_e32 v132, -8, v131
	s_movk_i32 s72, 0x600
	s_mov_b32 s71, 0
	s_mov_b32 s73, s37
	s_mov_b32 s74, 0
.LBB125_375:                            ; =>This Inner Loop Header: Depth=1
	v_mov_b32_e32 v136, s73
	v_mov_b32_e32 v182, s72
	s_add_i32 s75, s74, 8
	s_add_i32 s74, s74, 42
	v_cmp_eq_u32_e32 vcc_lo, s75, v132
	s_clause 0x1f
	buffer_load_dword v133, v136, s[0:3], 0 offen offset:8
	buffer_load_dword v134, v136, s[0:3], 0 offen offset:12
	buffer_load_dword v144, v136, s[0:3], 0 offen
	buffer_load_dword v145, v136, s[0:3], 0 offen offset:4
	buffer_load_dword v146, v136, s[0:3], 0 offen offset:24
	;; [unrolled: 1-line block ×29, first 2 shown]
	ds_read_b128 v[136:139], v182
	ds_read_b128 v[140:143], v182 offset:16
	s_addk_i32 s72, 0x80
	s_addk_i32 s73, 0x80
	s_or_b32 s71, vcc_lo, s71
	s_waitcnt vmcnt(30) lgkmcnt(1)
	v_mul_f64 v[174:175], v[138:139], v[133:134]
	v_mul_f64 v[133:134], v[136:137], v[133:134]
	s_waitcnt vmcnt(26) lgkmcnt(0)
	v_mul_f64 v[176:177], v[142:143], v[146:147]
	v_mul_f64 v[178:179], v[140:141], v[146:147]
	v_fma_f64 v[174:175], v[136:137], v[144:145], -v[174:175]
	v_fma_f64 v[133:134], v[138:139], v[144:145], v[133:134]
	ds_read_b128 v[136:139], v182 offset:32
	ds_read_b128 v[144:147], v182 offset:48
	s_waitcnt vmcnt(24)
	v_fma_f64 v[140:141], v[140:141], v[148:149], -v[176:177]
	v_fma_f64 v[142:143], v[142:143], v[148:149], v[178:179]
	s_waitcnt vmcnt(22) lgkmcnt(1)
	v_mul_f64 v[180:181], v[138:139], v[150:151]
	v_mul_f64 v[150:151], v[136:137], v[150:151]
	v_add_f64 v[1:2], v[1:2], v[174:175]
	v_add_f64 v[3:4], v[3:4], v[133:134]
	s_waitcnt vmcnt(18) lgkmcnt(0)
	v_mul_f64 v[133:134], v[146:147], v[154:155]
	v_mul_f64 v[148:149], v[144:145], v[154:155]
	v_fma_f64 v[154:155], v[136:137], v[152:153], -v[180:181]
	v_fma_f64 v[150:151], v[138:139], v[152:153], v[150:151]
	v_add_f64 v[140:141], v[1:2], v[140:141]
	v_add_f64 v[142:143], v[3:4], v[142:143]
	ds_read_b128 v[1:4], v182 offset:64
	ds_read_b128 v[136:139], v182 offset:80
	s_waitcnt vmcnt(16)
	v_fma_f64 v[133:134], v[144:145], v[156:157], -v[133:134]
	v_fma_f64 v[144:145], v[146:147], v[156:157], v[148:149]
	s_waitcnt vmcnt(12) lgkmcnt(1)
	v_mul_f64 v[152:153], v[3:4], v[158:159]
	v_mul_f64 v[158:159], v[1:2], v[158:159]
	v_add_f64 v[140:141], v[140:141], v[154:155]
	v_add_f64 v[142:143], v[142:143], v[150:151]
	s_waitcnt vmcnt(10) lgkmcnt(0)
	v_mul_f64 v[146:147], v[138:139], v[160:161]
	v_mul_f64 v[148:149], v[136:137], v[160:161]
	s_waitcnt vmcnt(8)
	v_fma_f64 v[150:151], v[1:2], v[164:165], -v[152:153]
	v_fma_f64 v[152:153], v[3:4], v[164:165], v[158:159]
	v_add_f64 v[133:134], v[140:141], v[133:134]
	v_add_f64 v[144:145], v[142:143], v[144:145]
	ds_read_b128 v[1:4], v182 offset:96
	ds_read_b128 v[140:143], v182 offset:112
	v_fma_f64 v[136:137], v[136:137], v[162:163], -v[146:147]
	v_fma_f64 v[138:139], v[138:139], v[162:163], v[148:149]
	s_waitcnt vmcnt(4) lgkmcnt(1)
	v_mul_f64 v[154:155], v[3:4], v[166:167]
	v_mul_f64 v[156:157], v[1:2], v[166:167]
	v_add_f64 v[133:134], v[133:134], v[150:151]
	v_add_f64 v[144:145], v[144:145], v[152:153]
	s_waitcnt vmcnt(2) lgkmcnt(0)
	v_mul_f64 v[146:147], v[142:143], v[168:169]
	v_mul_f64 v[148:149], v[140:141], v[168:169]
	s_waitcnt vmcnt(0)
	v_fma_f64 v[1:2], v[1:2], v[172:173], -v[154:155]
	v_fma_f64 v[3:4], v[3:4], v[172:173], v[156:157]
	v_add_f64 v[133:134], v[133:134], v[136:137]
	v_add_f64 v[136:137], v[144:145], v[138:139]
	v_fma_f64 v[138:139], v[140:141], v[170:171], -v[146:147]
	v_fma_f64 v[140:141], v[142:143], v[170:171], v[148:149]
	v_add_f64 v[1:2], v[133:134], v[1:2]
	v_add_f64 v[3:4], v[136:137], v[3:4]
	v_mov_b32_e32 v133, s74
	s_mov_b32 s74, s75
	v_add_f64 v[1:2], v[1:2], v[138:139]
	v_add_f64 v[3:4], v[3:4], v[140:141]
	s_andn2_b32 exec_lo, exec_lo, s71
	s_cbranch_execnz .LBB125_375
; %bb.376:
	s_or_b32 exec_lo, exec_lo, s71
.LBB125_377:
	s_or_b32 exec_lo, exec_lo, s4
	v_and_b32_e32 v131, 7, v131
	s_mov_b32 s71, 0
	s_mov_b32 s4, exec_lo
	v_cmpx_ne_u32_e32 0, v131
	s_cbranch_execz .LBB125_381
; %bb.378:
	v_lshlrev_b32_e32 v133, 4, v133
	v_add_nc_u32_e32 v132, 0x3e0, v133
	.p2align	6
.LBB125_379:                            ; =>This Inner Loop Header: Depth=1
	s_clause 0x3
	buffer_load_dword v140, v133, s[0:3], 0 offen offset:8
	buffer_load_dword v141, v133, s[0:3], 0 offen offset:12
	buffer_load_dword v142, v133, s[0:3], 0 offen
	buffer_load_dword v143, v133, s[0:3], 0 offen offset:4
	ds_read_b128 v[136:139], v132
	v_add_nc_u32_e32 v131, -1, v131
	v_add_nc_u32_e32 v132, 16, v132
	v_add_nc_u32_e32 v133, 16, v133
	v_cmp_eq_u32_e32 vcc_lo, 0, v131
	s_or_b32 s71, vcc_lo, s71
	s_waitcnt vmcnt(2) lgkmcnt(0)
	v_mul_f64 v[144:145], v[138:139], v[140:141]
	v_mul_f64 v[140:141], v[136:137], v[140:141]
	s_waitcnt vmcnt(0)
	v_fma_f64 v[136:137], v[136:137], v[142:143], -v[144:145]
	v_fma_f64 v[138:139], v[138:139], v[142:143], v[140:141]
	v_add_f64 v[1:2], v[1:2], v[136:137]
	v_add_f64 v[3:4], v[3:4], v[138:139]
	s_andn2_b32 exec_lo, exec_lo, s71
	s_cbranch_execnz .LBB125_379
; %bb.380:
	s_or_b32 exec_lo, exec_lo, s71
.LBB125_381:
	s_or_b32 exec_lo, exec_lo, s4
.LBB125_382:
	s_or_b32 exec_lo, exec_lo, s8
	v_mov_b32_e32 v131, 0
	ds_read_b128 v[131:134], v131 offset:528
	s_waitcnt lgkmcnt(0)
	v_mul_f64 v[136:137], v[3:4], v[133:134]
	v_mul_f64 v[133:134], v[1:2], v[133:134]
	v_fma_f64 v[1:2], v[1:2], v[131:132], -v[136:137]
	v_fma_f64 v[3:4], v[3:4], v[131:132], v[133:134]
	buffer_store_dword v2, off, s[0:3], 0 offset:532
	buffer_store_dword v1, off, s[0:3], 0 offset:528
	;; [unrolled: 1-line block ×4, first 2 shown]
.LBB125_383:
	s_or_b32 exec_lo, exec_lo, s6
	v_mov_b32_e32 v4, s39
	v_cmp_lt_u32_e64 s4, 32, v0
	s_clause 0x3
	buffer_load_dword v1, v4, s[0:3], 0 offen
	buffer_load_dword v2, v4, s[0:3], 0 offen offset:4
	buffer_load_dword v3, v4, s[0:3], 0 offen offset:8
	;; [unrolled: 1-line block ×3, first 2 shown]
	s_waitcnt vmcnt(0)
	ds_write_b128 v130, v[1:4]
	s_waitcnt lgkmcnt(0)
	s_waitcnt_vscnt null, 0x0
	s_barrier
	buffer_gl0_inv
	s_and_saveexec_b32 s6, s4
	s_cbranch_execz .LBB125_397
; %bb.384:
	ds_read_b128 v[1:4], v130
	s_andn2_b32 vcc_lo, exec_lo, s7
	s_cbranch_vccnz .LBB125_386
; %bb.385:
	s_clause 0x3
	buffer_load_dword v131, v129, s[0:3], 0 offen offset:8
	buffer_load_dword v132, v129, s[0:3], 0 offen offset:12
	buffer_load_dword v133, v129, s[0:3], 0 offen
	buffer_load_dword v134, v129, s[0:3], 0 offen offset:4
	s_waitcnt vmcnt(2) lgkmcnt(0)
	v_mul_f64 v[136:137], v[3:4], v[131:132]
	v_mul_f64 v[131:132], v[1:2], v[131:132]
	s_waitcnt vmcnt(0)
	v_fma_f64 v[1:2], v[1:2], v[133:134], -v[136:137]
	v_fma_f64 v[3:4], v[3:4], v[133:134], v[131:132]
.LBB125_386:
	s_and_saveexec_b32 s8, s5
	s_cbranch_execz .LBB125_396
; %bb.387:
	v_subrev_nc_u32_e32 v132, 34, v0
	v_mov_b32_e32 v133, 33
	v_subrev_nc_u32_e32 v131, 33, v0
	s_mov_b32 s5, exec_lo
	v_cmpx_lt_u32_e32 6, v132
	s_cbranch_execz .LBB125_391
; %bb.388:
	v_and_b32_e32 v132, -8, v131
	s_movk_i32 s72, 0x5f0
	s_mov_b32 s71, 0
	s_mov_b32 s73, s38
	;; [unrolled: 1-line block ×3, first 2 shown]
.LBB125_389:                            ; =>This Inner Loop Header: Depth=1
	v_mov_b32_e32 v136, s73
	v_mov_b32_e32 v182, s72
	s_add_i32 s75, s74, 8
	s_add_i32 s74, s74, 41
	v_cmp_eq_u32_e32 vcc_lo, s75, v132
	s_clause 0x1f
	buffer_load_dword v133, v136, s[0:3], 0 offen offset:8
	buffer_load_dword v134, v136, s[0:3], 0 offen offset:12
	buffer_load_dword v144, v136, s[0:3], 0 offen
	buffer_load_dword v145, v136, s[0:3], 0 offen offset:4
	buffer_load_dword v146, v136, s[0:3], 0 offen offset:24
	;; [unrolled: 1-line block ×29, first 2 shown]
	ds_read_b128 v[136:139], v182
	ds_read_b128 v[140:143], v182 offset:16
	s_addk_i32 s72, 0x80
	s_addk_i32 s73, 0x80
	s_or_b32 s71, vcc_lo, s71
	s_waitcnt vmcnt(30) lgkmcnt(1)
	v_mul_f64 v[174:175], v[138:139], v[133:134]
	v_mul_f64 v[133:134], v[136:137], v[133:134]
	s_waitcnt vmcnt(26) lgkmcnt(0)
	v_mul_f64 v[176:177], v[142:143], v[146:147]
	v_mul_f64 v[178:179], v[140:141], v[146:147]
	v_fma_f64 v[174:175], v[136:137], v[144:145], -v[174:175]
	v_fma_f64 v[133:134], v[138:139], v[144:145], v[133:134]
	ds_read_b128 v[136:139], v182 offset:32
	ds_read_b128 v[144:147], v182 offset:48
	s_waitcnt vmcnt(24)
	v_fma_f64 v[140:141], v[140:141], v[148:149], -v[176:177]
	v_fma_f64 v[142:143], v[142:143], v[148:149], v[178:179]
	s_waitcnt vmcnt(22) lgkmcnt(1)
	v_mul_f64 v[180:181], v[138:139], v[150:151]
	v_mul_f64 v[150:151], v[136:137], v[150:151]
	v_add_f64 v[1:2], v[1:2], v[174:175]
	v_add_f64 v[3:4], v[3:4], v[133:134]
	s_waitcnt vmcnt(18) lgkmcnt(0)
	v_mul_f64 v[133:134], v[146:147], v[154:155]
	v_mul_f64 v[148:149], v[144:145], v[154:155]
	v_fma_f64 v[154:155], v[136:137], v[152:153], -v[180:181]
	v_fma_f64 v[150:151], v[138:139], v[152:153], v[150:151]
	v_add_f64 v[140:141], v[1:2], v[140:141]
	v_add_f64 v[142:143], v[3:4], v[142:143]
	ds_read_b128 v[1:4], v182 offset:64
	ds_read_b128 v[136:139], v182 offset:80
	s_waitcnt vmcnt(16)
	v_fma_f64 v[133:134], v[144:145], v[156:157], -v[133:134]
	v_fma_f64 v[144:145], v[146:147], v[156:157], v[148:149]
	s_waitcnt vmcnt(12) lgkmcnt(1)
	v_mul_f64 v[152:153], v[3:4], v[158:159]
	v_mul_f64 v[158:159], v[1:2], v[158:159]
	v_add_f64 v[140:141], v[140:141], v[154:155]
	v_add_f64 v[142:143], v[142:143], v[150:151]
	s_waitcnt vmcnt(10) lgkmcnt(0)
	v_mul_f64 v[146:147], v[138:139], v[160:161]
	v_mul_f64 v[148:149], v[136:137], v[160:161]
	s_waitcnt vmcnt(8)
	v_fma_f64 v[150:151], v[1:2], v[164:165], -v[152:153]
	v_fma_f64 v[152:153], v[3:4], v[164:165], v[158:159]
	v_add_f64 v[133:134], v[140:141], v[133:134]
	v_add_f64 v[144:145], v[142:143], v[144:145]
	ds_read_b128 v[1:4], v182 offset:96
	ds_read_b128 v[140:143], v182 offset:112
	v_fma_f64 v[136:137], v[136:137], v[162:163], -v[146:147]
	v_fma_f64 v[138:139], v[138:139], v[162:163], v[148:149]
	s_waitcnt vmcnt(4) lgkmcnt(1)
	v_mul_f64 v[154:155], v[3:4], v[166:167]
	v_mul_f64 v[156:157], v[1:2], v[166:167]
	v_add_f64 v[133:134], v[133:134], v[150:151]
	v_add_f64 v[144:145], v[144:145], v[152:153]
	s_waitcnt vmcnt(2) lgkmcnt(0)
	v_mul_f64 v[146:147], v[142:143], v[168:169]
	v_mul_f64 v[148:149], v[140:141], v[168:169]
	s_waitcnt vmcnt(0)
	v_fma_f64 v[1:2], v[1:2], v[172:173], -v[154:155]
	v_fma_f64 v[3:4], v[3:4], v[172:173], v[156:157]
	v_add_f64 v[133:134], v[133:134], v[136:137]
	v_add_f64 v[136:137], v[144:145], v[138:139]
	v_fma_f64 v[138:139], v[140:141], v[170:171], -v[146:147]
	v_fma_f64 v[140:141], v[142:143], v[170:171], v[148:149]
	v_add_f64 v[1:2], v[133:134], v[1:2]
	v_add_f64 v[3:4], v[136:137], v[3:4]
	v_mov_b32_e32 v133, s74
	s_mov_b32 s74, s75
	v_add_f64 v[1:2], v[1:2], v[138:139]
	v_add_f64 v[3:4], v[3:4], v[140:141]
	s_andn2_b32 exec_lo, exec_lo, s71
	s_cbranch_execnz .LBB125_389
; %bb.390:
	s_or_b32 exec_lo, exec_lo, s71
.LBB125_391:
	s_or_b32 exec_lo, exec_lo, s5
	v_and_b32_e32 v131, 7, v131
	s_mov_b32 s71, 0
	s_mov_b32 s5, exec_lo
	v_cmpx_ne_u32_e32 0, v131
	s_cbranch_execz .LBB125_395
; %bb.392:
	v_lshlrev_b32_e32 v133, 4, v133
	v_add_nc_u32_e32 v132, 0x3e0, v133
	.p2align	6
.LBB125_393:                            ; =>This Inner Loop Header: Depth=1
	s_clause 0x3
	buffer_load_dword v140, v133, s[0:3], 0 offen offset:8
	buffer_load_dword v141, v133, s[0:3], 0 offen offset:12
	buffer_load_dword v142, v133, s[0:3], 0 offen
	buffer_load_dword v143, v133, s[0:3], 0 offen offset:4
	ds_read_b128 v[136:139], v132
	v_add_nc_u32_e32 v131, -1, v131
	v_add_nc_u32_e32 v132, 16, v132
	v_add_nc_u32_e32 v133, 16, v133
	v_cmp_eq_u32_e32 vcc_lo, 0, v131
	s_or_b32 s71, vcc_lo, s71
	s_waitcnt vmcnt(2) lgkmcnt(0)
	v_mul_f64 v[144:145], v[138:139], v[140:141]
	v_mul_f64 v[140:141], v[136:137], v[140:141]
	s_waitcnt vmcnt(0)
	v_fma_f64 v[136:137], v[136:137], v[142:143], -v[144:145]
	v_fma_f64 v[138:139], v[138:139], v[142:143], v[140:141]
	v_add_f64 v[1:2], v[1:2], v[136:137]
	v_add_f64 v[3:4], v[3:4], v[138:139]
	s_andn2_b32 exec_lo, exec_lo, s71
	s_cbranch_execnz .LBB125_393
; %bb.394:
	s_or_b32 exec_lo, exec_lo, s71
.LBB125_395:
	s_or_b32 exec_lo, exec_lo, s5
.LBB125_396:
	s_or_b32 exec_lo, exec_lo, s8
	v_mov_b32_e32 v131, 0
	ds_read_b128 v[131:134], v131 offset:512
	s_waitcnt lgkmcnt(0)
	v_mul_f64 v[136:137], v[3:4], v[133:134]
	v_mul_f64 v[133:134], v[1:2], v[133:134]
	v_fma_f64 v[1:2], v[1:2], v[131:132], -v[136:137]
	v_fma_f64 v[3:4], v[3:4], v[131:132], v[133:134]
	buffer_store_dword v2, off, s[0:3], 0 offset:516
	buffer_store_dword v1, off, s[0:3], 0 offset:512
	;; [unrolled: 1-line block ×4, first 2 shown]
.LBB125_397:
	s_or_b32 exec_lo, exec_lo, s6
	v_mov_b32_e32 v4, s40
	v_cmp_lt_u32_e64 s5, 31, v0
	s_clause 0x3
	buffer_load_dword v1, v4, s[0:3], 0 offen
	buffer_load_dword v2, v4, s[0:3], 0 offen offset:4
	buffer_load_dword v3, v4, s[0:3], 0 offen offset:8
	;; [unrolled: 1-line block ×3, first 2 shown]
	s_waitcnt vmcnt(0)
	ds_write_b128 v130, v[1:4]
	s_waitcnt lgkmcnt(0)
	s_waitcnt_vscnt null, 0x0
	s_barrier
	buffer_gl0_inv
	s_and_saveexec_b32 s6, s5
	s_cbranch_execz .LBB125_411
; %bb.398:
	ds_read_b128 v[1:4], v130
	s_andn2_b32 vcc_lo, exec_lo, s7
	s_cbranch_vccnz .LBB125_400
; %bb.399:
	s_clause 0x3
	buffer_load_dword v131, v129, s[0:3], 0 offen offset:8
	buffer_load_dword v132, v129, s[0:3], 0 offen offset:12
	buffer_load_dword v133, v129, s[0:3], 0 offen
	buffer_load_dword v134, v129, s[0:3], 0 offen offset:4
	s_waitcnt vmcnt(2) lgkmcnt(0)
	v_mul_f64 v[136:137], v[3:4], v[131:132]
	v_mul_f64 v[131:132], v[1:2], v[131:132]
	s_waitcnt vmcnt(0)
	v_fma_f64 v[1:2], v[1:2], v[133:134], -v[136:137]
	v_fma_f64 v[3:4], v[3:4], v[133:134], v[131:132]
.LBB125_400:
	s_and_saveexec_b32 s8, s4
	s_cbranch_execz .LBB125_410
; %bb.401:
	v_subrev_nc_u32_e32 v131, 33, v0
	v_cmp_lt_u32_e32 vcc_lo, 6, v131
	v_mov_b32_e32 v131, 32
	s_and_saveexec_b32 s4, vcc_lo
	s_cbranch_execz .LBB125_405
; %bb.402:
	v_and_b32_e32 v131, 56, v0
	s_mov_b32 s71, 32
	s_movk_i32 s73, 0x5e0
	s_mov_b32 s72, 0
	s_mov_b32 s74, s39
.LBB125_403:                            ; =>This Inner Loop Header: Depth=1
	v_mov_b32_e32 v134, s74
	s_add_i32 s71, s71, 8
	s_addk_i32 s74, 0x80
	v_cmp_eq_u32_e32 vcc_lo, s71, v131
	s_clause 0x1f
	buffer_load_dword v132, v134, s[0:3], 0 offen offset:8
	buffer_load_dword v133, v134, s[0:3], 0 offen offset:12
	buffer_load_dword v144, v134, s[0:3], 0 offen
	buffer_load_dword v145, v134, s[0:3], 0 offen offset:4
	buffer_load_dword v146, v134, s[0:3], 0 offen offset:24
	;; [unrolled: 1-line block ×29, first 2 shown]
	v_mov_b32_e32 v134, s73
	s_addk_i32 s73, 0x80
	s_or_b32 s72, vcc_lo, s72
	ds_read_b128 v[136:139], v134
	ds_read_b128 v[140:143], v134 offset:16
	s_waitcnt vmcnt(30) lgkmcnt(1)
	v_mul_f64 v[174:175], v[138:139], v[132:133]
	v_mul_f64 v[132:133], v[136:137], v[132:133]
	s_waitcnt vmcnt(26) lgkmcnt(0)
	v_mul_f64 v[176:177], v[142:143], v[146:147]
	v_mul_f64 v[178:179], v[140:141], v[146:147]
	v_fma_f64 v[174:175], v[136:137], v[144:145], -v[174:175]
	v_fma_f64 v[132:133], v[138:139], v[144:145], v[132:133]
	ds_read_b128 v[136:139], v134 offset:32
	ds_read_b128 v[144:147], v134 offset:48
	s_waitcnt vmcnt(24)
	v_fma_f64 v[140:141], v[140:141], v[148:149], -v[176:177]
	v_fma_f64 v[142:143], v[142:143], v[148:149], v[178:179]
	s_waitcnt vmcnt(22) lgkmcnt(1)
	v_mul_f64 v[180:181], v[138:139], v[150:151]
	v_mul_f64 v[150:151], v[136:137], v[150:151]
	v_add_f64 v[1:2], v[1:2], v[174:175]
	v_add_f64 v[3:4], v[3:4], v[132:133]
	s_waitcnt vmcnt(18) lgkmcnt(0)
	v_mul_f64 v[132:133], v[146:147], v[154:155]
	v_mul_f64 v[148:149], v[144:145], v[154:155]
	v_fma_f64 v[154:155], v[136:137], v[152:153], -v[180:181]
	v_fma_f64 v[150:151], v[138:139], v[152:153], v[150:151]
	v_add_f64 v[140:141], v[1:2], v[140:141]
	v_add_f64 v[142:143], v[3:4], v[142:143]
	ds_read_b128 v[1:4], v134 offset:64
	ds_read_b128 v[136:139], v134 offset:80
	s_waitcnt vmcnt(16)
	v_fma_f64 v[132:133], v[144:145], v[156:157], -v[132:133]
	v_fma_f64 v[144:145], v[146:147], v[156:157], v[148:149]
	s_waitcnt vmcnt(12) lgkmcnt(1)
	v_mul_f64 v[152:153], v[3:4], v[158:159]
	v_mul_f64 v[158:159], v[1:2], v[158:159]
	v_add_f64 v[140:141], v[140:141], v[154:155]
	v_add_f64 v[142:143], v[142:143], v[150:151]
	s_waitcnt vmcnt(10) lgkmcnt(0)
	v_mul_f64 v[146:147], v[138:139], v[160:161]
	v_mul_f64 v[148:149], v[136:137], v[160:161]
	s_waitcnt vmcnt(8)
	v_fma_f64 v[150:151], v[1:2], v[164:165], -v[152:153]
	v_fma_f64 v[152:153], v[3:4], v[164:165], v[158:159]
	v_add_f64 v[132:133], v[140:141], v[132:133]
	v_add_f64 v[144:145], v[142:143], v[144:145]
	ds_read_b128 v[1:4], v134 offset:96
	ds_read_b128 v[140:143], v134 offset:112
	v_fma_f64 v[136:137], v[136:137], v[162:163], -v[146:147]
	v_fma_f64 v[138:139], v[138:139], v[162:163], v[148:149]
	s_waitcnt vmcnt(4) lgkmcnt(1)
	v_mul_f64 v[154:155], v[3:4], v[166:167]
	v_mul_f64 v[156:157], v[1:2], v[166:167]
	v_add_f64 v[132:133], v[132:133], v[150:151]
	v_add_f64 v[144:145], v[144:145], v[152:153]
	s_waitcnt vmcnt(2) lgkmcnt(0)
	v_mul_f64 v[146:147], v[142:143], v[168:169]
	v_mul_f64 v[148:149], v[140:141], v[168:169]
	s_waitcnt vmcnt(0)
	v_fma_f64 v[1:2], v[1:2], v[172:173], -v[154:155]
	v_fma_f64 v[3:4], v[3:4], v[172:173], v[156:157]
	v_add_f64 v[132:133], v[132:133], v[136:137]
	v_add_f64 v[136:137], v[144:145], v[138:139]
	v_fma_f64 v[138:139], v[140:141], v[170:171], -v[146:147]
	v_fma_f64 v[140:141], v[142:143], v[170:171], v[148:149]
	v_add_f64 v[1:2], v[132:133], v[1:2]
	v_add_f64 v[3:4], v[136:137], v[3:4]
	;; [unrolled: 1-line block ×4, first 2 shown]
	s_andn2_b32 exec_lo, exec_lo, s72
	s_cbranch_execnz .LBB125_403
; %bb.404:
	s_or_b32 exec_lo, exec_lo, s72
.LBB125_405:
	s_or_b32 exec_lo, exec_lo, s4
	v_and_b32_e32 v132, 7, v0
	s_mov_b32 s71, 0
	s_mov_b32 s4, exec_lo
	v_cmpx_ne_u32_e32 0, v132
	s_cbranch_execz .LBB125_409
; %bb.406:
	v_lshlrev_b32_e32 v133, 4, v131
	v_add_nc_u32_e32 v131, 0x3e0, v133
	.p2align	6
.LBB125_407:                            ; =>This Inner Loop Header: Depth=1
	s_clause 0x3
	buffer_load_dword v140, v133, s[0:3], 0 offen offset:8
	buffer_load_dword v141, v133, s[0:3], 0 offen offset:12
	buffer_load_dword v142, v133, s[0:3], 0 offen
	buffer_load_dword v143, v133, s[0:3], 0 offen offset:4
	ds_read_b128 v[136:139], v131
	v_add_nc_u32_e32 v132, -1, v132
	v_add_nc_u32_e32 v131, 16, v131
	v_add_nc_u32_e32 v133, 16, v133
	v_cmp_eq_u32_e32 vcc_lo, 0, v132
	s_or_b32 s71, vcc_lo, s71
	s_waitcnt vmcnt(2) lgkmcnt(0)
	v_mul_f64 v[144:145], v[138:139], v[140:141]
	v_mul_f64 v[140:141], v[136:137], v[140:141]
	s_waitcnt vmcnt(0)
	v_fma_f64 v[136:137], v[136:137], v[142:143], -v[144:145]
	v_fma_f64 v[138:139], v[138:139], v[142:143], v[140:141]
	v_add_f64 v[1:2], v[1:2], v[136:137]
	v_add_f64 v[3:4], v[3:4], v[138:139]
	s_andn2_b32 exec_lo, exec_lo, s71
	s_cbranch_execnz .LBB125_407
; %bb.408:
	s_or_b32 exec_lo, exec_lo, s71
.LBB125_409:
	s_or_b32 exec_lo, exec_lo, s4
.LBB125_410:
	s_or_b32 exec_lo, exec_lo, s8
	v_mov_b32_e32 v131, 0
	ds_read_b128 v[131:134], v131 offset:496
	s_waitcnt lgkmcnt(0)
	v_mul_f64 v[136:137], v[3:4], v[133:134]
	v_mul_f64 v[133:134], v[1:2], v[133:134]
	v_fma_f64 v[1:2], v[1:2], v[131:132], -v[136:137]
	v_fma_f64 v[3:4], v[3:4], v[131:132], v[133:134]
	buffer_store_dword v2, off, s[0:3], 0 offset:500
	buffer_store_dword v1, off, s[0:3], 0 offset:496
	;; [unrolled: 1-line block ×4, first 2 shown]
.LBB125_411:
	s_or_b32 exec_lo, exec_lo, s6
	v_mov_b32_e32 v4, s41
	v_cmp_lt_u32_e64 s4, 30, v0
	s_clause 0x3
	buffer_load_dword v1, v4, s[0:3], 0 offen
	buffer_load_dword v2, v4, s[0:3], 0 offen offset:4
	buffer_load_dword v3, v4, s[0:3], 0 offen offset:8
	;; [unrolled: 1-line block ×3, first 2 shown]
	s_waitcnt vmcnt(0)
	ds_write_b128 v130, v[1:4]
	s_waitcnt lgkmcnt(0)
	s_waitcnt_vscnt null, 0x0
	s_barrier
	buffer_gl0_inv
	s_and_saveexec_b32 s6, s4
	s_cbranch_execz .LBB125_425
; %bb.412:
	ds_read_b128 v[1:4], v130
	s_andn2_b32 vcc_lo, exec_lo, s7
	s_cbranch_vccnz .LBB125_414
; %bb.413:
	s_clause 0x3
	buffer_load_dword v131, v129, s[0:3], 0 offen offset:8
	buffer_load_dword v132, v129, s[0:3], 0 offen offset:12
	buffer_load_dword v133, v129, s[0:3], 0 offen
	buffer_load_dword v134, v129, s[0:3], 0 offen offset:4
	s_waitcnt vmcnt(2) lgkmcnt(0)
	v_mul_f64 v[136:137], v[3:4], v[131:132]
	v_mul_f64 v[131:132], v[1:2], v[131:132]
	s_waitcnt vmcnt(0)
	v_fma_f64 v[1:2], v[1:2], v[133:134], -v[136:137]
	v_fma_f64 v[3:4], v[3:4], v[133:134], v[131:132]
.LBB125_414:
	s_and_saveexec_b32 s8, s5
	s_cbranch_execz .LBB125_424
; %bb.415:
	v_subrev_nc_u32_e32 v132, 32, v0
	v_mov_b32_e32 v133, 31
	v_subrev_nc_u32_e32 v131, 31, v0
	s_mov_b32 s5, exec_lo
	v_cmpx_lt_u32_e32 6, v132
	s_cbranch_execz .LBB125_419
; %bb.416:
	v_and_b32_e32 v132, -8, v131
	s_movk_i32 s72, 0x5d0
	s_mov_b32 s71, 0
	s_mov_b32 s73, s40
	;; [unrolled: 1-line block ×3, first 2 shown]
.LBB125_417:                            ; =>This Inner Loop Header: Depth=1
	v_mov_b32_e32 v136, s73
	v_mov_b32_e32 v182, s72
	s_add_i32 s75, s74, 8
	s_add_i32 s74, s74, 39
	v_cmp_eq_u32_e32 vcc_lo, s75, v132
	s_clause 0x1f
	buffer_load_dword v133, v136, s[0:3], 0 offen offset:8
	buffer_load_dword v134, v136, s[0:3], 0 offen offset:12
	buffer_load_dword v144, v136, s[0:3], 0 offen
	buffer_load_dword v145, v136, s[0:3], 0 offen offset:4
	buffer_load_dword v146, v136, s[0:3], 0 offen offset:24
	;; [unrolled: 1-line block ×29, first 2 shown]
	ds_read_b128 v[136:139], v182
	ds_read_b128 v[140:143], v182 offset:16
	s_addk_i32 s72, 0x80
	s_addk_i32 s73, 0x80
	s_or_b32 s71, vcc_lo, s71
	s_waitcnt vmcnt(30) lgkmcnt(1)
	v_mul_f64 v[174:175], v[138:139], v[133:134]
	v_mul_f64 v[133:134], v[136:137], v[133:134]
	s_waitcnt vmcnt(26) lgkmcnt(0)
	v_mul_f64 v[176:177], v[142:143], v[146:147]
	v_mul_f64 v[178:179], v[140:141], v[146:147]
	v_fma_f64 v[174:175], v[136:137], v[144:145], -v[174:175]
	v_fma_f64 v[133:134], v[138:139], v[144:145], v[133:134]
	ds_read_b128 v[136:139], v182 offset:32
	ds_read_b128 v[144:147], v182 offset:48
	s_waitcnt vmcnt(24)
	v_fma_f64 v[140:141], v[140:141], v[148:149], -v[176:177]
	v_fma_f64 v[142:143], v[142:143], v[148:149], v[178:179]
	s_waitcnt vmcnt(22) lgkmcnt(1)
	v_mul_f64 v[180:181], v[138:139], v[150:151]
	v_mul_f64 v[150:151], v[136:137], v[150:151]
	v_add_f64 v[1:2], v[1:2], v[174:175]
	v_add_f64 v[3:4], v[3:4], v[133:134]
	s_waitcnt vmcnt(18) lgkmcnt(0)
	v_mul_f64 v[133:134], v[146:147], v[154:155]
	v_mul_f64 v[148:149], v[144:145], v[154:155]
	v_fma_f64 v[154:155], v[136:137], v[152:153], -v[180:181]
	v_fma_f64 v[150:151], v[138:139], v[152:153], v[150:151]
	v_add_f64 v[140:141], v[1:2], v[140:141]
	v_add_f64 v[142:143], v[3:4], v[142:143]
	ds_read_b128 v[1:4], v182 offset:64
	ds_read_b128 v[136:139], v182 offset:80
	s_waitcnt vmcnt(16)
	v_fma_f64 v[133:134], v[144:145], v[156:157], -v[133:134]
	v_fma_f64 v[144:145], v[146:147], v[156:157], v[148:149]
	s_waitcnt vmcnt(12) lgkmcnt(1)
	v_mul_f64 v[152:153], v[3:4], v[158:159]
	v_mul_f64 v[158:159], v[1:2], v[158:159]
	v_add_f64 v[140:141], v[140:141], v[154:155]
	v_add_f64 v[142:143], v[142:143], v[150:151]
	s_waitcnt vmcnt(10) lgkmcnt(0)
	v_mul_f64 v[146:147], v[138:139], v[160:161]
	v_mul_f64 v[148:149], v[136:137], v[160:161]
	s_waitcnt vmcnt(8)
	v_fma_f64 v[150:151], v[1:2], v[164:165], -v[152:153]
	v_fma_f64 v[152:153], v[3:4], v[164:165], v[158:159]
	v_add_f64 v[133:134], v[140:141], v[133:134]
	v_add_f64 v[144:145], v[142:143], v[144:145]
	ds_read_b128 v[1:4], v182 offset:96
	ds_read_b128 v[140:143], v182 offset:112
	v_fma_f64 v[136:137], v[136:137], v[162:163], -v[146:147]
	v_fma_f64 v[138:139], v[138:139], v[162:163], v[148:149]
	s_waitcnt vmcnt(4) lgkmcnt(1)
	v_mul_f64 v[154:155], v[3:4], v[166:167]
	v_mul_f64 v[156:157], v[1:2], v[166:167]
	v_add_f64 v[133:134], v[133:134], v[150:151]
	v_add_f64 v[144:145], v[144:145], v[152:153]
	s_waitcnt vmcnt(2) lgkmcnt(0)
	v_mul_f64 v[146:147], v[142:143], v[168:169]
	v_mul_f64 v[148:149], v[140:141], v[168:169]
	s_waitcnt vmcnt(0)
	v_fma_f64 v[1:2], v[1:2], v[172:173], -v[154:155]
	v_fma_f64 v[3:4], v[3:4], v[172:173], v[156:157]
	v_add_f64 v[133:134], v[133:134], v[136:137]
	v_add_f64 v[136:137], v[144:145], v[138:139]
	v_fma_f64 v[138:139], v[140:141], v[170:171], -v[146:147]
	v_fma_f64 v[140:141], v[142:143], v[170:171], v[148:149]
	v_add_f64 v[1:2], v[133:134], v[1:2]
	v_add_f64 v[3:4], v[136:137], v[3:4]
	v_mov_b32_e32 v133, s74
	s_mov_b32 s74, s75
	v_add_f64 v[1:2], v[1:2], v[138:139]
	v_add_f64 v[3:4], v[3:4], v[140:141]
	s_andn2_b32 exec_lo, exec_lo, s71
	s_cbranch_execnz .LBB125_417
; %bb.418:
	s_or_b32 exec_lo, exec_lo, s71
.LBB125_419:
	s_or_b32 exec_lo, exec_lo, s5
	v_and_b32_e32 v131, 7, v131
	s_mov_b32 s71, 0
	s_mov_b32 s5, exec_lo
	v_cmpx_ne_u32_e32 0, v131
	s_cbranch_execz .LBB125_423
; %bb.420:
	v_lshlrev_b32_e32 v133, 4, v133
	v_add_nc_u32_e32 v132, 0x3e0, v133
	.p2align	6
.LBB125_421:                            ; =>This Inner Loop Header: Depth=1
	s_clause 0x3
	buffer_load_dword v140, v133, s[0:3], 0 offen offset:8
	buffer_load_dword v141, v133, s[0:3], 0 offen offset:12
	buffer_load_dword v142, v133, s[0:3], 0 offen
	buffer_load_dword v143, v133, s[0:3], 0 offen offset:4
	ds_read_b128 v[136:139], v132
	v_add_nc_u32_e32 v131, -1, v131
	v_add_nc_u32_e32 v132, 16, v132
	v_add_nc_u32_e32 v133, 16, v133
	v_cmp_eq_u32_e32 vcc_lo, 0, v131
	s_or_b32 s71, vcc_lo, s71
	s_waitcnt vmcnt(2) lgkmcnt(0)
	v_mul_f64 v[144:145], v[138:139], v[140:141]
	v_mul_f64 v[140:141], v[136:137], v[140:141]
	s_waitcnt vmcnt(0)
	v_fma_f64 v[136:137], v[136:137], v[142:143], -v[144:145]
	v_fma_f64 v[138:139], v[138:139], v[142:143], v[140:141]
	v_add_f64 v[1:2], v[1:2], v[136:137]
	v_add_f64 v[3:4], v[3:4], v[138:139]
	s_andn2_b32 exec_lo, exec_lo, s71
	s_cbranch_execnz .LBB125_421
; %bb.422:
	s_or_b32 exec_lo, exec_lo, s71
.LBB125_423:
	s_or_b32 exec_lo, exec_lo, s5
.LBB125_424:
	s_or_b32 exec_lo, exec_lo, s8
	v_mov_b32_e32 v131, 0
	ds_read_b128 v[131:134], v131 offset:480
	s_waitcnt lgkmcnt(0)
	v_mul_f64 v[136:137], v[3:4], v[133:134]
	v_mul_f64 v[133:134], v[1:2], v[133:134]
	v_fma_f64 v[1:2], v[1:2], v[131:132], -v[136:137]
	v_fma_f64 v[3:4], v[3:4], v[131:132], v[133:134]
	buffer_store_dword v2, off, s[0:3], 0 offset:484
	buffer_store_dword v1, off, s[0:3], 0 offset:480
	;; [unrolled: 1-line block ×4, first 2 shown]
.LBB125_425:
	s_or_b32 exec_lo, exec_lo, s6
	v_mov_b32_e32 v4, s42
	v_cmp_lt_u32_e64 s5, 29, v0
	s_clause 0x3
	buffer_load_dword v1, v4, s[0:3], 0 offen
	buffer_load_dword v2, v4, s[0:3], 0 offen offset:4
	buffer_load_dword v3, v4, s[0:3], 0 offen offset:8
	;; [unrolled: 1-line block ×3, first 2 shown]
	s_waitcnt vmcnt(0)
	ds_write_b128 v130, v[1:4]
	s_waitcnt lgkmcnt(0)
	s_waitcnt_vscnt null, 0x0
	s_barrier
	buffer_gl0_inv
	s_and_saveexec_b32 s6, s5
	s_cbranch_execz .LBB125_439
; %bb.426:
	ds_read_b128 v[1:4], v130
	s_andn2_b32 vcc_lo, exec_lo, s7
	s_cbranch_vccnz .LBB125_428
; %bb.427:
	s_clause 0x3
	buffer_load_dword v131, v129, s[0:3], 0 offen offset:8
	buffer_load_dword v132, v129, s[0:3], 0 offen offset:12
	buffer_load_dword v133, v129, s[0:3], 0 offen
	buffer_load_dword v134, v129, s[0:3], 0 offen offset:4
	s_waitcnt vmcnt(2) lgkmcnt(0)
	v_mul_f64 v[136:137], v[3:4], v[131:132]
	v_mul_f64 v[131:132], v[1:2], v[131:132]
	s_waitcnt vmcnt(0)
	v_fma_f64 v[1:2], v[1:2], v[133:134], -v[136:137]
	v_fma_f64 v[3:4], v[3:4], v[133:134], v[131:132]
.LBB125_428:
	s_and_saveexec_b32 s8, s4
	s_cbranch_execz .LBB125_438
; %bb.429:
	v_subrev_nc_u32_e32 v132, 31, v0
	v_mov_b32_e32 v133, 30
	v_subrev_nc_u32_e32 v131, 30, v0
	s_mov_b32 s4, exec_lo
	v_cmpx_lt_u32_e32 6, v132
	s_cbranch_execz .LBB125_433
; %bb.430:
	v_and_b32_e32 v132, -8, v131
	s_movk_i32 s72, 0x5c0
	s_mov_b32 s71, 0
	s_mov_b32 s73, s41
	;; [unrolled: 1-line block ×3, first 2 shown]
.LBB125_431:                            ; =>This Inner Loop Header: Depth=1
	v_mov_b32_e32 v136, s73
	v_mov_b32_e32 v182, s72
	s_add_i32 s75, s74, 8
	s_add_i32 s74, s74, 38
	v_cmp_eq_u32_e32 vcc_lo, s75, v132
	s_clause 0x1f
	buffer_load_dword v133, v136, s[0:3], 0 offen offset:8
	buffer_load_dword v134, v136, s[0:3], 0 offen offset:12
	buffer_load_dword v144, v136, s[0:3], 0 offen
	buffer_load_dword v145, v136, s[0:3], 0 offen offset:4
	buffer_load_dword v146, v136, s[0:3], 0 offen offset:24
	;; [unrolled: 1-line block ×29, first 2 shown]
	ds_read_b128 v[136:139], v182
	ds_read_b128 v[140:143], v182 offset:16
	s_addk_i32 s72, 0x80
	s_addk_i32 s73, 0x80
	s_or_b32 s71, vcc_lo, s71
	s_waitcnt vmcnt(30) lgkmcnt(1)
	v_mul_f64 v[174:175], v[138:139], v[133:134]
	v_mul_f64 v[133:134], v[136:137], v[133:134]
	s_waitcnt vmcnt(26) lgkmcnt(0)
	v_mul_f64 v[176:177], v[142:143], v[146:147]
	v_mul_f64 v[178:179], v[140:141], v[146:147]
	v_fma_f64 v[174:175], v[136:137], v[144:145], -v[174:175]
	v_fma_f64 v[133:134], v[138:139], v[144:145], v[133:134]
	ds_read_b128 v[136:139], v182 offset:32
	ds_read_b128 v[144:147], v182 offset:48
	s_waitcnt vmcnt(24)
	v_fma_f64 v[140:141], v[140:141], v[148:149], -v[176:177]
	v_fma_f64 v[142:143], v[142:143], v[148:149], v[178:179]
	s_waitcnt vmcnt(22) lgkmcnt(1)
	v_mul_f64 v[180:181], v[138:139], v[150:151]
	v_mul_f64 v[150:151], v[136:137], v[150:151]
	v_add_f64 v[1:2], v[1:2], v[174:175]
	v_add_f64 v[3:4], v[3:4], v[133:134]
	s_waitcnt vmcnt(18) lgkmcnt(0)
	v_mul_f64 v[133:134], v[146:147], v[154:155]
	v_mul_f64 v[148:149], v[144:145], v[154:155]
	v_fma_f64 v[154:155], v[136:137], v[152:153], -v[180:181]
	v_fma_f64 v[150:151], v[138:139], v[152:153], v[150:151]
	v_add_f64 v[140:141], v[1:2], v[140:141]
	v_add_f64 v[142:143], v[3:4], v[142:143]
	ds_read_b128 v[1:4], v182 offset:64
	ds_read_b128 v[136:139], v182 offset:80
	s_waitcnt vmcnt(16)
	v_fma_f64 v[133:134], v[144:145], v[156:157], -v[133:134]
	v_fma_f64 v[144:145], v[146:147], v[156:157], v[148:149]
	s_waitcnt vmcnt(12) lgkmcnt(1)
	v_mul_f64 v[152:153], v[3:4], v[158:159]
	v_mul_f64 v[158:159], v[1:2], v[158:159]
	v_add_f64 v[140:141], v[140:141], v[154:155]
	v_add_f64 v[142:143], v[142:143], v[150:151]
	s_waitcnt vmcnt(10) lgkmcnt(0)
	v_mul_f64 v[146:147], v[138:139], v[160:161]
	v_mul_f64 v[148:149], v[136:137], v[160:161]
	s_waitcnt vmcnt(8)
	v_fma_f64 v[150:151], v[1:2], v[164:165], -v[152:153]
	v_fma_f64 v[152:153], v[3:4], v[164:165], v[158:159]
	v_add_f64 v[133:134], v[140:141], v[133:134]
	v_add_f64 v[144:145], v[142:143], v[144:145]
	ds_read_b128 v[1:4], v182 offset:96
	ds_read_b128 v[140:143], v182 offset:112
	v_fma_f64 v[136:137], v[136:137], v[162:163], -v[146:147]
	v_fma_f64 v[138:139], v[138:139], v[162:163], v[148:149]
	s_waitcnt vmcnt(4) lgkmcnt(1)
	v_mul_f64 v[154:155], v[3:4], v[166:167]
	v_mul_f64 v[156:157], v[1:2], v[166:167]
	v_add_f64 v[133:134], v[133:134], v[150:151]
	v_add_f64 v[144:145], v[144:145], v[152:153]
	s_waitcnt vmcnt(2) lgkmcnt(0)
	v_mul_f64 v[146:147], v[142:143], v[168:169]
	v_mul_f64 v[148:149], v[140:141], v[168:169]
	s_waitcnt vmcnt(0)
	v_fma_f64 v[1:2], v[1:2], v[172:173], -v[154:155]
	v_fma_f64 v[3:4], v[3:4], v[172:173], v[156:157]
	v_add_f64 v[133:134], v[133:134], v[136:137]
	v_add_f64 v[136:137], v[144:145], v[138:139]
	v_fma_f64 v[138:139], v[140:141], v[170:171], -v[146:147]
	v_fma_f64 v[140:141], v[142:143], v[170:171], v[148:149]
	v_add_f64 v[1:2], v[133:134], v[1:2]
	v_add_f64 v[3:4], v[136:137], v[3:4]
	v_mov_b32_e32 v133, s74
	s_mov_b32 s74, s75
	v_add_f64 v[1:2], v[1:2], v[138:139]
	v_add_f64 v[3:4], v[3:4], v[140:141]
	s_andn2_b32 exec_lo, exec_lo, s71
	s_cbranch_execnz .LBB125_431
; %bb.432:
	s_or_b32 exec_lo, exec_lo, s71
.LBB125_433:
	s_or_b32 exec_lo, exec_lo, s4
	v_and_b32_e32 v131, 7, v131
	s_mov_b32 s71, 0
	s_mov_b32 s4, exec_lo
	v_cmpx_ne_u32_e32 0, v131
	s_cbranch_execz .LBB125_437
; %bb.434:
	v_lshlrev_b32_e32 v133, 4, v133
	v_add_nc_u32_e32 v132, 0x3e0, v133
	.p2align	6
.LBB125_435:                            ; =>This Inner Loop Header: Depth=1
	s_clause 0x3
	buffer_load_dword v140, v133, s[0:3], 0 offen offset:8
	buffer_load_dword v141, v133, s[0:3], 0 offen offset:12
	buffer_load_dword v142, v133, s[0:3], 0 offen
	buffer_load_dword v143, v133, s[0:3], 0 offen offset:4
	ds_read_b128 v[136:139], v132
	v_add_nc_u32_e32 v131, -1, v131
	v_add_nc_u32_e32 v132, 16, v132
	v_add_nc_u32_e32 v133, 16, v133
	v_cmp_eq_u32_e32 vcc_lo, 0, v131
	s_or_b32 s71, vcc_lo, s71
	s_waitcnt vmcnt(2) lgkmcnt(0)
	v_mul_f64 v[144:145], v[138:139], v[140:141]
	v_mul_f64 v[140:141], v[136:137], v[140:141]
	s_waitcnt vmcnt(0)
	v_fma_f64 v[136:137], v[136:137], v[142:143], -v[144:145]
	v_fma_f64 v[138:139], v[138:139], v[142:143], v[140:141]
	v_add_f64 v[1:2], v[1:2], v[136:137]
	v_add_f64 v[3:4], v[3:4], v[138:139]
	s_andn2_b32 exec_lo, exec_lo, s71
	s_cbranch_execnz .LBB125_435
; %bb.436:
	s_or_b32 exec_lo, exec_lo, s71
.LBB125_437:
	s_or_b32 exec_lo, exec_lo, s4
.LBB125_438:
	s_or_b32 exec_lo, exec_lo, s8
	v_mov_b32_e32 v131, 0
	ds_read_b128 v[131:134], v131 offset:464
	s_waitcnt lgkmcnt(0)
	v_mul_f64 v[136:137], v[3:4], v[133:134]
	v_mul_f64 v[133:134], v[1:2], v[133:134]
	v_fma_f64 v[1:2], v[1:2], v[131:132], -v[136:137]
	v_fma_f64 v[3:4], v[3:4], v[131:132], v[133:134]
	buffer_store_dword v2, off, s[0:3], 0 offset:468
	buffer_store_dword v1, off, s[0:3], 0 offset:464
	;; [unrolled: 1-line block ×4, first 2 shown]
.LBB125_439:
	s_or_b32 exec_lo, exec_lo, s6
	v_mov_b32_e32 v4, s43
	v_cmp_lt_u32_e64 s4, 28, v0
	s_clause 0x3
	buffer_load_dword v1, v4, s[0:3], 0 offen
	buffer_load_dword v2, v4, s[0:3], 0 offen offset:4
	buffer_load_dword v3, v4, s[0:3], 0 offen offset:8
	;; [unrolled: 1-line block ×3, first 2 shown]
	s_waitcnt vmcnt(0)
	ds_write_b128 v130, v[1:4]
	s_waitcnt lgkmcnt(0)
	s_waitcnt_vscnt null, 0x0
	s_barrier
	buffer_gl0_inv
	s_and_saveexec_b32 s6, s4
	s_cbranch_execz .LBB125_453
; %bb.440:
	ds_read_b128 v[1:4], v130
	s_andn2_b32 vcc_lo, exec_lo, s7
	s_cbranch_vccnz .LBB125_442
; %bb.441:
	s_clause 0x3
	buffer_load_dword v131, v129, s[0:3], 0 offen offset:8
	buffer_load_dword v132, v129, s[0:3], 0 offen offset:12
	buffer_load_dword v133, v129, s[0:3], 0 offen
	buffer_load_dword v134, v129, s[0:3], 0 offen offset:4
	s_waitcnt vmcnt(2) lgkmcnt(0)
	v_mul_f64 v[136:137], v[3:4], v[131:132]
	v_mul_f64 v[131:132], v[1:2], v[131:132]
	s_waitcnt vmcnt(0)
	v_fma_f64 v[1:2], v[1:2], v[133:134], -v[136:137]
	v_fma_f64 v[3:4], v[3:4], v[133:134], v[131:132]
.LBB125_442:
	s_and_saveexec_b32 s8, s5
	s_cbranch_execz .LBB125_452
; %bb.443:
	v_subrev_nc_u32_e32 v132, 30, v0
	v_mov_b32_e32 v133, 29
	v_subrev_nc_u32_e32 v131, 29, v0
	s_mov_b32 s5, exec_lo
	v_cmpx_lt_u32_e32 6, v132
	s_cbranch_execz .LBB125_447
; %bb.444:
	v_and_b32_e32 v132, -8, v131
	s_movk_i32 s72, 0x5b0
	s_mov_b32 s71, 0
	s_mov_b32 s73, s42
	;; [unrolled: 1-line block ×3, first 2 shown]
.LBB125_445:                            ; =>This Inner Loop Header: Depth=1
	v_mov_b32_e32 v136, s73
	v_mov_b32_e32 v182, s72
	s_add_i32 s75, s74, 8
	s_add_i32 s74, s74, 37
	v_cmp_eq_u32_e32 vcc_lo, s75, v132
	s_clause 0x1f
	buffer_load_dword v133, v136, s[0:3], 0 offen offset:8
	buffer_load_dword v134, v136, s[0:3], 0 offen offset:12
	buffer_load_dword v144, v136, s[0:3], 0 offen
	buffer_load_dword v145, v136, s[0:3], 0 offen offset:4
	buffer_load_dword v146, v136, s[0:3], 0 offen offset:24
	buffer_load_dword v147, v136, s[0:3], 0 offen offset:28
	buffer_load_dword v148, v136, s[0:3], 0 offen offset:16
	buffer_load_dword v149, v136, s[0:3], 0 offen offset:20
	buffer_load_dword v150, v136, s[0:3], 0 offen offset:40
	buffer_load_dword v151, v136, s[0:3], 0 offen offset:44
	buffer_load_dword v152, v136, s[0:3], 0 offen offset:32
	buffer_load_dword v153, v136, s[0:3], 0 offen offset:36
	buffer_load_dword v154, v136, s[0:3], 0 offen offset:56
	buffer_load_dword v155, v136, s[0:3], 0 offen offset:60
	buffer_load_dword v156, v136, s[0:3], 0 offen offset:48
	buffer_load_dword v157, v136, s[0:3], 0 offen offset:52
	buffer_load_dword v159, v136, s[0:3], 0 offen offset:76
	buffer_load_dword v160, v136, s[0:3], 0 offen offset:88
	buffer_load_dword v162, v136, s[0:3], 0 offen offset:80
	buffer_load_dword v158, v136, s[0:3], 0 offen offset:72
	buffer_load_dword v163, v136, s[0:3], 0 offen offset:84
	buffer_load_dword v161, v136, s[0:3], 0 offen offset:92
	buffer_load_dword v165, v136, s[0:3], 0 offen offset:68
	buffer_load_dword v164, v136, s[0:3], 0 offen offset:64
	buffer_load_dword v167, v136, s[0:3], 0 offen offset:108
	buffer_load_dword v168, v136, s[0:3], 0 offen offset:120
	buffer_load_dword v170, v136, s[0:3], 0 offen offset:112
	buffer_load_dword v166, v136, s[0:3], 0 offen offset:104
	buffer_load_dword v171, v136, s[0:3], 0 offen offset:116
	buffer_load_dword v169, v136, s[0:3], 0 offen offset:124
	buffer_load_dword v173, v136, s[0:3], 0 offen offset:100
	buffer_load_dword v172, v136, s[0:3], 0 offen offset:96
	ds_read_b128 v[136:139], v182
	ds_read_b128 v[140:143], v182 offset:16
	s_addk_i32 s72, 0x80
	s_addk_i32 s73, 0x80
	s_or_b32 s71, vcc_lo, s71
	s_waitcnt vmcnt(30) lgkmcnt(1)
	v_mul_f64 v[174:175], v[138:139], v[133:134]
	v_mul_f64 v[133:134], v[136:137], v[133:134]
	s_waitcnt vmcnt(26) lgkmcnt(0)
	v_mul_f64 v[176:177], v[142:143], v[146:147]
	v_mul_f64 v[178:179], v[140:141], v[146:147]
	v_fma_f64 v[174:175], v[136:137], v[144:145], -v[174:175]
	v_fma_f64 v[133:134], v[138:139], v[144:145], v[133:134]
	ds_read_b128 v[136:139], v182 offset:32
	ds_read_b128 v[144:147], v182 offset:48
	s_waitcnt vmcnt(24)
	v_fma_f64 v[140:141], v[140:141], v[148:149], -v[176:177]
	v_fma_f64 v[142:143], v[142:143], v[148:149], v[178:179]
	s_waitcnt vmcnt(22) lgkmcnt(1)
	v_mul_f64 v[180:181], v[138:139], v[150:151]
	v_mul_f64 v[150:151], v[136:137], v[150:151]
	v_add_f64 v[1:2], v[1:2], v[174:175]
	v_add_f64 v[3:4], v[3:4], v[133:134]
	s_waitcnt vmcnt(18) lgkmcnt(0)
	v_mul_f64 v[133:134], v[146:147], v[154:155]
	v_mul_f64 v[148:149], v[144:145], v[154:155]
	v_fma_f64 v[154:155], v[136:137], v[152:153], -v[180:181]
	v_fma_f64 v[150:151], v[138:139], v[152:153], v[150:151]
	v_add_f64 v[140:141], v[1:2], v[140:141]
	v_add_f64 v[142:143], v[3:4], v[142:143]
	ds_read_b128 v[1:4], v182 offset:64
	ds_read_b128 v[136:139], v182 offset:80
	s_waitcnt vmcnt(16)
	v_fma_f64 v[133:134], v[144:145], v[156:157], -v[133:134]
	v_fma_f64 v[144:145], v[146:147], v[156:157], v[148:149]
	s_waitcnt vmcnt(12) lgkmcnt(1)
	v_mul_f64 v[152:153], v[3:4], v[158:159]
	v_mul_f64 v[158:159], v[1:2], v[158:159]
	v_add_f64 v[140:141], v[140:141], v[154:155]
	v_add_f64 v[142:143], v[142:143], v[150:151]
	s_waitcnt vmcnt(10) lgkmcnt(0)
	v_mul_f64 v[146:147], v[138:139], v[160:161]
	v_mul_f64 v[148:149], v[136:137], v[160:161]
	s_waitcnt vmcnt(8)
	v_fma_f64 v[150:151], v[1:2], v[164:165], -v[152:153]
	v_fma_f64 v[152:153], v[3:4], v[164:165], v[158:159]
	v_add_f64 v[133:134], v[140:141], v[133:134]
	v_add_f64 v[144:145], v[142:143], v[144:145]
	ds_read_b128 v[1:4], v182 offset:96
	ds_read_b128 v[140:143], v182 offset:112
	v_fma_f64 v[136:137], v[136:137], v[162:163], -v[146:147]
	v_fma_f64 v[138:139], v[138:139], v[162:163], v[148:149]
	s_waitcnt vmcnt(4) lgkmcnt(1)
	v_mul_f64 v[154:155], v[3:4], v[166:167]
	v_mul_f64 v[156:157], v[1:2], v[166:167]
	v_add_f64 v[133:134], v[133:134], v[150:151]
	v_add_f64 v[144:145], v[144:145], v[152:153]
	s_waitcnt vmcnt(2) lgkmcnt(0)
	v_mul_f64 v[146:147], v[142:143], v[168:169]
	v_mul_f64 v[148:149], v[140:141], v[168:169]
	s_waitcnt vmcnt(0)
	v_fma_f64 v[1:2], v[1:2], v[172:173], -v[154:155]
	v_fma_f64 v[3:4], v[3:4], v[172:173], v[156:157]
	v_add_f64 v[133:134], v[133:134], v[136:137]
	v_add_f64 v[136:137], v[144:145], v[138:139]
	v_fma_f64 v[138:139], v[140:141], v[170:171], -v[146:147]
	v_fma_f64 v[140:141], v[142:143], v[170:171], v[148:149]
	v_add_f64 v[1:2], v[133:134], v[1:2]
	v_add_f64 v[3:4], v[136:137], v[3:4]
	v_mov_b32_e32 v133, s74
	s_mov_b32 s74, s75
	v_add_f64 v[1:2], v[1:2], v[138:139]
	v_add_f64 v[3:4], v[3:4], v[140:141]
	s_andn2_b32 exec_lo, exec_lo, s71
	s_cbranch_execnz .LBB125_445
; %bb.446:
	s_or_b32 exec_lo, exec_lo, s71
.LBB125_447:
	s_or_b32 exec_lo, exec_lo, s5
	v_and_b32_e32 v131, 7, v131
	s_mov_b32 s71, 0
	s_mov_b32 s5, exec_lo
	v_cmpx_ne_u32_e32 0, v131
	s_cbranch_execz .LBB125_451
; %bb.448:
	v_lshlrev_b32_e32 v133, 4, v133
	v_add_nc_u32_e32 v132, 0x3e0, v133
	.p2align	6
.LBB125_449:                            ; =>This Inner Loop Header: Depth=1
	s_clause 0x3
	buffer_load_dword v140, v133, s[0:3], 0 offen offset:8
	buffer_load_dword v141, v133, s[0:3], 0 offen offset:12
	buffer_load_dword v142, v133, s[0:3], 0 offen
	buffer_load_dword v143, v133, s[0:3], 0 offen offset:4
	ds_read_b128 v[136:139], v132
	v_add_nc_u32_e32 v131, -1, v131
	v_add_nc_u32_e32 v132, 16, v132
	v_add_nc_u32_e32 v133, 16, v133
	v_cmp_eq_u32_e32 vcc_lo, 0, v131
	s_or_b32 s71, vcc_lo, s71
	s_waitcnt vmcnt(2) lgkmcnt(0)
	v_mul_f64 v[144:145], v[138:139], v[140:141]
	v_mul_f64 v[140:141], v[136:137], v[140:141]
	s_waitcnt vmcnt(0)
	v_fma_f64 v[136:137], v[136:137], v[142:143], -v[144:145]
	v_fma_f64 v[138:139], v[138:139], v[142:143], v[140:141]
	v_add_f64 v[1:2], v[1:2], v[136:137]
	v_add_f64 v[3:4], v[3:4], v[138:139]
	s_andn2_b32 exec_lo, exec_lo, s71
	s_cbranch_execnz .LBB125_449
; %bb.450:
	s_or_b32 exec_lo, exec_lo, s71
.LBB125_451:
	s_or_b32 exec_lo, exec_lo, s5
.LBB125_452:
	s_or_b32 exec_lo, exec_lo, s8
	v_mov_b32_e32 v131, 0
	ds_read_b128 v[131:134], v131 offset:448
	s_waitcnt lgkmcnt(0)
	v_mul_f64 v[136:137], v[3:4], v[133:134]
	v_mul_f64 v[133:134], v[1:2], v[133:134]
	v_fma_f64 v[1:2], v[1:2], v[131:132], -v[136:137]
	v_fma_f64 v[3:4], v[3:4], v[131:132], v[133:134]
	buffer_store_dword v2, off, s[0:3], 0 offset:452
	buffer_store_dword v1, off, s[0:3], 0 offset:448
	;; [unrolled: 1-line block ×4, first 2 shown]
.LBB125_453:
	s_or_b32 exec_lo, exec_lo, s6
	v_mov_b32_e32 v4, s44
	v_cmp_lt_u32_e64 s5, 27, v0
	s_clause 0x3
	buffer_load_dword v1, v4, s[0:3], 0 offen
	buffer_load_dword v2, v4, s[0:3], 0 offen offset:4
	buffer_load_dword v3, v4, s[0:3], 0 offen offset:8
	;; [unrolled: 1-line block ×3, first 2 shown]
	s_waitcnt vmcnt(0)
	ds_write_b128 v130, v[1:4]
	s_waitcnt lgkmcnt(0)
	s_waitcnt_vscnt null, 0x0
	s_barrier
	buffer_gl0_inv
	s_and_saveexec_b32 s6, s5
	s_cbranch_execz .LBB125_467
; %bb.454:
	ds_read_b128 v[1:4], v130
	s_andn2_b32 vcc_lo, exec_lo, s7
	s_cbranch_vccnz .LBB125_456
; %bb.455:
	s_clause 0x3
	buffer_load_dword v131, v129, s[0:3], 0 offen offset:8
	buffer_load_dword v132, v129, s[0:3], 0 offen offset:12
	buffer_load_dword v133, v129, s[0:3], 0 offen
	buffer_load_dword v134, v129, s[0:3], 0 offen offset:4
	s_waitcnt vmcnt(2) lgkmcnt(0)
	v_mul_f64 v[136:137], v[3:4], v[131:132]
	v_mul_f64 v[131:132], v[1:2], v[131:132]
	s_waitcnt vmcnt(0)
	v_fma_f64 v[1:2], v[1:2], v[133:134], -v[136:137]
	v_fma_f64 v[3:4], v[3:4], v[133:134], v[131:132]
.LBB125_456:
	s_and_saveexec_b32 s8, s4
	s_cbranch_execz .LBB125_466
; %bb.457:
	v_subrev_nc_u32_e32 v132, 29, v0
	v_mov_b32_e32 v133, 28
	v_subrev_nc_u32_e32 v131, 28, v0
	s_mov_b32 s4, exec_lo
	v_cmpx_lt_u32_e32 6, v132
	s_cbranch_execz .LBB125_461
; %bb.458:
	v_and_b32_e32 v132, -8, v131
	s_movk_i32 s72, 0x5a0
	s_mov_b32 s71, 0
	s_mov_b32 s73, s43
	;; [unrolled: 1-line block ×3, first 2 shown]
.LBB125_459:                            ; =>This Inner Loop Header: Depth=1
	v_mov_b32_e32 v136, s73
	v_mov_b32_e32 v182, s72
	s_add_i32 s75, s74, 8
	s_add_i32 s74, s74, 36
	v_cmp_eq_u32_e32 vcc_lo, s75, v132
	s_clause 0x1f
	buffer_load_dword v133, v136, s[0:3], 0 offen offset:8
	buffer_load_dword v134, v136, s[0:3], 0 offen offset:12
	buffer_load_dword v144, v136, s[0:3], 0 offen
	buffer_load_dword v145, v136, s[0:3], 0 offen offset:4
	buffer_load_dword v146, v136, s[0:3], 0 offen offset:24
	;; [unrolled: 1-line block ×29, first 2 shown]
	ds_read_b128 v[136:139], v182
	ds_read_b128 v[140:143], v182 offset:16
	s_addk_i32 s72, 0x80
	s_addk_i32 s73, 0x80
	s_or_b32 s71, vcc_lo, s71
	s_waitcnt vmcnt(30) lgkmcnt(1)
	v_mul_f64 v[174:175], v[138:139], v[133:134]
	v_mul_f64 v[133:134], v[136:137], v[133:134]
	s_waitcnt vmcnt(26) lgkmcnt(0)
	v_mul_f64 v[176:177], v[142:143], v[146:147]
	v_mul_f64 v[178:179], v[140:141], v[146:147]
	v_fma_f64 v[174:175], v[136:137], v[144:145], -v[174:175]
	v_fma_f64 v[133:134], v[138:139], v[144:145], v[133:134]
	ds_read_b128 v[136:139], v182 offset:32
	ds_read_b128 v[144:147], v182 offset:48
	s_waitcnt vmcnt(24)
	v_fma_f64 v[140:141], v[140:141], v[148:149], -v[176:177]
	v_fma_f64 v[142:143], v[142:143], v[148:149], v[178:179]
	s_waitcnt vmcnt(22) lgkmcnt(1)
	v_mul_f64 v[180:181], v[138:139], v[150:151]
	v_mul_f64 v[150:151], v[136:137], v[150:151]
	v_add_f64 v[1:2], v[1:2], v[174:175]
	v_add_f64 v[3:4], v[3:4], v[133:134]
	s_waitcnt vmcnt(18) lgkmcnt(0)
	v_mul_f64 v[133:134], v[146:147], v[154:155]
	v_mul_f64 v[148:149], v[144:145], v[154:155]
	v_fma_f64 v[154:155], v[136:137], v[152:153], -v[180:181]
	v_fma_f64 v[150:151], v[138:139], v[152:153], v[150:151]
	v_add_f64 v[140:141], v[1:2], v[140:141]
	v_add_f64 v[142:143], v[3:4], v[142:143]
	ds_read_b128 v[1:4], v182 offset:64
	ds_read_b128 v[136:139], v182 offset:80
	s_waitcnt vmcnt(16)
	v_fma_f64 v[133:134], v[144:145], v[156:157], -v[133:134]
	v_fma_f64 v[144:145], v[146:147], v[156:157], v[148:149]
	s_waitcnt vmcnt(12) lgkmcnt(1)
	v_mul_f64 v[152:153], v[3:4], v[158:159]
	v_mul_f64 v[158:159], v[1:2], v[158:159]
	v_add_f64 v[140:141], v[140:141], v[154:155]
	v_add_f64 v[142:143], v[142:143], v[150:151]
	s_waitcnt vmcnt(10) lgkmcnt(0)
	v_mul_f64 v[146:147], v[138:139], v[160:161]
	v_mul_f64 v[148:149], v[136:137], v[160:161]
	s_waitcnt vmcnt(8)
	v_fma_f64 v[150:151], v[1:2], v[164:165], -v[152:153]
	v_fma_f64 v[152:153], v[3:4], v[164:165], v[158:159]
	v_add_f64 v[133:134], v[140:141], v[133:134]
	v_add_f64 v[144:145], v[142:143], v[144:145]
	ds_read_b128 v[1:4], v182 offset:96
	ds_read_b128 v[140:143], v182 offset:112
	v_fma_f64 v[136:137], v[136:137], v[162:163], -v[146:147]
	v_fma_f64 v[138:139], v[138:139], v[162:163], v[148:149]
	s_waitcnt vmcnt(4) lgkmcnt(1)
	v_mul_f64 v[154:155], v[3:4], v[166:167]
	v_mul_f64 v[156:157], v[1:2], v[166:167]
	v_add_f64 v[133:134], v[133:134], v[150:151]
	v_add_f64 v[144:145], v[144:145], v[152:153]
	s_waitcnt vmcnt(2) lgkmcnt(0)
	v_mul_f64 v[146:147], v[142:143], v[168:169]
	v_mul_f64 v[148:149], v[140:141], v[168:169]
	s_waitcnt vmcnt(0)
	v_fma_f64 v[1:2], v[1:2], v[172:173], -v[154:155]
	v_fma_f64 v[3:4], v[3:4], v[172:173], v[156:157]
	v_add_f64 v[133:134], v[133:134], v[136:137]
	v_add_f64 v[136:137], v[144:145], v[138:139]
	v_fma_f64 v[138:139], v[140:141], v[170:171], -v[146:147]
	v_fma_f64 v[140:141], v[142:143], v[170:171], v[148:149]
	v_add_f64 v[1:2], v[133:134], v[1:2]
	v_add_f64 v[3:4], v[136:137], v[3:4]
	v_mov_b32_e32 v133, s74
	s_mov_b32 s74, s75
	v_add_f64 v[1:2], v[1:2], v[138:139]
	v_add_f64 v[3:4], v[3:4], v[140:141]
	s_andn2_b32 exec_lo, exec_lo, s71
	s_cbranch_execnz .LBB125_459
; %bb.460:
	s_or_b32 exec_lo, exec_lo, s71
.LBB125_461:
	s_or_b32 exec_lo, exec_lo, s4
	v_and_b32_e32 v131, 7, v131
	s_mov_b32 s71, 0
	s_mov_b32 s4, exec_lo
	v_cmpx_ne_u32_e32 0, v131
	s_cbranch_execz .LBB125_465
; %bb.462:
	v_lshlrev_b32_e32 v133, 4, v133
	v_add_nc_u32_e32 v132, 0x3e0, v133
	.p2align	6
.LBB125_463:                            ; =>This Inner Loop Header: Depth=1
	s_clause 0x3
	buffer_load_dword v140, v133, s[0:3], 0 offen offset:8
	buffer_load_dword v141, v133, s[0:3], 0 offen offset:12
	buffer_load_dword v142, v133, s[0:3], 0 offen
	buffer_load_dword v143, v133, s[0:3], 0 offen offset:4
	ds_read_b128 v[136:139], v132
	v_add_nc_u32_e32 v131, -1, v131
	v_add_nc_u32_e32 v132, 16, v132
	v_add_nc_u32_e32 v133, 16, v133
	v_cmp_eq_u32_e32 vcc_lo, 0, v131
	s_or_b32 s71, vcc_lo, s71
	s_waitcnt vmcnt(2) lgkmcnt(0)
	v_mul_f64 v[144:145], v[138:139], v[140:141]
	v_mul_f64 v[140:141], v[136:137], v[140:141]
	s_waitcnt vmcnt(0)
	v_fma_f64 v[136:137], v[136:137], v[142:143], -v[144:145]
	v_fma_f64 v[138:139], v[138:139], v[142:143], v[140:141]
	v_add_f64 v[1:2], v[1:2], v[136:137]
	v_add_f64 v[3:4], v[3:4], v[138:139]
	s_andn2_b32 exec_lo, exec_lo, s71
	s_cbranch_execnz .LBB125_463
; %bb.464:
	s_or_b32 exec_lo, exec_lo, s71
.LBB125_465:
	s_or_b32 exec_lo, exec_lo, s4
.LBB125_466:
	s_or_b32 exec_lo, exec_lo, s8
	v_mov_b32_e32 v131, 0
	ds_read_b128 v[131:134], v131 offset:432
	s_waitcnt lgkmcnt(0)
	v_mul_f64 v[136:137], v[3:4], v[133:134]
	v_mul_f64 v[133:134], v[1:2], v[133:134]
	v_fma_f64 v[1:2], v[1:2], v[131:132], -v[136:137]
	v_fma_f64 v[3:4], v[3:4], v[131:132], v[133:134]
	buffer_store_dword v2, off, s[0:3], 0 offset:436
	buffer_store_dword v1, off, s[0:3], 0 offset:432
	;; [unrolled: 1-line block ×4, first 2 shown]
.LBB125_467:
	s_or_b32 exec_lo, exec_lo, s6
	v_mov_b32_e32 v4, s45
	v_cmp_lt_u32_e64 s4, 26, v0
	s_clause 0x3
	buffer_load_dword v1, v4, s[0:3], 0 offen
	buffer_load_dword v2, v4, s[0:3], 0 offen offset:4
	buffer_load_dword v3, v4, s[0:3], 0 offen offset:8
	;; [unrolled: 1-line block ×3, first 2 shown]
	s_waitcnt vmcnt(0)
	ds_write_b128 v130, v[1:4]
	s_waitcnt lgkmcnt(0)
	s_waitcnt_vscnt null, 0x0
	s_barrier
	buffer_gl0_inv
	s_and_saveexec_b32 s6, s4
	s_cbranch_execz .LBB125_481
; %bb.468:
	ds_read_b128 v[1:4], v130
	s_andn2_b32 vcc_lo, exec_lo, s7
	s_cbranch_vccnz .LBB125_470
; %bb.469:
	s_clause 0x3
	buffer_load_dword v131, v129, s[0:3], 0 offen offset:8
	buffer_load_dword v132, v129, s[0:3], 0 offen offset:12
	buffer_load_dword v133, v129, s[0:3], 0 offen
	buffer_load_dword v134, v129, s[0:3], 0 offen offset:4
	s_waitcnt vmcnt(2) lgkmcnt(0)
	v_mul_f64 v[136:137], v[3:4], v[131:132]
	v_mul_f64 v[131:132], v[1:2], v[131:132]
	s_waitcnt vmcnt(0)
	v_fma_f64 v[1:2], v[1:2], v[133:134], -v[136:137]
	v_fma_f64 v[3:4], v[3:4], v[133:134], v[131:132]
.LBB125_470:
	s_and_saveexec_b32 s8, s5
	s_cbranch_execz .LBB125_480
; %bb.471:
	v_subrev_nc_u32_e32 v132, 28, v0
	v_mov_b32_e32 v133, 27
	v_subrev_nc_u32_e32 v131, 27, v0
	s_mov_b32 s5, exec_lo
	v_cmpx_lt_u32_e32 6, v132
	s_cbranch_execz .LBB125_475
; %bb.472:
	v_and_b32_e32 v132, -8, v131
	s_movk_i32 s72, 0x590
	s_mov_b32 s71, 0
	s_mov_b32 s73, s44
	;; [unrolled: 1-line block ×3, first 2 shown]
.LBB125_473:                            ; =>This Inner Loop Header: Depth=1
	v_mov_b32_e32 v136, s73
	v_mov_b32_e32 v182, s72
	s_add_i32 s75, s74, 8
	s_add_i32 s74, s74, 35
	v_cmp_eq_u32_e32 vcc_lo, s75, v132
	s_clause 0x1f
	buffer_load_dword v133, v136, s[0:3], 0 offen offset:8
	buffer_load_dword v134, v136, s[0:3], 0 offen offset:12
	buffer_load_dword v144, v136, s[0:3], 0 offen
	buffer_load_dword v145, v136, s[0:3], 0 offen offset:4
	buffer_load_dword v146, v136, s[0:3], 0 offen offset:24
	;; [unrolled: 1-line block ×29, first 2 shown]
	ds_read_b128 v[136:139], v182
	ds_read_b128 v[140:143], v182 offset:16
	s_addk_i32 s72, 0x80
	s_addk_i32 s73, 0x80
	s_or_b32 s71, vcc_lo, s71
	s_waitcnt vmcnt(30) lgkmcnt(1)
	v_mul_f64 v[174:175], v[138:139], v[133:134]
	v_mul_f64 v[133:134], v[136:137], v[133:134]
	s_waitcnt vmcnt(26) lgkmcnt(0)
	v_mul_f64 v[176:177], v[142:143], v[146:147]
	v_mul_f64 v[178:179], v[140:141], v[146:147]
	v_fma_f64 v[174:175], v[136:137], v[144:145], -v[174:175]
	v_fma_f64 v[133:134], v[138:139], v[144:145], v[133:134]
	ds_read_b128 v[136:139], v182 offset:32
	ds_read_b128 v[144:147], v182 offset:48
	s_waitcnt vmcnt(24)
	v_fma_f64 v[140:141], v[140:141], v[148:149], -v[176:177]
	v_fma_f64 v[142:143], v[142:143], v[148:149], v[178:179]
	s_waitcnt vmcnt(22) lgkmcnt(1)
	v_mul_f64 v[180:181], v[138:139], v[150:151]
	v_mul_f64 v[150:151], v[136:137], v[150:151]
	v_add_f64 v[1:2], v[1:2], v[174:175]
	v_add_f64 v[3:4], v[3:4], v[133:134]
	s_waitcnt vmcnt(18) lgkmcnt(0)
	v_mul_f64 v[133:134], v[146:147], v[154:155]
	v_mul_f64 v[148:149], v[144:145], v[154:155]
	v_fma_f64 v[154:155], v[136:137], v[152:153], -v[180:181]
	v_fma_f64 v[150:151], v[138:139], v[152:153], v[150:151]
	v_add_f64 v[140:141], v[1:2], v[140:141]
	v_add_f64 v[142:143], v[3:4], v[142:143]
	ds_read_b128 v[1:4], v182 offset:64
	ds_read_b128 v[136:139], v182 offset:80
	s_waitcnt vmcnt(16)
	v_fma_f64 v[133:134], v[144:145], v[156:157], -v[133:134]
	v_fma_f64 v[144:145], v[146:147], v[156:157], v[148:149]
	s_waitcnt vmcnt(12) lgkmcnt(1)
	v_mul_f64 v[152:153], v[3:4], v[158:159]
	v_mul_f64 v[158:159], v[1:2], v[158:159]
	v_add_f64 v[140:141], v[140:141], v[154:155]
	v_add_f64 v[142:143], v[142:143], v[150:151]
	s_waitcnt vmcnt(10) lgkmcnt(0)
	v_mul_f64 v[146:147], v[138:139], v[160:161]
	v_mul_f64 v[148:149], v[136:137], v[160:161]
	s_waitcnt vmcnt(8)
	v_fma_f64 v[150:151], v[1:2], v[164:165], -v[152:153]
	v_fma_f64 v[152:153], v[3:4], v[164:165], v[158:159]
	v_add_f64 v[133:134], v[140:141], v[133:134]
	v_add_f64 v[144:145], v[142:143], v[144:145]
	ds_read_b128 v[1:4], v182 offset:96
	ds_read_b128 v[140:143], v182 offset:112
	v_fma_f64 v[136:137], v[136:137], v[162:163], -v[146:147]
	v_fma_f64 v[138:139], v[138:139], v[162:163], v[148:149]
	s_waitcnt vmcnt(4) lgkmcnt(1)
	v_mul_f64 v[154:155], v[3:4], v[166:167]
	v_mul_f64 v[156:157], v[1:2], v[166:167]
	v_add_f64 v[133:134], v[133:134], v[150:151]
	v_add_f64 v[144:145], v[144:145], v[152:153]
	s_waitcnt vmcnt(2) lgkmcnt(0)
	v_mul_f64 v[146:147], v[142:143], v[168:169]
	v_mul_f64 v[148:149], v[140:141], v[168:169]
	s_waitcnt vmcnt(0)
	v_fma_f64 v[1:2], v[1:2], v[172:173], -v[154:155]
	v_fma_f64 v[3:4], v[3:4], v[172:173], v[156:157]
	v_add_f64 v[133:134], v[133:134], v[136:137]
	v_add_f64 v[136:137], v[144:145], v[138:139]
	v_fma_f64 v[138:139], v[140:141], v[170:171], -v[146:147]
	v_fma_f64 v[140:141], v[142:143], v[170:171], v[148:149]
	v_add_f64 v[1:2], v[133:134], v[1:2]
	v_add_f64 v[3:4], v[136:137], v[3:4]
	v_mov_b32_e32 v133, s74
	s_mov_b32 s74, s75
	v_add_f64 v[1:2], v[1:2], v[138:139]
	v_add_f64 v[3:4], v[3:4], v[140:141]
	s_andn2_b32 exec_lo, exec_lo, s71
	s_cbranch_execnz .LBB125_473
; %bb.474:
	s_or_b32 exec_lo, exec_lo, s71
.LBB125_475:
	s_or_b32 exec_lo, exec_lo, s5
	v_and_b32_e32 v131, 7, v131
	s_mov_b32 s71, 0
	s_mov_b32 s5, exec_lo
	v_cmpx_ne_u32_e32 0, v131
	s_cbranch_execz .LBB125_479
; %bb.476:
	v_lshlrev_b32_e32 v133, 4, v133
	v_add_nc_u32_e32 v132, 0x3e0, v133
	.p2align	6
.LBB125_477:                            ; =>This Inner Loop Header: Depth=1
	s_clause 0x3
	buffer_load_dword v140, v133, s[0:3], 0 offen offset:8
	buffer_load_dword v141, v133, s[0:3], 0 offen offset:12
	buffer_load_dword v142, v133, s[0:3], 0 offen
	buffer_load_dword v143, v133, s[0:3], 0 offen offset:4
	ds_read_b128 v[136:139], v132
	v_add_nc_u32_e32 v131, -1, v131
	v_add_nc_u32_e32 v132, 16, v132
	v_add_nc_u32_e32 v133, 16, v133
	v_cmp_eq_u32_e32 vcc_lo, 0, v131
	s_or_b32 s71, vcc_lo, s71
	s_waitcnt vmcnt(2) lgkmcnt(0)
	v_mul_f64 v[144:145], v[138:139], v[140:141]
	v_mul_f64 v[140:141], v[136:137], v[140:141]
	s_waitcnt vmcnt(0)
	v_fma_f64 v[136:137], v[136:137], v[142:143], -v[144:145]
	v_fma_f64 v[138:139], v[138:139], v[142:143], v[140:141]
	v_add_f64 v[1:2], v[1:2], v[136:137]
	v_add_f64 v[3:4], v[3:4], v[138:139]
	s_andn2_b32 exec_lo, exec_lo, s71
	s_cbranch_execnz .LBB125_477
; %bb.478:
	s_or_b32 exec_lo, exec_lo, s71
.LBB125_479:
	s_or_b32 exec_lo, exec_lo, s5
.LBB125_480:
	s_or_b32 exec_lo, exec_lo, s8
	v_mov_b32_e32 v131, 0
	ds_read_b128 v[131:134], v131 offset:416
	s_waitcnt lgkmcnt(0)
	v_mul_f64 v[136:137], v[3:4], v[133:134]
	v_mul_f64 v[133:134], v[1:2], v[133:134]
	v_fma_f64 v[1:2], v[1:2], v[131:132], -v[136:137]
	v_fma_f64 v[3:4], v[3:4], v[131:132], v[133:134]
	buffer_store_dword v2, off, s[0:3], 0 offset:420
	buffer_store_dword v1, off, s[0:3], 0 offset:416
	;; [unrolled: 1-line block ×4, first 2 shown]
.LBB125_481:
	s_or_b32 exec_lo, exec_lo, s6
	v_mov_b32_e32 v4, s46
	v_cmp_lt_u32_e64 s5, 25, v0
	s_clause 0x3
	buffer_load_dword v1, v4, s[0:3], 0 offen
	buffer_load_dword v2, v4, s[0:3], 0 offen offset:4
	buffer_load_dword v3, v4, s[0:3], 0 offen offset:8
	;; [unrolled: 1-line block ×3, first 2 shown]
	s_waitcnt vmcnt(0)
	ds_write_b128 v130, v[1:4]
	s_waitcnt lgkmcnt(0)
	s_waitcnt_vscnt null, 0x0
	s_barrier
	buffer_gl0_inv
	s_and_saveexec_b32 s6, s5
	s_cbranch_execz .LBB125_495
; %bb.482:
	ds_read_b128 v[1:4], v130
	s_andn2_b32 vcc_lo, exec_lo, s7
	s_cbranch_vccnz .LBB125_484
; %bb.483:
	s_clause 0x3
	buffer_load_dword v131, v129, s[0:3], 0 offen offset:8
	buffer_load_dword v132, v129, s[0:3], 0 offen offset:12
	buffer_load_dword v133, v129, s[0:3], 0 offen
	buffer_load_dword v134, v129, s[0:3], 0 offen offset:4
	s_waitcnt vmcnt(2) lgkmcnt(0)
	v_mul_f64 v[136:137], v[3:4], v[131:132]
	v_mul_f64 v[131:132], v[1:2], v[131:132]
	s_waitcnt vmcnt(0)
	v_fma_f64 v[1:2], v[1:2], v[133:134], -v[136:137]
	v_fma_f64 v[3:4], v[3:4], v[133:134], v[131:132]
.LBB125_484:
	s_and_saveexec_b32 s8, s4
	s_cbranch_execz .LBB125_494
; %bb.485:
	v_subrev_nc_u32_e32 v132, 27, v0
	v_mov_b32_e32 v133, 26
	v_subrev_nc_u32_e32 v131, 26, v0
	s_mov_b32 s4, exec_lo
	v_cmpx_lt_u32_e32 6, v132
	s_cbranch_execz .LBB125_489
; %bb.486:
	v_and_b32_e32 v132, -8, v131
	s_movk_i32 s72, 0x580
	s_mov_b32 s71, 0
	s_mov_b32 s73, s45
	;; [unrolled: 1-line block ×3, first 2 shown]
.LBB125_487:                            ; =>This Inner Loop Header: Depth=1
	v_mov_b32_e32 v136, s73
	v_mov_b32_e32 v182, s72
	s_add_i32 s75, s74, 8
	s_add_i32 s74, s74, 34
	v_cmp_eq_u32_e32 vcc_lo, s75, v132
	s_clause 0x1f
	buffer_load_dword v133, v136, s[0:3], 0 offen offset:8
	buffer_load_dword v134, v136, s[0:3], 0 offen offset:12
	buffer_load_dword v144, v136, s[0:3], 0 offen
	buffer_load_dword v145, v136, s[0:3], 0 offen offset:4
	buffer_load_dword v146, v136, s[0:3], 0 offen offset:24
	;; [unrolled: 1-line block ×29, first 2 shown]
	ds_read_b128 v[136:139], v182
	ds_read_b128 v[140:143], v182 offset:16
	s_addk_i32 s72, 0x80
	s_addk_i32 s73, 0x80
	s_or_b32 s71, vcc_lo, s71
	s_waitcnt vmcnt(30) lgkmcnt(1)
	v_mul_f64 v[174:175], v[138:139], v[133:134]
	v_mul_f64 v[133:134], v[136:137], v[133:134]
	s_waitcnt vmcnt(26) lgkmcnt(0)
	v_mul_f64 v[176:177], v[142:143], v[146:147]
	v_mul_f64 v[178:179], v[140:141], v[146:147]
	v_fma_f64 v[174:175], v[136:137], v[144:145], -v[174:175]
	v_fma_f64 v[133:134], v[138:139], v[144:145], v[133:134]
	ds_read_b128 v[136:139], v182 offset:32
	ds_read_b128 v[144:147], v182 offset:48
	s_waitcnt vmcnt(24)
	v_fma_f64 v[140:141], v[140:141], v[148:149], -v[176:177]
	v_fma_f64 v[142:143], v[142:143], v[148:149], v[178:179]
	s_waitcnt vmcnt(22) lgkmcnt(1)
	v_mul_f64 v[180:181], v[138:139], v[150:151]
	v_mul_f64 v[150:151], v[136:137], v[150:151]
	v_add_f64 v[1:2], v[1:2], v[174:175]
	v_add_f64 v[3:4], v[3:4], v[133:134]
	s_waitcnt vmcnt(18) lgkmcnt(0)
	v_mul_f64 v[133:134], v[146:147], v[154:155]
	v_mul_f64 v[148:149], v[144:145], v[154:155]
	v_fma_f64 v[154:155], v[136:137], v[152:153], -v[180:181]
	v_fma_f64 v[150:151], v[138:139], v[152:153], v[150:151]
	v_add_f64 v[140:141], v[1:2], v[140:141]
	v_add_f64 v[142:143], v[3:4], v[142:143]
	ds_read_b128 v[1:4], v182 offset:64
	ds_read_b128 v[136:139], v182 offset:80
	s_waitcnt vmcnt(16)
	v_fma_f64 v[133:134], v[144:145], v[156:157], -v[133:134]
	v_fma_f64 v[144:145], v[146:147], v[156:157], v[148:149]
	s_waitcnt vmcnt(12) lgkmcnt(1)
	v_mul_f64 v[152:153], v[3:4], v[158:159]
	v_mul_f64 v[158:159], v[1:2], v[158:159]
	v_add_f64 v[140:141], v[140:141], v[154:155]
	v_add_f64 v[142:143], v[142:143], v[150:151]
	s_waitcnt vmcnt(10) lgkmcnt(0)
	v_mul_f64 v[146:147], v[138:139], v[160:161]
	v_mul_f64 v[148:149], v[136:137], v[160:161]
	s_waitcnt vmcnt(8)
	v_fma_f64 v[150:151], v[1:2], v[164:165], -v[152:153]
	v_fma_f64 v[152:153], v[3:4], v[164:165], v[158:159]
	v_add_f64 v[133:134], v[140:141], v[133:134]
	v_add_f64 v[144:145], v[142:143], v[144:145]
	ds_read_b128 v[1:4], v182 offset:96
	ds_read_b128 v[140:143], v182 offset:112
	v_fma_f64 v[136:137], v[136:137], v[162:163], -v[146:147]
	v_fma_f64 v[138:139], v[138:139], v[162:163], v[148:149]
	s_waitcnt vmcnt(4) lgkmcnt(1)
	v_mul_f64 v[154:155], v[3:4], v[166:167]
	v_mul_f64 v[156:157], v[1:2], v[166:167]
	v_add_f64 v[133:134], v[133:134], v[150:151]
	v_add_f64 v[144:145], v[144:145], v[152:153]
	s_waitcnt vmcnt(2) lgkmcnt(0)
	v_mul_f64 v[146:147], v[142:143], v[168:169]
	v_mul_f64 v[148:149], v[140:141], v[168:169]
	s_waitcnt vmcnt(0)
	v_fma_f64 v[1:2], v[1:2], v[172:173], -v[154:155]
	v_fma_f64 v[3:4], v[3:4], v[172:173], v[156:157]
	v_add_f64 v[133:134], v[133:134], v[136:137]
	v_add_f64 v[136:137], v[144:145], v[138:139]
	v_fma_f64 v[138:139], v[140:141], v[170:171], -v[146:147]
	v_fma_f64 v[140:141], v[142:143], v[170:171], v[148:149]
	v_add_f64 v[1:2], v[133:134], v[1:2]
	v_add_f64 v[3:4], v[136:137], v[3:4]
	v_mov_b32_e32 v133, s74
	s_mov_b32 s74, s75
	v_add_f64 v[1:2], v[1:2], v[138:139]
	v_add_f64 v[3:4], v[3:4], v[140:141]
	s_andn2_b32 exec_lo, exec_lo, s71
	s_cbranch_execnz .LBB125_487
; %bb.488:
	s_or_b32 exec_lo, exec_lo, s71
.LBB125_489:
	s_or_b32 exec_lo, exec_lo, s4
	v_and_b32_e32 v131, 7, v131
	s_mov_b32 s71, 0
	s_mov_b32 s4, exec_lo
	v_cmpx_ne_u32_e32 0, v131
	s_cbranch_execz .LBB125_493
; %bb.490:
	v_lshlrev_b32_e32 v133, 4, v133
	v_add_nc_u32_e32 v132, 0x3e0, v133
	.p2align	6
.LBB125_491:                            ; =>This Inner Loop Header: Depth=1
	s_clause 0x3
	buffer_load_dword v140, v133, s[0:3], 0 offen offset:8
	buffer_load_dword v141, v133, s[0:3], 0 offen offset:12
	buffer_load_dword v142, v133, s[0:3], 0 offen
	buffer_load_dword v143, v133, s[0:3], 0 offen offset:4
	ds_read_b128 v[136:139], v132
	v_add_nc_u32_e32 v131, -1, v131
	v_add_nc_u32_e32 v132, 16, v132
	v_add_nc_u32_e32 v133, 16, v133
	v_cmp_eq_u32_e32 vcc_lo, 0, v131
	s_or_b32 s71, vcc_lo, s71
	s_waitcnt vmcnt(2) lgkmcnt(0)
	v_mul_f64 v[144:145], v[138:139], v[140:141]
	v_mul_f64 v[140:141], v[136:137], v[140:141]
	s_waitcnt vmcnt(0)
	v_fma_f64 v[136:137], v[136:137], v[142:143], -v[144:145]
	v_fma_f64 v[138:139], v[138:139], v[142:143], v[140:141]
	v_add_f64 v[1:2], v[1:2], v[136:137]
	v_add_f64 v[3:4], v[3:4], v[138:139]
	s_andn2_b32 exec_lo, exec_lo, s71
	s_cbranch_execnz .LBB125_491
; %bb.492:
	s_or_b32 exec_lo, exec_lo, s71
.LBB125_493:
	s_or_b32 exec_lo, exec_lo, s4
.LBB125_494:
	s_or_b32 exec_lo, exec_lo, s8
	v_mov_b32_e32 v131, 0
	ds_read_b128 v[131:134], v131 offset:400
	s_waitcnt lgkmcnt(0)
	v_mul_f64 v[136:137], v[3:4], v[133:134]
	v_mul_f64 v[133:134], v[1:2], v[133:134]
	v_fma_f64 v[1:2], v[1:2], v[131:132], -v[136:137]
	v_fma_f64 v[3:4], v[3:4], v[131:132], v[133:134]
	buffer_store_dword v2, off, s[0:3], 0 offset:404
	buffer_store_dword v1, off, s[0:3], 0 offset:400
	;; [unrolled: 1-line block ×4, first 2 shown]
.LBB125_495:
	s_or_b32 exec_lo, exec_lo, s6
	v_mov_b32_e32 v4, s47
	v_cmp_lt_u32_e64 s4, 24, v0
	s_clause 0x3
	buffer_load_dword v1, v4, s[0:3], 0 offen
	buffer_load_dword v2, v4, s[0:3], 0 offen offset:4
	buffer_load_dword v3, v4, s[0:3], 0 offen offset:8
	;; [unrolled: 1-line block ×3, first 2 shown]
	s_waitcnt vmcnt(0)
	ds_write_b128 v130, v[1:4]
	s_waitcnt lgkmcnt(0)
	s_waitcnt_vscnt null, 0x0
	s_barrier
	buffer_gl0_inv
	s_and_saveexec_b32 s6, s4
	s_cbranch_execz .LBB125_509
; %bb.496:
	ds_read_b128 v[1:4], v130
	s_andn2_b32 vcc_lo, exec_lo, s7
	s_cbranch_vccnz .LBB125_498
; %bb.497:
	s_clause 0x3
	buffer_load_dword v131, v129, s[0:3], 0 offen offset:8
	buffer_load_dword v132, v129, s[0:3], 0 offen offset:12
	buffer_load_dword v133, v129, s[0:3], 0 offen
	buffer_load_dword v134, v129, s[0:3], 0 offen offset:4
	s_waitcnt vmcnt(2) lgkmcnt(0)
	v_mul_f64 v[136:137], v[3:4], v[131:132]
	v_mul_f64 v[131:132], v[1:2], v[131:132]
	s_waitcnt vmcnt(0)
	v_fma_f64 v[1:2], v[1:2], v[133:134], -v[136:137]
	v_fma_f64 v[3:4], v[3:4], v[133:134], v[131:132]
.LBB125_498:
	s_and_saveexec_b32 s8, s5
	s_cbranch_execz .LBB125_508
; %bb.499:
	v_subrev_nc_u32_e32 v132, 26, v0
	v_mov_b32_e32 v133, 25
	v_subrev_nc_u32_e32 v131, 25, v0
	s_mov_b32 s5, exec_lo
	v_cmpx_lt_u32_e32 6, v132
	s_cbranch_execz .LBB125_503
; %bb.500:
	v_and_b32_e32 v132, -8, v131
	s_movk_i32 s72, 0x570
	s_mov_b32 s71, 0
	s_mov_b32 s73, s46
	;; [unrolled: 1-line block ×3, first 2 shown]
.LBB125_501:                            ; =>This Inner Loop Header: Depth=1
	v_mov_b32_e32 v136, s73
	v_mov_b32_e32 v182, s72
	s_add_i32 s75, s74, 8
	s_add_i32 s74, s74, 33
	v_cmp_eq_u32_e32 vcc_lo, s75, v132
	s_clause 0x1f
	buffer_load_dword v133, v136, s[0:3], 0 offen offset:8
	buffer_load_dword v134, v136, s[0:3], 0 offen offset:12
	buffer_load_dword v144, v136, s[0:3], 0 offen
	buffer_load_dword v145, v136, s[0:3], 0 offen offset:4
	buffer_load_dword v146, v136, s[0:3], 0 offen offset:24
	;; [unrolled: 1-line block ×29, first 2 shown]
	ds_read_b128 v[136:139], v182
	ds_read_b128 v[140:143], v182 offset:16
	s_addk_i32 s72, 0x80
	s_addk_i32 s73, 0x80
	s_or_b32 s71, vcc_lo, s71
	s_waitcnt vmcnt(30) lgkmcnt(1)
	v_mul_f64 v[174:175], v[138:139], v[133:134]
	v_mul_f64 v[133:134], v[136:137], v[133:134]
	s_waitcnt vmcnt(26) lgkmcnt(0)
	v_mul_f64 v[176:177], v[142:143], v[146:147]
	v_mul_f64 v[178:179], v[140:141], v[146:147]
	v_fma_f64 v[174:175], v[136:137], v[144:145], -v[174:175]
	v_fma_f64 v[133:134], v[138:139], v[144:145], v[133:134]
	ds_read_b128 v[136:139], v182 offset:32
	ds_read_b128 v[144:147], v182 offset:48
	s_waitcnt vmcnt(24)
	v_fma_f64 v[140:141], v[140:141], v[148:149], -v[176:177]
	v_fma_f64 v[142:143], v[142:143], v[148:149], v[178:179]
	s_waitcnt vmcnt(22) lgkmcnt(1)
	v_mul_f64 v[180:181], v[138:139], v[150:151]
	v_mul_f64 v[150:151], v[136:137], v[150:151]
	v_add_f64 v[1:2], v[1:2], v[174:175]
	v_add_f64 v[3:4], v[3:4], v[133:134]
	s_waitcnt vmcnt(18) lgkmcnt(0)
	v_mul_f64 v[133:134], v[146:147], v[154:155]
	v_mul_f64 v[148:149], v[144:145], v[154:155]
	v_fma_f64 v[154:155], v[136:137], v[152:153], -v[180:181]
	v_fma_f64 v[150:151], v[138:139], v[152:153], v[150:151]
	v_add_f64 v[140:141], v[1:2], v[140:141]
	v_add_f64 v[142:143], v[3:4], v[142:143]
	ds_read_b128 v[1:4], v182 offset:64
	ds_read_b128 v[136:139], v182 offset:80
	s_waitcnt vmcnt(16)
	v_fma_f64 v[133:134], v[144:145], v[156:157], -v[133:134]
	v_fma_f64 v[144:145], v[146:147], v[156:157], v[148:149]
	s_waitcnt vmcnt(12) lgkmcnt(1)
	v_mul_f64 v[152:153], v[3:4], v[158:159]
	v_mul_f64 v[158:159], v[1:2], v[158:159]
	v_add_f64 v[140:141], v[140:141], v[154:155]
	v_add_f64 v[142:143], v[142:143], v[150:151]
	s_waitcnt vmcnt(10) lgkmcnt(0)
	v_mul_f64 v[146:147], v[138:139], v[160:161]
	v_mul_f64 v[148:149], v[136:137], v[160:161]
	s_waitcnt vmcnt(8)
	v_fma_f64 v[150:151], v[1:2], v[164:165], -v[152:153]
	v_fma_f64 v[152:153], v[3:4], v[164:165], v[158:159]
	v_add_f64 v[133:134], v[140:141], v[133:134]
	v_add_f64 v[144:145], v[142:143], v[144:145]
	ds_read_b128 v[1:4], v182 offset:96
	ds_read_b128 v[140:143], v182 offset:112
	v_fma_f64 v[136:137], v[136:137], v[162:163], -v[146:147]
	v_fma_f64 v[138:139], v[138:139], v[162:163], v[148:149]
	s_waitcnt vmcnt(4) lgkmcnt(1)
	v_mul_f64 v[154:155], v[3:4], v[166:167]
	v_mul_f64 v[156:157], v[1:2], v[166:167]
	v_add_f64 v[133:134], v[133:134], v[150:151]
	v_add_f64 v[144:145], v[144:145], v[152:153]
	s_waitcnt vmcnt(2) lgkmcnt(0)
	v_mul_f64 v[146:147], v[142:143], v[168:169]
	v_mul_f64 v[148:149], v[140:141], v[168:169]
	s_waitcnt vmcnt(0)
	v_fma_f64 v[1:2], v[1:2], v[172:173], -v[154:155]
	v_fma_f64 v[3:4], v[3:4], v[172:173], v[156:157]
	v_add_f64 v[133:134], v[133:134], v[136:137]
	v_add_f64 v[136:137], v[144:145], v[138:139]
	v_fma_f64 v[138:139], v[140:141], v[170:171], -v[146:147]
	v_fma_f64 v[140:141], v[142:143], v[170:171], v[148:149]
	v_add_f64 v[1:2], v[133:134], v[1:2]
	v_add_f64 v[3:4], v[136:137], v[3:4]
	v_mov_b32_e32 v133, s74
	s_mov_b32 s74, s75
	v_add_f64 v[1:2], v[1:2], v[138:139]
	v_add_f64 v[3:4], v[3:4], v[140:141]
	s_andn2_b32 exec_lo, exec_lo, s71
	s_cbranch_execnz .LBB125_501
; %bb.502:
	s_or_b32 exec_lo, exec_lo, s71
.LBB125_503:
	s_or_b32 exec_lo, exec_lo, s5
	v_and_b32_e32 v131, 7, v131
	s_mov_b32 s71, 0
	s_mov_b32 s5, exec_lo
	v_cmpx_ne_u32_e32 0, v131
	s_cbranch_execz .LBB125_507
; %bb.504:
	v_lshlrev_b32_e32 v133, 4, v133
	v_add_nc_u32_e32 v132, 0x3e0, v133
	.p2align	6
.LBB125_505:                            ; =>This Inner Loop Header: Depth=1
	s_clause 0x3
	buffer_load_dword v140, v133, s[0:3], 0 offen offset:8
	buffer_load_dword v141, v133, s[0:3], 0 offen offset:12
	buffer_load_dword v142, v133, s[0:3], 0 offen
	buffer_load_dword v143, v133, s[0:3], 0 offen offset:4
	ds_read_b128 v[136:139], v132
	v_add_nc_u32_e32 v131, -1, v131
	v_add_nc_u32_e32 v132, 16, v132
	v_add_nc_u32_e32 v133, 16, v133
	v_cmp_eq_u32_e32 vcc_lo, 0, v131
	s_or_b32 s71, vcc_lo, s71
	s_waitcnt vmcnt(2) lgkmcnt(0)
	v_mul_f64 v[144:145], v[138:139], v[140:141]
	v_mul_f64 v[140:141], v[136:137], v[140:141]
	s_waitcnt vmcnt(0)
	v_fma_f64 v[136:137], v[136:137], v[142:143], -v[144:145]
	v_fma_f64 v[138:139], v[138:139], v[142:143], v[140:141]
	v_add_f64 v[1:2], v[1:2], v[136:137]
	v_add_f64 v[3:4], v[3:4], v[138:139]
	s_andn2_b32 exec_lo, exec_lo, s71
	s_cbranch_execnz .LBB125_505
; %bb.506:
	s_or_b32 exec_lo, exec_lo, s71
.LBB125_507:
	s_or_b32 exec_lo, exec_lo, s5
.LBB125_508:
	s_or_b32 exec_lo, exec_lo, s8
	v_mov_b32_e32 v131, 0
	ds_read_b128 v[131:134], v131 offset:384
	s_waitcnt lgkmcnt(0)
	v_mul_f64 v[136:137], v[3:4], v[133:134]
	v_mul_f64 v[133:134], v[1:2], v[133:134]
	v_fma_f64 v[1:2], v[1:2], v[131:132], -v[136:137]
	v_fma_f64 v[3:4], v[3:4], v[131:132], v[133:134]
	buffer_store_dword v2, off, s[0:3], 0 offset:388
	buffer_store_dword v1, off, s[0:3], 0 offset:384
	;; [unrolled: 1-line block ×4, first 2 shown]
.LBB125_509:
	s_or_b32 exec_lo, exec_lo, s6
	v_mov_b32_e32 v4, s48
	v_cmp_lt_u32_e64 s5, 23, v0
	s_clause 0x3
	buffer_load_dword v1, v4, s[0:3], 0 offen
	buffer_load_dword v2, v4, s[0:3], 0 offen offset:4
	buffer_load_dword v3, v4, s[0:3], 0 offen offset:8
	;; [unrolled: 1-line block ×3, first 2 shown]
	s_waitcnt vmcnt(0)
	ds_write_b128 v130, v[1:4]
	s_waitcnt lgkmcnt(0)
	s_waitcnt_vscnt null, 0x0
	s_barrier
	buffer_gl0_inv
	s_and_saveexec_b32 s6, s5
	s_cbranch_execz .LBB125_523
; %bb.510:
	ds_read_b128 v[1:4], v130
	s_andn2_b32 vcc_lo, exec_lo, s7
	s_cbranch_vccnz .LBB125_512
; %bb.511:
	s_clause 0x3
	buffer_load_dword v131, v129, s[0:3], 0 offen offset:8
	buffer_load_dword v132, v129, s[0:3], 0 offen offset:12
	buffer_load_dword v133, v129, s[0:3], 0 offen
	buffer_load_dword v134, v129, s[0:3], 0 offen offset:4
	s_waitcnt vmcnt(2) lgkmcnt(0)
	v_mul_f64 v[136:137], v[3:4], v[131:132]
	v_mul_f64 v[131:132], v[1:2], v[131:132]
	s_waitcnt vmcnt(0)
	v_fma_f64 v[1:2], v[1:2], v[133:134], -v[136:137]
	v_fma_f64 v[3:4], v[3:4], v[133:134], v[131:132]
.LBB125_512:
	s_and_saveexec_b32 s8, s4
	s_cbranch_execz .LBB125_522
; %bb.513:
	v_subrev_nc_u32_e32 v131, 25, v0
	v_cmp_lt_u32_e32 vcc_lo, 6, v131
	v_mov_b32_e32 v131, 24
	s_and_saveexec_b32 s4, vcc_lo
	s_cbranch_execz .LBB125_517
; %bb.514:
	v_and_b32_e32 v131, 56, v0
	s_mov_b32 s71, 24
	s_movk_i32 s73, 0x560
	s_mov_b32 s72, 0
	s_mov_b32 s74, s47
.LBB125_515:                            ; =>This Inner Loop Header: Depth=1
	v_mov_b32_e32 v134, s74
	s_add_i32 s71, s71, 8
	s_addk_i32 s74, 0x80
	v_cmp_eq_u32_e32 vcc_lo, s71, v131
	s_clause 0x1f
	buffer_load_dword v132, v134, s[0:3], 0 offen offset:8
	buffer_load_dword v133, v134, s[0:3], 0 offen offset:12
	buffer_load_dword v144, v134, s[0:3], 0 offen
	buffer_load_dword v145, v134, s[0:3], 0 offen offset:4
	buffer_load_dword v146, v134, s[0:3], 0 offen offset:24
	;; [unrolled: 1-line block ×29, first 2 shown]
	v_mov_b32_e32 v134, s73
	s_addk_i32 s73, 0x80
	s_or_b32 s72, vcc_lo, s72
	ds_read_b128 v[136:139], v134
	ds_read_b128 v[140:143], v134 offset:16
	s_waitcnt vmcnt(30) lgkmcnt(1)
	v_mul_f64 v[174:175], v[138:139], v[132:133]
	v_mul_f64 v[132:133], v[136:137], v[132:133]
	s_waitcnt vmcnt(26) lgkmcnt(0)
	v_mul_f64 v[176:177], v[142:143], v[146:147]
	v_mul_f64 v[178:179], v[140:141], v[146:147]
	v_fma_f64 v[174:175], v[136:137], v[144:145], -v[174:175]
	v_fma_f64 v[132:133], v[138:139], v[144:145], v[132:133]
	ds_read_b128 v[136:139], v134 offset:32
	ds_read_b128 v[144:147], v134 offset:48
	s_waitcnt vmcnt(24)
	v_fma_f64 v[140:141], v[140:141], v[148:149], -v[176:177]
	v_fma_f64 v[142:143], v[142:143], v[148:149], v[178:179]
	s_waitcnt vmcnt(22) lgkmcnt(1)
	v_mul_f64 v[180:181], v[138:139], v[150:151]
	v_mul_f64 v[150:151], v[136:137], v[150:151]
	v_add_f64 v[1:2], v[1:2], v[174:175]
	v_add_f64 v[3:4], v[3:4], v[132:133]
	s_waitcnt vmcnt(18) lgkmcnt(0)
	v_mul_f64 v[132:133], v[146:147], v[154:155]
	v_mul_f64 v[148:149], v[144:145], v[154:155]
	v_fma_f64 v[154:155], v[136:137], v[152:153], -v[180:181]
	v_fma_f64 v[150:151], v[138:139], v[152:153], v[150:151]
	v_add_f64 v[140:141], v[1:2], v[140:141]
	v_add_f64 v[142:143], v[3:4], v[142:143]
	ds_read_b128 v[1:4], v134 offset:64
	ds_read_b128 v[136:139], v134 offset:80
	s_waitcnt vmcnt(16)
	v_fma_f64 v[132:133], v[144:145], v[156:157], -v[132:133]
	v_fma_f64 v[144:145], v[146:147], v[156:157], v[148:149]
	s_waitcnt vmcnt(12) lgkmcnt(1)
	v_mul_f64 v[152:153], v[3:4], v[158:159]
	v_mul_f64 v[158:159], v[1:2], v[158:159]
	v_add_f64 v[140:141], v[140:141], v[154:155]
	v_add_f64 v[142:143], v[142:143], v[150:151]
	s_waitcnt vmcnt(10) lgkmcnt(0)
	v_mul_f64 v[146:147], v[138:139], v[160:161]
	v_mul_f64 v[148:149], v[136:137], v[160:161]
	s_waitcnt vmcnt(8)
	v_fma_f64 v[150:151], v[1:2], v[164:165], -v[152:153]
	v_fma_f64 v[152:153], v[3:4], v[164:165], v[158:159]
	v_add_f64 v[132:133], v[140:141], v[132:133]
	v_add_f64 v[144:145], v[142:143], v[144:145]
	ds_read_b128 v[1:4], v134 offset:96
	ds_read_b128 v[140:143], v134 offset:112
	v_fma_f64 v[136:137], v[136:137], v[162:163], -v[146:147]
	v_fma_f64 v[138:139], v[138:139], v[162:163], v[148:149]
	s_waitcnt vmcnt(4) lgkmcnt(1)
	v_mul_f64 v[154:155], v[3:4], v[166:167]
	v_mul_f64 v[156:157], v[1:2], v[166:167]
	v_add_f64 v[132:133], v[132:133], v[150:151]
	v_add_f64 v[144:145], v[144:145], v[152:153]
	s_waitcnt vmcnt(2) lgkmcnt(0)
	v_mul_f64 v[146:147], v[142:143], v[168:169]
	v_mul_f64 v[148:149], v[140:141], v[168:169]
	s_waitcnt vmcnt(0)
	v_fma_f64 v[1:2], v[1:2], v[172:173], -v[154:155]
	v_fma_f64 v[3:4], v[3:4], v[172:173], v[156:157]
	v_add_f64 v[132:133], v[132:133], v[136:137]
	v_add_f64 v[136:137], v[144:145], v[138:139]
	v_fma_f64 v[138:139], v[140:141], v[170:171], -v[146:147]
	v_fma_f64 v[140:141], v[142:143], v[170:171], v[148:149]
	v_add_f64 v[1:2], v[132:133], v[1:2]
	v_add_f64 v[3:4], v[136:137], v[3:4]
	;; [unrolled: 1-line block ×4, first 2 shown]
	s_andn2_b32 exec_lo, exec_lo, s72
	s_cbranch_execnz .LBB125_515
; %bb.516:
	s_or_b32 exec_lo, exec_lo, s72
.LBB125_517:
	s_or_b32 exec_lo, exec_lo, s4
	v_and_b32_e32 v132, 7, v0
	s_mov_b32 s71, 0
	s_mov_b32 s4, exec_lo
	v_cmpx_ne_u32_e32 0, v132
	s_cbranch_execz .LBB125_521
; %bb.518:
	v_lshlrev_b32_e32 v133, 4, v131
	v_add_nc_u32_e32 v131, 0x3e0, v133
	.p2align	6
.LBB125_519:                            ; =>This Inner Loop Header: Depth=1
	s_clause 0x3
	buffer_load_dword v140, v133, s[0:3], 0 offen offset:8
	buffer_load_dword v141, v133, s[0:3], 0 offen offset:12
	buffer_load_dword v142, v133, s[0:3], 0 offen
	buffer_load_dword v143, v133, s[0:3], 0 offen offset:4
	ds_read_b128 v[136:139], v131
	v_add_nc_u32_e32 v132, -1, v132
	v_add_nc_u32_e32 v131, 16, v131
	v_add_nc_u32_e32 v133, 16, v133
	v_cmp_eq_u32_e32 vcc_lo, 0, v132
	s_or_b32 s71, vcc_lo, s71
	s_waitcnt vmcnt(2) lgkmcnt(0)
	v_mul_f64 v[144:145], v[138:139], v[140:141]
	v_mul_f64 v[140:141], v[136:137], v[140:141]
	s_waitcnt vmcnt(0)
	v_fma_f64 v[136:137], v[136:137], v[142:143], -v[144:145]
	v_fma_f64 v[138:139], v[138:139], v[142:143], v[140:141]
	v_add_f64 v[1:2], v[1:2], v[136:137]
	v_add_f64 v[3:4], v[3:4], v[138:139]
	s_andn2_b32 exec_lo, exec_lo, s71
	s_cbranch_execnz .LBB125_519
; %bb.520:
	s_or_b32 exec_lo, exec_lo, s71
.LBB125_521:
	s_or_b32 exec_lo, exec_lo, s4
.LBB125_522:
	s_or_b32 exec_lo, exec_lo, s8
	v_mov_b32_e32 v131, 0
	ds_read_b128 v[131:134], v131 offset:368
	s_waitcnt lgkmcnt(0)
	v_mul_f64 v[136:137], v[3:4], v[133:134]
	v_mul_f64 v[133:134], v[1:2], v[133:134]
	v_fma_f64 v[1:2], v[1:2], v[131:132], -v[136:137]
	v_fma_f64 v[3:4], v[3:4], v[131:132], v[133:134]
	buffer_store_dword v2, off, s[0:3], 0 offset:372
	buffer_store_dword v1, off, s[0:3], 0 offset:368
	;; [unrolled: 1-line block ×4, first 2 shown]
.LBB125_523:
	s_or_b32 exec_lo, exec_lo, s6
	v_mov_b32_e32 v4, s49
	v_cmp_lt_u32_e64 s4, 22, v0
	s_clause 0x3
	buffer_load_dword v1, v4, s[0:3], 0 offen
	buffer_load_dword v2, v4, s[0:3], 0 offen offset:4
	buffer_load_dword v3, v4, s[0:3], 0 offen offset:8
	;; [unrolled: 1-line block ×3, first 2 shown]
	s_waitcnt vmcnt(0)
	ds_write_b128 v130, v[1:4]
	s_waitcnt lgkmcnt(0)
	s_waitcnt_vscnt null, 0x0
	s_barrier
	buffer_gl0_inv
	s_and_saveexec_b32 s6, s4
	s_cbranch_execz .LBB125_537
; %bb.524:
	ds_read_b128 v[1:4], v130
	s_andn2_b32 vcc_lo, exec_lo, s7
	s_cbranch_vccnz .LBB125_526
; %bb.525:
	s_clause 0x3
	buffer_load_dword v131, v129, s[0:3], 0 offen offset:8
	buffer_load_dword v132, v129, s[0:3], 0 offen offset:12
	buffer_load_dword v133, v129, s[0:3], 0 offen
	buffer_load_dword v134, v129, s[0:3], 0 offen offset:4
	s_waitcnt vmcnt(2) lgkmcnt(0)
	v_mul_f64 v[136:137], v[3:4], v[131:132]
	v_mul_f64 v[131:132], v[1:2], v[131:132]
	s_waitcnt vmcnt(0)
	v_fma_f64 v[1:2], v[1:2], v[133:134], -v[136:137]
	v_fma_f64 v[3:4], v[3:4], v[133:134], v[131:132]
.LBB125_526:
	s_and_saveexec_b32 s8, s5
	s_cbranch_execz .LBB125_536
; %bb.527:
	v_subrev_nc_u32_e32 v132, 24, v0
	v_mov_b32_e32 v133, 23
	v_subrev_nc_u32_e32 v131, 23, v0
	s_mov_b32 s5, exec_lo
	v_cmpx_lt_u32_e32 6, v132
	s_cbranch_execz .LBB125_531
; %bb.528:
	v_and_b32_e32 v132, -8, v131
	s_movk_i32 s72, 0x550
	s_mov_b32 s71, 0
	s_mov_b32 s73, s48
	;; [unrolled: 1-line block ×3, first 2 shown]
.LBB125_529:                            ; =>This Inner Loop Header: Depth=1
	v_mov_b32_e32 v136, s73
	v_mov_b32_e32 v182, s72
	s_add_i32 s75, s74, 8
	s_add_i32 s74, s74, 31
	v_cmp_eq_u32_e32 vcc_lo, s75, v132
	s_clause 0x1f
	buffer_load_dword v133, v136, s[0:3], 0 offen offset:8
	buffer_load_dword v134, v136, s[0:3], 0 offen offset:12
	buffer_load_dword v144, v136, s[0:3], 0 offen
	buffer_load_dword v145, v136, s[0:3], 0 offen offset:4
	buffer_load_dword v146, v136, s[0:3], 0 offen offset:24
	;; [unrolled: 1-line block ×29, first 2 shown]
	ds_read_b128 v[136:139], v182
	ds_read_b128 v[140:143], v182 offset:16
	s_addk_i32 s72, 0x80
	s_addk_i32 s73, 0x80
	s_or_b32 s71, vcc_lo, s71
	s_waitcnt vmcnt(30) lgkmcnt(1)
	v_mul_f64 v[174:175], v[138:139], v[133:134]
	v_mul_f64 v[133:134], v[136:137], v[133:134]
	s_waitcnt vmcnt(26) lgkmcnt(0)
	v_mul_f64 v[176:177], v[142:143], v[146:147]
	v_mul_f64 v[178:179], v[140:141], v[146:147]
	v_fma_f64 v[174:175], v[136:137], v[144:145], -v[174:175]
	v_fma_f64 v[133:134], v[138:139], v[144:145], v[133:134]
	ds_read_b128 v[136:139], v182 offset:32
	ds_read_b128 v[144:147], v182 offset:48
	s_waitcnt vmcnt(24)
	v_fma_f64 v[140:141], v[140:141], v[148:149], -v[176:177]
	v_fma_f64 v[142:143], v[142:143], v[148:149], v[178:179]
	s_waitcnt vmcnt(22) lgkmcnt(1)
	v_mul_f64 v[180:181], v[138:139], v[150:151]
	v_mul_f64 v[150:151], v[136:137], v[150:151]
	v_add_f64 v[1:2], v[1:2], v[174:175]
	v_add_f64 v[3:4], v[3:4], v[133:134]
	s_waitcnt vmcnt(18) lgkmcnt(0)
	v_mul_f64 v[133:134], v[146:147], v[154:155]
	v_mul_f64 v[148:149], v[144:145], v[154:155]
	v_fma_f64 v[154:155], v[136:137], v[152:153], -v[180:181]
	v_fma_f64 v[150:151], v[138:139], v[152:153], v[150:151]
	v_add_f64 v[140:141], v[1:2], v[140:141]
	v_add_f64 v[142:143], v[3:4], v[142:143]
	ds_read_b128 v[1:4], v182 offset:64
	ds_read_b128 v[136:139], v182 offset:80
	s_waitcnt vmcnt(16)
	v_fma_f64 v[133:134], v[144:145], v[156:157], -v[133:134]
	v_fma_f64 v[144:145], v[146:147], v[156:157], v[148:149]
	s_waitcnt vmcnt(12) lgkmcnt(1)
	v_mul_f64 v[152:153], v[3:4], v[158:159]
	v_mul_f64 v[158:159], v[1:2], v[158:159]
	v_add_f64 v[140:141], v[140:141], v[154:155]
	v_add_f64 v[142:143], v[142:143], v[150:151]
	s_waitcnt vmcnt(10) lgkmcnt(0)
	v_mul_f64 v[146:147], v[138:139], v[160:161]
	v_mul_f64 v[148:149], v[136:137], v[160:161]
	s_waitcnt vmcnt(8)
	v_fma_f64 v[150:151], v[1:2], v[164:165], -v[152:153]
	v_fma_f64 v[152:153], v[3:4], v[164:165], v[158:159]
	v_add_f64 v[133:134], v[140:141], v[133:134]
	v_add_f64 v[144:145], v[142:143], v[144:145]
	ds_read_b128 v[1:4], v182 offset:96
	ds_read_b128 v[140:143], v182 offset:112
	v_fma_f64 v[136:137], v[136:137], v[162:163], -v[146:147]
	v_fma_f64 v[138:139], v[138:139], v[162:163], v[148:149]
	s_waitcnt vmcnt(4) lgkmcnt(1)
	v_mul_f64 v[154:155], v[3:4], v[166:167]
	v_mul_f64 v[156:157], v[1:2], v[166:167]
	v_add_f64 v[133:134], v[133:134], v[150:151]
	v_add_f64 v[144:145], v[144:145], v[152:153]
	s_waitcnt vmcnt(2) lgkmcnt(0)
	v_mul_f64 v[146:147], v[142:143], v[168:169]
	v_mul_f64 v[148:149], v[140:141], v[168:169]
	s_waitcnt vmcnt(0)
	v_fma_f64 v[1:2], v[1:2], v[172:173], -v[154:155]
	v_fma_f64 v[3:4], v[3:4], v[172:173], v[156:157]
	v_add_f64 v[133:134], v[133:134], v[136:137]
	v_add_f64 v[136:137], v[144:145], v[138:139]
	v_fma_f64 v[138:139], v[140:141], v[170:171], -v[146:147]
	v_fma_f64 v[140:141], v[142:143], v[170:171], v[148:149]
	v_add_f64 v[1:2], v[133:134], v[1:2]
	v_add_f64 v[3:4], v[136:137], v[3:4]
	v_mov_b32_e32 v133, s74
	s_mov_b32 s74, s75
	v_add_f64 v[1:2], v[1:2], v[138:139]
	v_add_f64 v[3:4], v[3:4], v[140:141]
	s_andn2_b32 exec_lo, exec_lo, s71
	s_cbranch_execnz .LBB125_529
; %bb.530:
	s_or_b32 exec_lo, exec_lo, s71
.LBB125_531:
	s_or_b32 exec_lo, exec_lo, s5
	v_and_b32_e32 v131, 7, v131
	s_mov_b32 s71, 0
	s_mov_b32 s5, exec_lo
	v_cmpx_ne_u32_e32 0, v131
	s_cbranch_execz .LBB125_535
; %bb.532:
	v_lshlrev_b32_e32 v133, 4, v133
	v_add_nc_u32_e32 v132, 0x3e0, v133
	.p2align	6
.LBB125_533:                            ; =>This Inner Loop Header: Depth=1
	s_clause 0x3
	buffer_load_dword v140, v133, s[0:3], 0 offen offset:8
	buffer_load_dword v141, v133, s[0:3], 0 offen offset:12
	buffer_load_dword v142, v133, s[0:3], 0 offen
	buffer_load_dword v143, v133, s[0:3], 0 offen offset:4
	ds_read_b128 v[136:139], v132
	v_add_nc_u32_e32 v131, -1, v131
	v_add_nc_u32_e32 v132, 16, v132
	v_add_nc_u32_e32 v133, 16, v133
	v_cmp_eq_u32_e32 vcc_lo, 0, v131
	s_or_b32 s71, vcc_lo, s71
	s_waitcnt vmcnt(2) lgkmcnt(0)
	v_mul_f64 v[144:145], v[138:139], v[140:141]
	v_mul_f64 v[140:141], v[136:137], v[140:141]
	s_waitcnt vmcnt(0)
	v_fma_f64 v[136:137], v[136:137], v[142:143], -v[144:145]
	v_fma_f64 v[138:139], v[138:139], v[142:143], v[140:141]
	v_add_f64 v[1:2], v[1:2], v[136:137]
	v_add_f64 v[3:4], v[3:4], v[138:139]
	s_andn2_b32 exec_lo, exec_lo, s71
	s_cbranch_execnz .LBB125_533
; %bb.534:
	s_or_b32 exec_lo, exec_lo, s71
.LBB125_535:
	s_or_b32 exec_lo, exec_lo, s5
.LBB125_536:
	s_or_b32 exec_lo, exec_lo, s8
	v_mov_b32_e32 v131, 0
	ds_read_b128 v[131:134], v131 offset:352
	s_waitcnt lgkmcnt(0)
	v_mul_f64 v[136:137], v[3:4], v[133:134]
	v_mul_f64 v[133:134], v[1:2], v[133:134]
	v_fma_f64 v[1:2], v[1:2], v[131:132], -v[136:137]
	v_fma_f64 v[3:4], v[3:4], v[131:132], v[133:134]
	buffer_store_dword v2, off, s[0:3], 0 offset:356
	buffer_store_dword v1, off, s[0:3], 0 offset:352
	;; [unrolled: 1-line block ×4, first 2 shown]
.LBB125_537:
	s_or_b32 exec_lo, exec_lo, s6
	v_mov_b32_e32 v4, s50
	v_cmp_lt_u32_e64 s5, 21, v0
	s_clause 0x3
	buffer_load_dword v1, v4, s[0:3], 0 offen
	buffer_load_dword v2, v4, s[0:3], 0 offen offset:4
	buffer_load_dword v3, v4, s[0:3], 0 offen offset:8
	;; [unrolled: 1-line block ×3, first 2 shown]
	s_waitcnt vmcnt(0)
	ds_write_b128 v130, v[1:4]
	s_waitcnt lgkmcnt(0)
	s_waitcnt_vscnt null, 0x0
	s_barrier
	buffer_gl0_inv
	s_and_saveexec_b32 s6, s5
	s_cbranch_execz .LBB125_551
; %bb.538:
	ds_read_b128 v[1:4], v130
	s_andn2_b32 vcc_lo, exec_lo, s7
	s_cbranch_vccnz .LBB125_540
; %bb.539:
	s_clause 0x3
	buffer_load_dword v131, v129, s[0:3], 0 offen offset:8
	buffer_load_dword v132, v129, s[0:3], 0 offen offset:12
	buffer_load_dword v133, v129, s[0:3], 0 offen
	buffer_load_dword v134, v129, s[0:3], 0 offen offset:4
	s_waitcnt vmcnt(2) lgkmcnt(0)
	v_mul_f64 v[136:137], v[3:4], v[131:132]
	v_mul_f64 v[131:132], v[1:2], v[131:132]
	s_waitcnt vmcnt(0)
	v_fma_f64 v[1:2], v[1:2], v[133:134], -v[136:137]
	v_fma_f64 v[3:4], v[3:4], v[133:134], v[131:132]
.LBB125_540:
	s_and_saveexec_b32 s8, s4
	s_cbranch_execz .LBB125_550
; %bb.541:
	v_subrev_nc_u32_e32 v132, 23, v0
	v_mov_b32_e32 v133, 22
	v_subrev_nc_u32_e32 v131, 22, v0
	s_mov_b32 s4, exec_lo
	v_cmpx_lt_u32_e32 6, v132
	s_cbranch_execz .LBB125_545
; %bb.542:
	v_and_b32_e32 v132, -8, v131
	s_movk_i32 s72, 0x540
	s_mov_b32 s71, 0
	s_mov_b32 s73, s49
	;; [unrolled: 1-line block ×3, first 2 shown]
.LBB125_543:                            ; =>This Inner Loop Header: Depth=1
	v_mov_b32_e32 v136, s73
	v_mov_b32_e32 v182, s72
	s_add_i32 s75, s74, 8
	s_add_i32 s74, s74, 30
	v_cmp_eq_u32_e32 vcc_lo, s75, v132
	s_clause 0x1f
	buffer_load_dword v133, v136, s[0:3], 0 offen offset:8
	buffer_load_dword v134, v136, s[0:3], 0 offen offset:12
	buffer_load_dword v144, v136, s[0:3], 0 offen
	buffer_load_dword v145, v136, s[0:3], 0 offen offset:4
	buffer_load_dword v146, v136, s[0:3], 0 offen offset:24
	;; [unrolled: 1-line block ×29, first 2 shown]
	ds_read_b128 v[136:139], v182
	ds_read_b128 v[140:143], v182 offset:16
	s_addk_i32 s72, 0x80
	s_addk_i32 s73, 0x80
	s_or_b32 s71, vcc_lo, s71
	s_waitcnt vmcnt(30) lgkmcnt(1)
	v_mul_f64 v[174:175], v[138:139], v[133:134]
	v_mul_f64 v[133:134], v[136:137], v[133:134]
	s_waitcnt vmcnt(26) lgkmcnt(0)
	v_mul_f64 v[176:177], v[142:143], v[146:147]
	v_mul_f64 v[178:179], v[140:141], v[146:147]
	v_fma_f64 v[174:175], v[136:137], v[144:145], -v[174:175]
	v_fma_f64 v[133:134], v[138:139], v[144:145], v[133:134]
	ds_read_b128 v[136:139], v182 offset:32
	ds_read_b128 v[144:147], v182 offset:48
	s_waitcnt vmcnt(24)
	v_fma_f64 v[140:141], v[140:141], v[148:149], -v[176:177]
	v_fma_f64 v[142:143], v[142:143], v[148:149], v[178:179]
	s_waitcnt vmcnt(22) lgkmcnt(1)
	v_mul_f64 v[180:181], v[138:139], v[150:151]
	v_mul_f64 v[150:151], v[136:137], v[150:151]
	v_add_f64 v[1:2], v[1:2], v[174:175]
	v_add_f64 v[3:4], v[3:4], v[133:134]
	s_waitcnt vmcnt(18) lgkmcnt(0)
	v_mul_f64 v[133:134], v[146:147], v[154:155]
	v_mul_f64 v[148:149], v[144:145], v[154:155]
	v_fma_f64 v[154:155], v[136:137], v[152:153], -v[180:181]
	v_fma_f64 v[150:151], v[138:139], v[152:153], v[150:151]
	v_add_f64 v[140:141], v[1:2], v[140:141]
	v_add_f64 v[142:143], v[3:4], v[142:143]
	ds_read_b128 v[1:4], v182 offset:64
	ds_read_b128 v[136:139], v182 offset:80
	s_waitcnt vmcnt(16)
	v_fma_f64 v[133:134], v[144:145], v[156:157], -v[133:134]
	v_fma_f64 v[144:145], v[146:147], v[156:157], v[148:149]
	s_waitcnt vmcnt(12) lgkmcnt(1)
	v_mul_f64 v[152:153], v[3:4], v[158:159]
	v_mul_f64 v[158:159], v[1:2], v[158:159]
	v_add_f64 v[140:141], v[140:141], v[154:155]
	v_add_f64 v[142:143], v[142:143], v[150:151]
	s_waitcnt vmcnt(10) lgkmcnt(0)
	v_mul_f64 v[146:147], v[138:139], v[160:161]
	v_mul_f64 v[148:149], v[136:137], v[160:161]
	s_waitcnt vmcnt(8)
	v_fma_f64 v[150:151], v[1:2], v[164:165], -v[152:153]
	v_fma_f64 v[152:153], v[3:4], v[164:165], v[158:159]
	v_add_f64 v[133:134], v[140:141], v[133:134]
	v_add_f64 v[144:145], v[142:143], v[144:145]
	ds_read_b128 v[1:4], v182 offset:96
	ds_read_b128 v[140:143], v182 offset:112
	v_fma_f64 v[136:137], v[136:137], v[162:163], -v[146:147]
	v_fma_f64 v[138:139], v[138:139], v[162:163], v[148:149]
	s_waitcnt vmcnt(4) lgkmcnt(1)
	v_mul_f64 v[154:155], v[3:4], v[166:167]
	v_mul_f64 v[156:157], v[1:2], v[166:167]
	v_add_f64 v[133:134], v[133:134], v[150:151]
	v_add_f64 v[144:145], v[144:145], v[152:153]
	s_waitcnt vmcnt(2) lgkmcnt(0)
	v_mul_f64 v[146:147], v[142:143], v[168:169]
	v_mul_f64 v[148:149], v[140:141], v[168:169]
	s_waitcnt vmcnt(0)
	v_fma_f64 v[1:2], v[1:2], v[172:173], -v[154:155]
	v_fma_f64 v[3:4], v[3:4], v[172:173], v[156:157]
	v_add_f64 v[133:134], v[133:134], v[136:137]
	v_add_f64 v[136:137], v[144:145], v[138:139]
	v_fma_f64 v[138:139], v[140:141], v[170:171], -v[146:147]
	v_fma_f64 v[140:141], v[142:143], v[170:171], v[148:149]
	v_add_f64 v[1:2], v[133:134], v[1:2]
	v_add_f64 v[3:4], v[136:137], v[3:4]
	v_mov_b32_e32 v133, s74
	s_mov_b32 s74, s75
	v_add_f64 v[1:2], v[1:2], v[138:139]
	v_add_f64 v[3:4], v[3:4], v[140:141]
	s_andn2_b32 exec_lo, exec_lo, s71
	s_cbranch_execnz .LBB125_543
; %bb.544:
	s_or_b32 exec_lo, exec_lo, s71
.LBB125_545:
	s_or_b32 exec_lo, exec_lo, s4
	v_and_b32_e32 v131, 7, v131
	s_mov_b32 s71, 0
	s_mov_b32 s4, exec_lo
	v_cmpx_ne_u32_e32 0, v131
	s_cbranch_execz .LBB125_549
; %bb.546:
	v_lshlrev_b32_e32 v133, 4, v133
	v_add_nc_u32_e32 v132, 0x3e0, v133
	.p2align	6
.LBB125_547:                            ; =>This Inner Loop Header: Depth=1
	s_clause 0x3
	buffer_load_dword v140, v133, s[0:3], 0 offen offset:8
	buffer_load_dword v141, v133, s[0:3], 0 offen offset:12
	buffer_load_dword v142, v133, s[0:3], 0 offen
	buffer_load_dword v143, v133, s[0:3], 0 offen offset:4
	ds_read_b128 v[136:139], v132
	v_add_nc_u32_e32 v131, -1, v131
	v_add_nc_u32_e32 v132, 16, v132
	v_add_nc_u32_e32 v133, 16, v133
	v_cmp_eq_u32_e32 vcc_lo, 0, v131
	s_or_b32 s71, vcc_lo, s71
	s_waitcnt vmcnt(2) lgkmcnt(0)
	v_mul_f64 v[144:145], v[138:139], v[140:141]
	v_mul_f64 v[140:141], v[136:137], v[140:141]
	s_waitcnt vmcnt(0)
	v_fma_f64 v[136:137], v[136:137], v[142:143], -v[144:145]
	v_fma_f64 v[138:139], v[138:139], v[142:143], v[140:141]
	v_add_f64 v[1:2], v[1:2], v[136:137]
	v_add_f64 v[3:4], v[3:4], v[138:139]
	s_andn2_b32 exec_lo, exec_lo, s71
	s_cbranch_execnz .LBB125_547
; %bb.548:
	s_or_b32 exec_lo, exec_lo, s71
.LBB125_549:
	s_or_b32 exec_lo, exec_lo, s4
.LBB125_550:
	s_or_b32 exec_lo, exec_lo, s8
	v_mov_b32_e32 v131, 0
	ds_read_b128 v[131:134], v131 offset:336
	s_waitcnt lgkmcnt(0)
	v_mul_f64 v[136:137], v[3:4], v[133:134]
	v_mul_f64 v[133:134], v[1:2], v[133:134]
	v_fma_f64 v[1:2], v[1:2], v[131:132], -v[136:137]
	v_fma_f64 v[3:4], v[3:4], v[131:132], v[133:134]
	buffer_store_dword v2, off, s[0:3], 0 offset:340
	buffer_store_dword v1, off, s[0:3], 0 offset:336
	;; [unrolled: 1-line block ×4, first 2 shown]
.LBB125_551:
	s_or_b32 exec_lo, exec_lo, s6
	v_mov_b32_e32 v4, s51
	v_cmp_lt_u32_e64 s4, 20, v0
	s_clause 0x3
	buffer_load_dword v1, v4, s[0:3], 0 offen
	buffer_load_dword v2, v4, s[0:3], 0 offen offset:4
	buffer_load_dword v3, v4, s[0:3], 0 offen offset:8
	;; [unrolled: 1-line block ×3, first 2 shown]
	s_waitcnt vmcnt(0)
	ds_write_b128 v130, v[1:4]
	s_waitcnt lgkmcnt(0)
	s_waitcnt_vscnt null, 0x0
	s_barrier
	buffer_gl0_inv
	s_and_saveexec_b32 s6, s4
	s_cbranch_execz .LBB125_565
; %bb.552:
	ds_read_b128 v[1:4], v130
	s_andn2_b32 vcc_lo, exec_lo, s7
	s_cbranch_vccnz .LBB125_554
; %bb.553:
	s_clause 0x3
	buffer_load_dword v131, v129, s[0:3], 0 offen offset:8
	buffer_load_dword v132, v129, s[0:3], 0 offen offset:12
	buffer_load_dword v133, v129, s[0:3], 0 offen
	buffer_load_dword v134, v129, s[0:3], 0 offen offset:4
	s_waitcnt vmcnt(2) lgkmcnt(0)
	v_mul_f64 v[136:137], v[3:4], v[131:132]
	v_mul_f64 v[131:132], v[1:2], v[131:132]
	s_waitcnt vmcnt(0)
	v_fma_f64 v[1:2], v[1:2], v[133:134], -v[136:137]
	v_fma_f64 v[3:4], v[3:4], v[133:134], v[131:132]
.LBB125_554:
	s_and_saveexec_b32 s8, s5
	s_cbranch_execz .LBB125_564
; %bb.555:
	v_subrev_nc_u32_e32 v132, 22, v0
	v_mov_b32_e32 v133, 21
	v_subrev_nc_u32_e32 v131, 21, v0
	s_mov_b32 s5, exec_lo
	v_cmpx_lt_u32_e32 6, v132
	s_cbranch_execz .LBB125_559
; %bb.556:
	v_and_b32_e32 v132, -8, v131
	s_movk_i32 s72, 0x530
	s_mov_b32 s71, 0
	s_mov_b32 s73, s50
	;; [unrolled: 1-line block ×3, first 2 shown]
.LBB125_557:                            ; =>This Inner Loop Header: Depth=1
	v_mov_b32_e32 v136, s73
	v_mov_b32_e32 v182, s72
	s_add_i32 s75, s74, 8
	s_add_i32 s74, s74, 29
	v_cmp_eq_u32_e32 vcc_lo, s75, v132
	s_clause 0x1f
	buffer_load_dword v133, v136, s[0:3], 0 offen offset:8
	buffer_load_dword v134, v136, s[0:3], 0 offen offset:12
	buffer_load_dword v144, v136, s[0:3], 0 offen
	buffer_load_dword v145, v136, s[0:3], 0 offen offset:4
	buffer_load_dword v146, v136, s[0:3], 0 offen offset:24
	;; [unrolled: 1-line block ×29, first 2 shown]
	ds_read_b128 v[136:139], v182
	ds_read_b128 v[140:143], v182 offset:16
	s_addk_i32 s72, 0x80
	s_addk_i32 s73, 0x80
	s_or_b32 s71, vcc_lo, s71
	s_waitcnt vmcnt(30) lgkmcnt(1)
	v_mul_f64 v[174:175], v[138:139], v[133:134]
	v_mul_f64 v[133:134], v[136:137], v[133:134]
	s_waitcnt vmcnt(26) lgkmcnt(0)
	v_mul_f64 v[176:177], v[142:143], v[146:147]
	v_mul_f64 v[178:179], v[140:141], v[146:147]
	v_fma_f64 v[174:175], v[136:137], v[144:145], -v[174:175]
	v_fma_f64 v[133:134], v[138:139], v[144:145], v[133:134]
	ds_read_b128 v[136:139], v182 offset:32
	ds_read_b128 v[144:147], v182 offset:48
	s_waitcnt vmcnt(24)
	v_fma_f64 v[140:141], v[140:141], v[148:149], -v[176:177]
	v_fma_f64 v[142:143], v[142:143], v[148:149], v[178:179]
	s_waitcnt vmcnt(22) lgkmcnt(1)
	v_mul_f64 v[180:181], v[138:139], v[150:151]
	v_mul_f64 v[150:151], v[136:137], v[150:151]
	v_add_f64 v[1:2], v[1:2], v[174:175]
	v_add_f64 v[3:4], v[3:4], v[133:134]
	s_waitcnt vmcnt(18) lgkmcnt(0)
	v_mul_f64 v[133:134], v[146:147], v[154:155]
	v_mul_f64 v[148:149], v[144:145], v[154:155]
	v_fma_f64 v[154:155], v[136:137], v[152:153], -v[180:181]
	v_fma_f64 v[150:151], v[138:139], v[152:153], v[150:151]
	v_add_f64 v[140:141], v[1:2], v[140:141]
	v_add_f64 v[142:143], v[3:4], v[142:143]
	ds_read_b128 v[1:4], v182 offset:64
	ds_read_b128 v[136:139], v182 offset:80
	s_waitcnt vmcnt(16)
	v_fma_f64 v[133:134], v[144:145], v[156:157], -v[133:134]
	v_fma_f64 v[144:145], v[146:147], v[156:157], v[148:149]
	s_waitcnt vmcnt(12) lgkmcnt(1)
	v_mul_f64 v[152:153], v[3:4], v[158:159]
	v_mul_f64 v[158:159], v[1:2], v[158:159]
	v_add_f64 v[140:141], v[140:141], v[154:155]
	v_add_f64 v[142:143], v[142:143], v[150:151]
	s_waitcnt vmcnt(10) lgkmcnt(0)
	v_mul_f64 v[146:147], v[138:139], v[160:161]
	v_mul_f64 v[148:149], v[136:137], v[160:161]
	s_waitcnt vmcnt(8)
	v_fma_f64 v[150:151], v[1:2], v[164:165], -v[152:153]
	v_fma_f64 v[152:153], v[3:4], v[164:165], v[158:159]
	v_add_f64 v[133:134], v[140:141], v[133:134]
	v_add_f64 v[144:145], v[142:143], v[144:145]
	ds_read_b128 v[1:4], v182 offset:96
	ds_read_b128 v[140:143], v182 offset:112
	v_fma_f64 v[136:137], v[136:137], v[162:163], -v[146:147]
	v_fma_f64 v[138:139], v[138:139], v[162:163], v[148:149]
	s_waitcnt vmcnt(4) lgkmcnt(1)
	v_mul_f64 v[154:155], v[3:4], v[166:167]
	v_mul_f64 v[156:157], v[1:2], v[166:167]
	v_add_f64 v[133:134], v[133:134], v[150:151]
	v_add_f64 v[144:145], v[144:145], v[152:153]
	s_waitcnt vmcnt(2) lgkmcnt(0)
	v_mul_f64 v[146:147], v[142:143], v[168:169]
	v_mul_f64 v[148:149], v[140:141], v[168:169]
	s_waitcnt vmcnt(0)
	v_fma_f64 v[1:2], v[1:2], v[172:173], -v[154:155]
	v_fma_f64 v[3:4], v[3:4], v[172:173], v[156:157]
	v_add_f64 v[133:134], v[133:134], v[136:137]
	v_add_f64 v[136:137], v[144:145], v[138:139]
	v_fma_f64 v[138:139], v[140:141], v[170:171], -v[146:147]
	v_fma_f64 v[140:141], v[142:143], v[170:171], v[148:149]
	v_add_f64 v[1:2], v[133:134], v[1:2]
	v_add_f64 v[3:4], v[136:137], v[3:4]
	v_mov_b32_e32 v133, s74
	s_mov_b32 s74, s75
	v_add_f64 v[1:2], v[1:2], v[138:139]
	v_add_f64 v[3:4], v[3:4], v[140:141]
	s_andn2_b32 exec_lo, exec_lo, s71
	s_cbranch_execnz .LBB125_557
; %bb.558:
	s_or_b32 exec_lo, exec_lo, s71
.LBB125_559:
	s_or_b32 exec_lo, exec_lo, s5
	v_and_b32_e32 v131, 7, v131
	s_mov_b32 s71, 0
	s_mov_b32 s5, exec_lo
	v_cmpx_ne_u32_e32 0, v131
	s_cbranch_execz .LBB125_563
; %bb.560:
	v_lshlrev_b32_e32 v133, 4, v133
	v_add_nc_u32_e32 v132, 0x3e0, v133
	.p2align	6
.LBB125_561:                            ; =>This Inner Loop Header: Depth=1
	s_clause 0x3
	buffer_load_dword v140, v133, s[0:3], 0 offen offset:8
	buffer_load_dword v141, v133, s[0:3], 0 offen offset:12
	buffer_load_dword v142, v133, s[0:3], 0 offen
	buffer_load_dword v143, v133, s[0:3], 0 offen offset:4
	ds_read_b128 v[136:139], v132
	v_add_nc_u32_e32 v131, -1, v131
	v_add_nc_u32_e32 v132, 16, v132
	v_add_nc_u32_e32 v133, 16, v133
	v_cmp_eq_u32_e32 vcc_lo, 0, v131
	s_or_b32 s71, vcc_lo, s71
	s_waitcnt vmcnt(2) lgkmcnt(0)
	v_mul_f64 v[144:145], v[138:139], v[140:141]
	v_mul_f64 v[140:141], v[136:137], v[140:141]
	s_waitcnt vmcnt(0)
	v_fma_f64 v[136:137], v[136:137], v[142:143], -v[144:145]
	v_fma_f64 v[138:139], v[138:139], v[142:143], v[140:141]
	v_add_f64 v[1:2], v[1:2], v[136:137]
	v_add_f64 v[3:4], v[3:4], v[138:139]
	s_andn2_b32 exec_lo, exec_lo, s71
	s_cbranch_execnz .LBB125_561
; %bb.562:
	s_or_b32 exec_lo, exec_lo, s71
.LBB125_563:
	s_or_b32 exec_lo, exec_lo, s5
.LBB125_564:
	s_or_b32 exec_lo, exec_lo, s8
	v_mov_b32_e32 v131, 0
	ds_read_b128 v[131:134], v131 offset:320
	s_waitcnt lgkmcnt(0)
	v_mul_f64 v[136:137], v[3:4], v[133:134]
	v_mul_f64 v[133:134], v[1:2], v[133:134]
	v_fma_f64 v[1:2], v[1:2], v[131:132], -v[136:137]
	v_fma_f64 v[3:4], v[3:4], v[131:132], v[133:134]
	buffer_store_dword v2, off, s[0:3], 0 offset:324
	buffer_store_dword v1, off, s[0:3], 0 offset:320
	;; [unrolled: 1-line block ×4, first 2 shown]
.LBB125_565:
	s_or_b32 exec_lo, exec_lo, s6
	v_mov_b32_e32 v4, s52
	v_cmp_lt_u32_e64 s5, 19, v0
	s_clause 0x3
	buffer_load_dword v1, v4, s[0:3], 0 offen
	buffer_load_dword v2, v4, s[0:3], 0 offen offset:4
	buffer_load_dword v3, v4, s[0:3], 0 offen offset:8
	;; [unrolled: 1-line block ×3, first 2 shown]
	s_waitcnt vmcnt(0)
	ds_write_b128 v130, v[1:4]
	s_waitcnt lgkmcnt(0)
	s_waitcnt_vscnt null, 0x0
	s_barrier
	buffer_gl0_inv
	s_and_saveexec_b32 s6, s5
	s_cbranch_execz .LBB125_579
; %bb.566:
	ds_read_b128 v[1:4], v130
	s_andn2_b32 vcc_lo, exec_lo, s7
	s_cbranch_vccnz .LBB125_568
; %bb.567:
	s_clause 0x3
	buffer_load_dword v131, v129, s[0:3], 0 offen offset:8
	buffer_load_dword v132, v129, s[0:3], 0 offen offset:12
	buffer_load_dword v133, v129, s[0:3], 0 offen
	buffer_load_dword v134, v129, s[0:3], 0 offen offset:4
	s_waitcnt vmcnt(2) lgkmcnt(0)
	v_mul_f64 v[136:137], v[3:4], v[131:132]
	v_mul_f64 v[131:132], v[1:2], v[131:132]
	s_waitcnt vmcnt(0)
	v_fma_f64 v[1:2], v[1:2], v[133:134], -v[136:137]
	v_fma_f64 v[3:4], v[3:4], v[133:134], v[131:132]
.LBB125_568:
	s_and_saveexec_b32 s8, s4
	s_cbranch_execz .LBB125_578
; %bb.569:
	v_subrev_nc_u32_e32 v132, 21, v0
	v_mov_b32_e32 v133, 20
	v_subrev_nc_u32_e32 v131, 20, v0
	s_mov_b32 s4, exec_lo
	v_cmpx_lt_u32_e32 6, v132
	s_cbranch_execz .LBB125_573
; %bb.570:
	v_and_b32_e32 v132, -8, v131
	s_movk_i32 s72, 0x520
	s_mov_b32 s71, 0
	s_mov_b32 s73, s51
	;; [unrolled: 1-line block ×3, first 2 shown]
.LBB125_571:                            ; =>This Inner Loop Header: Depth=1
	v_mov_b32_e32 v136, s73
	v_mov_b32_e32 v182, s72
	s_add_i32 s75, s74, 8
	s_add_i32 s74, s74, 28
	v_cmp_eq_u32_e32 vcc_lo, s75, v132
	s_clause 0x1f
	buffer_load_dword v133, v136, s[0:3], 0 offen offset:8
	buffer_load_dword v134, v136, s[0:3], 0 offen offset:12
	buffer_load_dword v144, v136, s[0:3], 0 offen
	buffer_load_dword v145, v136, s[0:3], 0 offen offset:4
	buffer_load_dword v146, v136, s[0:3], 0 offen offset:24
	;; [unrolled: 1-line block ×29, first 2 shown]
	ds_read_b128 v[136:139], v182
	ds_read_b128 v[140:143], v182 offset:16
	s_addk_i32 s72, 0x80
	s_addk_i32 s73, 0x80
	s_or_b32 s71, vcc_lo, s71
	s_waitcnt vmcnt(30) lgkmcnt(1)
	v_mul_f64 v[174:175], v[138:139], v[133:134]
	v_mul_f64 v[133:134], v[136:137], v[133:134]
	s_waitcnt vmcnt(26) lgkmcnt(0)
	v_mul_f64 v[176:177], v[142:143], v[146:147]
	v_mul_f64 v[178:179], v[140:141], v[146:147]
	v_fma_f64 v[174:175], v[136:137], v[144:145], -v[174:175]
	v_fma_f64 v[133:134], v[138:139], v[144:145], v[133:134]
	ds_read_b128 v[136:139], v182 offset:32
	ds_read_b128 v[144:147], v182 offset:48
	s_waitcnt vmcnt(24)
	v_fma_f64 v[140:141], v[140:141], v[148:149], -v[176:177]
	v_fma_f64 v[142:143], v[142:143], v[148:149], v[178:179]
	s_waitcnt vmcnt(22) lgkmcnt(1)
	v_mul_f64 v[180:181], v[138:139], v[150:151]
	v_mul_f64 v[150:151], v[136:137], v[150:151]
	v_add_f64 v[1:2], v[1:2], v[174:175]
	v_add_f64 v[3:4], v[3:4], v[133:134]
	s_waitcnt vmcnt(18) lgkmcnt(0)
	v_mul_f64 v[133:134], v[146:147], v[154:155]
	v_mul_f64 v[148:149], v[144:145], v[154:155]
	v_fma_f64 v[154:155], v[136:137], v[152:153], -v[180:181]
	v_fma_f64 v[150:151], v[138:139], v[152:153], v[150:151]
	v_add_f64 v[140:141], v[1:2], v[140:141]
	v_add_f64 v[142:143], v[3:4], v[142:143]
	ds_read_b128 v[1:4], v182 offset:64
	ds_read_b128 v[136:139], v182 offset:80
	s_waitcnt vmcnt(16)
	v_fma_f64 v[133:134], v[144:145], v[156:157], -v[133:134]
	v_fma_f64 v[144:145], v[146:147], v[156:157], v[148:149]
	s_waitcnt vmcnt(12) lgkmcnt(1)
	v_mul_f64 v[152:153], v[3:4], v[158:159]
	v_mul_f64 v[158:159], v[1:2], v[158:159]
	v_add_f64 v[140:141], v[140:141], v[154:155]
	v_add_f64 v[142:143], v[142:143], v[150:151]
	s_waitcnt vmcnt(10) lgkmcnt(0)
	v_mul_f64 v[146:147], v[138:139], v[160:161]
	v_mul_f64 v[148:149], v[136:137], v[160:161]
	s_waitcnt vmcnt(8)
	v_fma_f64 v[150:151], v[1:2], v[164:165], -v[152:153]
	v_fma_f64 v[152:153], v[3:4], v[164:165], v[158:159]
	v_add_f64 v[133:134], v[140:141], v[133:134]
	v_add_f64 v[144:145], v[142:143], v[144:145]
	ds_read_b128 v[1:4], v182 offset:96
	ds_read_b128 v[140:143], v182 offset:112
	v_fma_f64 v[136:137], v[136:137], v[162:163], -v[146:147]
	v_fma_f64 v[138:139], v[138:139], v[162:163], v[148:149]
	s_waitcnt vmcnt(4) lgkmcnt(1)
	v_mul_f64 v[154:155], v[3:4], v[166:167]
	v_mul_f64 v[156:157], v[1:2], v[166:167]
	v_add_f64 v[133:134], v[133:134], v[150:151]
	v_add_f64 v[144:145], v[144:145], v[152:153]
	s_waitcnt vmcnt(2) lgkmcnt(0)
	v_mul_f64 v[146:147], v[142:143], v[168:169]
	v_mul_f64 v[148:149], v[140:141], v[168:169]
	s_waitcnt vmcnt(0)
	v_fma_f64 v[1:2], v[1:2], v[172:173], -v[154:155]
	v_fma_f64 v[3:4], v[3:4], v[172:173], v[156:157]
	v_add_f64 v[133:134], v[133:134], v[136:137]
	v_add_f64 v[136:137], v[144:145], v[138:139]
	v_fma_f64 v[138:139], v[140:141], v[170:171], -v[146:147]
	v_fma_f64 v[140:141], v[142:143], v[170:171], v[148:149]
	v_add_f64 v[1:2], v[133:134], v[1:2]
	v_add_f64 v[3:4], v[136:137], v[3:4]
	v_mov_b32_e32 v133, s74
	s_mov_b32 s74, s75
	v_add_f64 v[1:2], v[1:2], v[138:139]
	v_add_f64 v[3:4], v[3:4], v[140:141]
	s_andn2_b32 exec_lo, exec_lo, s71
	s_cbranch_execnz .LBB125_571
; %bb.572:
	s_or_b32 exec_lo, exec_lo, s71
.LBB125_573:
	s_or_b32 exec_lo, exec_lo, s4
	v_and_b32_e32 v131, 7, v131
	s_mov_b32 s71, 0
	s_mov_b32 s4, exec_lo
	v_cmpx_ne_u32_e32 0, v131
	s_cbranch_execz .LBB125_577
; %bb.574:
	v_lshlrev_b32_e32 v133, 4, v133
	v_add_nc_u32_e32 v132, 0x3e0, v133
	.p2align	6
.LBB125_575:                            ; =>This Inner Loop Header: Depth=1
	s_clause 0x3
	buffer_load_dword v140, v133, s[0:3], 0 offen offset:8
	buffer_load_dword v141, v133, s[0:3], 0 offen offset:12
	buffer_load_dword v142, v133, s[0:3], 0 offen
	buffer_load_dword v143, v133, s[0:3], 0 offen offset:4
	ds_read_b128 v[136:139], v132
	v_add_nc_u32_e32 v131, -1, v131
	v_add_nc_u32_e32 v132, 16, v132
	v_add_nc_u32_e32 v133, 16, v133
	v_cmp_eq_u32_e32 vcc_lo, 0, v131
	s_or_b32 s71, vcc_lo, s71
	s_waitcnt vmcnt(2) lgkmcnt(0)
	v_mul_f64 v[144:145], v[138:139], v[140:141]
	v_mul_f64 v[140:141], v[136:137], v[140:141]
	s_waitcnt vmcnt(0)
	v_fma_f64 v[136:137], v[136:137], v[142:143], -v[144:145]
	v_fma_f64 v[138:139], v[138:139], v[142:143], v[140:141]
	v_add_f64 v[1:2], v[1:2], v[136:137]
	v_add_f64 v[3:4], v[3:4], v[138:139]
	s_andn2_b32 exec_lo, exec_lo, s71
	s_cbranch_execnz .LBB125_575
; %bb.576:
	s_or_b32 exec_lo, exec_lo, s71
.LBB125_577:
	s_or_b32 exec_lo, exec_lo, s4
.LBB125_578:
	s_or_b32 exec_lo, exec_lo, s8
	v_mov_b32_e32 v131, 0
	ds_read_b128 v[131:134], v131 offset:304
	s_waitcnt lgkmcnt(0)
	v_mul_f64 v[136:137], v[3:4], v[133:134]
	v_mul_f64 v[133:134], v[1:2], v[133:134]
	v_fma_f64 v[1:2], v[1:2], v[131:132], -v[136:137]
	v_fma_f64 v[3:4], v[3:4], v[131:132], v[133:134]
	buffer_store_dword v2, off, s[0:3], 0 offset:308
	buffer_store_dword v1, off, s[0:3], 0 offset:304
	;; [unrolled: 1-line block ×4, first 2 shown]
.LBB125_579:
	s_or_b32 exec_lo, exec_lo, s6
	v_mov_b32_e32 v4, s53
	v_cmp_lt_u32_e64 s4, 18, v0
	s_clause 0x3
	buffer_load_dword v1, v4, s[0:3], 0 offen
	buffer_load_dword v2, v4, s[0:3], 0 offen offset:4
	buffer_load_dword v3, v4, s[0:3], 0 offen offset:8
	;; [unrolled: 1-line block ×3, first 2 shown]
	s_waitcnt vmcnt(0)
	ds_write_b128 v130, v[1:4]
	s_waitcnt lgkmcnt(0)
	s_waitcnt_vscnt null, 0x0
	s_barrier
	buffer_gl0_inv
	s_and_saveexec_b32 s6, s4
	s_cbranch_execz .LBB125_593
; %bb.580:
	ds_read_b128 v[1:4], v130
	s_andn2_b32 vcc_lo, exec_lo, s7
	s_cbranch_vccnz .LBB125_582
; %bb.581:
	s_clause 0x3
	buffer_load_dword v131, v129, s[0:3], 0 offen offset:8
	buffer_load_dword v132, v129, s[0:3], 0 offen offset:12
	buffer_load_dword v133, v129, s[0:3], 0 offen
	buffer_load_dword v134, v129, s[0:3], 0 offen offset:4
	s_waitcnt vmcnt(2) lgkmcnt(0)
	v_mul_f64 v[136:137], v[3:4], v[131:132]
	v_mul_f64 v[131:132], v[1:2], v[131:132]
	s_waitcnt vmcnt(0)
	v_fma_f64 v[1:2], v[1:2], v[133:134], -v[136:137]
	v_fma_f64 v[3:4], v[3:4], v[133:134], v[131:132]
.LBB125_582:
	s_and_saveexec_b32 s8, s5
	s_cbranch_execz .LBB125_592
; %bb.583:
	v_subrev_nc_u32_e32 v132, 20, v0
	v_mov_b32_e32 v133, 19
	v_subrev_nc_u32_e32 v131, 19, v0
	s_mov_b32 s5, exec_lo
	v_cmpx_lt_u32_e32 6, v132
	s_cbranch_execz .LBB125_587
; %bb.584:
	v_and_b32_e32 v132, -8, v131
	s_movk_i32 s72, 0x510
	s_mov_b32 s71, 0
	s_mov_b32 s73, s52
	;; [unrolled: 1-line block ×3, first 2 shown]
.LBB125_585:                            ; =>This Inner Loop Header: Depth=1
	v_mov_b32_e32 v136, s73
	v_mov_b32_e32 v182, s72
	s_add_i32 s75, s74, 8
	s_add_i32 s74, s74, 27
	v_cmp_eq_u32_e32 vcc_lo, s75, v132
	s_clause 0x1f
	buffer_load_dword v133, v136, s[0:3], 0 offen offset:8
	buffer_load_dword v134, v136, s[0:3], 0 offen offset:12
	buffer_load_dword v144, v136, s[0:3], 0 offen
	buffer_load_dword v145, v136, s[0:3], 0 offen offset:4
	buffer_load_dword v146, v136, s[0:3], 0 offen offset:24
	buffer_load_dword v147, v136, s[0:3], 0 offen offset:28
	buffer_load_dword v148, v136, s[0:3], 0 offen offset:16
	buffer_load_dword v149, v136, s[0:3], 0 offen offset:20
	buffer_load_dword v150, v136, s[0:3], 0 offen offset:40
	buffer_load_dword v151, v136, s[0:3], 0 offen offset:44
	buffer_load_dword v152, v136, s[0:3], 0 offen offset:32
	buffer_load_dword v153, v136, s[0:3], 0 offen offset:36
	buffer_load_dword v154, v136, s[0:3], 0 offen offset:56
	buffer_load_dword v155, v136, s[0:3], 0 offen offset:60
	buffer_load_dword v156, v136, s[0:3], 0 offen offset:48
	buffer_load_dword v157, v136, s[0:3], 0 offen offset:52
	buffer_load_dword v159, v136, s[0:3], 0 offen offset:76
	buffer_load_dword v160, v136, s[0:3], 0 offen offset:88
	buffer_load_dword v162, v136, s[0:3], 0 offen offset:80
	buffer_load_dword v158, v136, s[0:3], 0 offen offset:72
	buffer_load_dword v163, v136, s[0:3], 0 offen offset:84
	buffer_load_dword v161, v136, s[0:3], 0 offen offset:92
	buffer_load_dword v165, v136, s[0:3], 0 offen offset:68
	buffer_load_dword v164, v136, s[0:3], 0 offen offset:64
	buffer_load_dword v167, v136, s[0:3], 0 offen offset:108
	buffer_load_dword v168, v136, s[0:3], 0 offen offset:120
	buffer_load_dword v170, v136, s[0:3], 0 offen offset:112
	buffer_load_dword v166, v136, s[0:3], 0 offen offset:104
	buffer_load_dword v171, v136, s[0:3], 0 offen offset:116
	buffer_load_dword v169, v136, s[0:3], 0 offen offset:124
	buffer_load_dword v173, v136, s[0:3], 0 offen offset:100
	buffer_load_dword v172, v136, s[0:3], 0 offen offset:96
	ds_read_b128 v[136:139], v182
	ds_read_b128 v[140:143], v182 offset:16
	s_addk_i32 s72, 0x80
	s_addk_i32 s73, 0x80
	s_or_b32 s71, vcc_lo, s71
	s_waitcnt vmcnt(30) lgkmcnt(1)
	v_mul_f64 v[174:175], v[138:139], v[133:134]
	v_mul_f64 v[133:134], v[136:137], v[133:134]
	s_waitcnt vmcnt(26) lgkmcnt(0)
	v_mul_f64 v[176:177], v[142:143], v[146:147]
	v_mul_f64 v[178:179], v[140:141], v[146:147]
	v_fma_f64 v[174:175], v[136:137], v[144:145], -v[174:175]
	v_fma_f64 v[133:134], v[138:139], v[144:145], v[133:134]
	ds_read_b128 v[136:139], v182 offset:32
	ds_read_b128 v[144:147], v182 offset:48
	s_waitcnt vmcnt(24)
	v_fma_f64 v[140:141], v[140:141], v[148:149], -v[176:177]
	v_fma_f64 v[142:143], v[142:143], v[148:149], v[178:179]
	s_waitcnt vmcnt(22) lgkmcnt(1)
	v_mul_f64 v[180:181], v[138:139], v[150:151]
	v_mul_f64 v[150:151], v[136:137], v[150:151]
	v_add_f64 v[1:2], v[1:2], v[174:175]
	v_add_f64 v[3:4], v[3:4], v[133:134]
	s_waitcnt vmcnt(18) lgkmcnt(0)
	v_mul_f64 v[133:134], v[146:147], v[154:155]
	v_mul_f64 v[148:149], v[144:145], v[154:155]
	v_fma_f64 v[154:155], v[136:137], v[152:153], -v[180:181]
	v_fma_f64 v[150:151], v[138:139], v[152:153], v[150:151]
	v_add_f64 v[140:141], v[1:2], v[140:141]
	v_add_f64 v[142:143], v[3:4], v[142:143]
	ds_read_b128 v[1:4], v182 offset:64
	ds_read_b128 v[136:139], v182 offset:80
	s_waitcnt vmcnt(16)
	v_fma_f64 v[133:134], v[144:145], v[156:157], -v[133:134]
	v_fma_f64 v[144:145], v[146:147], v[156:157], v[148:149]
	s_waitcnt vmcnt(12) lgkmcnt(1)
	v_mul_f64 v[152:153], v[3:4], v[158:159]
	v_mul_f64 v[158:159], v[1:2], v[158:159]
	v_add_f64 v[140:141], v[140:141], v[154:155]
	v_add_f64 v[142:143], v[142:143], v[150:151]
	s_waitcnt vmcnt(10) lgkmcnt(0)
	v_mul_f64 v[146:147], v[138:139], v[160:161]
	v_mul_f64 v[148:149], v[136:137], v[160:161]
	s_waitcnt vmcnt(8)
	v_fma_f64 v[150:151], v[1:2], v[164:165], -v[152:153]
	v_fma_f64 v[152:153], v[3:4], v[164:165], v[158:159]
	v_add_f64 v[133:134], v[140:141], v[133:134]
	v_add_f64 v[144:145], v[142:143], v[144:145]
	ds_read_b128 v[1:4], v182 offset:96
	ds_read_b128 v[140:143], v182 offset:112
	v_fma_f64 v[136:137], v[136:137], v[162:163], -v[146:147]
	v_fma_f64 v[138:139], v[138:139], v[162:163], v[148:149]
	s_waitcnt vmcnt(4) lgkmcnt(1)
	v_mul_f64 v[154:155], v[3:4], v[166:167]
	v_mul_f64 v[156:157], v[1:2], v[166:167]
	v_add_f64 v[133:134], v[133:134], v[150:151]
	v_add_f64 v[144:145], v[144:145], v[152:153]
	s_waitcnt vmcnt(2) lgkmcnt(0)
	v_mul_f64 v[146:147], v[142:143], v[168:169]
	v_mul_f64 v[148:149], v[140:141], v[168:169]
	s_waitcnt vmcnt(0)
	v_fma_f64 v[1:2], v[1:2], v[172:173], -v[154:155]
	v_fma_f64 v[3:4], v[3:4], v[172:173], v[156:157]
	v_add_f64 v[133:134], v[133:134], v[136:137]
	v_add_f64 v[136:137], v[144:145], v[138:139]
	v_fma_f64 v[138:139], v[140:141], v[170:171], -v[146:147]
	v_fma_f64 v[140:141], v[142:143], v[170:171], v[148:149]
	v_add_f64 v[1:2], v[133:134], v[1:2]
	v_add_f64 v[3:4], v[136:137], v[3:4]
	v_mov_b32_e32 v133, s74
	s_mov_b32 s74, s75
	v_add_f64 v[1:2], v[1:2], v[138:139]
	v_add_f64 v[3:4], v[3:4], v[140:141]
	s_andn2_b32 exec_lo, exec_lo, s71
	s_cbranch_execnz .LBB125_585
; %bb.586:
	s_or_b32 exec_lo, exec_lo, s71
.LBB125_587:
	s_or_b32 exec_lo, exec_lo, s5
	v_and_b32_e32 v131, 7, v131
	s_mov_b32 s71, 0
	s_mov_b32 s5, exec_lo
	v_cmpx_ne_u32_e32 0, v131
	s_cbranch_execz .LBB125_591
; %bb.588:
	v_lshlrev_b32_e32 v133, 4, v133
	v_add_nc_u32_e32 v132, 0x3e0, v133
	.p2align	6
.LBB125_589:                            ; =>This Inner Loop Header: Depth=1
	s_clause 0x3
	buffer_load_dword v140, v133, s[0:3], 0 offen offset:8
	buffer_load_dword v141, v133, s[0:3], 0 offen offset:12
	buffer_load_dword v142, v133, s[0:3], 0 offen
	buffer_load_dword v143, v133, s[0:3], 0 offen offset:4
	ds_read_b128 v[136:139], v132
	v_add_nc_u32_e32 v131, -1, v131
	v_add_nc_u32_e32 v132, 16, v132
	v_add_nc_u32_e32 v133, 16, v133
	v_cmp_eq_u32_e32 vcc_lo, 0, v131
	s_or_b32 s71, vcc_lo, s71
	s_waitcnt vmcnt(2) lgkmcnt(0)
	v_mul_f64 v[144:145], v[138:139], v[140:141]
	v_mul_f64 v[140:141], v[136:137], v[140:141]
	s_waitcnt vmcnt(0)
	v_fma_f64 v[136:137], v[136:137], v[142:143], -v[144:145]
	v_fma_f64 v[138:139], v[138:139], v[142:143], v[140:141]
	v_add_f64 v[1:2], v[1:2], v[136:137]
	v_add_f64 v[3:4], v[3:4], v[138:139]
	s_andn2_b32 exec_lo, exec_lo, s71
	s_cbranch_execnz .LBB125_589
; %bb.590:
	s_or_b32 exec_lo, exec_lo, s71
.LBB125_591:
	s_or_b32 exec_lo, exec_lo, s5
.LBB125_592:
	s_or_b32 exec_lo, exec_lo, s8
	v_mov_b32_e32 v131, 0
	ds_read_b128 v[131:134], v131 offset:288
	s_waitcnt lgkmcnt(0)
	v_mul_f64 v[136:137], v[3:4], v[133:134]
	v_mul_f64 v[133:134], v[1:2], v[133:134]
	v_fma_f64 v[1:2], v[1:2], v[131:132], -v[136:137]
	v_fma_f64 v[3:4], v[3:4], v[131:132], v[133:134]
	buffer_store_dword v2, off, s[0:3], 0 offset:292
	buffer_store_dword v1, off, s[0:3], 0 offset:288
	;; [unrolled: 1-line block ×4, first 2 shown]
.LBB125_593:
	s_or_b32 exec_lo, exec_lo, s6
	v_mov_b32_e32 v4, s54
	v_cmp_lt_u32_e64 s5, 17, v0
	s_clause 0x3
	buffer_load_dword v1, v4, s[0:3], 0 offen
	buffer_load_dword v2, v4, s[0:3], 0 offen offset:4
	buffer_load_dword v3, v4, s[0:3], 0 offen offset:8
	;; [unrolled: 1-line block ×3, first 2 shown]
	s_waitcnt vmcnt(0)
	ds_write_b128 v130, v[1:4]
	s_waitcnt lgkmcnt(0)
	s_waitcnt_vscnt null, 0x0
	s_barrier
	buffer_gl0_inv
	s_and_saveexec_b32 s6, s5
	s_cbranch_execz .LBB125_607
; %bb.594:
	ds_read_b128 v[1:4], v130
	s_andn2_b32 vcc_lo, exec_lo, s7
	s_cbranch_vccnz .LBB125_596
; %bb.595:
	s_clause 0x3
	buffer_load_dword v131, v129, s[0:3], 0 offen offset:8
	buffer_load_dword v132, v129, s[0:3], 0 offen offset:12
	buffer_load_dword v133, v129, s[0:3], 0 offen
	buffer_load_dword v134, v129, s[0:3], 0 offen offset:4
	s_waitcnt vmcnt(2) lgkmcnt(0)
	v_mul_f64 v[136:137], v[3:4], v[131:132]
	v_mul_f64 v[131:132], v[1:2], v[131:132]
	s_waitcnt vmcnt(0)
	v_fma_f64 v[1:2], v[1:2], v[133:134], -v[136:137]
	v_fma_f64 v[3:4], v[3:4], v[133:134], v[131:132]
.LBB125_596:
	s_and_saveexec_b32 s8, s4
	s_cbranch_execz .LBB125_606
; %bb.597:
	v_subrev_nc_u32_e32 v132, 19, v0
	v_mov_b32_e32 v133, 18
	v_subrev_nc_u32_e32 v131, 18, v0
	s_mov_b32 s4, exec_lo
	v_cmpx_lt_u32_e32 6, v132
	s_cbranch_execz .LBB125_601
; %bb.598:
	v_and_b32_e32 v132, -8, v131
	s_movk_i32 s72, 0x500
	s_mov_b32 s71, 0
	s_mov_b32 s73, s53
	;; [unrolled: 1-line block ×3, first 2 shown]
.LBB125_599:                            ; =>This Inner Loop Header: Depth=1
	v_mov_b32_e32 v136, s73
	v_mov_b32_e32 v182, s72
	s_add_i32 s75, s74, 8
	s_add_i32 s74, s74, 26
	v_cmp_eq_u32_e32 vcc_lo, s75, v132
	s_clause 0x1f
	buffer_load_dword v133, v136, s[0:3], 0 offen offset:8
	buffer_load_dword v134, v136, s[0:3], 0 offen offset:12
	buffer_load_dword v144, v136, s[0:3], 0 offen
	buffer_load_dword v145, v136, s[0:3], 0 offen offset:4
	buffer_load_dword v146, v136, s[0:3], 0 offen offset:24
	;; [unrolled: 1-line block ×29, first 2 shown]
	ds_read_b128 v[136:139], v182
	ds_read_b128 v[140:143], v182 offset:16
	s_addk_i32 s72, 0x80
	s_addk_i32 s73, 0x80
	s_or_b32 s71, vcc_lo, s71
	s_waitcnt vmcnt(30) lgkmcnt(1)
	v_mul_f64 v[174:175], v[138:139], v[133:134]
	v_mul_f64 v[133:134], v[136:137], v[133:134]
	s_waitcnt vmcnt(26) lgkmcnt(0)
	v_mul_f64 v[176:177], v[142:143], v[146:147]
	v_mul_f64 v[178:179], v[140:141], v[146:147]
	v_fma_f64 v[174:175], v[136:137], v[144:145], -v[174:175]
	v_fma_f64 v[133:134], v[138:139], v[144:145], v[133:134]
	ds_read_b128 v[136:139], v182 offset:32
	ds_read_b128 v[144:147], v182 offset:48
	s_waitcnt vmcnt(24)
	v_fma_f64 v[140:141], v[140:141], v[148:149], -v[176:177]
	v_fma_f64 v[142:143], v[142:143], v[148:149], v[178:179]
	s_waitcnt vmcnt(22) lgkmcnt(1)
	v_mul_f64 v[180:181], v[138:139], v[150:151]
	v_mul_f64 v[150:151], v[136:137], v[150:151]
	v_add_f64 v[1:2], v[1:2], v[174:175]
	v_add_f64 v[3:4], v[3:4], v[133:134]
	s_waitcnt vmcnt(18) lgkmcnt(0)
	v_mul_f64 v[133:134], v[146:147], v[154:155]
	v_mul_f64 v[148:149], v[144:145], v[154:155]
	v_fma_f64 v[154:155], v[136:137], v[152:153], -v[180:181]
	v_fma_f64 v[150:151], v[138:139], v[152:153], v[150:151]
	v_add_f64 v[140:141], v[1:2], v[140:141]
	v_add_f64 v[142:143], v[3:4], v[142:143]
	ds_read_b128 v[1:4], v182 offset:64
	ds_read_b128 v[136:139], v182 offset:80
	s_waitcnt vmcnt(16)
	v_fma_f64 v[133:134], v[144:145], v[156:157], -v[133:134]
	v_fma_f64 v[144:145], v[146:147], v[156:157], v[148:149]
	s_waitcnt vmcnt(12) lgkmcnt(1)
	v_mul_f64 v[152:153], v[3:4], v[158:159]
	v_mul_f64 v[158:159], v[1:2], v[158:159]
	v_add_f64 v[140:141], v[140:141], v[154:155]
	v_add_f64 v[142:143], v[142:143], v[150:151]
	s_waitcnt vmcnt(10) lgkmcnt(0)
	v_mul_f64 v[146:147], v[138:139], v[160:161]
	v_mul_f64 v[148:149], v[136:137], v[160:161]
	s_waitcnt vmcnt(8)
	v_fma_f64 v[150:151], v[1:2], v[164:165], -v[152:153]
	v_fma_f64 v[152:153], v[3:4], v[164:165], v[158:159]
	v_add_f64 v[133:134], v[140:141], v[133:134]
	v_add_f64 v[144:145], v[142:143], v[144:145]
	ds_read_b128 v[1:4], v182 offset:96
	ds_read_b128 v[140:143], v182 offset:112
	v_fma_f64 v[136:137], v[136:137], v[162:163], -v[146:147]
	v_fma_f64 v[138:139], v[138:139], v[162:163], v[148:149]
	s_waitcnt vmcnt(4) lgkmcnt(1)
	v_mul_f64 v[154:155], v[3:4], v[166:167]
	v_mul_f64 v[156:157], v[1:2], v[166:167]
	v_add_f64 v[133:134], v[133:134], v[150:151]
	v_add_f64 v[144:145], v[144:145], v[152:153]
	s_waitcnt vmcnt(2) lgkmcnt(0)
	v_mul_f64 v[146:147], v[142:143], v[168:169]
	v_mul_f64 v[148:149], v[140:141], v[168:169]
	s_waitcnt vmcnt(0)
	v_fma_f64 v[1:2], v[1:2], v[172:173], -v[154:155]
	v_fma_f64 v[3:4], v[3:4], v[172:173], v[156:157]
	v_add_f64 v[133:134], v[133:134], v[136:137]
	v_add_f64 v[136:137], v[144:145], v[138:139]
	v_fma_f64 v[138:139], v[140:141], v[170:171], -v[146:147]
	v_fma_f64 v[140:141], v[142:143], v[170:171], v[148:149]
	v_add_f64 v[1:2], v[133:134], v[1:2]
	v_add_f64 v[3:4], v[136:137], v[3:4]
	v_mov_b32_e32 v133, s74
	s_mov_b32 s74, s75
	v_add_f64 v[1:2], v[1:2], v[138:139]
	v_add_f64 v[3:4], v[3:4], v[140:141]
	s_andn2_b32 exec_lo, exec_lo, s71
	s_cbranch_execnz .LBB125_599
; %bb.600:
	s_or_b32 exec_lo, exec_lo, s71
.LBB125_601:
	s_or_b32 exec_lo, exec_lo, s4
	v_and_b32_e32 v131, 7, v131
	s_mov_b32 s71, 0
	s_mov_b32 s4, exec_lo
	v_cmpx_ne_u32_e32 0, v131
	s_cbranch_execz .LBB125_605
; %bb.602:
	v_lshlrev_b32_e32 v133, 4, v133
	v_add_nc_u32_e32 v132, 0x3e0, v133
	.p2align	6
.LBB125_603:                            ; =>This Inner Loop Header: Depth=1
	s_clause 0x3
	buffer_load_dword v140, v133, s[0:3], 0 offen offset:8
	buffer_load_dword v141, v133, s[0:3], 0 offen offset:12
	buffer_load_dword v142, v133, s[0:3], 0 offen
	buffer_load_dword v143, v133, s[0:3], 0 offen offset:4
	ds_read_b128 v[136:139], v132
	v_add_nc_u32_e32 v131, -1, v131
	v_add_nc_u32_e32 v132, 16, v132
	v_add_nc_u32_e32 v133, 16, v133
	v_cmp_eq_u32_e32 vcc_lo, 0, v131
	s_or_b32 s71, vcc_lo, s71
	s_waitcnt vmcnt(2) lgkmcnt(0)
	v_mul_f64 v[144:145], v[138:139], v[140:141]
	v_mul_f64 v[140:141], v[136:137], v[140:141]
	s_waitcnt vmcnt(0)
	v_fma_f64 v[136:137], v[136:137], v[142:143], -v[144:145]
	v_fma_f64 v[138:139], v[138:139], v[142:143], v[140:141]
	v_add_f64 v[1:2], v[1:2], v[136:137]
	v_add_f64 v[3:4], v[3:4], v[138:139]
	s_andn2_b32 exec_lo, exec_lo, s71
	s_cbranch_execnz .LBB125_603
; %bb.604:
	s_or_b32 exec_lo, exec_lo, s71
.LBB125_605:
	s_or_b32 exec_lo, exec_lo, s4
.LBB125_606:
	s_or_b32 exec_lo, exec_lo, s8
	v_mov_b32_e32 v131, 0
	ds_read_b128 v[131:134], v131 offset:272
	s_waitcnt lgkmcnt(0)
	v_mul_f64 v[136:137], v[3:4], v[133:134]
	v_mul_f64 v[133:134], v[1:2], v[133:134]
	v_fma_f64 v[1:2], v[1:2], v[131:132], -v[136:137]
	v_fma_f64 v[3:4], v[3:4], v[131:132], v[133:134]
	buffer_store_dword v2, off, s[0:3], 0 offset:276
	buffer_store_dword v1, off, s[0:3], 0 offset:272
	;; [unrolled: 1-line block ×4, first 2 shown]
.LBB125_607:
	s_or_b32 exec_lo, exec_lo, s6
	v_mov_b32_e32 v4, s55
	v_cmp_lt_u32_e64 s4, 16, v0
	s_clause 0x3
	buffer_load_dword v1, v4, s[0:3], 0 offen
	buffer_load_dword v2, v4, s[0:3], 0 offen offset:4
	buffer_load_dword v3, v4, s[0:3], 0 offen offset:8
	;; [unrolled: 1-line block ×3, first 2 shown]
	s_waitcnt vmcnt(0)
	ds_write_b128 v130, v[1:4]
	s_waitcnt lgkmcnt(0)
	s_waitcnt_vscnt null, 0x0
	s_barrier
	buffer_gl0_inv
	s_and_saveexec_b32 s6, s4
	s_cbranch_execz .LBB125_621
; %bb.608:
	ds_read_b128 v[1:4], v130
	s_andn2_b32 vcc_lo, exec_lo, s7
	s_cbranch_vccnz .LBB125_610
; %bb.609:
	s_clause 0x3
	buffer_load_dword v131, v129, s[0:3], 0 offen offset:8
	buffer_load_dword v132, v129, s[0:3], 0 offen offset:12
	buffer_load_dword v133, v129, s[0:3], 0 offen
	buffer_load_dword v134, v129, s[0:3], 0 offen offset:4
	s_waitcnt vmcnt(2) lgkmcnt(0)
	v_mul_f64 v[136:137], v[3:4], v[131:132]
	v_mul_f64 v[131:132], v[1:2], v[131:132]
	s_waitcnt vmcnt(0)
	v_fma_f64 v[1:2], v[1:2], v[133:134], -v[136:137]
	v_fma_f64 v[3:4], v[3:4], v[133:134], v[131:132]
.LBB125_610:
	s_and_saveexec_b32 s8, s5
	s_cbranch_execz .LBB125_620
; %bb.611:
	v_subrev_nc_u32_e32 v132, 18, v0
	v_mov_b32_e32 v133, 17
	v_subrev_nc_u32_e32 v131, 17, v0
	s_mov_b32 s5, exec_lo
	v_cmpx_lt_u32_e32 6, v132
	s_cbranch_execz .LBB125_615
; %bb.612:
	v_and_b32_e32 v132, -8, v131
	s_movk_i32 s72, 0x4f0
	s_mov_b32 s71, 0
	s_mov_b32 s73, s54
	s_mov_b32 s74, 0
.LBB125_613:                            ; =>This Inner Loop Header: Depth=1
	v_mov_b32_e32 v136, s73
	v_mov_b32_e32 v182, s72
	s_add_i32 s75, s74, 8
	s_add_i32 s74, s74, 25
	v_cmp_eq_u32_e32 vcc_lo, s75, v132
	s_clause 0x1f
	buffer_load_dword v133, v136, s[0:3], 0 offen offset:8
	buffer_load_dword v134, v136, s[0:3], 0 offen offset:12
	buffer_load_dword v144, v136, s[0:3], 0 offen
	buffer_load_dword v145, v136, s[0:3], 0 offen offset:4
	buffer_load_dword v146, v136, s[0:3], 0 offen offset:24
	;; [unrolled: 1-line block ×29, first 2 shown]
	ds_read_b128 v[136:139], v182
	ds_read_b128 v[140:143], v182 offset:16
	s_addk_i32 s72, 0x80
	s_addk_i32 s73, 0x80
	s_or_b32 s71, vcc_lo, s71
	s_waitcnt vmcnt(30) lgkmcnt(1)
	v_mul_f64 v[174:175], v[138:139], v[133:134]
	v_mul_f64 v[133:134], v[136:137], v[133:134]
	s_waitcnt vmcnt(26) lgkmcnt(0)
	v_mul_f64 v[176:177], v[142:143], v[146:147]
	v_mul_f64 v[178:179], v[140:141], v[146:147]
	v_fma_f64 v[174:175], v[136:137], v[144:145], -v[174:175]
	v_fma_f64 v[133:134], v[138:139], v[144:145], v[133:134]
	ds_read_b128 v[136:139], v182 offset:32
	ds_read_b128 v[144:147], v182 offset:48
	s_waitcnt vmcnt(24)
	v_fma_f64 v[140:141], v[140:141], v[148:149], -v[176:177]
	v_fma_f64 v[142:143], v[142:143], v[148:149], v[178:179]
	s_waitcnt vmcnt(22) lgkmcnt(1)
	v_mul_f64 v[180:181], v[138:139], v[150:151]
	v_mul_f64 v[150:151], v[136:137], v[150:151]
	v_add_f64 v[1:2], v[1:2], v[174:175]
	v_add_f64 v[3:4], v[3:4], v[133:134]
	s_waitcnt vmcnt(18) lgkmcnt(0)
	v_mul_f64 v[133:134], v[146:147], v[154:155]
	v_mul_f64 v[148:149], v[144:145], v[154:155]
	v_fma_f64 v[154:155], v[136:137], v[152:153], -v[180:181]
	v_fma_f64 v[150:151], v[138:139], v[152:153], v[150:151]
	v_add_f64 v[140:141], v[1:2], v[140:141]
	v_add_f64 v[142:143], v[3:4], v[142:143]
	ds_read_b128 v[1:4], v182 offset:64
	ds_read_b128 v[136:139], v182 offset:80
	s_waitcnt vmcnt(16)
	v_fma_f64 v[133:134], v[144:145], v[156:157], -v[133:134]
	v_fma_f64 v[144:145], v[146:147], v[156:157], v[148:149]
	s_waitcnt vmcnt(12) lgkmcnt(1)
	v_mul_f64 v[152:153], v[3:4], v[158:159]
	v_mul_f64 v[158:159], v[1:2], v[158:159]
	v_add_f64 v[140:141], v[140:141], v[154:155]
	v_add_f64 v[142:143], v[142:143], v[150:151]
	s_waitcnt vmcnt(10) lgkmcnt(0)
	v_mul_f64 v[146:147], v[138:139], v[160:161]
	v_mul_f64 v[148:149], v[136:137], v[160:161]
	s_waitcnt vmcnt(8)
	v_fma_f64 v[150:151], v[1:2], v[164:165], -v[152:153]
	v_fma_f64 v[152:153], v[3:4], v[164:165], v[158:159]
	v_add_f64 v[133:134], v[140:141], v[133:134]
	v_add_f64 v[144:145], v[142:143], v[144:145]
	ds_read_b128 v[1:4], v182 offset:96
	ds_read_b128 v[140:143], v182 offset:112
	v_fma_f64 v[136:137], v[136:137], v[162:163], -v[146:147]
	v_fma_f64 v[138:139], v[138:139], v[162:163], v[148:149]
	s_waitcnt vmcnt(4) lgkmcnt(1)
	v_mul_f64 v[154:155], v[3:4], v[166:167]
	v_mul_f64 v[156:157], v[1:2], v[166:167]
	v_add_f64 v[133:134], v[133:134], v[150:151]
	v_add_f64 v[144:145], v[144:145], v[152:153]
	s_waitcnt vmcnt(2) lgkmcnt(0)
	v_mul_f64 v[146:147], v[142:143], v[168:169]
	v_mul_f64 v[148:149], v[140:141], v[168:169]
	s_waitcnt vmcnt(0)
	v_fma_f64 v[1:2], v[1:2], v[172:173], -v[154:155]
	v_fma_f64 v[3:4], v[3:4], v[172:173], v[156:157]
	v_add_f64 v[133:134], v[133:134], v[136:137]
	v_add_f64 v[136:137], v[144:145], v[138:139]
	v_fma_f64 v[138:139], v[140:141], v[170:171], -v[146:147]
	v_fma_f64 v[140:141], v[142:143], v[170:171], v[148:149]
	v_add_f64 v[1:2], v[133:134], v[1:2]
	v_add_f64 v[3:4], v[136:137], v[3:4]
	v_mov_b32_e32 v133, s74
	s_mov_b32 s74, s75
	v_add_f64 v[1:2], v[1:2], v[138:139]
	v_add_f64 v[3:4], v[3:4], v[140:141]
	s_andn2_b32 exec_lo, exec_lo, s71
	s_cbranch_execnz .LBB125_613
; %bb.614:
	s_or_b32 exec_lo, exec_lo, s71
.LBB125_615:
	s_or_b32 exec_lo, exec_lo, s5
	v_and_b32_e32 v131, 7, v131
	s_mov_b32 s71, 0
	s_mov_b32 s5, exec_lo
	v_cmpx_ne_u32_e32 0, v131
	s_cbranch_execz .LBB125_619
; %bb.616:
	v_lshlrev_b32_e32 v133, 4, v133
	v_add_nc_u32_e32 v132, 0x3e0, v133
	.p2align	6
.LBB125_617:                            ; =>This Inner Loop Header: Depth=1
	s_clause 0x3
	buffer_load_dword v140, v133, s[0:3], 0 offen offset:8
	buffer_load_dword v141, v133, s[0:3], 0 offen offset:12
	buffer_load_dword v142, v133, s[0:3], 0 offen
	buffer_load_dword v143, v133, s[0:3], 0 offen offset:4
	ds_read_b128 v[136:139], v132
	v_add_nc_u32_e32 v131, -1, v131
	v_add_nc_u32_e32 v132, 16, v132
	v_add_nc_u32_e32 v133, 16, v133
	v_cmp_eq_u32_e32 vcc_lo, 0, v131
	s_or_b32 s71, vcc_lo, s71
	s_waitcnt vmcnt(2) lgkmcnt(0)
	v_mul_f64 v[144:145], v[138:139], v[140:141]
	v_mul_f64 v[140:141], v[136:137], v[140:141]
	s_waitcnt vmcnt(0)
	v_fma_f64 v[136:137], v[136:137], v[142:143], -v[144:145]
	v_fma_f64 v[138:139], v[138:139], v[142:143], v[140:141]
	v_add_f64 v[1:2], v[1:2], v[136:137]
	v_add_f64 v[3:4], v[3:4], v[138:139]
	s_andn2_b32 exec_lo, exec_lo, s71
	s_cbranch_execnz .LBB125_617
; %bb.618:
	s_or_b32 exec_lo, exec_lo, s71
.LBB125_619:
	s_or_b32 exec_lo, exec_lo, s5
.LBB125_620:
	s_or_b32 exec_lo, exec_lo, s8
	v_mov_b32_e32 v131, 0
	ds_read_b128 v[131:134], v131 offset:256
	s_waitcnt lgkmcnt(0)
	v_mul_f64 v[136:137], v[3:4], v[133:134]
	v_mul_f64 v[133:134], v[1:2], v[133:134]
	v_fma_f64 v[1:2], v[1:2], v[131:132], -v[136:137]
	v_fma_f64 v[3:4], v[3:4], v[131:132], v[133:134]
	buffer_store_dword v2, off, s[0:3], 0 offset:260
	buffer_store_dword v1, off, s[0:3], 0 offset:256
	;; [unrolled: 1-line block ×4, first 2 shown]
.LBB125_621:
	s_or_b32 exec_lo, exec_lo, s6
	v_mov_b32_e32 v4, s56
	v_cmp_lt_u32_e64 s5, 15, v0
	s_clause 0x3
	buffer_load_dword v1, v4, s[0:3], 0 offen
	buffer_load_dword v2, v4, s[0:3], 0 offen offset:4
	buffer_load_dword v3, v4, s[0:3], 0 offen offset:8
	;; [unrolled: 1-line block ×3, first 2 shown]
	s_waitcnt vmcnt(0)
	ds_write_b128 v130, v[1:4]
	s_waitcnt lgkmcnt(0)
	s_waitcnt_vscnt null, 0x0
	s_barrier
	buffer_gl0_inv
	s_and_saveexec_b32 s6, s5
	s_cbranch_execz .LBB125_635
; %bb.622:
	ds_read_b128 v[1:4], v130
	s_andn2_b32 vcc_lo, exec_lo, s7
	s_cbranch_vccnz .LBB125_624
; %bb.623:
	s_clause 0x3
	buffer_load_dword v131, v129, s[0:3], 0 offen offset:8
	buffer_load_dword v132, v129, s[0:3], 0 offen offset:12
	buffer_load_dword v133, v129, s[0:3], 0 offen
	buffer_load_dword v134, v129, s[0:3], 0 offen offset:4
	s_waitcnt vmcnt(2) lgkmcnt(0)
	v_mul_f64 v[136:137], v[3:4], v[131:132]
	v_mul_f64 v[131:132], v[1:2], v[131:132]
	s_waitcnt vmcnt(0)
	v_fma_f64 v[1:2], v[1:2], v[133:134], -v[136:137]
	v_fma_f64 v[3:4], v[3:4], v[133:134], v[131:132]
.LBB125_624:
	s_and_saveexec_b32 s8, s4
	s_cbranch_execz .LBB125_634
; %bb.625:
	v_subrev_nc_u32_e32 v131, 17, v0
	v_cmp_lt_u32_e32 vcc_lo, 6, v131
	v_mov_b32_e32 v131, 16
	s_and_saveexec_b32 s4, vcc_lo
	s_cbranch_execz .LBB125_629
; %bb.626:
	v_and_b32_e32 v131, 56, v0
	s_mov_b32 s71, 16
	s_movk_i32 s73, 0x4e0
	s_mov_b32 s72, 0
	s_mov_b32 s74, s55
.LBB125_627:                            ; =>This Inner Loop Header: Depth=1
	v_mov_b32_e32 v134, s74
	s_add_i32 s71, s71, 8
	s_addk_i32 s74, 0x80
	v_cmp_eq_u32_e32 vcc_lo, s71, v131
	s_clause 0x1f
	buffer_load_dword v132, v134, s[0:3], 0 offen offset:8
	buffer_load_dword v133, v134, s[0:3], 0 offen offset:12
	buffer_load_dword v144, v134, s[0:3], 0 offen
	buffer_load_dword v145, v134, s[0:3], 0 offen offset:4
	buffer_load_dword v146, v134, s[0:3], 0 offen offset:24
	;; [unrolled: 1-line block ×29, first 2 shown]
	v_mov_b32_e32 v134, s73
	s_addk_i32 s73, 0x80
	s_or_b32 s72, vcc_lo, s72
	ds_read_b128 v[136:139], v134
	ds_read_b128 v[140:143], v134 offset:16
	s_waitcnt vmcnt(30) lgkmcnt(1)
	v_mul_f64 v[174:175], v[138:139], v[132:133]
	v_mul_f64 v[132:133], v[136:137], v[132:133]
	s_waitcnt vmcnt(26) lgkmcnt(0)
	v_mul_f64 v[176:177], v[142:143], v[146:147]
	v_mul_f64 v[178:179], v[140:141], v[146:147]
	v_fma_f64 v[174:175], v[136:137], v[144:145], -v[174:175]
	v_fma_f64 v[132:133], v[138:139], v[144:145], v[132:133]
	ds_read_b128 v[136:139], v134 offset:32
	ds_read_b128 v[144:147], v134 offset:48
	s_waitcnt vmcnt(24)
	v_fma_f64 v[140:141], v[140:141], v[148:149], -v[176:177]
	v_fma_f64 v[142:143], v[142:143], v[148:149], v[178:179]
	s_waitcnt vmcnt(22) lgkmcnt(1)
	v_mul_f64 v[180:181], v[138:139], v[150:151]
	v_mul_f64 v[150:151], v[136:137], v[150:151]
	v_add_f64 v[1:2], v[1:2], v[174:175]
	v_add_f64 v[3:4], v[3:4], v[132:133]
	s_waitcnt vmcnt(18) lgkmcnt(0)
	v_mul_f64 v[132:133], v[146:147], v[154:155]
	v_mul_f64 v[148:149], v[144:145], v[154:155]
	v_fma_f64 v[154:155], v[136:137], v[152:153], -v[180:181]
	v_fma_f64 v[150:151], v[138:139], v[152:153], v[150:151]
	v_add_f64 v[140:141], v[1:2], v[140:141]
	v_add_f64 v[142:143], v[3:4], v[142:143]
	ds_read_b128 v[1:4], v134 offset:64
	ds_read_b128 v[136:139], v134 offset:80
	s_waitcnt vmcnt(16)
	v_fma_f64 v[132:133], v[144:145], v[156:157], -v[132:133]
	v_fma_f64 v[144:145], v[146:147], v[156:157], v[148:149]
	s_waitcnt vmcnt(12) lgkmcnt(1)
	v_mul_f64 v[152:153], v[3:4], v[158:159]
	v_mul_f64 v[158:159], v[1:2], v[158:159]
	v_add_f64 v[140:141], v[140:141], v[154:155]
	v_add_f64 v[142:143], v[142:143], v[150:151]
	s_waitcnt vmcnt(10) lgkmcnt(0)
	v_mul_f64 v[146:147], v[138:139], v[160:161]
	v_mul_f64 v[148:149], v[136:137], v[160:161]
	s_waitcnt vmcnt(8)
	v_fma_f64 v[150:151], v[1:2], v[164:165], -v[152:153]
	v_fma_f64 v[152:153], v[3:4], v[164:165], v[158:159]
	v_add_f64 v[132:133], v[140:141], v[132:133]
	v_add_f64 v[144:145], v[142:143], v[144:145]
	ds_read_b128 v[1:4], v134 offset:96
	ds_read_b128 v[140:143], v134 offset:112
	v_fma_f64 v[136:137], v[136:137], v[162:163], -v[146:147]
	v_fma_f64 v[138:139], v[138:139], v[162:163], v[148:149]
	s_waitcnt vmcnt(4) lgkmcnt(1)
	v_mul_f64 v[154:155], v[3:4], v[166:167]
	v_mul_f64 v[156:157], v[1:2], v[166:167]
	v_add_f64 v[132:133], v[132:133], v[150:151]
	v_add_f64 v[144:145], v[144:145], v[152:153]
	s_waitcnt vmcnt(2) lgkmcnt(0)
	v_mul_f64 v[146:147], v[142:143], v[168:169]
	v_mul_f64 v[148:149], v[140:141], v[168:169]
	s_waitcnt vmcnt(0)
	v_fma_f64 v[1:2], v[1:2], v[172:173], -v[154:155]
	v_fma_f64 v[3:4], v[3:4], v[172:173], v[156:157]
	v_add_f64 v[132:133], v[132:133], v[136:137]
	v_add_f64 v[136:137], v[144:145], v[138:139]
	v_fma_f64 v[138:139], v[140:141], v[170:171], -v[146:147]
	v_fma_f64 v[140:141], v[142:143], v[170:171], v[148:149]
	v_add_f64 v[1:2], v[132:133], v[1:2]
	v_add_f64 v[3:4], v[136:137], v[3:4]
	;; [unrolled: 1-line block ×4, first 2 shown]
	s_andn2_b32 exec_lo, exec_lo, s72
	s_cbranch_execnz .LBB125_627
; %bb.628:
	s_or_b32 exec_lo, exec_lo, s72
.LBB125_629:
	s_or_b32 exec_lo, exec_lo, s4
	v_and_b32_e32 v132, 7, v0
	s_mov_b32 s71, 0
	s_mov_b32 s4, exec_lo
	v_cmpx_ne_u32_e32 0, v132
	s_cbranch_execz .LBB125_633
; %bb.630:
	v_lshlrev_b32_e32 v133, 4, v131
	v_add_nc_u32_e32 v131, 0x3e0, v133
	.p2align	6
.LBB125_631:                            ; =>This Inner Loop Header: Depth=1
	s_clause 0x3
	buffer_load_dword v140, v133, s[0:3], 0 offen offset:8
	buffer_load_dword v141, v133, s[0:3], 0 offen offset:12
	buffer_load_dword v142, v133, s[0:3], 0 offen
	buffer_load_dword v143, v133, s[0:3], 0 offen offset:4
	ds_read_b128 v[136:139], v131
	v_add_nc_u32_e32 v132, -1, v132
	v_add_nc_u32_e32 v131, 16, v131
	v_add_nc_u32_e32 v133, 16, v133
	v_cmp_eq_u32_e32 vcc_lo, 0, v132
	s_or_b32 s71, vcc_lo, s71
	s_waitcnt vmcnt(2) lgkmcnt(0)
	v_mul_f64 v[144:145], v[138:139], v[140:141]
	v_mul_f64 v[140:141], v[136:137], v[140:141]
	s_waitcnt vmcnt(0)
	v_fma_f64 v[136:137], v[136:137], v[142:143], -v[144:145]
	v_fma_f64 v[138:139], v[138:139], v[142:143], v[140:141]
	v_add_f64 v[1:2], v[1:2], v[136:137]
	v_add_f64 v[3:4], v[3:4], v[138:139]
	s_andn2_b32 exec_lo, exec_lo, s71
	s_cbranch_execnz .LBB125_631
; %bb.632:
	s_or_b32 exec_lo, exec_lo, s71
.LBB125_633:
	s_or_b32 exec_lo, exec_lo, s4
.LBB125_634:
	s_or_b32 exec_lo, exec_lo, s8
	v_mov_b32_e32 v131, 0
	ds_read_b128 v[131:134], v131 offset:240
	s_waitcnt lgkmcnt(0)
	v_mul_f64 v[136:137], v[3:4], v[133:134]
	v_mul_f64 v[133:134], v[1:2], v[133:134]
	v_fma_f64 v[1:2], v[1:2], v[131:132], -v[136:137]
	v_fma_f64 v[3:4], v[3:4], v[131:132], v[133:134]
	buffer_store_dword v2, off, s[0:3], 0 offset:244
	buffer_store_dword v1, off, s[0:3], 0 offset:240
	;; [unrolled: 1-line block ×4, first 2 shown]
.LBB125_635:
	s_or_b32 exec_lo, exec_lo, s6
	v_mov_b32_e32 v4, s57
	v_cmp_lt_u32_e64 s4, 14, v0
	s_clause 0x3
	buffer_load_dword v1, v4, s[0:3], 0 offen
	buffer_load_dword v2, v4, s[0:3], 0 offen offset:4
	buffer_load_dword v3, v4, s[0:3], 0 offen offset:8
	;; [unrolled: 1-line block ×3, first 2 shown]
	s_waitcnt vmcnt(0)
	ds_write_b128 v130, v[1:4]
	s_waitcnt lgkmcnt(0)
	s_waitcnt_vscnt null, 0x0
	s_barrier
	buffer_gl0_inv
	s_and_saveexec_b32 s6, s4
	s_cbranch_execz .LBB125_649
; %bb.636:
	ds_read_b128 v[1:4], v130
	s_andn2_b32 vcc_lo, exec_lo, s7
	s_cbranch_vccnz .LBB125_638
; %bb.637:
	s_clause 0x3
	buffer_load_dword v131, v129, s[0:3], 0 offen offset:8
	buffer_load_dword v132, v129, s[0:3], 0 offen offset:12
	buffer_load_dword v133, v129, s[0:3], 0 offen
	buffer_load_dword v134, v129, s[0:3], 0 offen offset:4
	s_waitcnt vmcnt(2) lgkmcnt(0)
	v_mul_f64 v[136:137], v[3:4], v[131:132]
	v_mul_f64 v[131:132], v[1:2], v[131:132]
	s_waitcnt vmcnt(0)
	v_fma_f64 v[1:2], v[1:2], v[133:134], -v[136:137]
	v_fma_f64 v[3:4], v[3:4], v[133:134], v[131:132]
.LBB125_638:
	s_and_saveexec_b32 s8, s5
	s_cbranch_execz .LBB125_648
; %bb.639:
	v_add_nc_u32_e32 v132, -16, v0
	v_add_nc_u32_e32 v131, -15, v0
	v_mov_b32_e32 v133, 15
	s_mov_b32 s5, exec_lo
	v_cmpx_lt_u32_e32 6, v132
	s_cbranch_execz .LBB125_643
; %bb.640:
	v_and_b32_e32 v132, -8, v131
	s_movk_i32 s72, 0x4d0
	s_mov_b32 s71, 0
	s_mov_b32 s73, s56
	;; [unrolled: 1-line block ×3, first 2 shown]
.LBB125_641:                            ; =>This Inner Loop Header: Depth=1
	v_mov_b32_e32 v136, s73
	v_mov_b32_e32 v182, s72
	s_add_i32 s75, s74, 8
	s_add_i32 s74, s74, 23
	v_cmp_eq_u32_e32 vcc_lo, s75, v132
	s_clause 0x1f
	buffer_load_dword v133, v136, s[0:3], 0 offen offset:8
	buffer_load_dword v134, v136, s[0:3], 0 offen offset:12
	buffer_load_dword v144, v136, s[0:3], 0 offen
	buffer_load_dword v145, v136, s[0:3], 0 offen offset:4
	buffer_load_dword v146, v136, s[0:3], 0 offen offset:24
	;; [unrolled: 1-line block ×29, first 2 shown]
	ds_read_b128 v[136:139], v182
	ds_read_b128 v[140:143], v182 offset:16
	s_addk_i32 s72, 0x80
	s_addk_i32 s73, 0x80
	s_or_b32 s71, vcc_lo, s71
	s_waitcnt vmcnt(30) lgkmcnt(1)
	v_mul_f64 v[174:175], v[138:139], v[133:134]
	v_mul_f64 v[133:134], v[136:137], v[133:134]
	s_waitcnt vmcnt(26) lgkmcnt(0)
	v_mul_f64 v[176:177], v[142:143], v[146:147]
	v_mul_f64 v[178:179], v[140:141], v[146:147]
	v_fma_f64 v[174:175], v[136:137], v[144:145], -v[174:175]
	v_fma_f64 v[133:134], v[138:139], v[144:145], v[133:134]
	ds_read_b128 v[136:139], v182 offset:32
	ds_read_b128 v[144:147], v182 offset:48
	s_waitcnt vmcnt(24)
	v_fma_f64 v[140:141], v[140:141], v[148:149], -v[176:177]
	v_fma_f64 v[142:143], v[142:143], v[148:149], v[178:179]
	s_waitcnt vmcnt(22) lgkmcnt(1)
	v_mul_f64 v[180:181], v[138:139], v[150:151]
	v_mul_f64 v[150:151], v[136:137], v[150:151]
	v_add_f64 v[1:2], v[1:2], v[174:175]
	v_add_f64 v[3:4], v[3:4], v[133:134]
	s_waitcnt vmcnt(18) lgkmcnt(0)
	v_mul_f64 v[133:134], v[146:147], v[154:155]
	v_mul_f64 v[148:149], v[144:145], v[154:155]
	v_fma_f64 v[154:155], v[136:137], v[152:153], -v[180:181]
	v_fma_f64 v[150:151], v[138:139], v[152:153], v[150:151]
	v_add_f64 v[140:141], v[1:2], v[140:141]
	v_add_f64 v[142:143], v[3:4], v[142:143]
	ds_read_b128 v[1:4], v182 offset:64
	ds_read_b128 v[136:139], v182 offset:80
	s_waitcnt vmcnt(16)
	v_fma_f64 v[133:134], v[144:145], v[156:157], -v[133:134]
	v_fma_f64 v[144:145], v[146:147], v[156:157], v[148:149]
	s_waitcnt vmcnt(12) lgkmcnt(1)
	v_mul_f64 v[152:153], v[3:4], v[158:159]
	v_mul_f64 v[158:159], v[1:2], v[158:159]
	v_add_f64 v[140:141], v[140:141], v[154:155]
	v_add_f64 v[142:143], v[142:143], v[150:151]
	s_waitcnt vmcnt(10) lgkmcnt(0)
	v_mul_f64 v[146:147], v[138:139], v[160:161]
	v_mul_f64 v[148:149], v[136:137], v[160:161]
	s_waitcnt vmcnt(8)
	v_fma_f64 v[150:151], v[1:2], v[164:165], -v[152:153]
	v_fma_f64 v[152:153], v[3:4], v[164:165], v[158:159]
	v_add_f64 v[133:134], v[140:141], v[133:134]
	v_add_f64 v[144:145], v[142:143], v[144:145]
	ds_read_b128 v[1:4], v182 offset:96
	ds_read_b128 v[140:143], v182 offset:112
	v_fma_f64 v[136:137], v[136:137], v[162:163], -v[146:147]
	v_fma_f64 v[138:139], v[138:139], v[162:163], v[148:149]
	s_waitcnt vmcnt(4) lgkmcnt(1)
	v_mul_f64 v[154:155], v[3:4], v[166:167]
	v_mul_f64 v[156:157], v[1:2], v[166:167]
	v_add_f64 v[133:134], v[133:134], v[150:151]
	v_add_f64 v[144:145], v[144:145], v[152:153]
	s_waitcnt vmcnt(2) lgkmcnt(0)
	v_mul_f64 v[146:147], v[142:143], v[168:169]
	v_mul_f64 v[148:149], v[140:141], v[168:169]
	s_waitcnt vmcnt(0)
	v_fma_f64 v[1:2], v[1:2], v[172:173], -v[154:155]
	v_fma_f64 v[3:4], v[3:4], v[172:173], v[156:157]
	v_add_f64 v[133:134], v[133:134], v[136:137]
	v_add_f64 v[136:137], v[144:145], v[138:139]
	v_fma_f64 v[138:139], v[140:141], v[170:171], -v[146:147]
	v_fma_f64 v[140:141], v[142:143], v[170:171], v[148:149]
	v_add_f64 v[1:2], v[133:134], v[1:2]
	v_add_f64 v[3:4], v[136:137], v[3:4]
	v_mov_b32_e32 v133, s74
	s_mov_b32 s74, s75
	v_add_f64 v[1:2], v[1:2], v[138:139]
	v_add_f64 v[3:4], v[3:4], v[140:141]
	s_andn2_b32 exec_lo, exec_lo, s71
	s_cbranch_execnz .LBB125_641
; %bb.642:
	s_or_b32 exec_lo, exec_lo, s71
.LBB125_643:
	s_or_b32 exec_lo, exec_lo, s5
	v_and_b32_e32 v131, 7, v131
	s_mov_b32 s71, 0
	s_mov_b32 s5, exec_lo
	v_cmpx_ne_u32_e32 0, v131
	s_cbranch_execz .LBB125_647
; %bb.644:
	v_lshlrev_b32_e32 v133, 4, v133
	v_add_nc_u32_e32 v132, 0x3e0, v133
	.p2align	6
.LBB125_645:                            ; =>This Inner Loop Header: Depth=1
	s_clause 0x3
	buffer_load_dword v140, v133, s[0:3], 0 offen offset:8
	buffer_load_dword v141, v133, s[0:3], 0 offen offset:12
	buffer_load_dword v142, v133, s[0:3], 0 offen
	buffer_load_dword v143, v133, s[0:3], 0 offen offset:4
	ds_read_b128 v[136:139], v132
	v_add_nc_u32_e32 v131, -1, v131
	v_add_nc_u32_e32 v132, 16, v132
	v_add_nc_u32_e32 v133, 16, v133
	v_cmp_eq_u32_e32 vcc_lo, 0, v131
	s_or_b32 s71, vcc_lo, s71
	s_waitcnt vmcnt(2) lgkmcnt(0)
	v_mul_f64 v[144:145], v[138:139], v[140:141]
	v_mul_f64 v[140:141], v[136:137], v[140:141]
	s_waitcnt vmcnt(0)
	v_fma_f64 v[136:137], v[136:137], v[142:143], -v[144:145]
	v_fma_f64 v[138:139], v[138:139], v[142:143], v[140:141]
	v_add_f64 v[1:2], v[1:2], v[136:137]
	v_add_f64 v[3:4], v[3:4], v[138:139]
	s_andn2_b32 exec_lo, exec_lo, s71
	s_cbranch_execnz .LBB125_645
; %bb.646:
	s_or_b32 exec_lo, exec_lo, s71
.LBB125_647:
	s_or_b32 exec_lo, exec_lo, s5
.LBB125_648:
	s_or_b32 exec_lo, exec_lo, s8
	v_mov_b32_e32 v131, 0
	ds_read_b128 v[131:134], v131 offset:224
	s_waitcnt lgkmcnt(0)
	v_mul_f64 v[136:137], v[3:4], v[133:134]
	v_mul_f64 v[133:134], v[1:2], v[133:134]
	v_fma_f64 v[1:2], v[1:2], v[131:132], -v[136:137]
	v_fma_f64 v[3:4], v[3:4], v[131:132], v[133:134]
	buffer_store_dword v2, off, s[0:3], 0 offset:228
	buffer_store_dword v1, off, s[0:3], 0 offset:224
	;; [unrolled: 1-line block ×4, first 2 shown]
.LBB125_649:
	s_or_b32 exec_lo, exec_lo, s6
	v_mov_b32_e32 v4, s58
	v_cmp_lt_u32_e64 s5, 13, v0
	s_clause 0x3
	buffer_load_dword v1, v4, s[0:3], 0 offen
	buffer_load_dword v2, v4, s[0:3], 0 offen offset:4
	buffer_load_dword v3, v4, s[0:3], 0 offen offset:8
	;; [unrolled: 1-line block ×3, first 2 shown]
	s_waitcnt vmcnt(0)
	ds_write_b128 v130, v[1:4]
	s_waitcnt lgkmcnt(0)
	s_waitcnt_vscnt null, 0x0
	s_barrier
	buffer_gl0_inv
	s_and_saveexec_b32 s6, s5
	s_cbranch_execz .LBB125_663
; %bb.650:
	ds_read_b128 v[1:4], v130
	s_andn2_b32 vcc_lo, exec_lo, s7
	s_cbranch_vccnz .LBB125_652
; %bb.651:
	s_clause 0x3
	buffer_load_dword v131, v129, s[0:3], 0 offen offset:8
	buffer_load_dword v132, v129, s[0:3], 0 offen offset:12
	buffer_load_dword v133, v129, s[0:3], 0 offen
	buffer_load_dword v134, v129, s[0:3], 0 offen offset:4
	s_waitcnt vmcnt(2) lgkmcnt(0)
	v_mul_f64 v[136:137], v[3:4], v[131:132]
	v_mul_f64 v[131:132], v[1:2], v[131:132]
	s_waitcnt vmcnt(0)
	v_fma_f64 v[1:2], v[1:2], v[133:134], -v[136:137]
	v_fma_f64 v[3:4], v[3:4], v[133:134], v[131:132]
.LBB125_652:
	s_and_saveexec_b32 s8, s4
	s_cbranch_execz .LBB125_662
; %bb.653:
	v_add_nc_u32_e32 v132, -15, v0
	v_add_nc_u32_e32 v131, -14, v0
	v_mov_b32_e32 v133, 14
	s_mov_b32 s4, exec_lo
	v_cmpx_lt_u32_e32 6, v132
	s_cbranch_execz .LBB125_657
; %bb.654:
	v_and_b32_e32 v132, -8, v131
	s_movk_i32 s72, 0x4c0
	s_mov_b32 s71, 0
	s_mov_b32 s73, s57
	;; [unrolled: 1-line block ×3, first 2 shown]
.LBB125_655:                            ; =>This Inner Loop Header: Depth=1
	v_mov_b32_e32 v136, s73
	v_mov_b32_e32 v182, s72
	s_add_i32 s75, s74, 8
	s_add_i32 s74, s74, 22
	v_cmp_eq_u32_e32 vcc_lo, s75, v132
	s_clause 0x1f
	buffer_load_dword v133, v136, s[0:3], 0 offen offset:8
	buffer_load_dword v134, v136, s[0:3], 0 offen offset:12
	buffer_load_dword v144, v136, s[0:3], 0 offen
	buffer_load_dword v145, v136, s[0:3], 0 offen offset:4
	buffer_load_dword v146, v136, s[0:3], 0 offen offset:24
	;; [unrolled: 1-line block ×29, first 2 shown]
	ds_read_b128 v[136:139], v182
	ds_read_b128 v[140:143], v182 offset:16
	s_addk_i32 s72, 0x80
	s_addk_i32 s73, 0x80
	s_or_b32 s71, vcc_lo, s71
	s_waitcnt vmcnt(30) lgkmcnt(1)
	v_mul_f64 v[174:175], v[138:139], v[133:134]
	v_mul_f64 v[133:134], v[136:137], v[133:134]
	s_waitcnt vmcnt(26) lgkmcnt(0)
	v_mul_f64 v[176:177], v[142:143], v[146:147]
	v_mul_f64 v[178:179], v[140:141], v[146:147]
	v_fma_f64 v[174:175], v[136:137], v[144:145], -v[174:175]
	v_fma_f64 v[133:134], v[138:139], v[144:145], v[133:134]
	ds_read_b128 v[136:139], v182 offset:32
	ds_read_b128 v[144:147], v182 offset:48
	s_waitcnt vmcnt(24)
	v_fma_f64 v[140:141], v[140:141], v[148:149], -v[176:177]
	v_fma_f64 v[142:143], v[142:143], v[148:149], v[178:179]
	s_waitcnt vmcnt(22) lgkmcnt(1)
	v_mul_f64 v[180:181], v[138:139], v[150:151]
	v_mul_f64 v[150:151], v[136:137], v[150:151]
	v_add_f64 v[1:2], v[1:2], v[174:175]
	v_add_f64 v[3:4], v[3:4], v[133:134]
	s_waitcnt vmcnt(18) lgkmcnt(0)
	v_mul_f64 v[133:134], v[146:147], v[154:155]
	v_mul_f64 v[148:149], v[144:145], v[154:155]
	v_fma_f64 v[154:155], v[136:137], v[152:153], -v[180:181]
	v_fma_f64 v[150:151], v[138:139], v[152:153], v[150:151]
	v_add_f64 v[140:141], v[1:2], v[140:141]
	v_add_f64 v[142:143], v[3:4], v[142:143]
	ds_read_b128 v[1:4], v182 offset:64
	ds_read_b128 v[136:139], v182 offset:80
	s_waitcnt vmcnt(16)
	v_fma_f64 v[133:134], v[144:145], v[156:157], -v[133:134]
	v_fma_f64 v[144:145], v[146:147], v[156:157], v[148:149]
	s_waitcnt vmcnt(12) lgkmcnt(1)
	v_mul_f64 v[152:153], v[3:4], v[158:159]
	v_mul_f64 v[158:159], v[1:2], v[158:159]
	v_add_f64 v[140:141], v[140:141], v[154:155]
	v_add_f64 v[142:143], v[142:143], v[150:151]
	s_waitcnt vmcnt(10) lgkmcnt(0)
	v_mul_f64 v[146:147], v[138:139], v[160:161]
	v_mul_f64 v[148:149], v[136:137], v[160:161]
	s_waitcnt vmcnt(8)
	v_fma_f64 v[150:151], v[1:2], v[164:165], -v[152:153]
	v_fma_f64 v[152:153], v[3:4], v[164:165], v[158:159]
	v_add_f64 v[133:134], v[140:141], v[133:134]
	v_add_f64 v[144:145], v[142:143], v[144:145]
	ds_read_b128 v[1:4], v182 offset:96
	ds_read_b128 v[140:143], v182 offset:112
	v_fma_f64 v[136:137], v[136:137], v[162:163], -v[146:147]
	v_fma_f64 v[138:139], v[138:139], v[162:163], v[148:149]
	s_waitcnt vmcnt(4) lgkmcnt(1)
	v_mul_f64 v[154:155], v[3:4], v[166:167]
	v_mul_f64 v[156:157], v[1:2], v[166:167]
	v_add_f64 v[133:134], v[133:134], v[150:151]
	v_add_f64 v[144:145], v[144:145], v[152:153]
	s_waitcnt vmcnt(2) lgkmcnt(0)
	v_mul_f64 v[146:147], v[142:143], v[168:169]
	v_mul_f64 v[148:149], v[140:141], v[168:169]
	s_waitcnt vmcnt(0)
	v_fma_f64 v[1:2], v[1:2], v[172:173], -v[154:155]
	v_fma_f64 v[3:4], v[3:4], v[172:173], v[156:157]
	v_add_f64 v[133:134], v[133:134], v[136:137]
	v_add_f64 v[136:137], v[144:145], v[138:139]
	v_fma_f64 v[138:139], v[140:141], v[170:171], -v[146:147]
	v_fma_f64 v[140:141], v[142:143], v[170:171], v[148:149]
	v_add_f64 v[1:2], v[133:134], v[1:2]
	v_add_f64 v[3:4], v[136:137], v[3:4]
	v_mov_b32_e32 v133, s74
	s_mov_b32 s74, s75
	v_add_f64 v[1:2], v[1:2], v[138:139]
	v_add_f64 v[3:4], v[3:4], v[140:141]
	s_andn2_b32 exec_lo, exec_lo, s71
	s_cbranch_execnz .LBB125_655
; %bb.656:
	s_or_b32 exec_lo, exec_lo, s71
.LBB125_657:
	s_or_b32 exec_lo, exec_lo, s4
	v_and_b32_e32 v131, 7, v131
	s_mov_b32 s71, 0
	s_mov_b32 s4, exec_lo
	v_cmpx_ne_u32_e32 0, v131
	s_cbranch_execz .LBB125_661
; %bb.658:
	v_lshlrev_b32_e32 v133, 4, v133
	v_add_nc_u32_e32 v132, 0x3e0, v133
	.p2align	6
.LBB125_659:                            ; =>This Inner Loop Header: Depth=1
	s_clause 0x3
	buffer_load_dword v140, v133, s[0:3], 0 offen offset:8
	buffer_load_dword v141, v133, s[0:3], 0 offen offset:12
	buffer_load_dword v142, v133, s[0:3], 0 offen
	buffer_load_dword v143, v133, s[0:3], 0 offen offset:4
	ds_read_b128 v[136:139], v132
	v_add_nc_u32_e32 v131, -1, v131
	v_add_nc_u32_e32 v132, 16, v132
	v_add_nc_u32_e32 v133, 16, v133
	v_cmp_eq_u32_e32 vcc_lo, 0, v131
	s_or_b32 s71, vcc_lo, s71
	s_waitcnt vmcnt(2) lgkmcnt(0)
	v_mul_f64 v[144:145], v[138:139], v[140:141]
	v_mul_f64 v[140:141], v[136:137], v[140:141]
	s_waitcnt vmcnt(0)
	v_fma_f64 v[136:137], v[136:137], v[142:143], -v[144:145]
	v_fma_f64 v[138:139], v[138:139], v[142:143], v[140:141]
	v_add_f64 v[1:2], v[1:2], v[136:137]
	v_add_f64 v[3:4], v[3:4], v[138:139]
	s_andn2_b32 exec_lo, exec_lo, s71
	s_cbranch_execnz .LBB125_659
; %bb.660:
	s_or_b32 exec_lo, exec_lo, s71
.LBB125_661:
	s_or_b32 exec_lo, exec_lo, s4
.LBB125_662:
	s_or_b32 exec_lo, exec_lo, s8
	v_mov_b32_e32 v131, 0
	ds_read_b128 v[131:134], v131 offset:208
	s_waitcnt lgkmcnt(0)
	v_mul_f64 v[136:137], v[3:4], v[133:134]
	v_mul_f64 v[133:134], v[1:2], v[133:134]
	v_fma_f64 v[1:2], v[1:2], v[131:132], -v[136:137]
	v_fma_f64 v[3:4], v[3:4], v[131:132], v[133:134]
	buffer_store_dword v2, off, s[0:3], 0 offset:212
	buffer_store_dword v1, off, s[0:3], 0 offset:208
	;; [unrolled: 1-line block ×4, first 2 shown]
.LBB125_663:
	s_or_b32 exec_lo, exec_lo, s6
	v_mov_b32_e32 v4, s59
	v_cmp_lt_u32_e64 s4, 12, v0
	s_clause 0x3
	buffer_load_dword v1, v4, s[0:3], 0 offen
	buffer_load_dword v2, v4, s[0:3], 0 offen offset:4
	buffer_load_dword v3, v4, s[0:3], 0 offen offset:8
	;; [unrolled: 1-line block ×3, first 2 shown]
	s_waitcnt vmcnt(0)
	ds_write_b128 v130, v[1:4]
	s_waitcnt lgkmcnt(0)
	s_waitcnt_vscnt null, 0x0
	s_barrier
	buffer_gl0_inv
	s_and_saveexec_b32 s6, s4
	s_cbranch_execz .LBB125_677
; %bb.664:
	ds_read_b128 v[1:4], v130
	s_andn2_b32 vcc_lo, exec_lo, s7
	s_cbranch_vccnz .LBB125_666
; %bb.665:
	s_clause 0x3
	buffer_load_dword v131, v129, s[0:3], 0 offen offset:8
	buffer_load_dword v132, v129, s[0:3], 0 offen offset:12
	buffer_load_dword v133, v129, s[0:3], 0 offen
	buffer_load_dword v134, v129, s[0:3], 0 offen offset:4
	s_waitcnt vmcnt(2) lgkmcnt(0)
	v_mul_f64 v[136:137], v[3:4], v[131:132]
	v_mul_f64 v[131:132], v[1:2], v[131:132]
	s_waitcnt vmcnt(0)
	v_fma_f64 v[1:2], v[1:2], v[133:134], -v[136:137]
	v_fma_f64 v[3:4], v[3:4], v[133:134], v[131:132]
.LBB125_666:
	s_and_saveexec_b32 s8, s5
	s_cbranch_execz .LBB125_676
; %bb.667:
	v_add_nc_u32_e32 v132, -14, v0
	v_add_nc_u32_e32 v131, -13, v0
	v_mov_b32_e32 v133, 13
	s_mov_b32 s5, exec_lo
	v_cmpx_lt_u32_e32 6, v132
	s_cbranch_execz .LBB125_671
; %bb.668:
	v_and_b32_e32 v132, -8, v131
	s_movk_i32 s72, 0x4b0
	s_mov_b32 s71, 0
	s_mov_b32 s73, s58
	;; [unrolled: 1-line block ×3, first 2 shown]
.LBB125_669:                            ; =>This Inner Loop Header: Depth=1
	v_mov_b32_e32 v136, s73
	v_mov_b32_e32 v182, s72
	s_add_i32 s75, s74, 8
	s_add_i32 s74, s74, 21
	v_cmp_eq_u32_e32 vcc_lo, s75, v132
	s_clause 0x1f
	buffer_load_dword v133, v136, s[0:3], 0 offen offset:8
	buffer_load_dword v134, v136, s[0:3], 0 offen offset:12
	buffer_load_dword v144, v136, s[0:3], 0 offen
	buffer_load_dword v145, v136, s[0:3], 0 offen offset:4
	buffer_load_dword v146, v136, s[0:3], 0 offen offset:24
	;; [unrolled: 1-line block ×29, first 2 shown]
	ds_read_b128 v[136:139], v182
	ds_read_b128 v[140:143], v182 offset:16
	s_addk_i32 s72, 0x80
	s_addk_i32 s73, 0x80
	s_or_b32 s71, vcc_lo, s71
	s_waitcnt vmcnt(30) lgkmcnt(1)
	v_mul_f64 v[174:175], v[138:139], v[133:134]
	v_mul_f64 v[133:134], v[136:137], v[133:134]
	s_waitcnt vmcnt(26) lgkmcnt(0)
	v_mul_f64 v[176:177], v[142:143], v[146:147]
	v_mul_f64 v[178:179], v[140:141], v[146:147]
	v_fma_f64 v[174:175], v[136:137], v[144:145], -v[174:175]
	v_fma_f64 v[133:134], v[138:139], v[144:145], v[133:134]
	ds_read_b128 v[136:139], v182 offset:32
	ds_read_b128 v[144:147], v182 offset:48
	s_waitcnt vmcnt(24)
	v_fma_f64 v[140:141], v[140:141], v[148:149], -v[176:177]
	v_fma_f64 v[142:143], v[142:143], v[148:149], v[178:179]
	s_waitcnt vmcnt(22) lgkmcnt(1)
	v_mul_f64 v[180:181], v[138:139], v[150:151]
	v_mul_f64 v[150:151], v[136:137], v[150:151]
	v_add_f64 v[1:2], v[1:2], v[174:175]
	v_add_f64 v[3:4], v[3:4], v[133:134]
	s_waitcnt vmcnt(18) lgkmcnt(0)
	v_mul_f64 v[133:134], v[146:147], v[154:155]
	v_mul_f64 v[148:149], v[144:145], v[154:155]
	v_fma_f64 v[154:155], v[136:137], v[152:153], -v[180:181]
	v_fma_f64 v[150:151], v[138:139], v[152:153], v[150:151]
	v_add_f64 v[140:141], v[1:2], v[140:141]
	v_add_f64 v[142:143], v[3:4], v[142:143]
	ds_read_b128 v[1:4], v182 offset:64
	ds_read_b128 v[136:139], v182 offset:80
	s_waitcnt vmcnt(16)
	v_fma_f64 v[133:134], v[144:145], v[156:157], -v[133:134]
	v_fma_f64 v[144:145], v[146:147], v[156:157], v[148:149]
	s_waitcnt vmcnt(12) lgkmcnt(1)
	v_mul_f64 v[152:153], v[3:4], v[158:159]
	v_mul_f64 v[158:159], v[1:2], v[158:159]
	v_add_f64 v[140:141], v[140:141], v[154:155]
	v_add_f64 v[142:143], v[142:143], v[150:151]
	s_waitcnt vmcnt(10) lgkmcnt(0)
	v_mul_f64 v[146:147], v[138:139], v[160:161]
	v_mul_f64 v[148:149], v[136:137], v[160:161]
	s_waitcnt vmcnt(8)
	v_fma_f64 v[150:151], v[1:2], v[164:165], -v[152:153]
	v_fma_f64 v[152:153], v[3:4], v[164:165], v[158:159]
	v_add_f64 v[133:134], v[140:141], v[133:134]
	v_add_f64 v[144:145], v[142:143], v[144:145]
	ds_read_b128 v[1:4], v182 offset:96
	ds_read_b128 v[140:143], v182 offset:112
	v_fma_f64 v[136:137], v[136:137], v[162:163], -v[146:147]
	v_fma_f64 v[138:139], v[138:139], v[162:163], v[148:149]
	s_waitcnt vmcnt(4) lgkmcnt(1)
	v_mul_f64 v[154:155], v[3:4], v[166:167]
	v_mul_f64 v[156:157], v[1:2], v[166:167]
	v_add_f64 v[133:134], v[133:134], v[150:151]
	v_add_f64 v[144:145], v[144:145], v[152:153]
	s_waitcnt vmcnt(2) lgkmcnt(0)
	v_mul_f64 v[146:147], v[142:143], v[168:169]
	v_mul_f64 v[148:149], v[140:141], v[168:169]
	s_waitcnt vmcnt(0)
	v_fma_f64 v[1:2], v[1:2], v[172:173], -v[154:155]
	v_fma_f64 v[3:4], v[3:4], v[172:173], v[156:157]
	v_add_f64 v[133:134], v[133:134], v[136:137]
	v_add_f64 v[136:137], v[144:145], v[138:139]
	v_fma_f64 v[138:139], v[140:141], v[170:171], -v[146:147]
	v_fma_f64 v[140:141], v[142:143], v[170:171], v[148:149]
	v_add_f64 v[1:2], v[133:134], v[1:2]
	v_add_f64 v[3:4], v[136:137], v[3:4]
	v_mov_b32_e32 v133, s74
	s_mov_b32 s74, s75
	v_add_f64 v[1:2], v[1:2], v[138:139]
	v_add_f64 v[3:4], v[3:4], v[140:141]
	s_andn2_b32 exec_lo, exec_lo, s71
	s_cbranch_execnz .LBB125_669
; %bb.670:
	s_or_b32 exec_lo, exec_lo, s71
.LBB125_671:
	s_or_b32 exec_lo, exec_lo, s5
	v_and_b32_e32 v131, 7, v131
	s_mov_b32 s71, 0
	s_mov_b32 s5, exec_lo
	v_cmpx_ne_u32_e32 0, v131
	s_cbranch_execz .LBB125_675
; %bb.672:
	v_lshlrev_b32_e32 v133, 4, v133
	v_add_nc_u32_e32 v132, 0x3e0, v133
	.p2align	6
.LBB125_673:                            ; =>This Inner Loop Header: Depth=1
	s_clause 0x3
	buffer_load_dword v140, v133, s[0:3], 0 offen offset:8
	buffer_load_dword v141, v133, s[0:3], 0 offen offset:12
	buffer_load_dword v142, v133, s[0:3], 0 offen
	buffer_load_dword v143, v133, s[0:3], 0 offen offset:4
	ds_read_b128 v[136:139], v132
	v_add_nc_u32_e32 v131, -1, v131
	v_add_nc_u32_e32 v132, 16, v132
	v_add_nc_u32_e32 v133, 16, v133
	v_cmp_eq_u32_e32 vcc_lo, 0, v131
	s_or_b32 s71, vcc_lo, s71
	s_waitcnt vmcnt(2) lgkmcnt(0)
	v_mul_f64 v[144:145], v[138:139], v[140:141]
	v_mul_f64 v[140:141], v[136:137], v[140:141]
	s_waitcnt vmcnt(0)
	v_fma_f64 v[136:137], v[136:137], v[142:143], -v[144:145]
	v_fma_f64 v[138:139], v[138:139], v[142:143], v[140:141]
	v_add_f64 v[1:2], v[1:2], v[136:137]
	v_add_f64 v[3:4], v[3:4], v[138:139]
	s_andn2_b32 exec_lo, exec_lo, s71
	s_cbranch_execnz .LBB125_673
; %bb.674:
	s_or_b32 exec_lo, exec_lo, s71
.LBB125_675:
	s_or_b32 exec_lo, exec_lo, s5
.LBB125_676:
	s_or_b32 exec_lo, exec_lo, s8
	v_mov_b32_e32 v131, 0
	ds_read_b128 v[131:134], v131 offset:192
	s_waitcnt lgkmcnt(0)
	v_mul_f64 v[136:137], v[3:4], v[133:134]
	v_mul_f64 v[133:134], v[1:2], v[133:134]
	v_fma_f64 v[1:2], v[1:2], v[131:132], -v[136:137]
	v_fma_f64 v[3:4], v[3:4], v[131:132], v[133:134]
	buffer_store_dword v2, off, s[0:3], 0 offset:196
	buffer_store_dword v1, off, s[0:3], 0 offset:192
	;; [unrolled: 1-line block ×4, first 2 shown]
.LBB125_677:
	s_or_b32 exec_lo, exec_lo, s6
	v_mov_b32_e32 v4, s60
	v_cmp_lt_u32_e64 s5, 11, v0
	s_clause 0x3
	buffer_load_dword v1, v4, s[0:3], 0 offen
	buffer_load_dword v2, v4, s[0:3], 0 offen offset:4
	buffer_load_dword v3, v4, s[0:3], 0 offen offset:8
	;; [unrolled: 1-line block ×3, first 2 shown]
	s_waitcnt vmcnt(0)
	ds_write_b128 v130, v[1:4]
	s_waitcnt lgkmcnt(0)
	s_waitcnt_vscnt null, 0x0
	s_barrier
	buffer_gl0_inv
	s_and_saveexec_b32 s6, s5
	s_cbranch_execz .LBB125_691
; %bb.678:
	ds_read_b128 v[1:4], v130
	s_andn2_b32 vcc_lo, exec_lo, s7
	s_cbranch_vccnz .LBB125_680
; %bb.679:
	s_clause 0x3
	buffer_load_dword v131, v129, s[0:3], 0 offen offset:8
	buffer_load_dword v132, v129, s[0:3], 0 offen offset:12
	buffer_load_dword v133, v129, s[0:3], 0 offen
	buffer_load_dword v134, v129, s[0:3], 0 offen offset:4
	s_waitcnt vmcnt(2) lgkmcnt(0)
	v_mul_f64 v[136:137], v[3:4], v[131:132]
	v_mul_f64 v[131:132], v[1:2], v[131:132]
	s_waitcnt vmcnt(0)
	v_fma_f64 v[1:2], v[1:2], v[133:134], -v[136:137]
	v_fma_f64 v[3:4], v[3:4], v[133:134], v[131:132]
.LBB125_680:
	s_and_saveexec_b32 s8, s4
	s_cbranch_execz .LBB125_690
; %bb.681:
	v_add_nc_u32_e32 v132, -13, v0
	v_add_nc_u32_e32 v131, -12, v0
	v_mov_b32_e32 v133, 12
	s_mov_b32 s4, exec_lo
	v_cmpx_lt_u32_e32 6, v132
	s_cbranch_execz .LBB125_685
; %bb.682:
	v_and_b32_e32 v132, -8, v131
	s_movk_i32 s72, 0x4a0
	s_mov_b32 s71, 0
	s_mov_b32 s73, s59
	;; [unrolled: 1-line block ×3, first 2 shown]
.LBB125_683:                            ; =>This Inner Loop Header: Depth=1
	v_mov_b32_e32 v136, s73
	v_mov_b32_e32 v182, s72
	s_add_i32 s75, s74, 8
	s_add_i32 s74, s74, 20
	v_cmp_eq_u32_e32 vcc_lo, s75, v132
	s_clause 0x1f
	buffer_load_dword v133, v136, s[0:3], 0 offen offset:8
	buffer_load_dword v134, v136, s[0:3], 0 offen offset:12
	buffer_load_dword v144, v136, s[0:3], 0 offen
	buffer_load_dword v145, v136, s[0:3], 0 offen offset:4
	buffer_load_dword v146, v136, s[0:3], 0 offen offset:24
	;; [unrolled: 1-line block ×29, first 2 shown]
	ds_read_b128 v[136:139], v182
	ds_read_b128 v[140:143], v182 offset:16
	s_addk_i32 s72, 0x80
	s_addk_i32 s73, 0x80
	s_or_b32 s71, vcc_lo, s71
	s_waitcnt vmcnt(30) lgkmcnt(1)
	v_mul_f64 v[174:175], v[138:139], v[133:134]
	v_mul_f64 v[133:134], v[136:137], v[133:134]
	s_waitcnt vmcnt(26) lgkmcnt(0)
	v_mul_f64 v[176:177], v[142:143], v[146:147]
	v_mul_f64 v[178:179], v[140:141], v[146:147]
	v_fma_f64 v[174:175], v[136:137], v[144:145], -v[174:175]
	v_fma_f64 v[133:134], v[138:139], v[144:145], v[133:134]
	ds_read_b128 v[136:139], v182 offset:32
	ds_read_b128 v[144:147], v182 offset:48
	s_waitcnt vmcnt(24)
	v_fma_f64 v[140:141], v[140:141], v[148:149], -v[176:177]
	v_fma_f64 v[142:143], v[142:143], v[148:149], v[178:179]
	s_waitcnt vmcnt(22) lgkmcnt(1)
	v_mul_f64 v[180:181], v[138:139], v[150:151]
	v_mul_f64 v[150:151], v[136:137], v[150:151]
	v_add_f64 v[1:2], v[1:2], v[174:175]
	v_add_f64 v[3:4], v[3:4], v[133:134]
	s_waitcnt vmcnt(18) lgkmcnt(0)
	v_mul_f64 v[133:134], v[146:147], v[154:155]
	v_mul_f64 v[148:149], v[144:145], v[154:155]
	v_fma_f64 v[154:155], v[136:137], v[152:153], -v[180:181]
	v_fma_f64 v[150:151], v[138:139], v[152:153], v[150:151]
	v_add_f64 v[140:141], v[1:2], v[140:141]
	v_add_f64 v[142:143], v[3:4], v[142:143]
	ds_read_b128 v[1:4], v182 offset:64
	ds_read_b128 v[136:139], v182 offset:80
	s_waitcnt vmcnt(16)
	v_fma_f64 v[133:134], v[144:145], v[156:157], -v[133:134]
	v_fma_f64 v[144:145], v[146:147], v[156:157], v[148:149]
	s_waitcnt vmcnt(12) lgkmcnt(1)
	v_mul_f64 v[152:153], v[3:4], v[158:159]
	v_mul_f64 v[158:159], v[1:2], v[158:159]
	v_add_f64 v[140:141], v[140:141], v[154:155]
	v_add_f64 v[142:143], v[142:143], v[150:151]
	s_waitcnt vmcnt(10) lgkmcnt(0)
	v_mul_f64 v[146:147], v[138:139], v[160:161]
	v_mul_f64 v[148:149], v[136:137], v[160:161]
	s_waitcnt vmcnt(8)
	v_fma_f64 v[150:151], v[1:2], v[164:165], -v[152:153]
	v_fma_f64 v[152:153], v[3:4], v[164:165], v[158:159]
	v_add_f64 v[133:134], v[140:141], v[133:134]
	v_add_f64 v[144:145], v[142:143], v[144:145]
	ds_read_b128 v[1:4], v182 offset:96
	ds_read_b128 v[140:143], v182 offset:112
	v_fma_f64 v[136:137], v[136:137], v[162:163], -v[146:147]
	v_fma_f64 v[138:139], v[138:139], v[162:163], v[148:149]
	s_waitcnt vmcnt(4) lgkmcnt(1)
	v_mul_f64 v[154:155], v[3:4], v[166:167]
	v_mul_f64 v[156:157], v[1:2], v[166:167]
	v_add_f64 v[133:134], v[133:134], v[150:151]
	v_add_f64 v[144:145], v[144:145], v[152:153]
	s_waitcnt vmcnt(2) lgkmcnt(0)
	v_mul_f64 v[146:147], v[142:143], v[168:169]
	v_mul_f64 v[148:149], v[140:141], v[168:169]
	s_waitcnt vmcnt(0)
	v_fma_f64 v[1:2], v[1:2], v[172:173], -v[154:155]
	v_fma_f64 v[3:4], v[3:4], v[172:173], v[156:157]
	v_add_f64 v[133:134], v[133:134], v[136:137]
	v_add_f64 v[136:137], v[144:145], v[138:139]
	v_fma_f64 v[138:139], v[140:141], v[170:171], -v[146:147]
	v_fma_f64 v[140:141], v[142:143], v[170:171], v[148:149]
	v_add_f64 v[1:2], v[133:134], v[1:2]
	v_add_f64 v[3:4], v[136:137], v[3:4]
	v_mov_b32_e32 v133, s74
	s_mov_b32 s74, s75
	v_add_f64 v[1:2], v[1:2], v[138:139]
	v_add_f64 v[3:4], v[3:4], v[140:141]
	s_andn2_b32 exec_lo, exec_lo, s71
	s_cbranch_execnz .LBB125_683
; %bb.684:
	s_or_b32 exec_lo, exec_lo, s71
.LBB125_685:
	s_or_b32 exec_lo, exec_lo, s4
	v_and_b32_e32 v131, 7, v131
	s_mov_b32 s71, 0
	s_mov_b32 s4, exec_lo
	v_cmpx_ne_u32_e32 0, v131
	s_cbranch_execz .LBB125_689
; %bb.686:
	v_lshlrev_b32_e32 v133, 4, v133
	v_add_nc_u32_e32 v132, 0x3e0, v133
	.p2align	6
.LBB125_687:                            ; =>This Inner Loop Header: Depth=1
	s_clause 0x3
	buffer_load_dword v140, v133, s[0:3], 0 offen offset:8
	buffer_load_dword v141, v133, s[0:3], 0 offen offset:12
	buffer_load_dword v142, v133, s[0:3], 0 offen
	buffer_load_dword v143, v133, s[0:3], 0 offen offset:4
	ds_read_b128 v[136:139], v132
	v_add_nc_u32_e32 v131, -1, v131
	v_add_nc_u32_e32 v132, 16, v132
	v_add_nc_u32_e32 v133, 16, v133
	v_cmp_eq_u32_e32 vcc_lo, 0, v131
	s_or_b32 s71, vcc_lo, s71
	s_waitcnt vmcnt(2) lgkmcnt(0)
	v_mul_f64 v[144:145], v[138:139], v[140:141]
	v_mul_f64 v[140:141], v[136:137], v[140:141]
	s_waitcnt vmcnt(0)
	v_fma_f64 v[136:137], v[136:137], v[142:143], -v[144:145]
	v_fma_f64 v[138:139], v[138:139], v[142:143], v[140:141]
	v_add_f64 v[1:2], v[1:2], v[136:137]
	v_add_f64 v[3:4], v[3:4], v[138:139]
	s_andn2_b32 exec_lo, exec_lo, s71
	s_cbranch_execnz .LBB125_687
; %bb.688:
	s_or_b32 exec_lo, exec_lo, s71
.LBB125_689:
	s_or_b32 exec_lo, exec_lo, s4
.LBB125_690:
	s_or_b32 exec_lo, exec_lo, s8
	v_mov_b32_e32 v131, 0
	ds_read_b128 v[131:134], v131 offset:176
	s_waitcnt lgkmcnt(0)
	v_mul_f64 v[136:137], v[3:4], v[133:134]
	v_mul_f64 v[133:134], v[1:2], v[133:134]
	v_fma_f64 v[1:2], v[1:2], v[131:132], -v[136:137]
	v_fma_f64 v[3:4], v[3:4], v[131:132], v[133:134]
	buffer_store_dword v2, off, s[0:3], 0 offset:180
	buffer_store_dword v1, off, s[0:3], 0 offset:176
	;; [unrolled: 1-line block ×4, first 2 shown]
.LBB125_691:
	s_or_b32 exec_lo, exec_lo, s6
	v_mov_b32_e32 v4, s61
	v_cmp_lt_u32_e64 s4, 10, v0
	s_clause 0x3
	buffer_load_dword v1, v4, s[0:3], 0 offen
	buffer_load_dword v2, v4, s[0:3], 0 offen offset:4
	buffer_load_dword v3, v4, s[0:3], 0 offen offset:8
	buffer_load_dword v4, v4, s[0:3], 0 offen offset:12
	s_waitcnt vmcnt(0)
	ds_write_b128 v130, v[1:4]
	s_waitcnt lgkmcnt(0)
	s_waitcnt_vscnt null, 0x0
	s_barrier
	buffer_gl0_inv
	s_and_saveexec_b32 s6, s4
	s_cbranch_execz .LBB125_705
; %bb.692:
	ds_read_b128 v[1:4], v130
	s_andn2_b32 vcc_lo, exec_lo, s7
	s_cbranch_vccnz .LBB125_694
; %bb.693:
	s_clause 0x3
	buffer_load_dword v131, v129, s[0:3], 0 offen offset:8
	buffer_load_dword v132, v129, s[0:3], 0 offen offset:12
	buffer_load_dword v133, v129, s[0:3], 0 offen
	buffer_load_dword v134, v129, s[0:3], 0 offen offset:4
	s_waitcnt vmcnt(2) lgkmcnt(0)
	v_mul_f64 v[136:137], v[3:4], v[131:132]
	v_mul_f64 v[131:132], v[1:2], v[131:132]
	s_waitcnt vmcnt(0)
	v_fma_f64 v[1:2], v[1:2], v[133:134], -v[136:137]
	v_fma_f64 v[3:4], v[3:4], v[133:134], v[131:132]
.LBB125_694:
	s_and_saveexec_b32 s8, s5
	s_cbranch_execz .LBB125_704
; %bb.695:
	v_add_nc_u32_e32 v132, -12, v0
	v_add_nc_u32_e32 v131, -11, v0
	v_mov_b32_e32 v133, 11
	s_mov_b32 s5, exec_lo
	v_cmpx_lt_u32_e32 6, v132
	s_cbranch_execz .LBB125_699
; %bb.696:
	v_and_b32_e32 v132, -8, v131
	s_movk_i32 s72, 0x490
	s_mov_b32 s71, 0
	s_mov_b32 s73, s60
	;; [unrolled: 1-line block ×3, first 2 shown]
.LBB125_697:                            ; =>This Inner Loop Header: Depth=1
	v_mov_b32_e32 v136, s73
	v_mov_b32_e32 v182, s72
	s_add_i32 s75, s74, 8
	s_add_i32 s74, s74, 19
	v_cmp_eq_u32_e32 vcc_lo, s75, v132
	s_clause 0x1f
	buffer_load_dword v133, v136, s[0:3], 0 offen offset:8
	buffer_load_dword v134, v136, s[0:3], 0 offen offset:12
	buffer_load_dword v144, v136, s[0:3], 0 offen
	buffer_load_dword v145, v136, s[0:3], 0 offen offset:4
	buffer_load_dword v146, v136, s[0:3], 0 offen offset:24
	;; [unrolled: 1-line block ×29, first 2 shown]
	ds_read_b128 v[136:139], v182
	ds_read_b128 v[140:143], v182 offset:16
	s_addk_i32 s72, 0x80
	s_addk_i32 s73, 0x80
	s_or_b32 s71, vcc_lo, s71
	s_waitcnt vmcnt(30) lgkmcnt(1)
	v_mul_f64 v[174:175], v[138:139], v[133:134]
	v_mul_f64 v[133:134], v[136:137], v[133:134]
	s_waitcnt vmcnt(26) lgkmcnt(0)
	v_mul_f64 v[176:177], v[142:143], v[146:147]
	v_mul_f64 v[178:179], v[140:141], v[146:147]
	v_fma_f64 v[174:175], v[136:137], v[144:145], -v[174:175]
	v_fma_f64 v[133:134], v[138:139], v[144:145], v[133:134]
	ds_read_b128 v[136:139], v182 offset:32
	ds_read_b128 v[144:147], v182 offset:48
	s_waitcnt vmcnt(24)
	v_fma_f64 v[140:141], v[140:141], v[148:149], -v[176:177]
	v_fma_f64 v[142:143], v[142:143], v[148:149], v[178:179]
	s_waitcnt vmcnt(22) lgkmcnt(1)
	v_mul_f64 v[180:181], v[138:139], v[150:151]
	v_mul_f64 v[150:151], v[136:137], v[150:151]
	v_add_f64 v[1:2], v[1:2], v[174:175]
	v_add_f64 v[3:4], v[3:4], v[133:134]
	s_waitcnt vmcnt(18) lgkmcnt(0)
	v_mul_f64 v[133:134], v[146:147], v[154:155]
	v_mul_f64 v[148:149], v[144:145], v[154:155]
	v_fma_f64 v[154:155], v[136:137], v[152:153], -v[180:181]
	v_fma_f64 v[150:151], v[138:139], v[152:153], v[150:151]
	v_add_f64 v[140:141], v[1:2], v[140:141]
	v_add_f64 v[142:143], v[3:4], v[142:143]
	ds_read_b128 v[1:4], v182 offset:64
	ds_read_b128 v[136:139], v182 offset:80
	s_waitcnt vmcnt(16)
	v_fma_f64 v[133:134], v[144:145], v[156:157], -v[133:134]
	v_fma_f64 v[144:145], v[146:147], v[156:157], v[148:149]
	s_waitcnt vmcnt(12) lgkmcnt(1)
	v_mul_f64 v[152:153], v[3:4], v[158:159]
	v_mul_f64 v[158:159], v[1:2], v[158:159]
	v_add_f64 v[140:141], v[140:141], v[154:155]
	v_add_f64 v[142:143], v[142:143], v[150:151]
	s_waitcnt vmcnt(10) lgkmcnt(0)
	v_mul_f64 v[146:147], v[138:139], v[160:161]
	v_mul_f64 v[148:149], v[136:137], v[160:161]
	s_waitcnt vmcnt(8)
	v_fma_f64 v[150:151], v[1:2], v[164:165], -v[152:153]
	v_fma_f64 v[152:153], v[3:4], v[164:165], v[158:159]
	v_add_f64 v[133:134], v[140:141], v[133:134]
	v_add_f64 v[144:145], v[142:143], v[144:145]
	ds_read_b128 v[1:4], v182 offset:96
	ds_read_b128 v[140:143], v182 offset:112
	v_fma_f64 v[136:137], v[136:137], v[162:163], -v[146:147]
	v_fma_f64 v[138:139], v[138:139], v[162:163], v[148:149]
	s_waitcnt vmcnt(4) lgkmcnt(1)
	v_mul_f64 v[154:155], v[3:4], v[166:167]
	v_mul_f64 v[156:157], v[1:2], v[166:167]
	v_add_f64 v[133:134], v[133:134], v[150:151]
	v_add_f64 v[144:145], v[144:145], v[152:153]
	s_waitcnt vmcnt(2) lgkmcnt(0)
	v_mul_f64 v[146:147], v[142:143], v[168:169]
	v_mul_f64 v[148:149], v[140:141], v[168:169]
	s_waitcnt vmcnt(0)
	v_fma_f64 v[1:2], v[1:2], v[172:173], -v[154:155]
	v_fma_f64 v[3:4], v[3:4], v[172:173], v[156:157]
	v_add_f64 v[133:134], v[133:134], v[136:137]
	v_add_f64 v[136:137], v[144:145], v[138:139]
	v_fma_f64 v[138:139], v[140:141], v[170:171], -v[146:147]
	v_fma_f64 v[140:141], v[142:143], v[170:171], v[148:149]
	v_add_f64 v[1:2], v[133:134], v[1:2]
	v_add_f64 v[3:4], v[136:137], v[3:4]
	v_mov_b32_e32 v133, s74
	s_mov_b32 s74, s75
	v_add_f64 v[1:2], v[1:2], v[138:139]
	v_add_f64 v[3:4], v[3:4], v[140:141]
	s_andn2_b32 exec_lo, exec_lo, s71
	s_cbranch_execnz .LBB125_697
; %bb.698:
	s_or_b32 exec_lo, exec_lo, s71
.LBB125_699:
	s_or_b32 exec_lo, exec_lo, s5
	v_and_b32_e32 v131, 7, v131
	s_mov_b32 s71, 0
	s_mov_b32 s5, exec_lo
	v_cmpx_ne_u32_e32 0, v131
	s_cbranch_execz .LBB125_703
; %bb.700:
	v_lshlrev_b32_e32 v133, 4, v133
	v_add_nc_u32_e32 v132, 0x3e0, v133
	.p2align	6
.LBB125_701:                            ; =>This Inner Loop Header: Depth=1
	s_clause 0x3
	buffer_load_dword v140, v133, s[0:3], 0 offen offset:8
	buffer_load_dword v141, v133, s[0:3], 0 offen offset:12
	buffer_load_dword v142, v133, s[0:3], 0 offen
	buffer_load_dword v143, v133, s[0:3], 0 offen offset:4
	ds_read_b128 v[136:139], v132
	v_add_nc_u32_e32 v131, -1, v131
	v_add_nc_u32_e32 v132, 16, v132
	v_add_nc_u32_e32 v133, 16, v133
	v_cmp_eq_u32_e32 vcc_lo, 0, v131
	s_or_b32 s71, vcc_lo, s71
	s_waitcnt vmcnt(2) lgkmcnt(0)
	v_mul_f64 v[144:145], v[138:139], v[140:141]
	v_mul_f64 v[140:141], v[136:137], v[140:141]
	s_waitcnt vmcnt(0)
	v_fma_f64 v[136:137], v[136:137], v[142:143], -v[144:145]
	v_fma_f64 v[138:139], v[138:139], v[142:143], v[140:141]
	v_add_f64 v[1:2], v[1:2], v[136:137]
	v_add_f64 v[3:4], v[3:4], v[138:139]
	s_andn2_b32 exec_lo, exec_lo, s71
	s_cbranch_execnz .LBB125_701
; %bb.702:
	s_or_b32 exec_lo, exec_lo, s71
.LBB125_703:
	s_or_b32 exec_lo, exec_lo, s5
.LBB125_704:
	s_or_b32 exec_lo, exec_lo, s8
	v_mov_b32_e32 v131, 0
	ds_read_b128 v[131:134], v131 offset:160
	s_waitcnt lgkmcnt(0)
	v_mul_f64 v[136:137], v[3:4], v[133:134]
	v_mul_f64 v[133:134], v[1:2], v[133:134]
	v_fma_f64 v[1:2], v[1:2], v[131:132], -v[136:137]
	v_fma_f64 v[3:4], v[3:4], v[131:132], v[133:134]
	buffer_store_dword v2, off, s[0:3], 0 offset:164
	buffer_store_dword v1, off, s[0:3], 0 offset:160
	;; [unrolled: 1-line block ×4, first 2 shown]
.LBB125_705:
	s_or_b32 exec_lo, exec_lo, s6
	v_mov_b32_e32 v4, s62
	v_cmp_lt_u32_e64 s5, 9, v0
	s_clause 0x3
	buffer_load_dword v1, v4, s[0:3], 0 offen
	buffer_load_dword v2, v4, s[0:3], 0 offen offset:4
	buffer_load_dword v3, v4, s[0:3], 0 offen offset:8
	;; [unrolled: 1-line block ×3, first 2 shown]
	s_waitcnt vmcnt(0)
	ds_write_b128 v130, v[1:4]
	s_waitcnt lgkmcnt(0)
	s_waitcnt_vscnt null, 0x0
	s_barrier
	buffer_gl0_inv
	s_and_saveexec_b32 s6, s5
	s_cbranch_execz .LBB125_719
; %bb.706:
	ds_read_b128 v[1:4], v130
	s_andn2_b32 vcc_lo, exec_lo, s7
	s_cbranch_vccnz .LBB125_708
; %bb.707:
	s_clause 0x3
	buffer_load_dword v131, v129, s[0:3], 0 offen offset:8
	buffer_load_dword v132, v129, s[0:3], 0 offen offset:12
	buffer_load_dword v133, v129, s[0:3], 0 offen
	buffer_load_dword v134, v129, s[0:3], 0 offen offset:4
	s_waitcnt vmcnt(2) lgkmcnt(0)
	v_mul_f64 v[136:137], v[3:4], v[131:132]
	v_mul_f64 v[131:132], v[1:2], v[131:132]
	s_waitcnt vmcnt(0)
	v_fma_f64 v[1:2], v[1:2], v[133:134], -v[136:137]
	v_fma_f64 v[3:4], v[3:4], v[133:134], v[131:132]
.LBB125_708:
	s_and_saveexec_b32 s8, s4
	s_cbranch_execz .LBB125_718
; %bb.709:
	v_add_nc_u32_e32 v132, -11, v0
	v_add_nc_u32_e32 v131, -10, v0
	v_mov_b32_e32 v133, 10
	s_mov_b32 s4, exec_lo
	v_cmpx_lt_u32_e32 6, v132
	s_cbranch_execz .LBB125_713
; %bb.710:
	v_and_b32_e32 v132, -8, v131
	s_movk_i32 s72, 0x480
	s_mov_b32 s71, 0
	s_mov_b32 s73, s61
	;; [unrolled: 1-line block ×3, first 2 shown]
.LBB125_711:                            ; =>This Inner Loop Header: Depth=1
	v_mov_b32_e32 v136, s73
	v_mov_b32_e32 v182, s72
	s_add_i32 s75, s74, 8
	s_add_i32 s74, s74, 18
	v_cmp_eq_u32_e32 vcc_lo, s75, v132
	s_clause 0x1f
	buffer_load_dword v133, v136, s[0:3], 0 offen offset:8
	buffer_load_dword v134, v136, s[0:3], 0 offen offset:12
	buffer_load_dword v144, v136, s[0:3], 0 offen
	buffer_load_dword v145, v136, s[0:3], 0 offen offset:4
	buffer_load_dword v146, v136, s[0:3], 0 offen offset:24
	;; [unrolled: 1-line block ×29, first 2 shown]
	ds_read_b128 v[136:139], v182
	ds_read_b128 v[140:143], v182 offset:16
	s_addk_i32 s72, 0x80
	s_addk_i32 s73, 0x80
	s_or_b32 s71, vcc_lo, s71
	s_waitcnt vmcnt(30) lgkmcnt(1)
	v_mul_f64 v[174:175], v[138:139], v[133:134]
	v_mul_f64 v[133:134], v[136:137], v[133:134]
	s_waitcnt vmcnt(26) lgkmcnt(0)
	v_mul_f64 v[176:177], v[142:143], v[146:147]
	v_mul_f64 v[178:179], v[140:141], v[146:147]
	v_fma_f64 v[174:175], v[136:137], v[144:145], -v[174:175]
	v_fma_f64 v[133:134], v[138:139], v[144:145], v[133:134]
	ds_read_b128 v[136:139], v182 offset:32
	ds_read_b128 v[144:147], v182 offset:48
	s_waitcnt vmcnt(24)
	v_fma_f64 v[140:141], v[140:141], v[148:149], -v[176:177]
	v_fma_f64 v[142:143], v[142:143], v[148:149], v[178:179]
	s_waitcnt vmcnt(22) lgkmcnt(1)
	v_mul_f64 v[180:181], v[138:139], v[150:151]
	v_mul_f64 v[150:151], v[136:137], v[150:151]
	v_add_f64 v[1:2], v[1:2], v[174:175]
	v_add_f64 v[3:4], v[3:4], v[133:134]
	s_waitcnt vmcnt(18) lgkmcnt(0)
	v_mul_f64 v[133:134], v[146:147], v[154:155]
	v_mul_f64 v[148:149], v[144:145], v[154:155]
	v_fma_f64 v[154:155], v[136:137], v[152:153], -v[180:181]
	v_fma_f64 v[150:151], v[138:139], v[152:153], v[150:151]
	v_add_f64 v[140:141], v[1:2], v[140:141]
	v_add_f64 v[142:143], v[3:4], v[142:143]
	ds_read_b128 v[1:4], v182 offset:64
	ds_read_b128 v[136:139], v182 offset:80
	s_waitcnt vmcnt(16)
	v_fma_f64 v[133:134], v[144:145], v[156:157], -v[133:134]
	v_fma_f64 v[144:145], v[146:147], v[156:157], v[148:149]
	s_waitcnt vmcnt(12) lgkmcnt(1)
	v_mul_f64 v[152:153], v[3:4], v[158:159]
	v_mul_f64 v[158:159], v[1:2], v[158:159]
	v_add_f64 v[140:141], v[140:141], v[154:155]
	v_add_f64 v[142:143], v[142:143], v[150:151]
	s_waitcnt vmcnt(10) lgkmcnt(0)
	v_mul_f64 v[146:147], v[138:139], v[160:161]
	v_mul_f64 v[148:149], v[136:137], v[160:161]
	s_waitcnt vmcnt(8)
	v_fma_f64 v[150:151], v[1:2], v[164:165], -v[152:153]
	v_fma_f64 v[152:153], v[3:4], v[164:165], v[158:159]
	v_add_f64 v[133:134], v[140:141], v[133:134]
	v_add_f64 v[144:145], v[142:143], v[144:145]
	ds_read_b128 v[1:4], v182 offset:96
	ds_read_b128 v[140:143], v182 offset:112
	v_fma_f64 v[136:137], v[136:137], v[162:163], -v[146:147]
	v_fma_f64 v[138:139], v[138:139], v[162:163], v[148:149]
	s_waitcnt vmcnt(4) lgkmcnt(1)
	v_mul_f64 v[154:155], v[3:4], v[166:167]
	v_mul_f64 v[156:157], v[1:2], v[166:167]
	v_add_f64 v[133:134], v[133:134], v[150:151]
	v_add_f64 v[144:145], v[144:145], v[152:153]
	s_waitcnt vmcnt(2) lgkmcnt(0)
	v_mul_f64 v[146:147], v[142:143], v[168:169]
	v_mul_f64 v[148:149], v[140:141], v[168:169]
	s_waitcnt vmcnt(0)
	v_fma_f64 v[1:2], v[1:2], v[172:173], -v[154:155]
	v_fma_f64 v[3:4], v[3:4], v[172:173], v[156:157]
	v_add_f64 v[133:134], v[133:134], v[136:137]
	v_add_f64 v[136:137], v[144:145], v[138:139]
	v_fma_f64 v[138:139], v[140:141], v[170:171], -v[146:147]
	v_fma_f64 v[140:141], v[142:143], v[170:171], v[148:149]
	v_add_f64 v[1:2], v[133:134], v[1:2]
	v_add_f64 v[3:4], v[136:137], v[3:4]
	v_mov_b32_e32 v133, s74
	s_mov_b32 s74, s75
	v_add_f64 v[1:2], v[1:2], v[138:139]
	v_add_f64 v[3:4], v[3:4], v[140:141]
	s_andn2_b32 exec_lo, exec_lo, s71
	s_cbranch_execnz .LBB125_711
; %bb.712:
	s_or_b32 exec_lo, exec_lo, s71
.LBB125_713:
	s_or_b32 exec_lo, exec_lo, s4
	v_and_b32_e32 v131, 7, v131
	s_mov_b32 s71, 0
	s_mov_b32 s4, exec_lo
	v_cmpx_ne_u32_e32 0, v131
	s_cbranch_execz .LBB125_717
; %bb.714:
	v_lshlrev_b32_e32 v133, 4, v133
	v_add_nc_u32_e32 v132, 0x3e0, v133
	.p2align	6
.LBB125_715:                            ; =>This Inner Loop Header: Depth=1
	s_clause 0x3
	buffer_load_dword v140, v133, s[0:3], 0 offen offset:8
	buffer_load_dword v141, v133, s[0:3], 0 offen offset:12
	buffer_load_dword v142, v133, s[0:3], 0 offen
	buffer_load_dword v143, v133, s[0:3], 0 offen offset:4
	ds_read_b128 v[136:139], v132
	v_add_nc_u32_e32 v131, -1, v131
	v_add_nc_u32_e32 v132, 16, v132
	v_add_nc_u32_e32 v133, 16, v133
	v_cmp_eq_u32_e32 vcc_lo, 0, v131
	s_or_b32 s71, vcc_lo, s71
	s_waitcnt vmcnt(2) lgkmcnt(0)
	v_mul_f64 v[144:145], v[138:139], v[140:141]
	v_mul_f64 v[140:141], v[136:137], v[140:141]
	s_waitcnt vmcnt(0)
	v_fma_f64 v[136:137], v[136:137], v[142:143], -v[144:145]
	v_fma_f64 v[138:139], v[138:139], v[142:143], v[140:141]
	v_add_f64 v[1:2], v[1:2], v[136:137]
	v_add_f64 v[3:4], v[3:4], v[138:139]
	s_andn2_b32 exec_lo, exec_lo, s71
	s_cbranch_execnz .LBB125_715
; %bb.716:
	s_or_b32 exec_lo, exec_lo, s71
.LBB125_717:
	s_or_b32 exec_lo, exec_lo, s4
.LBB125_718:
	s_or_b32 exec_lo, exec_lo, s8
	v_mov_b32_e32 v131, 0
	ds_read_b128 v[131:134], v131 offset:144
	s_waitcnt lgkmcnt(0)
	v_mul_f64 v[136:137], v[3:4], v[133:134]
	v_mul_f64 v[133:134], v[1:2], v[133:134]
	v_fma_f64 v[1:2], v[1:2], v[131:132], -v[136:137]
	v_fma_f64 v[3:4], v[3:4], v[131:132], v[133:134]
	buffer_store_dword v2, off, s[0:3], 0 offset:148
	buffer_store_dword v1, off, s[0:3], 0 offset:144
	;; [unrolled: 1-line block ×4, first 2 shown]
.LBB125_719:
	s_or_b32 exec_lo, exec_lo, s6
	v_mov_b32_e32 v4, s63
	v_cmp_lt_u32_e64 s4, 8, v0
	s_clause 0x3
	buffer_load_dword v1, v4, s[0:3], 0 offen
	buffer_load_dword v2, v4, s[0:3], 0 offen offset:4
	buffer_load_dword v3, v4, s[0:3], 0 offen offset:8
	;; [unrolled: 1-line block ×3, first 2 shown]
	s_waitcnt vmcnt(0)
	ds_write_b128 v130, v[1:4]
	s_waitcnt lgkmcnt(0)
	s_waitcnt_vscnt null, 0x0
	s_barrier
	buffer_gl0_inv
	s_and_saveexec_b32 s6, s4
	s_cbranch_execz .LBB125_733
; %bb.720:
	ds_read_b128 v[1:4], v130
	s_andn2_b32 vcc_lo, exec_lo, s7
	s_cbranch_vccnz .LBB125_722
; %bb.721:
	s_clause 0x3
	buffer_load_dword v131, v129, s[0:3], 0 offen offset:8
	buffer_load_dword v132, v129, s[0:3], 0 offen offset:12
	buffer_load_dword v133, v129, s[0:3], 0 offen
	buffer_load_dword v134, v129, s[0:3], 0 offen offset:4
	s_waitcnt vmcnt(2) lgkmcnt(0)
	v_mul_f64 v[136:137], v[3:4], v[131:132]
	v_mul_f64 v[131:132], v[1:2], v[131:132]
	s_waitcnt vmcnt(0)
	v_fma_f64 v[1:2], v[1:2], v[133:134], -v[136:137]
	v_fma_f64 v[3:4], v[3:4], v[133:134], v[131:132]
.LBB125_722:
	s_and_saveexec_b32 s8, s5
	s_cbranch_execz .LBB125_732
; %bb.723:
	v_add_nc_u32_e32 v132, -10, v0
	v_add_nc_u32_e32 v131, -9, v0
	v_mov_b32_e32 v133, 9
	s_mov_b32 s5, exec_lo
	v_cmpx_lt_u32_e32 6, v132
	s_cbranch_execz .LBB125_727
; %bb.724:
	v_and_b32_e32 v132, -8, v131
	s_movk_i32 s72, 0x470
	s_mov_b32 s71, 0
	s_mov_b32 s73, s62
	;; [unrolled: 1-line block ×3, first 2 shown]
.LBB125_725:                            ; =>This Inner Loop Header: Depth=1
	v_mov_b32_e32 v136, s73
	v_mov_b32_e32 v182, s72
	s_add_i32 s75, s74, 8
	s_add_i32 s74, s74, 17
	v_cmp_eq_u32_e32 vcc_lo, s75, v132
	s_clause 0x1f
	buffer_load_dword v133, v136, s[0:3], 0 offen offset:8
	buffer_load_dword v134, v136, s[0:3], 0 offen offset:12
	buffer_load_dword v144, v136, s[0:3], 0 offen
	buffer_load_dword v145, v136, s[0:3], 0 offen offset:4
	buffer_load_dword v146, v136, s[0:3], 0 offen offset:24
	;; [unrolled: 1-line block ×29, first 2 shown]
	ds_read_b128 v[136:139], v182
	ds_read_b128 v[140:143], v182 offset:16
	s_addk_i32 s72, 0x80
	s_addk_i32 s73, 0x80
	s_or_b32 s71, vcc_lo, s71
	s_waitcnt vmcnt(30) lgkmcnt(1)
	v_mul_f64 v[174:175], v[138:139], v[133:134]
	v_mul_f64 v[133:134], v[136:137], v[133:134]
	s_waitcnt vmcnt(26) lgkmcnt(0)
	v_mul_f64 v[176:177], v[142:143], v[146:147]
	v_mul_f64 v[178:179], v[140:141], v[146:147]
	v_fma_f64 v[174:175], v[136:137], v[144:145], -v[174:175]
	v_fma_f64 v[133:134], v[138:139], v[144:145], v[133:134]
	ds_read_b128 v[136:139], v182 offset:32
	ds_read_b128 v[144:147], v182 offset:48
	s_waitcnt vmcnt(24)
	v_fma_f64 v[140:141], v[140:141], v[148:149], -v[176:177]
	v_fma_f64 v[142:143], v[142:143], v[148:149], v[178:179]
	s_waitcnt vmcnt(22) lgkmcnt(1)
	v_mul_f64 v[180:181], v[138:139], v[150:151]
	v_mul_f64 v[150:151], v[136:137], v[150:151]
	v_add_f64 v[1:2], v[1:2], v[174:175]
	v_add_f64 v[3:4], v[3:4], v[133:134]
	s_waitcnt vmcnt(18) lgkmcnt(0)
	v_mul_f64 v[133:134], v[146:147], v[154:155]
	v_mul_f64 v[148:149], v[144:145], v[154:155]
	v_fma_f64 v[154:155], v[136:137], v[152:153], -v[180:181]
	v_fma_f64 v[150:151], v[138:139], v[152:153], v[150:151]
	v_add_f64 v[140:141], v[1:2], v[140:141]
	v_add_f64 v[142:143], v[3:4], v[142:143]
	ds_read_b128 v[1:4], v182 offset:64
	ds_read_b128 v[136:139], v182 offset:80
	s_waitcnt vmcnt(16)
	v_fma_f64 v[133:134], v[144:145], v[156:157], -v[133:134]
	v_fma_f64 v[144:145], v[146:147], v[156:157], v[148:149]
	s_waitcnt vmcnt(12) lgkmcnt(1)
	v_mul_f64 v[152:153], v[3:4], v[158:159]
	v_mul_f64 v[158:159], v[1:2], v[158:159]
	v_add_f64 v[140:141], v[140:141], v[154:155]
	v_add_f64 v[142:143], v[142:143], v[150:151]
	s_waitcnt vmcnt(10) lgkmcnt(0)
	v_mul_f64 v[146:147], v[138:139], v[160:161]
	v_mul_f64 v[148:149], v[136:137], v[160:161]
	s_waitcnt vmcnt(8)
	v_fma_f64 v[150:151], v[1:2], v[164:165], -v[152:153]
	v_fma_f64 v[152:153], v[3:4], v[164:165], v[158:159]
	v_add_f64 v[133:134], v[140:141], v[133:134]
	v_add_f64 v[144:145], v[142:143], v[144:145]
	ds_read_b128 v[1:4], v182 offset:96
	ds_read_b128 v[140:143], v182 offset:112
	v_fma_f64 v[136:137], v[136:137], v[162:163], -v[146:147]
	v_fma_f64 v[138:139], v[138:139], v[162:163], v[148:149]
	s_waitcnt vmcnt(4) lgkmcnt(1)
	v_mul_f64 v[154:155], v[3:4], v[166:167]
	v_mul_f64 v[156:157], v[1:2], v[166:167]
	v_add_f64 v[133:134], v[133:134], v[150:151]
	v_add_f64 v[144:145], v[144:145], v[152:153]
	s_waitcnt vmcnt(2) lgkmcnt(0)
	v_mul_f64 v[146:147], v[142:143], v[168:169]
	v_mul_f64 v[148:149], v[140:141], v[168:169]
	s_waitcnt vmcnt(0)
	v_fma_f64 v[1:2], v[1:2], v[172:173], -v[154:155]
	v_fma_f64 v[3:4], v[3:4], v[172:173], v[156:157]
	v_add_f64 v[133:134], v[133:134], v[136:137]
	v_add_f64 v[136:137], v[144:145], v[138:139]
	v_fma_f64 v[138:139], v[140:141], v[170:171], -v[146:147]
	v_fma_f64 v[140:141], v[142:143], v[170:171], v[148:149]
	v_add_f64 v[1:2], v[133:134], v[1:2]
	v_add_f64 v[3:4], v[136:137], v[3:4]
	v_mov_b32_e32 v133, s74
	s_mov_b32 s74, s75
	v_add_f64 v[1:2], v[1:2], v[138:139]
	v_add_f64 v[3:4], v[3:4], v[140:141]
	s_andn2_b32 exec_lo, exec_lo, s71
	s_cbranch_execnz .LBB125_725
; %bb.726:
	s_or_b32 exec_lo, exec_lo, s71
.LBB125_727:
	s_or_b32 exec_lo, exec_lo, s5
	v_and_b32_e32 v131, 7, v131
	s_mov_b32 s71, 0
	s_mov_b32 s5, exec_lo
	v_cmpx_ne_u32_e32 0, v131
	s_cbranch_execz .LBB125_731
; %bb.728:
	v_lshlrev_b32_e32 v133, 4, v133
	v_add_nc_u32_e32 v132, 0x3e0, v133
	.p2align	6
.LBB125_729:                            ; =>This Inner Loop Header: Depth=1
	s_clause 0x3
	buffer_load_dword v140, v133, s[0:3], 0 offen offset:8
	buffer_load_dword v141, v133, s[0:3], 0 offen offset:12
	buffer_load_dword v142, v133, s[0:3], 0 offen
	buffer_load_dword v143, v133, s[0:3], 0 offen offset:4
	ds_read_b128 v[136:139], v132
	v_add_nc_u32_e32 v131, -1, v131
	v_add_nc_u32_e32 v132, 16, v132
	v_add_nc_u32_e32 v133, 16, v133
	v_cmp_eq_u32_e32 vcc_lo, 0, v131
	s_or_b32 s71, vcc_lo, s71
	s_waitcnt vmcnt(2) lgkmcnt(0)
	v_mul_f64 v[144:145], v[138:139], v[140:141]
	v_mul_f64 v[140:141], v[136:137], v[140:141]
	s_waitcnt vmcnt(0)
	v_fma_f64 v[136:137], v[136:137], v[142:143], -v[144:145]
	v_fma_f64 v[138:139], v[138:139], v[142:143], v[140:141]
	v_add_f64 v[1:2], v[1:2], v[136:137]
	v_add_f64 v[3:4], v[3:4], v[138:139]
	s_andn2_b32 exec_lo, exec_lo, s71
	s_cbranch_execnz .LBB125_729
; %bb.730:
	s_or_b32 exec_lo, exec_lo, s71
.LBB125_731:
	s_or_b32 exec_lo, exec_lo, s5
.LBB125_732:
	s_or_b32 exec_lo, exec_lo, s8
	v_mov_b32_e32 v131, 0
	ds_read_b128 v[131:134], v131 offset:128
	s_waitcnt lgkmcnt(0)
	v_mul_f64 v[136:137], v[3:4], v[133:134]
	v_mul_f64 v[133:134], v[1:2], v[133:134]
	v_fma_f64 v[1:2], v[1:2], v[131:132], -v[136:137]
	v_fma_f64 v[3:4], v[3:4], v[131:132], v[133:134]
	buffer_store_dword v2, off, s[0:3], 0 offset:132
	buffer_store_dword v1, off, s[0:3], 0 offset:128
	;; [unrolled: 1-line block ×4, first 2 shown]
.LBB125_733:
	s_or_b32 exec_lo, exec_lo, s6
	v_mov_b32_e32 v4, s64
	v_cmp_lt_u32_e64 s5, 7, v0
	s_clause 0x3
	buffer_load_dword v1, v4, s[0:3], 0 offen
	buffer_load_dword v2, v4, s[0:3], 0 offen offset:4
	buffer_load_dword v3, v4, s[0:3], 0 offen offset:8
	;; [unrolled: 1-line block ×3, first 2 shown]
	s_waitcnt vmcnt(0)
	ds_write_b128 v130, v[1:4]
	s_waitcnt lgkmcnt(0)
	s_waitcnt_vscnt null, 0x0
	s_barrier
	buffer_gl0_inv
	s_and_saveexec_b32 s6, s5
	s_cbranch_execz .LBB125_747
; %bb.734:
	ds_read_b128 v[1:4], v130
	s_andn2_b32 vcc_lo, exec_lo, s7
	s_cbranch_vccnz .LBB125_736
; %bb.735:
	s_clause 0x3
	buffer_load_dword v131, v129, s[0:3], 0 offen offset:8
	buffer_load_dword v132, v129, s[0:3], 0 offen offset:12
	buffer_load_dword v133, v129, s[0:3], 0 offen
	buffer_load_dword v134, v129, s[0:3], 0 offen offset:4
	s_waitcnt vmcnt(2) lgkmcnt(0)
	v_mul_f64 v[136:137], v[3:4], v[131:132]
	v_mul_f64 v[131:132], v[1:2], v[131:132]
	s_waitcnt vmcnt(0)
	v_fma_f64 v[1:2], v[1:2], v[133:134], -v[136:137]
	v_fma_f64 v[3:4], v[3:4], v[133:134], v[131:132]
.LBB125_736:
	s_and_saveexec_b32 s8, s4
	s_cbranch_execz .LBB125_746
; %bb.737:
	v_add_nc_u32_e32 v131, -9, v0
	v_cmp_lt_u32_e32 vcc_lo, 6, v131
	v_mov_b32_e32 v131, 8
	s_and_saveexec_b32 s4, vcc_lo
	s_cbranch_execz .LBB125_741
; %bb.738:
	v_and_b32_e32 v131, 56, v0
	s_mov_b32 s71, 8
	s_movk_i32 s73, 0x460
	s_mov_b32 s72, 0
	s_mov_b32 s74, s63
.LBB125_739:                            ; =>This Inner Loop Header: Depth=1
	v_mov_b32_e32 v134, s74
	s_add_i32 s71, s71, 8
	s_addk_i32 s74, 0x80
	v_cmp_eq_u32_e32 vcc_lo, s71, v131
	s_clause 0x1f
	buffer_load_dword v132, v134, s[0:3], 0 offen offset:8
	buffer_load_dword v133, v134, s[0:3], 0 offen offset:12
	buffer_load_dword v144, v134, s[0:3], 0 offen
	buffer_load_dword v145, v134, s[0:3], 0 offen offset:4
	buffer_load_dword v146, v134, s[0:3], 0 offen offset:24
	buffer_load_dword v147, v134, s[0:3], 0 offen offset:28
	buffer_load_dword v148, v134, s[0:3], 0 offen offset:16
	buffer_load_dword v149, v134, s[0:3], 0 offen offset:20
	buffer_load_dword v150, v134, s[0:3], 0 offen offset:40
	buffer_load_dword v151, v134, s[0:3], 0 offen offset:44
	buffer_load_dword v152, v134, s[0:3], 0 offen offset:32
	buffer_load_dword v153, v134, s[0:3], 0 offen offset:36
	buffer_load_dword v154, v134, s[0:3], 0 offen offset:56
	buffer_load_dword v155, v134, s[0:3], 0 offen offset:60
	buffer_load_dword v156, v134, s[0:3], 0 offen offset:48
	buffer_load_dword v157, v134, s[0:3], 0 offen offset:52
	buffer_load_dword v159, v134, s[0:3], 0 offen offset:76
	buffer_load_dword v160, v134, s[0:3], 0 offen offset:88
	buffer_load_dword v162, v134, s[0:3], 0 offen offset:80
	buffer_load_dword v158, v134, s[0:3], 0 offen offset:72
	buffer_load_dword v163, v134, s[0:3], 0 offen offset:84
	buffer_load_dword v161, v134, s[0:3], 0 offen offset:92
	buffer_load_dword v165, v134, s[0:3], 0 offen offset:68
	buffer_load_dword v164, v134, s[0:3], 0 offen offset:64
	buffer_load_dword v167, v134, s[0:3], 0 offen offset:108
	buffer_load_dword v168, v134, s[0:3], 0 offen offset:120
	buffer_load_dword v170, v134, s[0:3], 0 offen offset:112
	buffer_load_dword v166, v134, s[0:3], 0 offen offset:104
	buffer_load_dword v171, v134, s[0:3], 0 offen offset:116
	buffer_load_dword v169, v134, s[0:3], 0 offen offset:124
	buffer_load_dword v173, v134, s[0:3], 0 offen offset:100
	buffer_load_dword v172, v134, s[0:3], 0 offen offset:96
	v_mov_b32_e32 v134, s73
	s_addk_i32 s73, 0x80
	s_or_b32 s72, vcc_lo, s72
	ds_read_b128 v[136:139], v134
	ds_read_b128 v[140:143], v134 offset:16
	s_waitcnt vmcnt(30) lgkmcnt(1)
	v_mul_f64 v[174:175], v[138:139], v[132:133]
	v_mul_f64 v[132:133], v[136:137], v[132:133]
	s_waitcnt vmcnt(26) lgkmcnt(0)
	v_mul_f64 v[176:177], v[142:143], v[146:147]
	v_mul_f64 v[178:179], v[140:141], v[146:147]
	v_fma_f64 v[174:175], v[136:137], v[144:145], -v[174:175]
	v_fma_f64 v[132:133], v[138:139], v[144:145], v[132:133]
	ds_read_b128 v[136:139], v134 offset:32
	ds_read_b128 v[144:147], v134 offset:48
	s_waitcnt vmcnt(24)
	v_fma_f64 v[140:141], v[140:141], v[148:149], -v[176:177]
	v_fma_f64 v[142:143], v[142:143], v[148:149], v[178:179]
	s_waitcnt vmcnt(22) lgkmcnt(1)
	v_mul_f64 v[180:181], v[138:139], v[150:151]
	v_mul_f64 v[150:151], v[136:137], v[150:151]
	v_add_f64 v[1:2], v[1:2], v[174:175]
	v_add_f64 v[3:4], v[3:4], v[132:133]
	s_waitcnt vmcnt(18) lgkmcnt(0)
	v_mul_f64 v[132:133], v[146:147], v[154:155]
	v_mul_f64 v[148:149], v[144:145], v[154:155]
	v_fma_f64 v[154:155], v[136:137], v[152:153], -v[180:181]
	v_fma_f64 v[150:151], v[138:139], v[152:153], v[150:151]
	v_add_f64 v[140:141], v[1:2], v[140:141]
	v_add_f64 v[142:143], v[3:4], v[142:143]
	ds_read_b128 v[1:4], v134 offset:64
	ds_read_b128 v[136:139], v134 offset:80
	s_waitcnt vmcnt(16)
	v_fma_f64 v[132:133], v[144:145], v[156:157], -v[132:133]
	v_fma_f64 v[144:145], v[146:147], v[156:157], v[148:149]
	s_waitcnt vmcnt(12) lgkmcnt(1)
	v_mul_f64 v[152:153], v[3:4], v[158:159]
	v_mul_f64 v[158:159], v[1:2], v[158:159]
	v_add_f64 v[140:141], v[140:141], v[154:155]
	v_add_f64 v[142:143], v[142:143], v[150:151]
	s_waitcnt vmcnt(10) lgkmcnt(0)
	v_mul_f64 v[146:147], v[138:139], v[160:161]
	v_mul_f64 v[148:149], v[136:137], v[160:161]
	s_waitcnt vmcnt(8)
	v_fma_f64 v[150:151], v[1:2], v[164:165], -v[152:153]
	v_fma_f64 v[152:153], v[3:4], v[164:165], v[158:159]
	v_add_f64 v[132:133], v[140:141], v[132:133]
	v_add_f64 v[144:145], v[142:143], v[144:145]
	ds_read_b128 v[1:4], v134 offset:96
	ds_read_b128 v[140:143], v134 offset:112
	v_fma_f64 v[136:137], v[136:137], v[162:163], -v[146:147]
	v_fma_f64 v[138:139], v[138:139], v[162:163], v[148:149]
	s_waitcnt vmcnt(4) lgkmcnt(1)
	v_mul_f64 v[154:155], v[3:4], v[166:167]
	v_mul_f64 v[156:157], v[1:2], v[166:167]
	v_add_f64 v[132:133], v[132:133], v[150:151]
	v_add_f64 v[144:145], v[144:145], v[152:153]
	s_waitcnt vmcnt(2) lgkmcnt(0)
	v_mul_f64 v[146:147], v[142:143], v[168:169]
	v_mul_f64 v[148:149], v[140:141], v[168:169]
	s_waitcnt vmcnt(0)
	v_fma_f64 v[1:2], v[1:2], v[172:173], -v[154:155]
	v_fma_f64 v[3:4], v[3:4], v[172:173], v[156:157]
	v_add_f64 v[132:133], v[132:133], v[136:137]
	v_add_f64 v[136:137], v[144:145], v[138:139]
	v_fma_f64 v[138:139], v[140:141], v[170:171], -v[146:147]
	v_fma_f64 v[140:141], v[142:143], v[170:171], v[148:149]
	v_add_f64 v[1:2], v[132:133], v[1:2]
	v_add_f64 v[3:4], v[136:137], v[3:4]
	;; [unrolled: 1-line block ×4, first 2 shown]
	s_andn2_b32 exec_lo, exec_lo, s72
	s_cbranch_execnz .LBB125_739
; %bb.740:
	s_or_b32 exec_lo, exec_lo, s72
.LBB125_741:
	s_or_b32 exec_lo, exec_lo, s4
	v_and_b32_e32 v132, 7, v0
	s_mov_b32 s71, 0
	s_mov_b32 s4, exec_lo
	v_cmpx_ne_u32_e32 0, v132
	s_cbranch_execz .LBB125_745
; %bb.742:
	v_lshlrev_b32_e32 v133, 4, v131
	v_add_nc_u32_e32 v131, 0x3e0, v133
	.p2align	6
.LBB125_743:                            ; =>This Inner Loop Header: Depth=1
	s_clause 0x3
	buffer_load_dword v140, v133, s[0:3], 0 offen offset:8
	buffer_load_dword v141, v133, s[0:3], 0 offen offset:12
	buffer_load_dword v142, v133, s[0:3], 0 offen
	buffer_load_dword v143, v133, s[0:3], 0 offen offset:4
	ds_read_b128 v[136:139], v131
	v_add_nc_u32_e32 v132, -1, v132
	v_add_nc_u32_e32 v131, 16, v131
	v_add_nc_u32_e32 v133, 16, v133
	v_cmp_eq_u32_e32 vcc_lo, 0, v132
	s_or_b32 s71, vcc_lo, s71
	s_waitcnt vmcnt(2) lgkmcnt(0)
	v_mul_f64 v[144:145], v[138:139], v[140:141]
	v_mul_f64 v[140:141], v[136:137], v[140:141]
	s_waitcnt vmcnt(0)
	v_fma_f64 v[136:137], v[136:137], v[142:143], -v[144:145]
	v_fma_f64 v[138:139], v[138:139], v[142:143], v[140:141]
	v_add_f64 v[1:2], v[1:2], v[136:137]
	v_add_f64 v[3:4], v[3:4], v[138:139]
	s_andn2_b32 exec_lo, exec_lo, s71
	s_cbranch_execnz .LBB125_743
; %bb.744:
	s_or_b32 exec_lo, exec_lo, s71
.LBB125_745:
	s_or_b32 exec_lo, exec_lo, s4
.LBB125_746:
	s_or_b32 exec_lo, exec_lo, s8
	v_mov_b32_e32 v131, 0
	ds_read_b128 v[131:134], v131 offset:112
	s_waitcnt lgkmcnt(0)
	v_mul_f64 v[136:137], v[3:4], v[133:134]
	v_mul_f64 v[133:134], v[1:2], v[133:134]
	v_fma_f64 v[1:2], v[1:2], v[131:132], -v[136:137]
	v_fma_f64 v[3:4], v[3:4], v[131:132], v[133:134]
	buffer_store_dword v2, off, s[0:3], 0 offset:116
	buffer_store_dword v1, off, s[0:3], 0 offset:112
	;; [unrolled: 1-line block ×4, first 2 shown]
.LBB125_747:
	s_or_b32 exec_lo, exec_lo, s6
	v_mov_b32_e32 v4, s65
	v_cmp_lt_u32_e64 s4, 6, v0
	s_clause 0x3
	buffer_load_dword v1, v4, s[0:3], 0 offen
	buffer_load_dword v2, v4, s[0:3], 0 offen offset:4
	buffer_load_dword v3, v4, s[0:3], 0 offen offset:8
	;; [unrolled: 1-line block ×3, first 2 shown]
	s_waitcnt vmcnt(0)
	ds_write_b128 v130, v[1:4]
	s_waitcnt lgkmcnt(0)
	s_waitcnt_vscnt null, 0x0
	s_barrier
	buffer_gl0_inv
	s_and_saveexec_b32 s6, s4
	s_cbranch_execz .LBB125_761
; %bb.748:
	ds_read_b128 v[1:4], v130
	s_andn2_b32 vcc_lo, exec_lo, s7
	s_cbranch_vccnz .LBB125_750
; %bb.749:
	s_clause 0x3
	buffer_load_dword v131, v129, s[0:3], 0 offen offset:8
	buffer_load_dword v132, v129, s[0:3], 0 offen offset:12
	buffer_load_dword v133, v129, s[0:3], 0 offen
	buffer_load_dword v134, v129, s[0:3], 0 offen offset:4
	s_waitcnt vmcnt(2) lgkmcnt(0)
	v_mul_f64 v[136:137], v[3:4], v[131:132]
	v_mul_f64 v[131:132], v[1:2], v[131:132]
	s_waitcnt vmcnt(0)
	v_fma_f64 v[1:2], v[1:2], v[133:134], -v[136:137]
	v_fma_f64 v[3:4], v[3:4], v[133:134], v[131:132]
.LBB125_750:
	s_and_saveexec_b32 s8, s5
	s_cbranch_execz .LBB125_760
; %bb.751:
	v_add_nc_u32_e32 v132, -8, v0
	v_add_nc_u32_e32 v131, -7, v0
	v_mov_b32_e32 v133, 7
	s_mov_b32 s5, exec_lo
	v_cmpx_lt_u32_e32 6, v132
	s_cbranch_execz .LBB125_755
; %bb.752:
	v_and_b32_e32 v132, -8, v131
	s_movk_i32 s72, 0x450
	s_mov_b32 s71, 0
	s_mov_b32 s73, s64
	;; [unrolled: 1-line block ×3, first 2 shown]
.LBB125_753:                            ; =>This Inner Loop Header: Depth=1
	v_mov_b32_e32 v136, s73
	v_mov_b32_e32 v182, s72
	s_add_i32 s75, s74, 8
	s_add_i32 s74, s74, 15
	v_cmp_eq_u32_e32 vcc_lo, s75, v132
	s_clause 0x1f
	buffer_load_dword v133, v136, s[0:3], 0 offen offset:8
	buffer_load_dword v134, v136, s[0:3], 0 offen offset:12
	buffer_load_dword v144, v136, s[0:3], 0 offen
	buffer_load_dword v145, v136, s[0:3], 0 offen offset:4
	buffer_load_dword v146, v136, s[0:3], 0 offen offset:24
	;; [unrolled: 1-line block ×29, first 2 shown]
	ds_read_b128 v[136:139], v182
	ds_read_b128 v[140:143], v182 offset:16
	s_addk_i32 s72, 0x80
	s_addk_i32 s73, 0x80
	s_or_b32 s71, vcc_lo, s71
	s_waitcnt vmcnt(30) lgkmcnt(1)
	v_mul_f64 v[174:175], v[138:139], v[133:134]
	v_mul_f64 v[133:134], v[136:137], v[133:134]
	s_waitcnt vmcnt(26) lgkmcnt(0)
	v_mul_f64 v[176:177], v[142:143], v[146:147]
	v_mul_f64 v[178:179], v[140:141], v[146:147]
	v_fma_f64 v[174:175], v[136:137], v[144:145], -v[174:175]
	v_fma_f64 v[133:134], v[138:139], v[144:145], v[133:134]
	ds_read_b128 v[136:139], v182 offset:32
	ds_read_b128 v[144:147], v182 offset:48
	s_waitcnt vmcnt(24)
	v_fma_f64 v[140:141], v[140:141], v[148:149], -v[176:177]
	v_fma_f64 v[142:143], v[142:143], v[148:149], v[178:179]
	s_waitcnt vmcnt(22) lgkmcnt(1)
	v_mul_f64 v[180:181], v[138:139], v[150:151]
	v_mul_f64 v[150:151], v[136:137], v[150:151]
	v_add_f64 v[1:2], v[1:2], v[174:175]
	v_add_f64 v[3:4], v[3:4], v[133:134]
	s_waitcnt vmcnt(18) lgkmcnt(0)
	v_mul_f64 v[133:134], v[146:147], v[154:155]
	v_mul_f64 v[148:149], v[144:145], v[154:155]
	v_fma_f64 v[154:155], v[136:137], v[152:153], -v[180:181]
	v_fma_f64 v[150:151], v[138:139], v[152:153], v[150:151]
	v_add_f64 v[140:141], v[1:2], v[140:141]
	v_add_f64 v[142:143], v[3:4], v[142:143]
	ds_read_b128 v[1:4], v182 offset:64
	ds_read_b128 v[136:139], v182 offset:80
	s_waitcnt vmcnt(16)
	v_fma_f64 v[133:134], v[144:145], v[156:157], -v[133:134]
	v_fma_f64 v[144:145], v[146:147], v[156:157], v[148:149]
	s_waitcnt vmcnt(12) lgkmcnt(1)
	v_mul_f64 v[152:153], v[3:4], v[158:159]
	v_mul_f64 v[158:159], v[1:2], v[158:159]
	v_add_f64 v[140:141], v[140:141], v[154:155]
	v_add_f64 v[142:143], v[142:143], v[150:151]
	s_waitcnt vmcnt(10) lgkmcnt(0)
	v_mul_f64 v[146:147], v[138:139], v[160:161]
	v_mul_f64 v[148:149], v[136:137], v[160:161]
	s_waitcnt vmcnt(8)
	v_fma_f64 v[150:151], v[1:2], v[164:165], -v[152:153]
	v_fma_f64 v[152:153], v[3:4], v[164:165], v[158:159]
	v_add_f64 v[133:134], v[140:141], v[133:134]
	v_add_f64 v[144:145], v[142:143], v[144:145]
	ds_read_b128 v[1:4], v182 offset:96
	ds_read_b128 v[140:143], v182 offset:112
	v_fma_f64 v[136:137], v[136:137], v[162:163], -v[146:147]
	v_fma_f64 v[138:139], v[138:139], v[162:163], v[148:149]
	s_waitcnt vmcnt(4) lgkmcnt(1)
	v_mul_f64 v[154:155], v[3:4], v[166:167]
	v_mul_f64 v[156:157], v[1:2], v[166:167]
	v_add_f64 v[133:134], v[133:134], v[150:151]
	v_add_f64 v[144:145], v[144:145], v[152:153]
	s_waitcnt vmcnt(2) lgkmcnt(0)
	v_mul_f64 v[146:147], v[142:143], v[168:169]
	v_mul_f64 v[148:149], v[140:141], v[168:169]
	s_waitcnt vmcnt(0)
	v_fma_f64 v[1:2], v[1:2], v[172:173], -v[154:155]
	v_fma_f64 v[3:4], v[3:4], v[172:173], v[156:157]
	v_add_f64 v[133:134], v[133:134], v[136:137]
	v_add_f64 v[136:137], v[144:145], v[138:139]
	v_fma_f64 v[138:139], v[140:141], v[170:171], -v[146:147]
	v_fma_f64 v[140:141], v[142:143], v[170:171], v[148:149]
	v_add_f64 v[1:2], v[133:134], v[1:2]
	v_add_f64 v[3:4], v[136:137], v[3:4]
	v_mov_b32_e32 v133, s74
	s_mov_b32 s74, s75
	v_add_f64 v[1:2], v[1:2], v[138:139]
	v_add_f64 v[3:4], v[3:4], v[140:141]
	s_andn2_b32 exec_lo, exec_lo, s71
	s_cbranch_execnz .LBB125_753
; %bb.754:
	s_or_b32 exec_lo, exec_lo, s71
.LBB125_755:
	s_or_b32 exec_lo, exec_lo, s5
	v_and_b32_e32 v131, 7, v131
	s_mov_b32 s71, 0
	s_mov_b32 s5, exec_lo
	v_cmpx_ne_u32_e32 0, v131
	s_cbranch_execz .LBB125_759
; %bb.756:
	v_lshlrev_b32_e32 v133, 4, v133
	v_add_nc_u32_e32 v132, 0x3e0, v133
	.p2align	6
.LBB125_757:                            ; =>This Inner Loop Header: Depth=1
	s_clause 0x3
	buffer_load_dword v140, v133, s[0:3], 0 offen offset:8
	buffer_load_dword v141, v133, s[0:3], 0 offen offset:12
	buffer_load_dword v142, v133, s[0:3], 0 offen
	buffer_load_dword v143, v133, s[0:3], 0 offen offset:4
	ds_read_b128 v[136:139], v132
	v_add_nc_u32_e32 v131, -1, v131
	v_add_nc_u32_e32 v132, 16, v132
	v_add_nc_u32_e32 v133, 16, v133
	v_cmp_eq_u32_e32 vcc_lo, 0, v131
	s_or_b32 s71, vcc_lo, s71
	s_waitcnt vmcnt(2) lgkmcnt(0)
	v_mul_f64 v[144:145], v[138:139], v[140:141]
	v_mul_f64 v[140:141], v[136:137], v[140:141]
	s_waitcnt vmcnt(0)
	v_fma_f64 v[136:137], v[136:137], v[142:143], -v[144:145]
	v_fma_f64 v[138:139], v[138:139], v[142:143], v[140:141]
	v_add_f64 v[1:2], v[1:2], v[136:137]
	v_add_f64 v[3:4], v[3:4], v[138:139]
	s_andn2_b32 exec_lo, exec_lo, s71
	s_cbranch_execnz .LBB125_757
; %bb.758:
	s_or_b32 exec_lo, exec_lo, s71
.LBB125_759:
	s_or_b32 exec_lo, exec_lo, s5
.LBB125_760:
	s_or_b32 exec_lo, exec_lo, s8
	v_mov_b32_e32 v131, 0
	ds_read_b128 v[131:134], v131 offset:96
	s_waitcnt lgkmcnt(0)
	v_mul_f64 v[136:137], v[3:4], v[133:134]
	v_mul_f64 v[133:134], v[1:2], v[133:134]
	v_fma_f64 v[1:2], v[1:2], v[131:132], -v[136:137]
	v_fma_f64 v[3:4], v[3:4], v[131:132], v[133:134]
	buffer_store_dword v2, off, s[0:3], 0 offset:100
	buffer_store_dword v1, off, s[0:3], 0 offset:96
	;; [unrolled: 1-line block ×4, first 2 shown]
.LBB125_761:
	s_or_b32 exec_lo, exec_lo, s6
	v_mov_b32_e32 v4, s66
	v_cmp_lt_u32_e64 s5, 5, v0
	s_clause 0x3
	buffer_load_dword v1, v4, s[0:3], 0 offen
	buffer_load_dword v2, v4, s[0:3], 0 offen offset:4
	buffer_load_dword v3, v4, s[0:3], 0 offen offset:8
	;; [unrolled: 1-line block ×3, first 2 shown]
	s_waitcnt vmcnt(0)
	ds_write_b128 v130, v[1:4]
	s_waitcnt lgkmcnt(0)
	s_waitcnt_vscnt null, 0x0
	s_barrier
	buffer_gl0_inv
	s_and_saveexec_b32 s6, s5
	s_cbranch_execz .LBB125_775
; %bb.762:
	ds_read_b128 v[1:4], v130
	s_andn2_b32 vcc_lo, exec_lo, s7
	s_cbranch_vccnz .LBB125_764
; %bb.763:
	s_clause 0x3
	buffer_load_dword v131, v129, s[0:3], 0 offen offset:8
	buffer_load_dword v132, v129, s[0:3], 0 offen offset:12
	buffer_load_dword v133, v129, s[0:3], 0 offen
	buffer_load_dword v134, v129, s[0:3], 0 offen offset:4
	s_waitcnt vmcnt(2) lgkmcnt(0)
	v_mul_f64 v[136:137], v[3:4], v[131:132]
	v_mul_f64 v[131:132], v[1:2], v[131:132]
	s_waitcnt vmcnt(0)
	v_fma_f64 v[1:2], v[1:2], v[133:134], -v[136:137]
	v_fma_f64 v[3:4], v[3:4], v[133:134], v[131:132]
.LBB125_764:
	s_and_saveexec_b32 s8, s4
	s_cbranch_execz .LBB125_774
; %bb.765:
	v_add_nc_u32_e32 v132, -7, v0
	v_add_nc_u32_e32 v131, -6, v0
	v_mov_b32_e32 v133, 6
	s_mov_b32 s4, exec_lo
	v_cmpx_lt_u32_e32 6, v132
	s_cbranch_execz .LBB125_769
; %bb.766:
	v_and_b32_e32 v132, -8, v131
	s_movk_i32 s72, 0x440
	s_mov_b32 s71, 0
	s_mov_b32 s73, s65
	;; [unrolled: 1-line block ×3, first 2 shown]
.LBB125_767:                            ; =>This Inner Loop Header: Depth=1
	v_mov_b32_e32 v136, s73
	v_mov_b32_e32 v182, s72
	s_add_i32 s75, s74, 8
	s_add_i32 s74, s74, 14
	v_cmp_eq_u32_e32 vcc_lo, s75, v132
	s_clause 0x1f
	buffer_load_dword v133, v136, s[0:3], 0 offen offset:8
	buffer_load_dword v134, v136, s[0:3], 0 offen offset:12
	buffer_load_dword v144, v136, s[0:3], 0 offen
	buffer_load_dword v145, v136, s[0:3], 0 offen offset:4
	buffer_load_dword v146, v136, s[0:3], 0 offen offset:24
	;; [unrolled: 1-line block ×29, first 2 shown]
	ds_read_b128 v[136:139], v182
	ds_read_b128 v[140:143], v182 offset:16
	s_addk_i32 s72, 0x80
	s_addk_i32 s73, 0x80
	s_or_b32 s71, vcc_lo, s71
	s_waitcnt vmcnt(30) lgkmcnt(1)
	v_mul_f64 v[174:175], v[138:139], v[133:134]
	v_mul_f64 v[133:134], v[136:137], v[133:134]
	s_waitcnt vmcnt(26) lgkmcnt(0)
	v_mul_f64 v[176:177], v[142:143], v[146:147]
	v_mul_f64 v[178:179], v[140:141], v[146:147]
	v_fma_f64 v[174:175], v[136:137], v[144:145], -v[174:175]
	v_fma_f64 v[133:134], v[138:139], v[144:145], v[133:134]
	ds_read_b128 v[136:139], v182 offset:32
	ds_read_b128 v[144:147], v182 offset:48
	s_waitcnt vmcnt(24)
	v_fma_f64 v[140:141], v[140:141], v[148:149], -v[176:177]
	v_fma_f64 v[142:143], v[142:143], v[148:149], v[178:179]
	s_waitcnt vmcnt(22) lgkmcnt(1)
	v_mul_f64 v[180:181], v[138:139], v[150:151]
	v_mul_f64 v[150:151], v[136:137], v[150:151]
	v_add_f64 v[1:2], v[1:2], v[174:175]
	v_add_f64 v[3:4], v[3:4], v[133:134]
	s_waitcnt vmcnt(18) lgkmcnt(0)
	v_mul_f64 v[133:134], v[146:147], v[154:155]
	v_mul_f64 v[148:149], v[144:145], v[154:155]
	v_fma_f64 v[154:155], v[136:137], v[152:153], -v[180:181]
	v_fma_f64 v[150:151], v[138:139], v[152:153], v[150:151]
	v_add_f64 v[140:141], v[1:2], v[140:141]
	v_add_f64 v[142:143], v[3:4], v[142:143]
	ds_read_b128 v[1:4], v182 offset:64
	ds_read_b128 v[136:139], v182 offset:80
	s_waitcnt vmcnt(16)
	v_fma_f64 v[133:134], v[144:145], v[156:157], -v[133:134]
	v_fma_f64 v[144:145], v[146:147], v[156:157], v[148:149]
	s_waitcnt vmcnt(12) lgkmcnt(1)
	v_mul_f64 v[152:153], v[3:4], v[158:159]
	v_mul_f64 v[158:159], v[1:2], v[158:159]
	v_add_f64 v[140:141], v[140:141], v[154:155]
	v_add_f64 v[142:143], v[142:143], v[150:151]
	s_waitcnt vmcnt(10) lgkmcnt(0)
	v_mul_f64 v[146:147], v[138:139], v[160:161]
	v_mul_f64 v[148:149], v[136:137], v[160:161]
	s_waitcnt vmcnt(8)
	v_fma_f64 v[150:151], v[1:2], v[164:165], -v[152:153]
	v_fma_f64 v[152:153], v[3:4], v[164:165], v[158:159]
	v_add_f64 v[133:134], v[140:141], v[133:134]
	v_add_f64 v[144:145], v[142:143], v[144:145]
	ds_read_b128 v[1:4], v182 offset:96
	ds_read_b128 v[140:143], v182 offset:112
	v_fma_f64 v[136:137], v[136:137], v[162:163], -v[146:147]
	v_fma_f64 v[138:139], v[138:139], v[162:163], v[148:149]
	s_waitcnt vmcnt(4) lgkmcnt(1)
	v_mul_f64 v[154:155], v[3:4], v[166:167]
	v_mul_f64 v[156:157], v[1:2], v[166:167]
	v_add_f64 v[133:134], v[133:134], v[150:151]
	v_add_f64 v[144:145], v[144:145], v[152:153]
	s_waitcnt vmcnt(2) lgkmcnt(0)
	v_mul_f64 v[146:147], v[142:143], v[168:169]
	v_mul_f64 v[148:149], v[140:141], v[168:169]
	s_waitcnt vmcnt(0)
	v_fma_f64 v[1:2], v[1:2], v[172:173], -v[154:155]
	v_fma_f64 v[3:4], v[3:4], v[172:173], v[156:157]
	v_add_f64 v[133:134], v[133:134], v[136:137]
	v_add_f64 v[136:137], v[144:145], v[138:139]
	v_fma_f64 v[138:139], v[140:141], v[170:171], -v[146:147]
	v_fma_f64 v[140:141], v[142:143], v[170:171], v[148:149]
	v_add_f64 v[1:2], v[133:134], v[1:2]
	v_add_f64 v[3:4], v[136:137], v[3:4]
	v_mov_b32_e32 v133, s74
	s_mov_b32 s74, s75
	v_add_f64 v[1:2], v[1:2], v[138:139]
	v_add_f64 v[3:4], v[3:4], v[140:141]
	s_andn2_b32 exec_lo, exec_lo, s71
	s_cbranch_execnz .LBB125_767
; %bb.768:
	s_or_b32 exec_lo, exec_lo, s71
.LBB125_769:
	s_or_b32 exec_lo, exec_lo, s4
	v_and_b32_e32 v131, 7, v131
	s_mov_b32 s71, 0
	s_mov_b32 s4, exec_lo
	v_cmpx_ne_u32_e32 0, v131
	s_cbranch_execz .LBB125_773
; %bb.770:
	v_lshlrev_b32_e32 v133, 4, v133
	v_add_nc_u32_e32 v132, 0x3e0, v133
	.p2align	6
.LBB125_771:                            ; =>This Inner Loop Header: Depth=1
	s_clause 0x3
	buffer_load_dword v140, v133, s[0:3], 0 offen offset:8
	buffer_load_dword v141, v133, s[0:3], 0 offen offset:12
	buffer_load_dword v142, v133, s[0:3], 0 offen
	buffer_load_dword v143, v133, s[0:3], 0 offen offset:4
	ds_read_b128 v[136:139], v132
	v_add_nc_u32_e32 v131, -1, v131
	v_add_nc_u32_e32 v132, 16, v132
	v_add_nc_u32_e32 v133, 16, v133
	v_cmp_eq_u32_e32 vcc_lo, 0, v131
	s_or_b32 s71, vcc_lo, s71
	s_waitcnt vmcnt(2) lgkmcnt(0)
	v_mul_f64 v[144:145], v[138:139], v[140:141]
	v_mul_f64 v[140:141], v[136:137], v[140:141]
	s_waitcnt vmcnt(0)
	v_fma_f64 v[136:137], v[136:137], v[142:143], -v[144:145]
	v_fma_f64 v[138:139], v[138:139], v[142:143], v[140:141]
	v_add_f64 v[1:2], v[1:2], v[136:137]
	v_add_f64 v[3:4], v[3:4], v[138:139]
	s_andn2_b32 exec_lo, exec_lo, s71
	s_cbranch_execnz .LBB125_771
; %bb.772:
	s_or_b32 exec_lo, exec_lo, s71
.LBB125_773:
	s_or_b32 exec_lo, exec_lo, s4
.LBB125_774:
	s_or_b32 exec_lo, exec_lo, s8
	v_mov_b32_e32 v131, 0
	ds_read_b128 v[131:134], v131 offset:80
	s_waitcnt lgkmcnt(0)
	v_mul_f64 v[136:137], v[3:4], v[133:134]
	v_mul_f64 v[133:134], v[1:2], v[133:134]
	v_fma_f64 v[1:2], v[1:2], v[131:132], -v[136:137]
	v_fma_f64 v[3:4], v[3:4], v[131:132], v[133:134]
	buffer_store_dword v2, off, s[0:3], 0 offset:84
	buffer_store_dword v1, off, s[0:3], 0 offset:80
	;; [unrolled: 1-line block ×4, first 2 shown]
.LBB125_775:
	s_or_b32 exec_lo, exec_lo, s6
	v_mov_b32_e32 v4, s67
	v_cmp_lt_u32_e64 s4, 4, v0
	s_clause 0x3
	buffer_load_dword v1, v4, s[0:3], 0 offen
	buffer_load_dword v2, v4, s[0:3], 0 offen offset:4
	buffer_load_dword v3, v4, s[0:3], 0 offen offset:8
	buffer_load_dword v4, v4, s[0:3], 0 offen offset:12
	s_waitcnt vmcnt(0)
	ds_write_b128 v130, v[1:4]
	s_waitcnt lgkmcnt(0)
	s_waitcnt_vscnt null, 0x0
	s_barrier
	buffer_gl0_inv
	s_and_saveexec_b32 s6, s4
	s_cbranch_execz .LBB125_789
; %bb.776:
	ds_read_b128 v[1:4], v130
	s_andn2_b32 vcc_lo, exec_lo, s7
	s_cbranch_vccnz .LBB125_778
; %bb.777:
	s_clause 0x3
	buffer_load_dword v131, v129, s[0:3], 0 offen offset:8
	buffer_load_dword v132, v129, s[0:3], 0 offen offset:12
	buffer_load_dword v133, v129, s[0:3], 0 offen
	buffer_load_dword v134, v129, s[0:3], 0 offen offset:4
	s_waitcnt vmcnt(2) lgkmcnt(0)
	v_mul_f64 v[136:137], v[3:4], v[131:132]
	v_mul_f64 v[131:132], v[1:2], v[131:132]
	s_waitcnt vmcnt(0)
	v_fma_f64 v[1:2], v[1:2], v[133:134], -v[136:137]
	v_fma_f64 v[3:4], v[3:4], v[133:134], v[131:132]
.LBB125_778:
	s_and_saveexec_b32 s8, s5
	s_cbranch_execz .LBB125_788
; %bb.779:
	v_add_nc_u32_e32 v132, -6, v0
	v_add_nc_u32_e32 v131, -5, v0
	v_mov_b32_e32 v133, 5
	s_mov_b32 s5, exec_lo
	v_cmpx_lt_u32_e32 6, v132
	s_cbranch_execz .LBB125_783
; %bb.780:
	v_and_b32_e32 v132, -8, v131
	s_movk_i32 s72, 0x430
	s_mov_b32 s71, 0
	s_mov_b32 s73, s66
	;; [unrolled: 1-line block ×3, first 2 shown]
.LBB125_781:                            ; =>This Inner Loop Header: Depth=1
	v_mov_b32_e32 v136, s73
	v_mov_b32_e32 v182, s72
	s_add_i32 s75, s74, 8
	s_add_i32 s74, s74, 13
	v_cmp_eq_u32_e32 vcc_lo, s75, v132
	s_clause 0x1f
	buffer_load_dword v133, v136, s[0:3], 0 offen offset:8
	buffer_load_dword v134, v136, s[0:3], 0 offen offset:12
	buffer_load_dword v144, v136, s[0:3], 0 offen
	buffer_load_dword v145, v136, s[0:3], 0 offen offset:4
	buffer_load_dword v146, v136, s[0:3], 0 offen offset:24
	buffer_load_dword v147, v136, s[0:3], 0 offen offset:28
	buffer_load_dword v148, v136, s[0:3], 0 offen offset:16
	buffer_load_dword v149, v136, s[0:3], 0 offen offset:20
	buffer_load_dword v150, v136, s[0:3], 0 offen offset:40
	buffer_load_dword v151, v136, s[0:3], 0 offen offset:44
	buffer_load_dword v152, v136, s[0:3], 0 offen offset:32
	buffer_load_dword v153, v136, s[0:3], 0 offen offset:36
	buffer_load_dword v154, v136, s[0:3], 0 offen offset:56
	buffer_load_dword v155, v136, s[0:3], 0 offen offset:60
	buffer_load_dword v156, v136, s[0:3], 0 offen offset:48
	buffer_load_dword v157, v136, s[0:3], 0 offen offset:52
	buffer_load_dword v159, v136, s[0:3], 0 offen offset:76
	buffer_load_dword v160, v136, s[0:3], 0 offen offset:88
	buffer_load_dword v162, v136, s[0:3], 0 offen offset:80
	buffer_load_dword v158, v136, s[0:3], 0 offen offset:72
	buffer_load_dword v163, v136, s[0:3], 0 offen offset:84
	buffer_load_dword v161, v136, s[0:3], 0 offen offset:92
	buffer_load_dword v165, v136, s[0:3], 0 offen offset:68
	buffer_load_dword v164, v136, s[0:3], 0 offen offset:64
	buffer_load_dword v167, v136, s[0:3], 0 offen offset:108
	buffer_load_dword v168, v136, s[0:3], 0 offen offset:120
	buffer_load_dword v170, v136, s[0:3], 0 offen offset:112
	buffer_load_dword v166, v136, s[0:3], 0 offen offset:104
	buffer_load_dword v171, v136, s[0:3], 0 offen offset:116
	buffer_load_dword v169, v136, s[0:3], 0 offen offset:124
	buffer_load_dword v173, v136, s[0:3], 0 offen offset:100
	buffer_load_dword v172, v136, s[0:3], 0 offen offset:96
	ds_read_b128 v[136:139], v182
	ds_read_b128 v[140:143], v182 offset:16
	s_addk_i32 s72, 0x80
	s_addk_i32 s73, 0x80
	s_or_b32 s71, vcc_lo, s71
	s_waitcnt vmcnt(30) lgkmcnt(1)
	v_mul_f64 v[174:175], v[138:139], v[133:134]
	v_mul_f64 v[133:134], v[136:137], v[133:134]
	s_waitcnt vmcnt(26) lgkmcnt(0)
	v_mul_f64 v[176:177], v[142:143], v[146:147]
	v_mul_f64 v[178:179], v[140:141], v[146:147]
	v_fma_f64 v[174:175], v[136:137], v[144:145], -v[174:175]
	v_fma_f64 v[133:134], v[138:139], v[144:145], v[133:134]
	ds_read_b128 v[136:139], v182 offset:32
	ds_read_b128 v[144:147], v182 offset:48
	s_waitcnt vmcnt(24)
	v_fma_f64 v[140:141], v[140:141], v[148:149], -v[176:177]
	v_fma_f64 v[142:143], v[142:143], v[148:149], v[178:179]
	s_waitcnt vmcnt(22) lgkmcnt(1)
	v_mul_f64 v[180:181], v[138:139], v[150:151]
	v_mul_f64 v[150:151], v[136:137], v[150:151]
	v_add_f64 v[1:2], v[1:2], v[174:175]
	v_add_f64 v[3:4], v[3:4], v[133:134]
	s_waitcnt vmcnt(18) lgkmcnt(0)
	v_mul_f64 v[133:134], v[146:147], v[154:155]
	v_mul_f64 v[148:149], v[144:145], v[154:155]
	v_fma_f64 v[154:155], v[136:137], v[152:153], -v[180:181]
	v_fma_f64 v[150:151], v[138:139], v[152:153], v[150:151]
	v_add_f64 v[140:141], v[1:2], v[140:141]
	v_add_f64 v[142:143], v[3:4], v[142:143]
	ds_read_b128 v[1:4], v182 offset:64
	ds_read_b128 v[136:139], v182 offset:80
	s_waitcnt vmcnt(16)
	v_fma_f64 v[133:134], v[144:145], v[156:157], -v[133:134]
	v_fma_f64 v[144:145], v[146:147], v[156:157], v[148:149]
	s_waitcnt vmcnt(12) lgkmcnt(1)
	v_mul_f64 v[152:153], v[3:4], v[158:159]
	v_mul_f64 v[158:159], v[1:2], v[158:159]
	v_add_f64 v[140:141], v[140:141], v[154:155]
	v_add_f64 v[142:143], v[142:143], v[150:151]
	s_waitcnt vmcnt(10) lgkmcnt(0)
	v_mul_f64 v[146:147], v[138:139], v[160:161]
	v_mul_f64 v[148:149], v[136:137], v[160:161]
	s_waitcnt vmcnt(8)
	v_fma_f64 v[150:151], v[1:2], v[164:165], -v[152:153]
	v_fma_f64 v[152:153], v[3:4], v[164:165], v[158:159]
	v_add_f64 v[133:134], v[140:141], v[133:134]
	v_add_f64 v[144:145], v[142:143], v[144:145]
	ds_read_b128 v[1:4], v182 offset:96
	ds_read_b128 v[140:143], v182 offset:112
	v_fma_f64 v[136:137], v[136:137], v[162:163], -v[146:147]
	v_fma_f64 v[138:139], v[138:139], v[162:163], v[148:149]
	s_waitcnt vmcnt(4) lgkmcnt(1)
	v_mul_f64 v[154:155], v[3:4], v[166:167]
	v_mul_f64 v[156:157], v[1:2], v[166:167]
	v_add_f64 v[133:134], v[133:134], v[150:151]
	v_add_f64 v[144:145], v[144:145], v[152:153]
	s_waitcnt vmcnt(2) lgkmcnt(0)
	v_mul_f64 v[146:147], v[142:143], v[168:169]
	v_mul_f64 v[148:149], v[140:141], v[168:169]
	s_waitcnt vmcnt(0)
	v_fma_f64 v[1:2], v[1:2], v[172:173], -v[154:155]
	v_fma_f64 v[3:4], v[3:4], v[172:173], v[156:157]
	v_add_f64 v[133:134], v[133:134], v[136:137]
	v_add_f64 v[136:137], v[144:145], v[138:139]
	v_fma_f64 v[138:139], v[140:141], v[170:171], -v[146:147]
	v_fma_f64 v[140:141], v[142:143], v[170:171], v[148:149]
	v_add_f64 v[1:2], v[133:134], v[1:2]
	v_add_f64 v[3:4], v[136:137], v[3:4]
	v_mov_b32_e32 v133, s74
	s_mov_b32 s74, s75
	v_add_f64 v[1:2], v[1:2], v[138:139]
	v_add_f64 v[3:4], v[3:4], v[140:141]
	s_andn2_b32 exec_lo, exec_lo, s71
	s_cbranch_execnz .LBB125_781
; %bb.782:
	s_or_b32 exec_lo, exec_lo, s71
.LBB125_783:
	s_or_b32 exec_lo, exec_lo, s5
	v_and_b32_e32 v131, 7, v131
	s_mov_b32 s71, 0
	s_mov_b32 s5, exec_lo
	v_cmpx_ne_u32_e32 0, v131
	s_cbranch_execz .LBB125_787
; %bb.784:
	v_lshlrev_b32_e32 v133, 4, v133
	v_add_nc_u32_e32 v132, 0x3e0, v133
	.p2align	6
.LBB125_785:                            ; =>This Inner Loop Header: Depth=1
	s_clause 0x3
	buffer_load_dword v140, v133, s[0:3], 0 offen offset:8
	buffer_load_dword v141, v133, s[0:3], 0 offen offset:12
	buffer_load_dword v142, v133, s[0:3], 0 offen
	buffer_load_dword v143, v133, s[0:3], 0 offen offset:4
	ds_read_b128 v[136:139], v132
	v_add_nc_u32_e32 v131, -1, v131
	v_add_nc_u32_e32 v132, 16, v132
	v_add_nc_u32_e32 v133, 16, v133
	v_cmp_eq_u32_e32 vcc_lo, 0, v131
	s_or_b32 s71, vcc_lo, s71
	s_waitcnt vmcnt(2) lgkmcnt(0)
	v_mul_f64 v[144:145], v[138:139], v[140:141]
	v_mul_f64 v[140:141], v[136:137], v[140:141]
	s_waitcnt vmcnt(0)
	v_fma_f64 v[136:137], v[136:137], v[142:143], -v[144:145]
	v_fma_f64 v[138:139], v[138:139], v[142:143], v[140:141]
	v_add_f64 v[1:2], v[1:2], v[136:137]
	v_add_f64 v[3:4], v[3:4], v[138:139]
	s_andn2_b32 exec_lo, exec_lo, s71
	s_cbranch_execnz .LBB125_785
; %bb.786:
	s_or_b32 exec_lo, exec_lo, s71
.LBB125_787:
	s_or_b32 exec_lo, exec_lo, s5
.LBB125_788:
	s_or_b32 exec_lo, exec_lo, s8
	v_mov_b32_e32 v131, 0
	ds_read_b128 v[131:134], v131 offset:64
	s_waitcnt lgkmcnt(0)
	v_mul_f64 v[136:137], v[3:4], v[133:134]
	v_mul_f64 v[133:134], v[1:2], v[133:134]
	v_fma_f64 v[1:2], v[1:2], v[131:132], -v[136:137]
	v_fma_f64 v[3:4], v[3:4], v[131:132], v[133:134]
	buffer_store_dword v2, off, s[0:3], 0 offset:68
	buffer_store_dword v1, off, s[0:3], 0 offset:64
	;; [unrolled: 1-line block ×4, first 2 shown]
.LBB125_789:
	s_or_b32 exec_lo, exec_lo, s6
	v_mov_b32_e32 v4, s68
	v_cmp_lt_u32_e64 s5, 3, v0
	s_clause 0x3
	buffer_load_dword v1, v4, s[0:3], 0 offen
	buffer_load_dword v2, v4, s[0:3], 0 offen offset:4
	buffer_load_dword v3, v4, s[0:3], 0 offen offset:8
	;; [unrolled: 1-line block ×3, first 2 shown]
	s_waitcnt vmcnt(0)
	ds_write_b128 v130, v[1:4]
	s_waitcnt lgkmcnt(0)
	s_waitcnt_vscnt null, 0x0
	s_barrier
	buffer_gl0_inv
	s_and_saveexec_b32 s6, s5
	s_cbranch_execz .LBB125_803
; %bb.790:
	ds_read_b128 v[1:4], v130
	s_andn2_b32 vcc_lo, exec_lo, s7
	s_cbranch_vccnz .LBB125_792
; %bb.791:
	s_clause 0x3
	buffer_load_dword v131, v129, s[0:3], 0 offen offset:8
	buffer_load_dword v132, v129, s[0:3], 0 offen offset:12
	buffer_load_dword v133, v129, s[0:3], 0 offen
	buffer_load_dword v134, v129, s[0:3], 0 offen offset:4
	s_waitcnt vmcnt(2) lgkmcnt(0)
	v_mul_f64 v[136:137], v[3:4], v[131:132]
	v_mul_f64 v[131:132], v[1:2], v[131:132]
	s_waitcnt vmcnt(0)
	v_fma_f64 v[1:2], v[1:2], v[133:134], -v[136:137]
	v_fma_f64 v[3:4], v[3:4], v[133:134], v[131:132]
.LBB125_792:
	s_and_saveexec_b32 s8, s4
	s_cbranch_execz .LBB125_802
; %bb.793:
	v_add_nc_u32_e32 v132, -5, v0
	v_add_nc_u32_e32 v131, -4, v0
	v_mov_b32_e32 v133, 4
	s_mov_b32 s4, exec_lo
	v_cmpx_lt_u32_e32 6, v132
	s_cbranch_execz .LBB125_797
; %bb.794:
	v_and_b32_e32 v132, -8, v131
	s_movk_i32 s72, 0x420
	s_mov_b32 s71, 0
	s_mov_b32 s73, s67
	;; [unrolled: 1-line block ×3, first 2 shown]
.LBB125_795:                            ; =>This Inner Loop Header: Depth=1
	v_mov_b32_e32 v136, s73
	v_mov_b32_e32 v182, s72
	s_add_i32 s75, s74, 8
	s_add_i32 s74, s74, 12
	v_cmp_eq_u32_e32 vcc_lo, s75, v132
	s_clause 0x1f
	buffer_load_dword v133, v136, s[0:3], 0 offen offset:8
	buffer_load_dword v134, v136, s[0:3], 0 offen offset:12
	buffer_load_dword v144, v136, s[0:3], 0 offen
	buffer_load_dword v145, v136, s[0:3], 0 offen offset:4
	buffer_load_dword v146, v136, s[0:3], 0 offen offset:24
	;; [unrolled: 1-line block ×29, first 2 shown]
	ds_read_b128 v[136:139], v182
	ds_read_b128 v[140:143], v182 offset:16
	s_addk_i32 s72, 0x80
	s_addk_i32 s73, 0x80
	s_or_b32 s71, vcc_lo, s71
	s_waitcnt vmcnt(30) lgkmcnt(1)
	v_mul_f64 v[174:175], v[138:139], v[133:134]
	v_mul_f64 v[133:134], v[136:137], v[133:134]
	s_waitcnt vmcnt(26) lgkmcnt(0)
	v_mul_f64 v[176:177], v[142:143], v[146:147]
	v_mul_f64 v[178:179], v[140:141], v[146:147]
	v_fma_f64 v[174:175], v[136:137], v[144:145], -v[174:175]
	v_fma_f64 v[133:134], v[138:139], v[144:145], v[133:134]
	ds_read_b128 v[136:139], v182 offset:32
	ds_read_b128 v[144:147], v182 offset:48
	s_waitcnt vmcnt(24)
	v_fma_f64 v[140:141], v[140:141], v[148:149], -v[176:177]
	v_fma_f64 v[142:143], v[142:143], v[148:149], v[178:179]
	s_waitcnt vmcnt(22) lgkmcnt(1)
	v_mul_f64 v[180:181], v[138:139], v[150:151]
	v_mul_f64 v[150:151], v[136:137], v[150:151]
	v_add_f64 v[1:2], v[1:2], v[174:175]
	v_add_f64 v[3:4], v[3:4], v[133:134]
	s_waitcnt vmcnt(18) lgkmcnt(0)
	v_mul_f64 v[133:134], v[146:147], v[154:155]
	v_mul_f64 v[148:149], v[144:145], v[154:155]
	v_fma_f64 v[154:155], v[136:137], v[152:153], -v[180:181]
	v_fma_f64 v[150:151], v[138:139], v[152:153], v[150:151]
	v_add_f64 v[140:141], v[1:2], v[140:141]
	v_add_f64 v[142:143], v[3:4], v[142:143]
	ds_read_b128 v[1:4], v182 offset:64
	ds_read_b128 v[136:139], v182 offset:80
	s_waitcnt vmcnt(16)
	v_fma_f64 v[133:134], v[144:145], v[156:157], -v[133:134]
	v_fma_f64 v[144:145], v[146:147], v[156:157], v[148:149]
	s_waitcnt vmcnt(12) lgkmcnt(1)
	v_mul_f64 v[152:153], v[3:4], v[158:159]
	v_mul_f64 v[158:159], v[1:2], v[158:159]
	v_add_f64 v[140:141], v[140:141], v[154:155]
	v_add_f64 v[142:143], v[142:143], v[150:151]
	s_waitcnt vmcnt(10) lgkmcnt(0)
	v_mul_f64 v[146:147], v[138:139], v[160:161]
	v_mul_f64 v[148:149], v[136:137], v[160:161]
	s_waitcnt vmcnt(8)
	v_fma_f64 v[150:151], v[1:2], v[164:165], -v[152:153]
	v_fma_f64 v[152:153], v[3:4], v[164:165], v[158:159]
	v_add_f64 v[133:134], v[140:141], v[133:134]
	v_add_f64 v[144:145], v[142:143], v[144:145]
	ds_read_b128 v[1:4], v182 offset:96
	ds_read_b128 v[140:143], v182 offset:112
	v_fma_f64 v[136:137], v[136:137], v[162:163], -v[146:147]
	v_fma_f64 v[138:139], v[138:139], v[162:163], v[148:149]
	s_waitcnt vmcnt(4) lgkmcnt(1)
	v_mul_f64 v[154:155], v[3:4], v[166:167]
	v_mul_f64 v[156:157], v[1:2], v[166:167]
	v_add_f64 v[133:134], v[133:134], v[150:151]
	v_add_f64 v[144:145], v[144:145], v[152:153]
	s_waitcnt vmcnt(2) lgkmcnt(0)
	v_mul_f64 v[146:147], v[142:143], v[168:169]
	v_mul_f64 v[148:149], v[140:141], v[168:169]
	s_waitcnt vmcnt(0)
	v_fma_f64 v[1:2], v[1:2], v[172:173], -v[154:155]
	v_fma_f64 v[3:4], v[3:4], v[172:173], v[156:157]
	v_add_f64 v[133:134], v[133:134], v[136:137]
	v_add_f64 v[136:137], v[144:145], v[138:139]
	v_fma_f64 v[138:139], v[140:141], v[170:171], -v[146:147]
	v_fma_f64 v[140:141], v[142:143], v[170:171], v[148:149]
	v_add_f64 v[1:2], v[133:134], v[1:2]
	v_add_f64 v[3:4], v[136:137], v[3:4]
	v_mov_b32_e32 v133, s74
	s_mov_b32 s74, s75
	v_add_f64 v[1:2], v[1:2], v[138:139]
	v_add_f64 v[3:4], v[3:4], v[140:141]
	s_andn2_b32 exec_lo, exec_lo, s71
	s_cbranch_execnz .LBB125_795
; %bb.796:
	s_or_b32 exec_lo, exec_lo, s71
.LBB125_797:
	s_or_b32 exec_lo, exec_lo, s4
	v_and_b32_e32 v131, 7, v131
	s_mov_b32 s71, 0
	s_mov_b32 s4, exec_lo
	v_cmpx_ne_u32_e32 0, v131
	s_cbranch_execz .LBB125_801
; %bb.798:
	v_lshlrev_b32_e32 v133, 4, v133
	v_add_nc_u32_e32 v132, 0x3e0, v133
	.p2align	6
.LBB125_799:                            ; =>This Inner Loop Header: Depth=1
	s_clause 0x3
	buffer_load_dword v140, v133, s[0:3], 0 offen offset:8
	buffer_load_dword v141, v133, s[0:3], 0 offen offset:12
	buffer_load_dword v142, v133, s[0:3], 0 offen
	buffer_load_dword v143, v133, s[0:3], 0 offen offset:4
	ds_read_b128 v[136:139], v132
	v_add_nc_u32_e32 v131, -1, v131
	v_add_nc_u32_e32 v132, 16, v132
	v_add_nc_u32_e32 v133, 16, v133
	v_cmp_eq_u32_e32 vcc_lo, 0, v131
	s_or_b32 s71, vcc_lo, s71
	s_waitcnt vmcnt(2) lgkmcnt(0)
	v_mul_f64 v[144:145], v[138:139], v[140:141]
	v_mul_f64 v[140:141], v[136:137], v[140:141]
	s_waitcnt vmcnt(0)
	v_fma_f64 v[136:137], v[136:137], v[142:143], -v[144:145]
	v_fma_f64 v[138:139], v[138:139], v[142:143], v[140:141]
	v_add_f64 v[1:2], v[1:2], v[136:137]
	v_add_f64 v[3:4], v[3:4], v[138:139]
	s_andn2_b32 exec_lo, exec_lo, s71
	s_cbranch_execnz .LBB125_799
; %bb.800:
	s_or_b32 exec_lo, exec_lo, s71
.LBB125_801:
	s_or_b32 exec_lo, exec_lo, s4
.LBB125_802:
	s_or_b32 exec_lo, exec_lo, s8
	v_mov_b32_e32 v131, 0
	ds_read_b128 v[131:134], v131 offset:48
	s_waitcnt lgkmcnt(0)
	v_mul_f64 v[136:137], v[3:4], v[133:134]
	v_mul_f64 v[133:134], v[1:2], v[133:134]
	v_fma_f64 v[1:2], v[1:2], v[131:132], -v[136:137]
	v_fma_f64 v[3:4], v[3:4], v[131:132], v[133:134]
	buffer_store_dword v2, off, s[0:3], 0 offset:52
	buffer_store_dword v1, off, s[0:3], 0 offset:48
	;; [unrolled: 1-line block ×4, first 2 shown]
.LBB125_803:
	s_or_b32 exec_lo, exec_lo, s6
	v_mov_b32_e32 v4, s69
	v_cmp_lt_u32_e64 s6, 2, v0
	s_clause 0x3
	buffer_load_dword v1, v4, s[0:3], 0 offen
	buffer_load_dword v2, v4, s[0:3], 0 offen offset:4
	buffer_load_dword v3, v4, s[0:3], 0 offen offset:8
	;; [unrolled: 1-line block ×3, first 2 shown]
	s_waitcnt vmcnt(0)
	ds_write_b128 v130, v[1:4]
	s_waitcnt lgkmcnt(0)
	s_waitcnt_vscnt null, 0x0
	s_barrier
	buffer_gl0_inv
	s_and_saveexec_b32 s4, s6
	s_cbranch_execz .LBB125_817
; %bb.804:
	ds_read_b128 v[1:4], v130
	s_andn2_b32 vcc_lo, exec_lo, s7
	s_cbranch_vccnz .LBB125_806
; %bb.805:
	s_clause 0x3
	buffer_load_dword v131, v129, s[0:3], 0 offen offset:8
	buffer_load_dword v132, v129, s[0:3], 0 offen offset:12
	buffer_load_dword v133, v129, s[0:3], 0 offen
	buffer_load_dword v134, v129, s[0:3], 0 offen offset:4
	s_waitcnt vmcnt(2) lgkmcnt(0)
	v_mul_f64 v[136:137], v[3:4], v[131:132]
	v_mul_f64 v[131:132], v[1:2], v[131:132]
	s_waitcnt vmcnt(0)
	v_fma_f64 v[1:2], v[1:2], v[133:134], -v[136:137]
	v_fma_f64 v[3:4], v[3:4], v[133:134], v[131:132]
.LBB125_806:
	s_and_saveexec_b32 s8, s5
	s_cbranch_execz .LBB125_816
; %bb.807:
	v_add_nc_u32_e32 v132, -4, v0
	v_add_nc_u32_e32 v131, -3, v0
	v_mov_b32_e32 v133, 3
	s_mov_b32 s5, exec_lo
	v_cmpx_lt_u32_e32 6, v132
	s_cbranch_execz .LBB125_811
; %bb.808:
	v_and_b32_e32 v132, -8, v131
	s_movk_i32 s72, 0x410
	s_mov_b32 s71, 0
	s_mov_b32 s73, s68
	;; [unrolled: 1-line block ×3, first 2 shown]
.LBB125_809:                            ; =>This Inner Loop Header: Depth=1
	v_mov_b32_e32 v136, s73
	v_mov_b32_e32 v182, s72
	s_add_i32 s75, s74, 8
	s_add_i32 s74, s74, 11
	v_cmp_eq_u32_e32 vcc_lo, s75, v132
	s_clause 0x1f
	buffer_load_dword v133, v136, s[0:3], 0 offen offset:8
	buffer_load_dword v134, v136, s[0:3], 0 offen offset:12
	buffer_load_dword v144, v136, s[0:3], 0 offen
	buffer_load_dword v145, v136, s[0:3], 0 offen offset:4
	buffer_load_dword v146, v136, s[0:3], 0 offen offset:24
	buffer_load_dword v147, v136, s[0:3], 0 offen offset:28
	buffer_load_dword v148, v136, s[0:3], 0 offen offset:16
	buffer_load_dword v149, v136, s[0:3], 0 offen offset:20
	buffer_load_dword v150, v136, s[0:3], 0 offen offset:40
	buffer_load_dword v151, v136, s[0:3], 0 offen offset:44
	buffer_load_dword v152, v136, s[0:3], 0 offen offset:32
	buffer_load_dword v153, v136, s[0:3], 0 offen offset:36
	buffer_load_dword v154, v136, s[0:3], 0 offen offset:56
	buffer_load_dword v155, v136, s[0:3], 0 offen offset:60
	buffer_load_dword v156, v136, s[0:3], 0 offen offset:48
	buffer_load_dword v157, v136, s[0:3], 0 offen offset:52
	buffer_load_dword v159, v136, s[0:3], 0 offen offset:76
	buffer_load_dword v160, v136, s[0:3], 0 offen offset:88
	buffer_load_dword v162, v136, s[0:3], 0 offen offset:80
	buffer_load_dword v158, v136, s[0:3], 0 offen offset:72
	buffer_load_dword v163, v136, s[0:3], 0 offen offset:84
	buffer_load_dword v161, v136, s[0:3], 0 offen offset:92
	buffer_load_dword v165, v136, s[0:3], 0 offen offset:68
	buffer_load_dword v164, v136, s[0:3], 0 offen offset:64
	buffer_load_dword v167, v136, s[0:3], 0 offen offset:108
	buffer_load_dword v168, v136, s[0:3], 0 offen offset:120
	buffer_load_dword v170, v136, s[0:3], 0 offen offset:112
	buffer_load_dword v166, v136, s[0:3], 0 offen offset:104
	buffer_load_dword v171, v136, s[0:3], 0 offen offset:116
	buffer_load_dword v169, v136, s[0:3], 0 offen offset:124
	buffer_load_dword v173, v136, s[0:3], 0 offen offset:100
	buffer_load_dword v172, v136, s[0:3], 0 offen offset:96
	ds_read_b128 v[136:139], v182
	ds_read_b128 v[140:143], v182 offset:16
	s_addk_i32 s72, 0x80
	s_addk_i32 s73, 0x80
	s_or_b32 s71, vcc_lo, s71
	s_waitcnt vmcnt(30) lgkmcnt(1)
	v_mul_f64 v[174:175], v[138:139], v[133:134]
	v_mul_f64 v[133:134], v[136:137], v[133:134]
	s_waitcnt vmcnt(26) lgkmcnt(0)
	v_mul_f64 v[176:177], v[142:143], v[146:147]
	v_mul_f64 v[178:179], v[140:141], v[146:147]
	v_fma_f64 v[174:175], v[136:137], v[144:145], -v[174:175]
	v_fma_f64 v[133:134], v[138:139], v[144:145], v[133:134]
	ds_read_b128 v[136:139], v182 offset:32
	ds_read_b128 v[144:147], v182 offset:48
	s_waitcnt vmcnt(24)
	v_fma_f64 v[140:141], v[140:141], v[148:149], -v[176:177]
	v_fma_f64 v[142:143], v[142:143], v[148:149], v[178:179]
	s_waitcnt vmcnt(22) lgkmcnt(1)
	v_mul_f64 v[180:181], v[138:139], v[150:151]
	v_mul_f64 v[150:151], v[136:137], v[150:151]
	v_add_f64 v[1:2], v[1:2], v[174:175]
	v_add_f64 v[3:4], v[3:4], v[133:134]
	s_waitcnt vmcnt(18) lgkmcnt(0)
	v_mul_f64 v[133:134], v[146:147], v[154:155]
	v_mul_f64 v[148:149], v[144:145], v[154:155]
	v_fma_f64 v[154:155], v[136:137], v[152:153], -v[180:181]
	v_fma_f64 v[150:151], v[138:139], v[152:153], v[150:151]
	v_add_f64 v[140:141], v[1:2], v[140:141]
	v_add_f64 v[142:143], v[3:4], v[142:143]
	ds_read_b128 v[1:4], v182 offset:64
	ds_read_b128 v[136:139], v182 offset:80
	s_waitcnt vmcnt(16)
	v_fma_f64 v[133:134], v[144:145], v[156:157], -v[133:134]
	v_fma_f64 v[144:145], v[146:147], v[156:157], v[148:149]
	s_waitcnt vmcnt(12) lgkmcnt(1)
	v_mul_f64 v[152:153], v[3:4], v[158:159]
	v_mul_f64 v[158:159], v[1:2], v[158:159]
	v_add_f64 v[140:141], v[140:141], v[154:155]
	v_add_f64 v[142:143], v[142:143], v[150:151]
	s_waitcnt vmcnt(10) lgkmcnt(0)
	v_mul_f64 v[146:147], v[138:139], v[160:161]
	v_mul_f64 v[148:149], v[136:137], v[160:161]
	s_waitcnt vmcnt(8)
	v_fma_f64 v[150:151], v[1:2], v[164:165], -v[152:153]
	v_fma_f64 v[152:153], v[3:4], v[164:165], v[158:159]
	v_add_f64 v[133:134], v[140:141], v[133:134]
	v_add_f64 v[144:145], v[142:143], v[144:145]
	ds_read_b128 v[1:4], v182 offset:96
	ds_read_b128 v[140:143], v182 offset:112
	v_fma_f64 v[136:137], v[136:137], v[162:163], -v[146:147]
	v_fma_f64 v[138:139], v[138:139], v[162:163], v[148:149]
	s_waitcnt vmcnt(4) lgkmcnt(1)
	v_mul_f64 v[154:155], v[3:4], v[166:167]
	v_mul_f64 v[156:157], v[1:2], v[166:167]
	v_add_f64 v[133:134], v[133:134], v[150:151]
	v_add_f64 v[144:145], v[144:145], v[152:153]
	s_waitcnt vmcnt(2) lgkmcnt(0)
	v_mul_f64 v[146:147], v[142:143], v[168:169]
	v_mul_f64 v[148:149], v[140:141], v[168:169]
	s_waitcnt vmcnt(0)
	v_fma_f64 v[1:2], v[1:2], v[172:173], -v[154:155]
	v_fma_f64 v[3:4], v[3:4], v[172:173], v[156:157]
	v_add_f64 v[133:134], v[133:134], v[136:137]
	v_add_f64 v[136:137], v[144:145], v[138:139]
	v_fma_f64 v[138:139], v[140:141], v[170:171], -v[146:147]
	v_fma_f64 v[140:141], v[142:143], v[170:171], v[148:149]
	v_add_f64 v[1:2], v[133:134], v[1:2]
	v_add_f64 v[3:4], v[136:137], v[3:4]
	v_mov_b32_e32 v133, s74
	s_mov_b32 s74, s75
	v_add_f64 v[1:2], v[1:2], v[138:139]
	v_add_f64 v[3:4], v[3:4], v[140:141]
	s_andn2_b32 exec_lo, exec_lo, s71
	s_cbranch_execnz .LBB125_809
; %bb.810:
	s_or_b32 exec_lo, exec_lo, s71
.LBB125_811:
	s_or_b32 exec_lo, exec_lo, s5
	v_and_b32_e32 v131, 7, v131
	s_mov_b32 s71, 0
	s_mov_b32 s5, exec_lo
	v_cmpx_ne_u32_e32 0, v131
	s_cbranch_execz .LBB125_815
; %bb.812:
	v_lshlrev_b32_e32 v133, 4, v133
	v_add_nc_u32_e32 v132, 0x3e0, v133
	.p2align	6
.LBB125_813:                            ; =>This Inner Loop Header: Depth=1
	s_clause 0x3
	buffer_load_dword v140, v133, s[0:3], 0 offen offset:8
	buffer_load_dword v141, v133, s[0:3], 0 offen offset:12
	buffer_load_dword v142, v133, s[0:3], 0 offen
	buffer_load_dword v143, v133, s[0:3], 0 offen offset:4
	ds_read_b128 v[136:139], v132
	v_add_nc_u32_e32 v131, -1, v131
	v_add_nc_u32_e32 v132, 16, v132
	v_add_nc_u32_e32 v133, 16, v133
	v_cmp_eq_u32_e32 vcc_lo, 0, v131
	s_or_b32 s71, vcc_lo, s71
	s_waitcnt vmcnt(2) lgkmcnt(0)
	v_mul_f64 v[144:145], v[138:139], v[140:141]
	v_mul_f64 v[140:141], v[136:137], v[140:141]
	s_waitcnt vmcnt(0)
	v_fma_f64 v[136:137], v[136:137], v[142:143], -v[144:145]
	v_fma_f64 v[138:139], v[138:139], v[142:143], v[140:141]
	v_add_f64 v[1:2], v[1:2], v[136:137]
	v_add_f64 v[3:4], v[3:4], v[138:139]
	s_andn2_b32 exec_lo, exec_lo, s71
	s_cbranch_execnz .LBB125_813
; %bb.814:
	s_or_b32 exec_lo, exec_lo, s71
.LBB125_815:
	s_or_b32 exec_lo, exec_lo, s5
.LBB125_816:
	s_or_b32 exec_lo, exec_lo, s8
	v_mov_b32_e32 v131, 0
	ds_read_b128 v[131:134], v131 offset:32
	s_waitcnt lgkmcnt(0)
	v_mul_f64 v[136:137], v[3:4], v[133:134]
	v_mul_f64 v[133:134], v[1:2], v[133:134]
	v_fma_f64 v[1:2], v[1:2], v[131:132], -v[136:137]
	v_fma_f64 v[3:4], v[3:4], v[131:132], v[133:134]
	buffer_store_dword v2, off, s[0:3], 0 offset:36
	buffer_store_dword v1, off, s[0:3], 0 offset:32
	;; [unrolled: 1-line block ×4, first 2 shown]
.LBB125_817:
	s_or_b32 exec_lo, exec_lo, s4
	v_mov_b32_e32 v4, s70
	v_cmp_lt_u32_e64 s4, 1, v0
	s_clause 0x3
	buffer_load_dword v1, v4, s[0:3], 0 offen
	buffer_load_dword v2, v4, s[0:3], 0 offen offset:4
	buffer_load_dword v3, v4, s[0:3], 0 offen offset:8
	;; [unrolled: 1-line block ×3, first 2 shown]
	s_waitcnt vmcnt(0)
	ds_write_b128 v130, v[1:4]
	s_waitcnt lgkmcnt(0)
	s_waitcnt_vscnt null, 0x0
	s_barrier
	buffer_gl0_inv
	s_and_saveexec_b32 s5, s4
	s_cbranch_execz .LBB125_831
; %bb.818:
	ds_read_b128 v[1:4], v130
	s_andn2_b32 vcc_lo, exec_lo, s7
	s_cbranch_vccnz .LBB125_820
; %bb.819:
	s_clause 0x3
	buffer_load_dword v131, v129, s[0:3], 0 offen offset:8
	buffer_load_dword v132, v129, s[0:3], 0 offen offset:12
	buffer_load_dword v133, v129, s[0:3], 0 offen
	buffer_load_dword v134, v129, s[0:3], 0 offen offset:4
	s_waitcnt vmcnt(2) lgkmcnt(0)
	v_mul_f64 v[136:137], v[3:4], v[131:132]
	v_mul_f64 v[131:132], v[1:2], v[131:132]
	s_waitcnt vmcnt(0)
	v_fma_f64 v[1:2], v[1:2], v[133:134], -v[136:137]
	v_fma_f64 v[3:4], v[3:4], v[133:134], v[131:132]
.LBB125_820:
	s_and_saveexec_b32 s8, s6
	s_cbranch_execz .LBB125_830
; %bb.821:
	v_add_nc_u32_e32 v132, -3, v0
	v_add_nc_u32_e32 v131, -2, v0
	v_mov_b32_e32 v133, 2
	s_mov_b32 s6, exec_lo
	v_cmpx_lt_u32_e32 6, v132
	s_cbranch_execz .LBB125_825
; %bb.822:
	v_and_b32_e32 v132, -8, v131
	s_movk_i32 s72, 0x400
	s_mov_b32 s71, 0
	s_mov_b32 s73, s69
	;; [unrolled: 1-line block ×3, first 2 shown]
.LBB125_823:                            ; =>This Inner Loop Header: Depth=1
	v_mov_b32_e32 v136, s73
	v_mov_b32_e32 v182, s72
	s_add_i32 s75, s74, 8
	s_add_i32 s74, s74, 10
	v_cmp_eq_u32_e32 vcc_lo, s75, v132
	s_clause 0x1f
	buffer_load_dword v133, v136, s[0:3], 0 offen offset:8
	buffer_load_dword v134, v136, s[0:3], 0 offen offset:12
	buffer_load_dword v144, v136, s[0:3], 0 offen
	buffer_load_dword v145, v136, s[0:3], 0 offen offset:4
	buffer_load_dword v146, v136, s[0:3], 0 offen offset:24
	;; [unrolled: 1-line block ×29, first 2 shown]
	ds_read_b128 v[136:139], v182
	ds_read_b128 v[140:143], v182 offset:16
	s_addk_i32 s72, 0x80
	s_addk_i32 s73, 0x80
	s_or_b32 s71, vcc_lo, s71
	s_waitcnt vmcnt(30) lgkmcnt(1)
	v_mul_f64 v[174:175], v[138:139], v[133:134]
	v_mul_f64 v[133:134], v[136:137], v[133:134]
	s_waitcnt vmcnt(26) lgkmcnt(0)
	v_mul_f64 v[176:177], v[142:143], v[146:147]
	v_mul_f64 v[178:179], v[140:141], v[146:147]
	v_fma_f64 v[174:175], v[136:137], v[144:145], -v[174:175]
	v_fma_f64 v[133:134], v[138:139], v[144:145], v[133:134]
	ds_read_b128 v[136:139], v182 offset:32
	ds_read_b128 v[144:147], v182 offset:48
	s_waitcnt vmcnt(24)
	v_fma_f64 v[140:141], v[140:141], v[148:149], -v[176:177]
	v_fma_f64 v[142:143], v[142:143], v[148:149], v[178:179]
	s_waitcnt vmcnt(22) lgkmcnt(1)
	v_mul_f64 v[180:181], v[138:139], v[150:151]
	v_mul_f64 v[150:151], v[136:137], v[150:151]
	v_add_f64 v[1:2], v[1:2], v[174:175]
	v_add_f64 v[3:4], v[3:4], v[133:134]
	s_waitcnt vmcnt(18) lgkmcnt(0)
	v_mul_f64 v[133:134], v[146:147], v[154:155]
	v_mul_f64 v[148:149], v[144:145], v[154:155]
	v_fma_f64 v[154:155], v[136:137], v[152:153], -v[180:181]
	v_fma_f64 v[150:151], v[138:139], v[152:153], v[150:151]
	v_add_f64 v[140:141], v[1:2], v[140:141]
	v_add_f64 v[142:143], v[3:4], v[142:143]
	ds_read_b128 v[1:4], v182 offset:64
	ds_read_b128 v[136:139], v182 offset:80
	s_waitcnt vmcnt(16)
	v_fma_f64 v[133:134], v[144:145], v[156:157], -v[133:134]
	v_fma_f64 v[144:145], v[146:147], v[156:157], v[148:149]
	s_waitcnt vmcnt(12) lgkmcnt(1)
	v_mul_f64 v[152:153], v[3:4], v[158:159]
	v_mul_f64 v[158:159], v[1:2], v[158:159]
	v_add_f64 v[140:141], v[140:141], v[154:155]
	v_add_f64 v[142:143], v[142:143], v[150:151]
	s_waitcnt vmcnt(10) lgkmcnt(0)
	v_mul_f64 v[146:147], v[138:139], v[160:161]
	v_mul_f64 v[148:149], v[136:137], v[160:161]
	s_waitcnt vmcnt(8)
	v_fma_f64 v[150:151], v[1:2], v[164:165], -v[152:153]
	v_fma_f64 v[152:153], v[3:4], v[164:165], v[158:159]
	v_add_f64 v[133:134], v[140:141], v[133:134]
	v_add_f64 v[144:145], v[142:143], v[144:145]
	ds_read_b128 v[1:4], v182 offset:96
	ds_read_b128 v[140:143], v182 offset:112
	v_fma_f64 v[136:137], v[136:137], v[162:163], -v[146:147]
	v_fma_f64 v[138:139], v[138:139], v[162:163], v[148:149]
	s_waitcnt vmcnt(4) lgkmcnt(1)
	v_mul_f64 v[154:155], v[3:4], v[166:167]
	v_mul_f64 v[156:157], v[1:2], v[166:167]
	v_add_f64 v[133:134], v[133:134], v[150:151]
	v_add_f64 v[144:145], v[144:145], v[152:153]
	s_waitcnt vmcnt(2) lgkmcnt(0)
	v_mul_f64 v[146:147], v[142:143], v[168:169]
	v_mul_f64 v[148:149], v[140:141], v[168:169]
	s_waitcnt vmcnt(0)
	v_fma_f64 v[1:2], v[1:2], v[172:173], -v[154:155]
	v_fma_f64 v[3:4], v[3:4], v[172:173], v[156:157]
	v_add_f64 v[133:134], v[133:134], v[136:137]
	v_add_f64 v[136:137], v[144:145], v[138:139]
	v_fma_f64 v[138:139], v[140:141], v[170:171], -v[146:147]
	v_fma_f64 v[140:141], v[142:143], v[170:171], v[148:149]
	v_add_f64 v[1:2], v[133:134], v[1:2]
	v_add_f64 v[3:4], v[136:137], v[3:4]
	v_mov_b32_e32 v133, s74
	s_mov_b32 s74, s75
	v_add_f64 v[1:2], v[1:2], v[138:139]
	v_add_f64 v[3:4], v[3:4], v[140:141]
	s_andn2_b32 exec_lo, exec_lo, s71
	s_cbranch_execnz .LBB125_823
; %bb.824:
	s_or_b32 exec_lo, exec_lo, s71
.LBB125_825:
	s_or_b32 exec_lo, exec_lo, s6
	v_and_b32_e32 v131, 7, v131
	s_mov_b32 s71, 0
	s_mov_b32 s6, exec_lo
	v_cmpx_ne_u32_e32 0, v131
	s_cbranch_execz .LBB125_829
; %bb.826:
	v_lshlrev_b32_e32 v133, 4, v133
	v_add_nc_u32_e32 v132, 0x3e0, v133
	.p2align	6
.LBB125_827:                            ; =>This Inner Loop Header: Depth=1
	s_clause 0x3
	buffer_load_dword v140, v133, s[0:3], 0 offen offset:8
	buffer_load_dword v141, v133, s[0:3], 0 offen offset:12
	buffer_load_dword v142, v133, s[0:3], 0 offen
	buffer_load_dword v143, v133, s[0:3], 0 offen offset:4
	ds_read_b128 v[136:139], v132
	v_add_nc_u32_e32 v131, -1, v131
	v_add_nc_u32_e32 v132, 16, v132
	v_add_nc_u32_e32 v133, 16, v133
	v_cmp_eq_u32_e32 vcc_lo, 0, v131
	s_or_b32 s71, vcc_lo, s71
	s_waitcnt vmcnt(2) lgkmcnt(0)
	v_mul_f64 v[144:145], v[138:139], v[140:141]
	v_mul_f64 v[140:141], v[136:137], v[140:141]
	s_waitcnt vmcnt(0)
	v_fma_f64 v[136:137], v[136:137], v[142:143], -v[144:145]
	v_fma_f64 v[138:139], v[138:139], v[142:143], v[140:141]
	v_add_f64 v[1:2], v[1:2], v[136:137]
	v_add_f64 v[3:4], v[3:4], v[138:139]
	s_andn2_b32 exec_lo, exec_lo, s71
	s_cbranch_execnz .LBB125_827
; %bb.828:
	s_or_b32 exec_lo, exec_lo, s71
.LBB125_829:
	s_or_b32 exec_lo, exec_lo, s6
.LBB125_830:
	s_or_b32 exec_lo, exec_lo, s8
	v_mov_b32_e32 v131, 0
	ds_read_b128 v[131:134], v131 offset:16
	s_waitcnt lgkmcnt(0)
	v_mul_f64 v[136:137], v[3:4], v[133:134]
	v_mul_f64 v[133:134], v[1:2], v[133:134]
	v_fma_f64 v[1:2], v[1:2], v[131:132], -v[136:137]
	v_fma_f64 v[3:4], v[3:4], v[131:132], v[133:134]
	buffer_store_dword v2, off, s[0:3], 0 offset:20
	buffer_store_dword v1, off, s[0:3], 0 offset:16
	;; [unrolled: 1-line block ×4, first 2 shown]
.LBB125_831:
	s_or_b32 exec_lo, exec_lo, s5
	s_clause 0x3
	buffer_load_dword v1, off, s[0:3], 0
	buffer_load_dword v2, off, s[0:3], 0 offset:4
	buffer_load_dword v3, off, s[0:3], 0 offset:8
	buffer_load_dword v4, off, s[0:3], 0 offset:12
	s_mov_b32 s5, 0
	s_mov_b32 s8, 0
	s_mov_b32 s6, exec_lo
                                        ; implicit-def: $sgpr71
	s_waitcnt vmcnt(0)
	ds_write_b128 v130, v[1:4]
	s_waitcnt lgkmcnt(0)
	s_waitcnt_vscnt null, 0x0
	s_barrier
	buffer_gl0_inv
                                        ; implicit-def: $vgpr1_vgpr2
	v_cmpx_ne_u32_e32 0, v0
	s_cbranch_execz .LBB125_845
; %bb.832:
	ds_read_b128 v[1:4], v130
	s_andn2_b32 vcc_lo, exec_lo, s7
	s_cbranch_vccnz .LBB125_834
; %bb.833:
	s_clause 0x3
	buffer_load_dword v131, v129, s[0:3], 0 offen offset:8
	buffer_load_dword v132, v129, s[0:3], 0 offen offset:12
	buffer_load_dword v133, v129, s[0:3], 0 offen
	buffer_load_dword v134, v129, s[0:3], 0 offen offset:4
	s_waitcnt vmcnt(2) lgkmcnt(0)
	v_mul_f64 v[136:137], v[3:4], v[131:132]
	v_mul_f64 v[131:132], v[1:2], v[131:132]
	s_waitcnt vmcnt(0)
	v_fma_f64 v[1:2], v[1:2], v[133:134], -v[136:137]
	v_fma_f64 v[3:4], v[3:4], v[133:134], v[131:132]
.LBB125_834:
	s_and_saveexec_b32 s8, s4
	s_cbranch_execz .LBB125_844
; %bb.835:
	v_add_nc_u32_e32 v132, -2, v0
	v_add_nc_u32_e32 v131, -1, v0
	v_mov_b32_e32 v133, 1
	s_mov_b32 s4, exec_lo
	v_cmpx_lt_u32_e32 6, v132
	s_cbranch_execz .LBB125_839
; %bb.836:
	v_and_b32_e32 v132, -8, v131
	s_movk_i32 s72, 0x3f0
	s_mov_b32 s71, 0
	s_mov_b32 s73, s70
	s_mov_b32 s74, 0
.LBB125_837:                            ; =>This Inner Loop Header: Depth=1
	v_mov_b32_e32 v136, s73
	v_mov_b32_e32 v182, s72
	s_add_i32 s75, s74, 8
	s_add_i32 s74, s74, 9
	v_cmp_eq_u32_e32 vcc_lo, s75, v132
	s_clause 0x1f
	buffer_load_dword v133, v136, s[0:3], 0 offen offset:8
	buffer_load_dword v134, v136, s[0:3], 0 offen offset:12
	buffer_load_dword v144, v136, s[0:3], 0 offen
	buffer_load_dword v145, v136, s[0:3], 0 offen offset:4
	buffer_load_dword v146, v136, s[0:3], 0 offen offset:24
	buffer_load_dword v147, v136, s[0:3], 0 offen offset:28
	buffer_load_dword v148, v136, s[0:3], 0 offen offset:16
	buffer_load_dword v149, v136, s[0:3], 0 offen offset:20
	buffer_load_dword v150, v136, s[0:3], 0 offen offset:40
	buffer_load_dword v151, v136, s[0:3], 0 offen offset:44
	buffer_load_dword v152, v136, s[0:3], 0 offen offset:32
	buffer_load_dword v153, v136, s[0:3], 0 offen offset:36
	buffer_load_dword v154, v136, s[0:3], 0 offen offset:56
	buffer_load_dword v155, v136, s[0:3], 0 offen offset:60
	buffer_load_dword v156, v136, s[0:3], 0 offen offset:48
	buffer_load_dword v157, v136, s[0:3], 0 offen offset:52
	buffer_load_dword v159, v136, s[0:3], 0 offen offset:76
	buffer_load_dword v160, v136, s[0:3], 0 offen offset:88
	buffer_load_dword v162, v136, s[0:3], 0 offen offset:80
	buffer_load_dword v158, v136, s[0:3], 0 offen offset:72
	buffer_load_dword v163, v136, s[0:3], 0 offen offset:84
	buffer_load_dword v161, v136, s[0:3], 0 offen offset:92
	buffer_load_dword v165, v136, s[0:3], 0 offen offset:68
	buffer_load_dword v164, v136, s[0:3], 0 offen offset:64
	buffer_load_dword v167, v136, s[0:3], 0 offen offset:108
	buffer_load_dword v168, v136, s[0:3], 0 offen offset:120
	buffer_load_dword v170, v136, s[0:3], 0 offen offset:112
	buffer_load_dword v166, v136, s[0:3], 0 offen offset:104
	buffer_load_dword v171, v136, s[0:3], 0 offen offset:116
	buffer_load_dword v169, v136, s[0:3], 0 offen offset:124
	buffer_load_dword v173, v136, s[0:3], 0 offen offset:100
	buffer_load_dword v172, v136, s[0:3], 0 offen offset:96
	ds_read_b128 v[136:139], v182
	ds_read_b128 v[140:143], v182 offset:16
	s_addk_i32 s72, 0x80
	s_addk_i32 s73, 0x80
	s_or_b32 s71, vcc_lo, s71
	s_waitcnt vmcnt(30) lgkmcnt(1)
	v_mul_f64 v[174:175], v[138:139], v[133:134]
	v_mul_f64 v[133:134], v[136:137], v[133:134]
	s_waitcnt vmcnt(26) lgkmcnt(0)
	v_mul_f64 v[176:177], v[142:143], v[146:147]
	v_mul_f64 v[178:179], v[140:141], v[146:147]
	v_fma_f64 v[174:175], v[136:137], v[144:145], -v[174:175]
	v_fma_f64 v[133:134], v[138:139], v[144:145], v[133:134]
	ds_read_b128 v[136:139], v182 offset:32
	ds_read_b128 v[144:147], v182 offset:48
	s_waitcnt vmcnt(24)
	v_fma_f64 v[140:141], v[140:141], v[148:149], -v[176:177]
	v_fma_f64 v[142:143], v[142:143], v[148:149], v[178:179]
	s_waitcnt vmcnt(22) lgkmcnt(1)
	v_mul_f64 v[180:181], v[138:139], v[150:151]
	v_mul_f64 v[150:151], v[136:137], v[150:151]
	v_add_f64 v[1:2], v[1:2], v[174:175]
	v_add_f64 v[3:4], v[3:4], v[133:134]
	s_waitcnt vmcnt(18) lgkmcnt(0)
	v_mul_f64 v[133:134], v[146:147], v[154:155]
	v_mul_f64 v[148:149], v[144:145], v[154:155]
	v_fma_f64 v[154:155], v[136:137], v[152:153], -v[180:181]
	v_fma_f64 v[150:151], v[138:139], v[152:153], v[150:151]
	v_add_f64 v[140:141], v[1:2], v[140:141]
	v_add_f64 v[142:143], v[3:4], v[142:143]
	ds_read_b128 v[1:4], v182 offset:64
	ds_read_b128 v[136:139], v182 offset:80
	s_waitcnt vmcnt(16)
	v_fma_f64 v[133:134], v[144:145], v[156:157], -v[133:134]
	v_fma_f64 v[144:145], v[146:147], v[156:157], v[148:149]
	s_waitcnt vmcnt(12) lgkmcnt(1)
	v_mul_f64 v[152:153], v[3:4], v[158:159]
	v_mul_f64 v[158:159], v[1:2], v[158:159]
	v_add_f64 v[140:141], v[140:141], v[154:155]
	v_add_f64 v[142:143], v[142:143], v[150:151]
	s_waitcnt vmcnt(10) lgkmcnt(0)
	v_mul_f64 v[146:147], v[138:139], v[160:161]
	v_mul_f64 v[148:149], v[136:137], v[160:161]
	s_waitcnt vmcnt(8)
	v_fma_f64 v[150:151], v[1:2], v[164:165], -v[152:153]
	v_fma_f64 v[152:153], v[3:4], v[164:165], v[158:159]
	v_add_f64 v[133:134], v[140:141], v[133:134]
	v_add_f64 v[144:145], v[142:143], v[144:145]
	ds_read_b128 v[1:4], v182 offset:96
	ds_read_b128 v[140:143], v182 offset:112
	v_fma_f64 v[136:137], v[136:137], v[162:163], -v[146:147]
	v_fma_f64 v[138:139], v[138:139], v[162:163], v[148:149]
	s_waitcnt vmcnt(4) lgkmcnt(1)
	v_mul_f64 v[154:155], v[3:4], v[166:167]
	v_mul_f64 v[156:157], v[1:2], v[166:167]
	v_add_f64 v[133:134], v[133:134], v[150:151]
	v_add_f64 v[144:145], v[144:145], v[152:153]
	s_waitcnt vmcnt(2) lgkmcnt(0)
	v_mul_f64 v[146:147], v[142:143], v[168:169]
	v_mul_f64 v[148:149], v[140:141], v[168:169]
	s_waitcnt vmcnt(0)
	v_fma_f64 v[1:2], v[1:2], v[172:173], -v[154:155]
	v_fma_f64 v[3:4], v[3:4], v[172:173], v[156:157]
	v_add_f64 v[133:134], v[133:134], v[136:137]
	v_add_f64 v[136:137], v[144:145], v[138:139]
	v_fma_f64 v[138:139], v[140:141], v[170:171], -v[146:147]
	v_fma_f64 v[140:141], v[142:143], v[170:171], v[148:149]
	v_add_f64 v[1:2], v[133:134], v[1:2]
	v_add_f64 v[3:4], v[136:137], v[3:4]
	v_mov_b32_e32 v133, s74
	s_mov_b32 s74, s75
	v_add_f64 v[1:2], v[1:2], v[138:139]
	v_add_f64 v[3:4], v[3:4], v[140:141]
	s_andn2_b32 exec_lo, exec_lo, s71
	s_cbranch_execnz .LBB125_837
; %bb.838:
	s_or_b32 exec_lo, exec_lo, s71
.LBB125_839:
	s_or_b32 exec_lo, exec_lo, s4
	v_and_b32_e32 v131, 7, v131
	s_mov_b32 s71, 0
	s_mov_b32 s4, exec_lo
	v_cmpx_ne_u32_e32 0, v131
	s_cbranch_execz .LBB125_843
; %bb.840:
	v_lshlrev_b32_e32 v133, 4, v133
	v_add_nc_u32_e32 v132, 0x3e0, v133
	.p2align	6
.LBB125_841:                            ; =>This Inner Loop Header: Depth=1
	s_clause 0x3
	buffer_load_dword v140, v133, s[0:3], 0 offen offset:8
	buffer_load_dword v141, v133, s[0:3], 0 offen offset:12
	buffer_load_dword v142, v133, s[0:3], 0 offen
	buffer_load_dword v143, v133, s[0:3], 0 offen offset:4
	ds_read_b128 v[136:139], v132
	v_add_nc_u32_e32 v131, -1, v131
	v_add_nc_u32_e32 v132, 16, v132
	v_add_nc_u32_e32 v133, 16, v133
	v_cmp_eq_u32_e32 vcc_lo, 0, v131
	s_or_b32 s71, vcc_lo, s71
	s_waitcnt vmcnt(2) lgkmcnt(0)
	v_mul_f64 v[144:145], v[138:139], v[140:141]
	v_mul_f64 v[140:141], v[136:137], v[140:141]
	s_waitcnt vmcnt(0)
	v_fma_f64 v[136:137], v[136:137], v[142:143], -v[144:145]
	v_fma_f64 v[138:139], v[138:139], v[142:143], v[140:141]
	v_add_f64 v[1:2], v[1:2], v[136:137]
	v_add_f64 v[3:4], v[3:4], v[138:139]
	s_andn2_b32 exec_lo, exec_lo, s71
	s_cbranch_execnz .LBB125_841
; %bb.842:
	s_or_b32 exec_lo, exec_lo, s71
.LBB125_843:
	s_or_b32 exec_lo, exec_lo, s4
.LBB125_844:
	s_or_b32 exec_lo, exec_lo, s8
	v_mov_b32_e32 v131, 0
	s_mov_b32 s8, exec_lo
	s_or_b32 s71, 0, 8
	ds_read_b128 v[131:134], v131
	s_waitcnt lgkmcnt(0)
	v_mul_f64 v[136:137], v[3:4], v[133:134]
	v_mul_f64 v[133:134], v[1:2], v[133:134]
	v_fma_f64 v[136:137], v[1:2], v[131:132], -v[136:137]
	v_fma_f64 v[1:2], v[3:4], v[131:132], v[133:134]
	buffer_store_dword v137, off, s[0:3], 0 offset:4
	buffer_store_dword v136, off, s[0:3], 0
.LBB125_845:
	s_or_b32 exec_lo, exec_lo, s6
	s_and_b32 vcc_lo, exec_lo, s5
	s_cbranch_vccnz .LBB125_847
	s_branch .LBB125_1342
.LBB125_846:
	s_mov_b32 s8, 0
                                        ; implicit-def: $vgpr1_vgpr2
                                        ; implicit-def: $sgpr71
	s_cbranch_execz .LBB125_1342
.LBB125_847:
	v_mov_b32_e32 v4, s70
	v_cmp_eq_u32_e64 s4, 0, v0
	v_cndmask_b32_e64 v131, 0, 1, s7
	s_clause 0x3
	buffer_load_dword v1, v4, s[0:3], 0 offen
	buffer_load_dword v2, v4, s[0:3], 0 offen offset:4
	buffer_load_dword v3, v4, s[0:3], 0 offen offset:8
	;; [unrolled: 1-line block ×3, first 2 shown]
	s_waitcnt vmcnt(0)
	ds_write_b128 v130, v[1:4]
	s_waitcnt lgkmcnt(0)
	s_waitcnt_vscnt null, 0x0
	s_barrier
	buffer_gl0_inv
	s_and_saveexec_b32 s5, s4
	s_cbranch_execz .LBB125_851
; %bb.848:
	ds_read_b128 v[1:4], v130
	s_andn2_b32 vcc_lo, exec_lo, s7
	s_cbranch_vccnz .LBB125_850
; %bb.849:
	s_clause 0x3
	buffer_load_dword v132, v129, s[0:3], 0 offen offset:8
	buffer_load_dword v133, v129, s[0:3], 0 offen offset:12
	buffer_load_dword v136, v129, s[0:3], 0 offen
	buffer_load_dword v137, v129, s[0:3], 0 offen offset:4
	s_waitcnt vmcnt(2) lgkmcnt(0)
	v_mul_f64 v[138:139], v[3:4], v[132:133]
	v_mul_f64 v[132:133], v[1:2], v[132:133]
	s_waitcnt vmcnt(0)
	v_fma_f64 v[1:2], v[1:2], v[136:137], -v[138:139]
	v_fma_f64 v[3:4], v[3:4], v[136:137], v[132:133]
.LBB125_850:
	v_mov_b32_e32 v132, 0
	ds_read_b128 v[136:139], v132 offset:16
	s_waitcnt lgkmcnt(0)
	v_mul_f64 v[132:133], v[3:4], v[138:139]
	v_mul_f64 v[138:139], v[1:2], v[138:139]
	v_fma_f64 v[1:2], v[1:2], v[136:137], -v[132:133]
	v_fma_f64 v[3:4], v[3:4], v[136:137], v[138:139]
	buffer_store_dword v2, off, s[0:3], 0 offset:20
	buffer_store_dword v1, off, s[0:3], 0 offset:16
	;; [unrolled: 1-line block ×4, first 2 shown]
.LBB125_851:
	s_or_b32 exec_lo, exec_lo, s5
	v_mov_b32_e32 v4, s69
	s_mov_b32 s5, exec_lo
	s_clause 0x3
	buffer_load_dword v1, v4, s[0:3], 0 offen
	buffer_load_dword v2, v4, s[0:3], 0 offen offset:4
	buffer_load_dword v3, v4, s[0:3], 0 offen offset:8
	;; [unrolled: 1-line block ×3, first 2 shown]
	s_waitcnt vmcnt(0)
	ds_write_b128 v130, v[1:4]
	s_waitcnt lgkmcnt(0)
	s_waitcnt_vscnt null, 0x0
	s_barrier
	buffer_gl0_inv
	v_cmpx_gt_u32_e32 2, v0
	s_cbranch_execz .LBB125_857
; %bb.852:
	ds_read_b128 v[1:4], v130
	v_cmp_ne_u32_e32 vcc_lo, 1, v131
	s_cbranch_vccnz .LBB125_854
; %bb.853:
	s_clause 0x3
	buffer_load_dword v132, v129, s[0:3], 0 offen offset:8
	buffer_load_dword v133, v129, s[0:3], 0 offen offset:12
	buffer_load_dword v136, v129, s[0:3], 0 offen
	buffer_load_dword v137, v129, s[0:3], 0 offen offset:4
	s_waitcnt vmcnt(2) lgkmcnt(0)
	v_mul_f64 v[138:139], v[3:4], v[132:133]
	v_mul_f64 v[132:133], v[1:2], v[132:133]
	s_waitcnt vmcnt(0)
	v_fma_f64 v[1:2], v[1:2], v[136:137], -v[138:139]
	v_fma_f64 v[3:4], v[3:4], v[136:137], v[132:133]
.LBB125_854:
	s_and_saveexec_b32 s6, s4
	s_cbranch_execz .LBB125_856
; %bb.855:
	s_clause 0x3
	buffer_load_dword v132, off, s[0:3], 0 offset:24
	buffer_load_dword v133, off, s[0:3], 0 offset:28
	;; [unrolled: 1-line block ×4, first 2 shown]
	v_mov_b32_e32 v134, 0
	ds_read_b128 v[136:139], v134 offset:1008
	s_waitcnt vmcnt(2) lgkmcnt(0)
	v_mul_f64 v[142:143], v[138:139], v[132:133]
	v_mul_f64 v[132:133], v[136:137], v[132:133]
	s_waitcnt vmcnt(0)
	v_fma_f64 v[136:137], v[136:137], v[140:141], -v[142:143]
	v_fma_f64 v[132:133], v[138:139], v[140:141], v[132:133]
	v_add_f64 v[1:2], v[1:2], v[136:137]
	v_add_f64 v[3:4], v[3:4], v[132:133]
.LBB125_856:
	s_or_b32 exec_lo, exec_lo, s6
	v_mov_b32_e32 v132, 0
	ds_read_b128 v[136:139], v132 offset:32
	s_waitcnt lgkmcnt(0)
	v_mul_f64 v[132:133], v[3:4], v[138:139]
	v_mul_f64 v[138:139], v[1:2], v[138:139]
	v_fma_f64 v[1:2], v[1:2], v[136:137], -v[132:133]
	v_fma_f64 v[3:4], v[3:4], v[136:137], v[138:139]
	buffer_store_dword v2, off, s[0:3], 0 offset:36
	buffer_store_dword v1, off, s[0:3], 0 offset:32
	buffer_store_dword v4, off, s[0:3], 0 offset:44
	buffer_store_dword v3, off, s[0:3], 0 offset:40
.LBB125_857:
	s_or_b32 exec_lo, exec_lo, s5
	v_mov_b32_e32 v4, s68
	v_cmp_gt_u32_e64 s5, 3, v0
	s_clause 0x3
	buffer_load_dword v1, v4, s[0:3], 0 offen
	buffer_load_dword v2, v4, s[0:3], 0 offen offset:4
	buffer_load_dword v3, v4, s[0:3], 0 offen offset:8
	;; [unrolled: 1-line block ×3, first 2 shown]
	s_waitcnt vmcnt(0)
	ds_write_b128 v130, v[1:4]
	s_waitcnt lgkmcnt(0)
	s_waitcnt_vscnt null, 0x0
	s_barrier
	buffer_gl0_inv
	s_and_saveexec_b32 s6, s5
	s_cbranch_execz .LBB125_865
; %bb.858:
	ds_read_b128 v[1:4], v130
	v_cmp_ne_u32_e32 vcc_lo, 1, v131
	s_cbranch_vccnz .LBB125_860
; %bb.859:
	s_clause 0x3
	buffer_load_dword v132, v129, s[0:3], 0 offen offset:8
	buffer_load_dword v133, v129, s[0:3], 0 offen offset:12
	buffer_load_dword v136, v129, s[0:3], 0 offen
	buffer_load_dword v137, v129, s[0:3], 0 offen offset:4
	s_waitcnt vmcnt(2) lgkmcnt(0)
	v_mul_f64 v[138:139], v[3:4], v[132:133]
	v_mul_f64 v[132:133], v[1:2], v[132:133]
	s_waitcnt vmcnt(0)
	v_fma_f64 v[1:2], v[1:2], v[136:137], -v[138:139]
	v_fma_f64 v[3:4], v[3:4], v[136:137], v[132:133]
.LBB125_860:
	s_mov_b32 s7, exec_lo
	v_cmpx_ne_u32_e32 2, v0
	s_cbranch_execz .LBB125_864
; %bb.861:
	s_clause 0x3
	buffer_load_dword v132, v129, s[0:3], 0 offen offset:24
	buffer_load_dword v133, v129, s[0:3], 0 offen offset:28
	;; [unrolled: 1-line block ×4, first 2 shown]
	ds_read_b128 v[136:139], v130 offset:16
	s_waitcnt vmcnt(2) lgkmcnt(0)
	v_mul_f64 v[142:143], v[138:139], v[132:133]
	v_mul_f64 v[132:133], v[136:137], v[132:133]
	s_waitcnt vmcnt(0)
	v_fma_f64 v[136:137], v[136:137], v[140:141], -v[142:143]
	v_fma_f64 v[132:133], v[138:139], v[140:141], v[132:133]
	v_add_f64 v[1:2], v[1:2], v[136:137]
	v_add_f64 v[3:4], v[3:4], v[132:133]
	s_and_saveexec_b32 s71, s4
	s_cbranch_execz .LBB125_863
; %bb.862:
	s_clause 0x3
	buffer_load_dword v132, off, s[0:3], 0 offset:40
	buffer_load_dword v133, off, s[0:3], 0 offset:44
	;; [unrolled: 1-line block ×4, first 2 shown]
	v_mov_b32_e32 v134, 0
	ds_read_b128 v[136:139], v134 offset:1024
	s_waitcnt vmcnt(2) lgkmcnt(0)
	v_mul_f64 v[142:143], v[136:137], v[132:133]
	v_mul_f64 v[132:133], v[138:139], v[132:133]
	s_waitcnt vmcnt(0)
	v_fma_f64 v[138:139], v[138:139], v[140:141], v[142:143]
	v_fma_f64 v[132:133], v[136:137], v[140:141], -v[132:133]
	v_add_f64 v[3:4], v[3:4], v[138:139]
	v_add_f64 v[1:2], v[1:2], v[132:133]
.LBB125_863:
	s_or_b32 exec_lo, exec_lo, s71
.LBB125_864:
	s_or_b32 exec_lo, exec_lo, s7
	v_mov_b32_e32 v132, 0
	ds_read_b128 v[136:139], v132 offset:48
	s_waitcnt lgkmcnt(0)
	v_mul_f64 v[132:133], v[3:4], v[138:139]
	v_mul_f64 v[138:139], v[1:2], v[138:139]
	v_fma_f64 v[1:2], v[1:2], v[136:137], -v[132:133]
	v_fma_f64 v[3:4], v[3:4], v[136:137], v[138:139]
	buffer_store_dword v2, off, s[0:3], 0 offset:52
	buffer_store_dword v1, off, s[0:3], 0 offset:48
	;; [unrolled: 1-line block ×4, first 2 shown]
.LBB125_865:
	s_or_b32 exec_lo, exec_lo, s6
	v_mov_b32_e32 v4, s67
	s_mov_b32 s6, exec_lo
	s_clause 0x3
	buffer_load_dword v1, v4, s[0:3], 0 offen
	buffer_load_dword v2, v4, s[0:3], 0 offen offset:4
	buffer_load_dword v3, v4, s[0:3], 0 offen offset:8
	;; [unrolled: 1-line block ×3, first 2 shown]
	s_waitcnt vmcnt(0)
	ds_write_b128 v130, v[1:4]
	s_waitcnt lgkmcnt(0)
	s_waitcnt_vscnt null, 0x0
	s_barrier
	buffer_gl0_inv
	v_cmpx_gt_u32_e32 4, v0
	s_cbranch_execz .LBB125_873
; %bb.866:
	ds_read_b128 v[1:4], v130
	v_cmp_ne_u32_e32 vcc_lo, 1, v131
	s_cbranch_vccnz .LBB125_868
; %bb.867:
	s_clause 0x3
	buffer_load_dword v132, v129, s[0:3], 0 offen offset:8
	buffer_load_dword v133, v129, s[0:3], 0 offen offset:12
	buffer_load_dword v136, v129, s[0:3], 0 offen
	buffer_load_dword v137, v129, s[0:3], 0 offen offset:4
	s_waitcnt vmcnt(2) lgkmcnt(0)
	v_mul_f64 v[138:139], v[3:4], v[132:133]
	v_mul_f64 v[132:133], v[1:2], v[132:133]
	s_waitcnt vmcnt(0)
	v_fma_f64 v[1:2], v[1:2], v[136:137], -v[138:139]
	v_fma_f64 v[3:4], v[3:4], v[136:137], v[132:133]
.LBB125_868:
	s_mov_b32 s7, exec_lo
	v_cmpx_ne_u32_e32 3, v0
	s_cbranch_execz .LBB125_872
; %bb.869:
	v_add_nc_u32_e32 v132, 0x3f0, v135
	v_add3_u32 v133, 0, v135, 16
	v_mov_b32_e32 v134, v0
	s_mov_b32 s71, 0
	.p2align	6
.LBB125_870:                            ; =>This Inner Loop Header: Depth=1
	s_clause 0x3
	buffer_load_dword v140, v133, s[0:3], 0 offen offset:8
	buffer_load_dword v141, v133, s[0:3], 0 offen offset:12
	buffer_load_dword v142, v133, s[0:3], 0 offen
	buffer_load_dword v143, v133, s[0:3], 0 offen offset:4
	ds_read_b128 v[136:139], v132
	v_add_nc_u32_e32 v134, 1, v134
	v_add_nc_u32_e32 v132, 16, v132
	;; [unrolled: 1-line block ×3, first 2 shown]
	v_cmp_lt_u32_e32 vcc_lo, 2, v134
	s_or_b32 s71, vcc_lo, s71
	s_waitcnt vmcnt(2) lgkmcnt(0)
	v_mul_f64 v[144:145], v[138:139], v[140:141]
	v_mul_f64 v[140:141], v[136:137], v[140:141]
	s_waitcnt vmcnt(0)
	v_fma_f64 v[136:137], v[136:137], v[142:143], -v[144:145]
	v_fma_f64 v[138:139], v[138:139], v[142:143], v[140:141]
	v_add_f64 v[1:2], v[1:2], v[136:137]
	v_add_f64 v[3:4], v[3:4], v[138:139]
	s_andn2_b32 exec_lo, exec_lo, s71
	s_cbranch_execnz .LBB125_870
; %bb.871:
	s_or_b32 exec_lo, exec_lo, s71
.LBB125_872:
	s_or_b32 exec_lo, exec_lo, s7
	v_mov_b32_e32 v132, 0
	ds_read_b128 v[136:139], v132 offset:64
	s_waitcnt lgkmcnt(0)
	v_mul_f64 v[132:133], v[3:4], v[138:139]
	v_mul_f64 v[138:139], v[1:2], v[138:139]
	v_fma_f64 v[1:2], v[1:2], v[136:137], -v[132:133]
	v_fma_f64 v[3:4], v[3:4], v[136:137], v[138:139]
	buffer_store_dword v2, off, s[0:3], 0 offset:68
	buffer_store_dword v1, off, s[0:3], 0 offset:64
	;; [unrolled: 1-line block ×4, first 2 shown]
.LBB125_873:
	s_or_b32 exec_lo, exec_lo, s6
	v_mov_b32_e32 v4, s66
	v_cmp_gt_u32_e64 s6, 5, v0
	s_clause 0x3
	buffer_load_dword v1, v4, s[0:3], 0 offen
	buffer_load_dword v2, v4, s[0:3], 0 offen offset:4
	buffer_load_dword v3, v4, s[0:3], 0 offen offset:8
	;; [unrolled: 1-line block ×3, first 2 shown]
	s_waitcnt vmcnt(0)
	ds_write_b128 v130, v[1:4]
	s_waitcnt lgkmcnt(0)
	s_waitcnt_vscnt null, 0x0
	s_barrier
	buffer_gl0_inv
	s_and_saveexec_b32 s7, s6
	s_cbranch_execz .LBB125_881
; %bb.874:
	ds_read_b128 v[1:4], v130
	v_cmp_ne_u32_e32 vcc_lo, 1, v131
	s_cbranch_vccnz .LBB125_876
; %bb.875:
	s_clause 0x3
	buffer_load_dword v132, v129, s[0:3], 0 offen offset:8
	buffer_load_dword v133, v129, s[0:3], 0 offen offset:12
	buffer_load_dword v136, v129, s[0:3], 0 offen
	buffer_load_dword v137, v129, s[0:3], 0 offen offset:4
	s_waitcnt vmcnt(2) lgkmcnt(0)
	v_mul_f64 v[138:139], v[3:4], v[132:133]
	v_mul_f64 v[132:133], v[1:2], v[132:133]
	s_waitcnt vmcnt(0)
	v_fma_f64 v[1:2], v[1:2], v[136:137], -v[138:139]
	v_fma_f64 v[3:4], v[3:4], v[136:137], v[132:133]
.LBB125_876:
	s_mov_b32 s71, exec_lo
	v_cmpx_ne_u32_e32 4, v0
	s_cbranch_execz .LBB125_880
; %bb.877:
	v_add_nc_u32_e32 v132, 0x3f0, v135
	v_add3_u32 v133, 0, v135, 16
	v_mov_b32_e32 v134, v0
	s_mov_b32 s72, 0
	.p2align	6
.LBB125_878:                            ; =>This Inner Loop Header: Depth=1
	s_clause 0x3
	buffer_load_dword v140, v133, s[0:3], 0 offen offset:8
	buffer_load_dword v141, v133, s[0:3], 0 offen offset:12
	buffer_load_dword v142, v133, s[0:3], 0 offen
	buffer_load_dword v143, v133, s[0:3], 0 offen offset:4
	ds_read_b128 v[136:139], v132
	v_add_nc_u32_e32 v134, 1, v134
	v_add_nc_u32_e32 v132, 16, v132
	;; [unrolled: 1-line block ×3, first 2 shown]
	v_cmp_lt_u32_e32 vcc_lo, 3, v134
	s_or_b32 s72, vcc_lo, s72
	s_waitcnt vmcnt(2) lgkmcnt(0)
	v_mul_f64 v[144:145], v[138:139], v[140:141]
	v_mul_f64 v[140:141], v[136:137], v[140:141]
	s_waitcnt vmcnt(0)
	v_fma_f64 v[136:137], v[136:137], v[142:143], -v[144:145]
	v_fma_f64 v[138:139], v[138:139], v[142:143], v[140:141]
	v_add_f64 v[1:2], v[1:2], v[136:137]
	v_add_f64 v[3:4], v[3:4], v[138:139]
	s_andn2_b32 exec_lo, exec_lo, s72
	s_cbranch_execnz .LBB125_878
; %bb.879:
	s_or_b32 exec_lo, exec_lo, s72
.LBB125_880:
	s_or_b32 exec_lo, exec_lo, s71
	v_mov_b32_e32 v132, 0
	ds_read_b128 v[136:139], v132 offset:80
	s_waitcnt lgkmcnt(0)
	v_mul_f64 v[132:133], v[3:4], v[138:139]
	v_mul_f64 v[138:139], v[1:2], v[138:139]
	v_fma_f64 v[1:2], v[1:2], v[136:137], -v[132:133]
	v_fma_f64 v[3:4], v[3:4], v[136:137], v[138:139]
	buffer_store_dword v2, off, s[0:3], 0 offset:84
	buffer_store_dword v1, off, s[0:3], 0 offset:80
	;; [unrolled: 1-line block ×4, first 2 shown]
.LBB125_881:
	s_or_b32 exec_lo, exec_lo, s7
	v_mov_b32_e32 v4, s65
	s_mov_b32 s7, exec_lo
	s_clause 0x3
	buffer_load_dword v1, v4, s[0:3], 0 offen
	buffer_load_dword v2, v4, s[0:3], 0 offen offset:4
	buffer_load_dword v3, v4, s[0:3], 0 offen offset:8
	;; [unrolled: 1-line block ×3, first 2 shown]
	s_waitcnt vmcnt(0)
	ds_write_b128 v130, v[1:4]
	s_waitcnt lgkmcnt(0)
	s_waitcnt_vscnt null, 0x0
	s_barrier
	buffer_gl0_inv
	v_cmpx_gt_u32_e32 6, v0
	s_cbranch_execz .LBB125_889
; %bb.882:
	ds_read_b128 v[1:4], v130
	v_cmp_ne_u32_e32 vcc_lo, 1, v131
	s_cbranch_vccnz .LBB125_884
; %bb.883:
	s_clause 0x3
	buffer_load_dword v132, v129, s[0:3], 0 offen offset:8
	buffer_load_dword v133, v129, s[0:3], 0 offen offset:12
	buffer_load_dword v136, v129, s[0:3], 0 offen
	buffer_load_dword v137, v129, s[0:3], 0 offen offset:4
	s_waitcnt vmcnt(2) lgkmcnt(0)
	v_mul_f64 v[138:139], v[3:4], v[132:133]
	v_mul_f64 v[132:133], v[1:2], v[132:133]
	s_waitcnt vmcnt(0)
	v_fma_f64 v[1:2], v[1:2], v[136:137], -v[138:139]
	v_fma_f64 v[3:4], v[3:4], v[136:137], v[132:133]
.LBB125_884:
	s_mov_b32 s71, exec_lo
	v_cmpx_ne_u32_e32 5, v0
	s_cbranch_execz .LBB125_888
; %bb.885:
	v_add_nc_u32_e32 v132, 0x3f0, v135
	v_add3_u32 v133, 0, v135, 16
	v_mov_b32_e32 v134, v0
	s_mov_b32 s72, 0
	.p2align	6
.LBB125_886:                            ; =>This Inner Loop Header: Depth=1
	s_clause 0x3
	buffer_load_dword v140, v133, s[0:3], 0 offen offset:8
	buffer_load_dword v141, v133, s[0:3], 0 offen offset:12
	buffer_load_dword v142, v133, s[0:3], 0 offen
	buffer_load_dword v143, v133, s[0:3], 0 offen offset:4
	ds_read_b128 v[136:139], v132
	v_add_nc_u32_e32 v134, 1, v134
	v_add_nc_u32_e32 v132, 16, v132
	v_add_nc_u32_e32 v133, 16, v133
	v_cmp_lt_u32_e32 vcc_lo, 4, v134
	s_or_b32 s72, vcc_lo, s72
	s_waitcnt vmcnt(2) lgkmcnt(0)
	v_mul_f64 v[144:145], v[138:139], v[140:141]
	v_mul_f64 v[140:141], v[136:137], v[140:141]
	s_waitcnt vmcnt(0)
	v_fma_f64 v[136:137], v[136:137], v[142:143], -v[144:145]
	v_fma_f64 v[138:139], v[138:139], v[142:143], v[140:141]
	v_add_f64 v[1:2], v[1:2], v[136:137]
	v_add_f64 v[3:4], v[3:4], v[138:139]
	s_andn2_b32 exec_lo, exec_lo, s72
	s_cbranch_execnz .LBB125_886
; %bb.887:
	s_or_b32 exec_lo, exec_lo, s72
.LBB125_888:
	s_or_b32 exec_lo, exec_lo, s71
	v_mov_b32_e32 v132, 0
	ds_read_b128 v[136:139], v132 offset:96
	s_waitcnt lgkmcnt(0)
	v_mul_f64 v[132:133], v[3:4], v[138:139]
	v_mul_f64 v[138:139], v[1:2], v[138:139]
	v_fma_f64 v[1:2], v[1:2], v[136:137], -v[132:133]
	v_fma_f64 v[3:4], v[3:4], v[136:137], v[138:139]
	buffer_store_dword v2, off, s[0:3], 0 offset:100
	buffer_store_dword v1, off, s[0:3], 0 offset:96
	;; [unrolled: 1-line block ×4, first 2 shown]
.LBB125_889:
	s_or_b32 exec_lo, exec_lo, s7
	v_mov_b32_e32 v4, s64
	v_cmp_gt_u32_e64 s7, 7, v0
	s_clause 0x3
	buffer_load_dword v1, v4, s[0:3], 0 offen
	buffer_load_dword v2, v4, s[0:3], 0 offen offset:4
	buffer_load_dword v3, v4, s[0:3], 0 offen offset:8
	;; [unrolled: 1-line block ×3, first 2 shown]
	s_waitcnt vmcnt(0)
	ds_write_b128 v130, v[1:4]
	s_waitcnt lgkmcnt(0)
	s_waitcnt_vscnt null, 0x0
	s_barrier
	buffer_gl0_inv
	s_and_saveexec_b32 s71, s7
	s_cbranch_execz .LBB125_897
; %bb.890:
	ds_read_b128 v[1:4], v130
	v_cmp_ne_u32_e32 vcc_lo, 1, v131
	s_cbranch_vccnz .LBB125_892
; %bb.891:
	s_clause 0x3
	buffer_load_dword v132, v129, s[0:3], 0 offen offset:8
	buffer_load_dword v133, v129, s[0:3], 0 offen offset:12
	buffer_load_dword v136, v129, s[0:3], 0 offen
	buffer_load_dword v137, v129, s[0:3], 0 offen offset:4
	s_waitcnt vmcnt(2) lgkmcnt(0)
	v_mul_f64 v[138:139], v[3:4], v[132:133]
	v_mul_f64 v[132:133], v[1:2], v[132:133]
	s_waitcnt vmcnt(0)
	v_fma_f64 v[1:2], v[1:2], v[136:137], -v[138:139]
	v_fma_f64 v[3:4], v[3:4], v[136:137], v[132:133]
.LBB125_892:
	s_mov_b32 s72, exec_lo
	v_cmpx_ne_u32_e32 6, v0
	s_cbranch_execz .LBB125_896
; %bb.893:
	v_add_nc_u32_e32 v132, 0x3f0, v135
	v_add3_u32 v133, 0, v135, 16
	v_mov_b32_e32 v134, v0
	s_mov_b32 s73, 0
	.p2align	6
.LBB125_894:                            ; =>This Inner Loop Header: Depth=1
	s_clause 0x3
	buffer_load_dword v140, v133, s[0:3], 0 offen offset:8
	buffer_load_dword v141, v133, s[0:3], 0 offen offset:12
	buffer_load_dword v142, v133, s[0:3], 0 offen
	buffer_load_dword v143, v133, s[0:3], 0 offen offset:4
	ds_read_b128 v[136:139], v132
	v_add_nc_u32_e32 v134, 1, v134
	v_add_nc_u32_e32 v132, 16, v132
	;; [unrolled: 1-line block ×3, first 2 shown]
	v_cmp_lt_u32_e32 vcc_lo, 5, v134
	s_or_b32 s73, vcc_lo, s73
	s_waitcnt vmcnt(2) lgkmcnt(0)
	v_mul_f64 v[144:145], v[138:139], v[140:141]
	v_mul_f64 v[140:141], v[136:137], v[140:141]
	s_waitcnt vmcnt(0)
	v_fma_f64 v[136:137], v[136:137], v[142:143], -v[144:145]
	v_fma_f64 v[138:139], v[138:139], v[142:143], v[140:141]
	v_add_f64 v[1:2], v[1:2], v[136:137]
	v_add_f64 v[3:4], v[3:4], v[138:139]
	s_andn2_b32 exec_lo, exec_lo, s73
	s_cbranch_execnz .LBB125_894
; %bb.895:
	s_or_b32 exec_lo, exec_lo, s73
.LBB125_896:
	s_or_b32 exec_lo, exec_lo, s72
	v_mov_b32_e32 v132, 0
	ds_read_b128 v[136:139], v132 offset:112
	s_waitcnt lgkmcnt(0)
	v_mul_f64 v[132:133], v[3:4], v[138:139]
	v_mul_f64 v[138:139], v[1:2], v[138:139]
	v_fma_f64 v[1:2], v[1:2], v[136:137], -v[132:133]
	v_fma_f64 v[3:4], v[3:4], v[136:137], v[138:139]
	buffer_store_dword v2, off, s[0:3], 0 offset:116
	buffer_store_dword v1, off, s[0:3], 0 offset:112
	;; [unrolled: 1-line block ×4, first 2 shown]
.LBB125_897:
	s_or_b32 exec_lo, exec_lo, s71
	v_mov_b32_e32 v4, s63
	s_mov_b32 s71, exec_lo
	s_clause 0x3
	buffer_load_dword v1, v4, s[0:3], 0 offen
	buffer_load_dword v2, v4, s[0:3], 0 offen offset:4
	buffer_load_dword v3, v4, s[0:3], 0 offen offset:8
	;; [unrolled: 1-line block ×3, first 2 shown]
	s_waitcnt vmcnt(0)
	ds_write_b128 v130, v[1:4]
	s_waitcnt lgkmcnt(0)
	s_waitcnt_vscnt null, 0x0
	s_barrier
	buffer_gl0_inv
	v_cmpx_gt_u32_e32 8, v0
	s_cbranch_execz .LBB125_905
; %bb.898:
	ds_read_b128 v[1:4], v130
	v_cmp_ne_u32_e32 vcc_lo, 1, v131
	s_cbranch_vccnz .LBB125_900
; %bb.899:
	s_clause 0x3
	buffer_load_dword v132, v129, s[0:3], 0 offen offset:8
	buffer_load_dword v133, v129, s[0:3], 0 offen offset:12
	buffer_load_dword v136, v129, s[0:3], 0 offen
	buffer_load_dword v137, v129, s[0:3], 0 offen offset:4
	s_waitcnt vmcnt(2) lgkmcnt(0)
	v_mul_f64 v[138:139], v[3:4], v[132:133]
	v_mul_f64 v[132:133], v[1:2], v[132:133]
	s_waitcnt vmcnt(0)
	v_fma_f64 v[1:2], v[1:2], v[136:137], -v[138:139]
	v_fma_f64 v[3:4], v[3:4], v[136:137], v[132:133]
.LBB125_900:
	s_mov_b32 s72, exec_lo
	v_cmpx_ne_u32_e32 7, v0
	s_cbranch_execz .LBB125_904
; %bb.901:
	v_add_nc_u32_e32 v132, 0x3f0, v135
	v_add3_u32 v133, 0, v135, 16
	v_mov_b32_e32 v134, v0
	s_mov_b32 s73, 0
	.p2align	6
.LBB125_902:                            ; =>This Inner Loop Header: Depth=1
	s_clause 0x3
	buffer_load_dword v140, v133, s[0:3], 0 offen offset:8
	buffer_load_dword v141, v133, s[0:3], 0 offen offset:12
	buffer_load_dword v142, v133, s[0:3], 0 offen
	buffer_load_dword v143, v133, s[0:3], 0 offen offset:4
	ds_read_b128 v[136:139], v132
	v_add_nc_u32_e32 v134, 1, v134
	v_add_nc_u32_e32 v132, 16, v132
	;; [unrolled: 1-line block ×3, first 2 shown]
	v_cmp_lt_u32_e32 vcc_lo, 6, v134
	s_or_b32 s73, vcc_lo, s73
	s_waitcnt vmcnt(2) lgkmcnt(0)
	v_mul_f64 v[144:145], v[138:139], v[140:141]
	v_mul_f64 v[140:141], v[136:137], v[140:141]
	s_waitcnt vmcnt(0)
	v_fma_f64 v[136:137], v[136:137], v[142:143], -v[144:145]
	v_fma_f64 v[138:139], v[138:139], v[142:143], v[140:141]
	v_add_f64 v[1:2], v[1:2], v[136:137]
	v_add_f64 v[3:4], v[3:4], v[138:139]
	s_andn2_b32 exec_lo, exec_lo, s73
	s_cbranch_execnz .LBB125_902
; %bb.903:
	s_or_b32 exec_lo, exec_lo, s73
.LBB125_904:
	s_or_b32 exec_lo, exec_lo, s72
	v_mov_b32_e32 v132, 0
	ds_read_b128 v[136:139], v132 offset:128
	s_waitcnt lgkmcnt(0)
	v_mul_f64 v[132:133], v[3:4], v[138:139]
	v_mul_f64 v[138:139], v[1:2], v[138:139]
	v_fma_f64 v[1:2], v[1:2], v[136:137], -v[132:133]
	v_fma_f64 v[3:4], v[3:4], v[136:137], v[138:139]
	buffer_store_dword v2, off, s[0:3], 0 offset:132
	buffer_store_dword v1, off, s[0:3], 0 offset:128
	buffer_store_dword v4, off, s[0:3], 0 offset:140
	buffer_store_dword v3, off, s[0:3], 0 offset:136
.LBB125_905:
	s_or_b32 exec_lo, exec_lo, s71
	v_mov_b32_e32 v4, s62
	s_mov_b32 s71, exec_lo
	s_clause 0x3
	buffer_load_dword v1, v4, s[0:3], 0 offen
	buffer_load_dword v2, v4, s[0:3], 0 offen offset:4
	buffer_load_dword v3, v4, s[0:3], 0 offen offset:8
	buffer_load_dword v4, v4, s[0:3], 0 offen offset:12
	s_waitcnt vmcnt(0)
	ds_write_b128 v130, v[1:4]
	s_waitcnt lgkmcnt(0)
	s_waitcnt_vscnt null, 0x0
	s_barrier
	buffer_gl0_inv
	v_cmpx_gt_u32_e32 9, v0
	s_cbranch_execz .LBB125_925
; %bb.906:
	ds_read_b128 v[1:4], v130
	v_cmp_ne_u32_e32 vcc_lo, 1, v131
	s_cbranch_vccnz .LBB125_908
; %bb.907:
	s_clause 0x3
	buffer_load_dword v132, v129, s[0:3], 0 offen offset:8
	buffer_load_dword v133, v129, s[0:3], 0 offen offset:12
	buffer_load_dword v136, v129, s[0:3], 0 offen
	buffer_load_dword v137, v129, s[0:3], 0 offen offset:4
	s_waitcnt vmcnt(2) lgkmcnt(0)
	v_mul_f64 v[138:139], v[3:4], v[132:133]
	v_mul_f64 v[132:133], v[1:2], v[132:133]
	s_waitcnt vmcnt(0)
	v_fma_f64 v[1:2], v[1:2], v[136:137], -v[138:139]
	v_fma_f64 v[3:4], v[3:4], v[136:137], v[132:133]
.LBB125_908:
	s_mov_b32 s72, exec_lo
	v_cmpx_ne_u32_e32 8, v0
	s_cbranch_execz .LBB125_924
; %bb.909:
	s_clause 0x3
	buffer_load_dword v132, v129, s[0:3], 0 offen offset:24
	buffer_load_dword v133, v129, s[0:3], 0 offen offset:28
	buffer_load_dword v140, v129, s[0:3], 0 offen offset:16
	buffer_load_dword v141, v129, s[0:3], 0 offen offset:20
	ds_read_b128 v[136:139], v130 offset:16
	s_waitcnt vmcnt(2) lgkmcnt(0)
	v_mul_f64 v[142:143], v[138:139], v[132:133]
	v_mul_f64 v[132:133], v[136:137], v[132:133]
	s_waitcnt vmcnt(0)
	v_fma_f64 v[136:137], v[136:137], v[140:141], -v[142:143]
	v_fma_f64 v[132:133], v[138:139], v[140:141], v[132:133]
	v_add_f64 v[1:2], v[1:2], v[136:137]
	v_add_f64 v[3:4], v[3:4], v[132:133]
	s_and_saveexec_b32 s73, s7
	s_cbranch_execz .LBB125_923
; %bb.910:
	s_clause 0x3
	buffer_load_dword v132, v129, s[0:3], 0 offen offset:40
	buffer_load_dword v133, v129, s[0:3], 0 offen offset:44
	buffer_load_dword v140, v129, s[0:3], 0 offen offset:32
	buffer_load_dword v141, v129, s[0:3], 0 offen offset:36
	ds_read_b128 v[136:139], v130 offset:32
	s_mov_b32 s7, exec_lo
	s_waitcnt vmcnt(2) lgkmcnt(0)
	v_mul_f64 v[142:143], v[138:139], v[132:133]
	v_mul_f64 v[132:133], v[136:137], v[132:133]
	s_waitcnt vmcnt(0)
	v_fma_f64 v[136:137], v[136:137], v[140:141], -v[142:143]
	v_fma_f64 v[132:133], v[138:139], v[140:141], v[132:133]
	v_add_f64 v[1:2], v[1:2], v[136:137]
	v_add_f64 v[3:4], v[3:4], v[132:133]
	v_cmpx_ne_u32_e32 6, v0
	s_cbranch_execz .LBB125_922
; %bb.911:
	s_clause 0x3
	buffer_load_dword v132, v129, s[0:3], 0 offen offset:56
	buffer_load_dword v133, v129, s[0:3], 0 offen offset:60
	buffer_load_dword v140, v129, s[0:3], 0 offen offset:48
	buffer_load_dword v141, v129, s[0:3], 0 offen offset:52
	ds_read_b128 v[136:139], v130 offset:48
	s_waitcnt vmcnt(2) lgkmcnt(0)
	v_mul_f64 v[142:143], v[138:139], v[132:133]
	v_mul_f64 v[132:133], v[136:137], v[132:133]
	s_waitcnt vmcnt(0)
	v_fma_f64 v[136:137], v[136:137], v[140:141], -v[142:143]
	v_fma_f64 v[132:133], v[138:139], v[140:141], v[132:133]
	v_add_f64 v[1:2], v[1:2], v[136:137]
	v_add_f64 v[3:4], v[3:4], v[132:133]
	s_and_saveexec_b32 s74, s6
	s_cbranch_execz .LBB125_921
; %bb.912:
	s_clause 0x3
	buffer_load_dword v132, v129, s[0:3], 0 offen offset:72
	buffer_load_dword v133, v129, s[0:3], 0 offen offset:76
	buffer_load_dword v140, v129, s[0:3], 0 offen offset:64
	buffer_load_dword v141, v129, s[0:3], 0 offen offset:68
	ds_read_b128 v[136:139], v130 offset:64
	s_mov_b32 s6, exec_lo
	s_waitcnt vmcnt(2) lgkmcnt(0)
	v_mul_f64 v[142:143], v[138:139], v[132:133]
	v_mul_f64 v[132:133], v[136:137], v[132:133]
	s_waitcnt vmcnt(0)
	v_fma_f64 v[136:137], v[136:137], v[140:141], -v[142:143]
	v_fma_f64 v[132:133], v[138:139], v[140:141], v[132:133]
	v_add_f64 v[1:2], v[1:2], v[136:137]
	v_add_f64 v[3:4], v[3:4], v[132:133]
	;; [unrolled: 35-line block ×3, first 2 shown]
	v_cmpx_ne_u32_e32 2, v0
	s_cbranch_execz .LBB125_918
; %bb.915:
	s_clause 0x3
	buffer_load_dword v132, v129, s[0:3], 0 offen offset:120
	buffer_load_dword v133, v129, s[0:3], 0 offen offset:124
	;; [unrolled: 1-line block ×4, first 2 shown]
	ds_read_b128 v[136:139], v130 offset:112
	s_waitcnt vmcnt(2) lgkmcnt(0)
	v_mul_f64 v[142:143], v[138:139], v[132:133]
	v_mul_f64 v[132:133], v[136:137], v[132:133]
	s_waitcnt vmcnt(0)
	v_fma_f64 v[136:137], v[136:137], v[140:141], -v[142:143]
	v_fma_f64 v[132:133], v[138:139], v[140:141], v[132:133]
	v_add_f64 v[1:2], v[1:2], v[136:137]
	v_add_f64 v[3:4], v[3:4], v[132:133]
	s_and_saveexec_b32 s76, s4
	s_cbranch_execz .LBB125_917
; %bb.916:
	s_clause 0x3
	buffer_load_dword v132, v129, s[0:3], 0 offen offset:136
	buffer_load_dword v133, v129, s[0:3], 0 offen offset:140
	;; [unrolled: 1-line block ×4, first 2 shown]
	ds_read_b128 v[136:139], v130 offset:128
	s_waitcnt vmcnt(2) lgkmcnt(0)
	v_mul_f64 v[142:143], v[138:139], v[132:133]
	v_mul_f64 v[132:133], v[136:137], v[132:133]
	s_waitcnt vmcnt(0)
	v_fma_f64 v[136:137], v[136:137], v[140:141], -v[142:143]
	v_fma_f64 v[132:133], v[138:139], v[140:141], v[132:133]
	v_add_f64 v[1:2], v[1:2], v[136:137]
	v_add_f64 v[3:4], v[3:4], v[132:133]
.LBB125_917:
	s_or_b32 exec_lo, exec_lo, s76
.LBB125_918:
	s_or_b32 exec_lo, exec_lo, s5
.LBB125_919:
	s_or_b32 exec_lo, exec_lo, s75
.LBB125_920:
	s_or_b32 exec_lo, exec_lo, s6
.LBB125_921:
	s_or_b32 exec_lo, exec_lo, s74
.LBB125_922:
	s_or_b32 exec_lo, exec_lo, s7
.LBB125_923:
	s_or_b32 exec_lo, exec_lo, s73
.LBB125_924:
	s_or_b32 exec_lo, exec_lo, s72
	v_mov_b32_e32 v132, 0
	ds_read_b128 v[136:139], v132 offset:144
	s_waitcnt lgkmcnt(0)
	v_mul_f64 v[132:133], v[3:4], v[138:139]
	v_mul_f64 v[138:139], v[1:2], v[138:139]
	v_fma_f64 v[1:2], v[1:2], v[136:137], -v[132:133]
	v_fma_f64 v[3:4], v[3:4], v[136:137], v[138:139]
	buffer_store_dword v2, off, s[0:3], 0 offset:148
	buffer_store_dword v1, off, s[0:3], 0 offset:144
	;; [unrolled: 1-line block ×4, first 2 shown]
.LBB125_925:
	s_or_b32 exec_lo, exec_lo, s71
	v_mov_b32_e32 v4, s61
	s_mov_b32 s4, exec_lo
	s_clause 0x3
	buffer_load_dword v1, v4, s[0:3], 0 offen
	buffer_load_dword v2, v4, s[0:3], 0 offen offset:4
	buffer_load_dword v3, v4, s[0:3], 0 offen offset:8
	;; [unrolled: 1-line block ×3, first 2 shown]
	s_waitcnt vmcnt(0)
	ds_write_b128 v130, v[1:4]
	s_waitcnt lgkmcnt(0)
	s_waitcnt_vscnt null, 0x0
	s_barrier
	buffer_gl0_inv
	v_cmpx_gt_u32_e32 10, v0
	s_cbranch_execz .LBB125_933
; %bb.926:
	ds_read_b128 v[1:4], v130
	v_cmp_ne_u32_e32 vcc_lo, 1, v131
	s_cbranch_vccnz .LBB125_928
; %bb.927:
	s_clause 0x3
	buffer_load_dword v132, v129, s[0:3], 0 offen offset:8
	buffer_load_dword v133, v129, s[0:3], 0 offen offset:12
	buffer_load_dword v136, v129, s[0:3], 0 offen
	buffer_load_dword v137, v129, s[0:3], 0 offen offset:4
	s_waitcnt vmcnt(2) lgkmcnt(0)
	v_mul_f64 v[138:139], v[3:4], v[132:133]
	v_mul_f64 v[132:133], v[1:2], v[132:133]
	s_waitcnt vmcnt(0)
	v_fma_f64 v[1:2], v[1:2], v[136:137], -v[138:139]
	v_fma_f64 v[3:4], v[3:4], v[136:137], v[132:133]
.LBB125_928:
	s_mov_b32 s5, exec_lo
	v_cmpx_ne_u32_e32 9, v0
	s_cbranch_execz .LBB125_932
; %bb.929:
	v_add_nc_u32_e32 v132, 0x3f0, v135
	v_add3_u32 v133, 0, v135, 16
	v_mov_b32_e32 v134, v0
	s_mov_b32 s6, 0
	.p2align	6
.LBB125_930:                            ; =>This Inner Loop Header: Depth=1
	s_clause 0x3
	buffer_load_dword v140, v133, s[0:3], 0 offen offset:8
	buffer_load_dword v141, v133, s[0:3], 0 offen offset:12
	buffer_load_dword v142, v133, s[0:3], 0 offen
	buffer_load_dword v143, v133, s[0:3], 0 offen offset:4
	ds_read_b128 v[136:139], v132
	v_add_nc_u32_e32 v134, 1, v134
	v_add_nc_u32_e32 v132, 16, v132
	;; [unrolled: 1-line block ×3, first 2 shown]
	v_cmp_lt_u32_e32 vcc_lo, 8, v134
	s_or_b32 s6, vcc_lo, s6
	s_waitcnt vmcnt(2) lgkmcnt(0)
	v_mul_f64 v[144:145], v[138:139], v[140:141]
	v_mul_f64 v[140:141], v[136:137], v[140:141]
	s_waitcnt vmcnt(0)
	v_fma_f64 v[136:137], v[136:137], v[142:143], -v[144:145]
	v_fma_f64 v[138:139], v[138:139], v[142:143], v[140:141]
	v_add_f64 v[1:2], v[1:2], v[136:137]
	v_add_f64 v[3:4], v[3:4], v[138:139]
	s_andn2_b32 exec_lo, exec_lo, s6
	s_cbranch_execnz .LBB125_930
; %bb.931:
	s_or_b32 exec_lo, exec_lo, s6
.LBB125_932:
	s_or_b32 exec_lo, exec_lo, s5
	v_mov_b32_e32 v132, 0
	ds_read_b128 v[136:139], v132 offset:160
	s_waitcnt lgkmcnt(0)
	v_mul_f64 v[132:133], v[3:4], v[138:139]
	v_mul_f64 v[138:139], v[1:2], v[138:139]
	v_fma_f64 v[1:2], v[1:2], v[136:137], -v[132:133]
	v_fma_f64 v[3:4], v[3:4], v[136:137], v[138:139]
	buffer_store_dword v2, off, s[0:3], 0 offset:164
	buffer_store_dword v1, off, s[0:3], 0 offset:160
	buffer_store_dword v4, off, s[0:3], 0 offset:172
	buffer_store_dword v3, off, s[0:3], 0 offset:168
.LBB125_933:
	s_or_b32 exec_lo, exec_lo, s4
	v_mov_b32_e32 v4, s60
	s_mov_b32 s4, exec_lo
	s_clause 0x3
	buffer_load_dword v1, v4, s[0:3], 0 offen
	buffer_load_dword v2, v4, s[0:3], 0 offen offset:4
	buffer_load_dword v3, v4, s[0:3], 0 offen offset:8
	;; [unrolled: 1-line block ×3, first 2 shown]
	s_waitcnt vmcnt(0)
	ds_write_b128 v130, v[1:4]
	s_waitcnt lgkmcnt(0)
	s_waitcnt_vscnt null, 0x0
	s_barrier
	buffer_gl0_inv
	v_cmpx_gt_u32_e32 11, v0
	s_cbranch_execz .LBB125_941
; %bb.934:
	ds_read_b128 v[1:4], v130
	v_cmp_ne_u32_e32 vcc_lo, 1, v131
	s_cbranch_vccnz .LBB125_936
; %bb.935:
	s_clause 0x3
	buffer_load_dword v132, v129, s[0:3], 0 offen offset:8
	buffer_load_dword v133, v129, s[0:3], 0 offen offset:12
	buffer_load_dword v136, v129, s[0:3], 0 offen
	buffer_load_dword v137, v129, s[0:3], 0 offen offset:4
	s_waitcnt vmcnt(2) lgkmcnt(0)
	v_mul_f64 v[138:139], v[3:4], v[132:133]
	v_mul_f64 v[132:133], v[1:2], v[132:133]
	s_waitcnt vmcnt(0)
	v_fma_f64 v[1:2], v[1:2], v[136:137], -v[138:139]
	v_fma_f64 v[3:4], v[3:4], v[136:137], v[132:133]
.LBB125_936:
	s_mov_b32 s5, exec_lo
	v_cmpx_ne_u32_e32 10, v0
	s_cbranch_execz .LBB125_940
; %bb.937:
	v_add_nc_u32_e32 v132, 0x3f0, v135
	v_add3_u32 v133, 0, v135, 16
	v_mov_b32_e32 v134, v0
	s_mov_b32 s6, 0
	.p2align	6
.LBB125_938:                            ; =>This Inner Loop Header: Depth=1
	s_clause 0x3
	buffer_load_dword v140, v133, s[0:3], 0 offen offset:8
	buffer_load_dword v141, v133, s[0:3], 0 offen offset:12
	buffer_load_dword v142, v133, s[0:3], 0 offen
	buffer_load_dword v143, v133, s[0:3], 0 offen offset:4
	ds_read_b128 v[136:139], v132
	v_add_nc_u32_e32 v134, 1, v134
	v_add_nc_u32_e32 v132, 16, v132
	;; [unrolled: 1-line block ×3, first 2 shown]
	v_cmp_lt_u32_e32 vcc_lo, 9, v134
	s_or_b32 s6, vcc_lo, s6
	s_waitcnt vmcnt(2) lgkmcnt(0)
	v_mul_f64 v[144:145], v[138:139], v[140:141]
	v_mul_f64 v[140:141], v[136:137], v[140:141]
	s_waitcnt vmcnt(0)
	v_fma_f64 v[136:137], v[136:137], v[142:143], -v[144:145]
	v_fma_f64 v[138:139], v[138:139], v[142:143], v[140:141]
	v_add_f64 v[1:2], v[1:2], v[136:137]
	v_add_f64 v[3:4], v[3:4], v[138:139]
	s_andn2_b32 exec_lo, exec_lo, s6
	s_cbranch_execnz .LBB125_938
; %bb.939:
	s_or_b32 exec_lo, exec_lo, s6
.LBB125_940:
	s_or_b32 exec_lo, exec_lo, s5
	v_mov_b32_e32 v132, 0
	ds_read_b128 v[136:139], v132 offset:176
	s_waitcnt lgkmcnt(0)
	v_mul_f64 v[132:133], v[3:4], v[138:139]
	v_mul_f64 v[138:139], v[1:2], v[138:139]
	v_fma_f64 v[1:2], v[1:2], v[136:137], -v[132:133]
	v_fma_f64 v[3:4], v[3:4], v[136:137], v[138:139]
	buffer_store_dword v2, off, s[0:3], 0 offset:180
	buffer_store_dword v1, off, s[0:3], 0 offset:176
	;; [unrolled: 1-line block ×4, first 2 shown]
.LBB125_941:
	s_or_b32 exec_lo, exec_lo, s4
	v_mov_b32_e32 v4, s59
	s_mov_b32 s4, exec_lo
	s_clause 0x3
	buffer_load_dword v1, v4, s[0:3], 0 offen
	buffer_load_dword v2, v4, s[0:3], 0 offen offset:4
	buffer_load_dword v3, v4, s[0:3], 0 offen offset:8
	buffer_load_dword v4, v4, s[0:3], 0 offen offset:12
	s_waitcnt vmcnt(0)
	ds_write_b128 v130, v[1:4]
	s_waitcnt lgkmcnt(0)
	s_waitcnt_vscnt null, 0x0
	s_barrier
	buffer_gl0_inv
	v_cmpx_gt_u32_e32 12, v0
	s_cbranch_execz .LBB125_949
; %bb.942:
	ds_read_b128 v[1:4], v130
	v_cmp_ne_u32_e32 vcc_lo, 1, v131
	s_cbranch_vccnz .LBB125_944
; %bb.943:
	s_clause 0x3
	buffer_load_dword v132, v129, s[0:3], 0 offen offset:8
	buffer_load_dword v133, v129, s[0:3], 0 offen offset:12
	buffer_load_dword v136, v129, s[0:3], 0 offen
	buffer_load_dword v137, v129, s[0:3], 0 offen offset:4
	s_waitcnt vmcnt(2) lgkmcnt(0)
	v_mul_f64 v[138:139], v[3:4], v[132:133]
	v_mul_f64 v[132:133], v[1:2], v[132:133]
	s_waitcnt vmcnt(0)
	v_fma_f64 v[1:2], v[1:2], v[136:137], -v[138:139]
	v_fma_f64 v[3:4], v[3:4], v[136:137], v[132:133]
.LBB125_944:
	s_mov_b32 s5, exec_lo
	v_cmpx_ne_u32_e32 11, v0
	s_cbranch_execz .LBB125_948
; %bb.945:
	v_add_nc_u32_e32 v132, 0x3f0, v135
	v_add3_u32 v133, 0, v135, 16
	v_mov_b32_e32 v134, v0
	s_mov_b32 s6, 0
	.p2align	6
.LBB125_946:                            ; =>This Inner Loop Header: Depth=1
	s_clause 0x3
	buffer_load_dword v140, v133, s[0:3], 0 offen offset:8
	buffer_load_dword v141, v133, s[0:3], 0 offen offset:12
	buffer_load_dword v142, v133, s[0:3], 0 offen
	buffer_load_dword v143, v133, s[0:3], 0 offen offset:4
	ds_read_b128 v[136:139], v132
	v_add_nc_u32_e32 v134, 1, v134
	v_add_nc_u32_e32 v132, 16, v132
	;; [unrolled: 1-line block ×3, first 2 shown]
	v_cmp_lt_u32_e32 vcc_lo, 10, v134
	s_or_b32 s6, vcc_lo, s6
	s_waitcnt vmcnt(2) lgkmcnt(0)
	v_mul_f64 v[144:145], v[138:139], v[140:141]
	v_mul_f64 v[140:141], v[136:137], v[140:141]
	s_waitcnt vmcnt(0)
	v_fma_f64 v[136:137], v[136:137], v[142:143], -v[144:145]
	v_fma_f64 v[138:139], v[138:139], v[142:143], v[140:141]
	v_add_f64 v[1:2], v[1:2], v[136:137]
	v_add_f64 v[3:4], v[3:4], v[138:139]
	s_andn2_b32 exec_lo, exec_lo, s6
	s_cbranch_execnz .LBB125_946
; %bb.947:
	s_or_b32 exec_lo, exec_lo, s6
.LBB125_948:
	s_or_b32 exec_lo, exec_lo, s5
	v_mov_b32_e32 v132, 0
	ds_read_b128 v[136:139], v132 offset:192
	s_waitcnt lgkmcnt(0)
	v_mul_f64 v[132:133], v[3:4], v[138:139]
	v_mul_f64 v[138:139], v[1:2], v[138:139]
	v_fma_f64 v[1:2], v[1:2], v[136:137], -v[132:133]
	v_fma_f64 v[3:4], v[3:4], v[136:137], v[138:139]
	buffer_store_dword v2, off, s[0:3], 0 offset:196
	buffer_store_dword v1, off, s[0:3], 0 offset:192
	buffer_store_dword v4, off, s[0:3], 0 offset:204
	buffer_store_dword v3, off, s[0:3], 0 offset:200
.LBB125_949:
	s_or_b32 exec_lo, exec_lo, s4
	v_mov_b32_e32 v4, s58
	s_mov_b32 s4, exec_lo
	s_clause 0x3
	buffer_load_dword v1, v4, s[0:3], 0 offen
	buffer_load_dword v2, v4, s[0:3], 0 offen offset:4
	buffer_load_dword v3, v4, s[0:3], 0 offen offset:8
	;; [unrolled: 1-line block ×3, first 2 shown]
	s_waitcnt vmcnt(0)
	ds_write_b128 v130, v[1:4]
	s_waitcnt lgkmcnt(0)
	s_waitcnt_vscnt null, 0x0
	s_barrier
	buffer_gl0_inv
	v_cmpx_gt_u32_e32 13, v0
	s_cbranch_execz .LBB125_957
; %bb.950:
	ds_read_b128 v[1:4], v130
	v_cmp_ne_u32_e32 vcc_lo, 1, v131
	s_cbranch_vccnz .LBB125_952
; %bb.951:
	s_clause 0x3
	buffer_load_dword v132, v129, s[0:3], 0 offen offset:8
	buffer_load_dword v133, v129, s[0:3], 0 offen offset:12
	buffer_load_dword v136, v129, s[0:3], 0 offen
	buffer_load_dword v137, v129, s[0:3], 0 offen offset:4
	s_waitcnt vmcnt(2) lgkmcnt(0)
	v_mul_f64 v[138:139], v[3:4], v[132:133]
	v_mul_f64 v[132:133], v[1:2], v[132:133]
	s_waitcnt vmcnt(0)
	v_fma_f64 v[1:2], v[1:2], v[136:137], -v[138:139]
	v_fma_f64 v[3:4], v[3:4], v[136:137], v[132:133]
.LBB125_952:
	s_mov_b32 s5, exec_lo
	v_cmpx_ne_u32_e32 12, v0
	s_cbranch_execz .LBB125_956
; %bb.953:
	v_add_nc_u32_e32 v132, 0x3f0, v135
	v_add3_u32 v133, 0, v135, 16
	v_mov_b32_e32 v134, v0
	s_mov_b32 s6, 0
	.p2align	6
.LBB125_954:                            ; =>This Inner Loop Header: Depth=1
	s_clause 0x3
	buffer_load_dword v140, v133, s[0:3], 0 offen offset:8
	buffer_load_dword v141, v133, s[0:3], 0 offen offset:12
	buffer_load_dword v142, v133, s[0:3], 0 offen
	buffer_load_dword v143, v133, s[0:3], 0 offen offset:4
	ds_read_b128 v[136:139], v132
	v_add_nc_u32_e32 v134, 1, v134
	v_add_nc_u32_e32 v132, 16, v132
	;; [unrolled: 1-line block ×3, first 2 shown]
	v_cmp_lt_u32_e32 vcc_lo, 11, v134
	s_or_b32 s6, vcc_lo, s6
	s_waitcnt vmcnt(2) lgkmcnt(0)
	v_mul_f64 v[144:145], v[138:139], v[140:141]
	v_mul_f64 v[140:141], v[136:137], v[140:141]
	s_waitcnt vmcnt(0)
	v_fma_f64 v[136:137], v[136:137], v[142:143], -v[144:145]
	v_fma_f64 v[138:139], v[138:139], v[142:143], v[140:141]
	v_add_f64 v[1:2], v[1:2], v[136:137]
	v_add_f64 v[3:4], v[3:4], v[138:139]
	s_andn2_b32 exec_lo, exec_lo, s6
	s_cbranch_execnz .LBB125_954
; %bb.955:
	s_or_b32 exec_lo, exec_lo, s6
.LBB125_956:
	s_or_b32 exec_lo, exec_lo, s5
	v_mov_b32_e32 v132, 0
	ds_read_b128 v[136:139], v132 offset:208
	s_waitcnt lgkmcnt(0)
	v_mul_f64 v[132:133], v[3:4], v[138:139]
	v_mul_f64 v[138:139], v[1:2], v[138:139]
	v_fma_f64 v[1:2], v[1:2], v[136:137], -v[132:133]
	v_fma_f64 v[3:4], v[3:4], v[136:137], v[138:139]
	buffer_store_dword v2, off, s[0:3], 0 offset:212
	buffer_store_dword v1, off, s[0:3], 0 offset:208
	;; [unrolled: 1-line block ×4, first 2 shown]
.LBB125_957:
	s_or_b32 exec_lo, exec_lo, s4
	v_mov_b32_e32 v4, s57
	s_mov_b32 s4, exec_lo
	s_clause 0x3
	buffer_load_dword v1, v4, s[0:3], 0 offen
	buffer_load_dword v2, v4, s[0:3], 0 offen offset:4
	buffer_load_dword v3, v4, s[0:3], 0 offen offset:8
	;; [unrolled: 1-line block ×3, first 2 shown]
	s_waitcnt vmcnt(0)
	ds_write_b128 v130, v[1:4]
	s_waitcnt lgkmcnt(0)
	s_waitcnt_vscnt null, 0x0
	s_barrier
	buffer_gl0_inv
	v_cmpx_gt_u32_e32 14, v0
	s_cbranch_execz .LBB125_965
; %bb.958:
	ds_read_b128 v[1:4], v130
	v_cmp_ne_u32_e32 vcc_lo, 1, v131
	s_cbranch_vccnz .LBB125_960
; %bb.959:
	s_clause 0x3
	buffer_load_dword v132, v129, s[0:3], 0 offen offset:8
	buffer_load_dword v133, v129, s[0:3], 0 offen offset:12
	buffer_load_dword v136, v129, s[0:3], 0 offen
	buffer_load_dword v137, v129, s[0:3], 0 offen offset:4
	s_waitcnt vmcnt(2) lgkmcnt(0)
	v_mul_f64 v[138:139], v[3:4], v[132:133]
	v_mul_f64 v[132:133], v[1:2], v[132:133]
	s_waitcnt vmcnt(0)
	v_fma_f64 v[1:2], v[1:2], v[136:137], -v[138:139]
	v_fma_f64 v[3:4], v[3:4], v[136:137], v[132:133]
.LBB125_960:
	s_mov_b32 s5, exec_lo
	v_cmpx_ne_u32_e32 13, v0
	s_cbranch_execz .LBB125_964
; %bb.961:
	v_add_nc_u32_e32 v132, 0x3f0, v135
	v_add3_u32 v133, 0, v135, 16
	v_mov_b32_e32 v134, v0
	s_mov_b32 s6, 0
	.p2align	6
.LBB125_962:                            ; =>This Inner Loop Header: Depth=1
	s_clause 0x3
	buffer_load_dword v140, v133, s[0:3], 0 offen offset:8
	buffer_load_dword v141, v133, s[0:3], 0 offen offset:12
	buffer_load_dword v142, v133, s[0:3], 0 offen
	buffer_load_dword v143, v133, s[0:3], 0 offen offset:4
	ds_read_b128 v[136:139], v132
	v_add_nc_u32_e32 v134, 1, v134
	v_add_nc_u32_e32 v132, 16, v132
	;; [unrolled: 1-line block ×3, first 2 shown]
	v_cmp_lt_u32_e32 vcc_lo, 12, v134
	s_or_b32 s6, vcc_lo, s6
	s_waitcnt vmcnt(2) lgkmcnt(0)
	v_mul_f64 v[144:145], v[138:139], v[140:141]
	v_mul_f64 v[140:141], v[136:137], v[140:141]
	s_waitcnt vmcnt(0)
	v_fma_f64 v[136:137], v[136:137], v[142:143], -v[144:145]
	v_fma_f64 v[138:139], v[138:139], v[142:143], v[140:141]
	v_add_f64 v[1:2], v[1:2], v[136:137]
	v_add_f64 v[3:4], v[3:4], v[138:139]
	s_andn2_b32 exec_lo, exec_lo, s6
	s_cbranch_execnz .LBB125_962
; %bb.963:
	s_or_b32 exec_lo, exec_lo, s6
.LBB125_964:
	s_or_b32 exec_lo, exec_lo, s5
	v_mov_b32_e32 v132, 0
	ds_read_b128 v[136:139], v132 offset:224
	s_waitcnt lgkmcnt(0)
	v_mul_f64 v[132:133], v[3:4], v[138:139]
	v_mul_f64 v[138:139], v[1:2], v[138:139]
	v_fma_f64 v[1:2], v[1:2], v[136:137], -v[132:133]
	v_fma_f64 v[3:4], v[3:4], v[136:137], v[138:139]
	buffer_store_dword v2, off, s[0:3], 0 offset:228
	buffer_store_dword v1, off, s[0:3], 0 offset:224
	;; [unrolled: 1-line block ×4, first 2 shown]
.LBB125_965:
	s_or_b32 exec_lo, exec_lo, s4
	v_mov_b32_e32 v4, s56
	s_mov_b32 s4, exec_lo
	s_clause 0x3
	buffer_load_dword v1, v4, s[0:3], 0 offen
	buffer_load_dword v2, v4, s[0:3], 0 offen offset:4
	buffer_load_dword v3, v4, s[0:3], 0 offen offset:8
	;; [unrolled: 1-line block ×3, first 2 shown]
	s_waitcnt vmcnt(0)
	ds_write_b128 v130, v[1:4]
	s_waitcnt lgkmcnt(0)
	s_waitcnt_vscnt null, 0x0
	s_barrier
	buffer_gl0_inv
	v_cmpx_gt_u32_e32 15, v0
	s_cbranch_execz .LBB125_973
; %bb.966:
	ds_read_b128 v[1:4], v130
	v_cmp_ne_u32_e32 vcc_lo, 1, v131
	s_cbranch_vccnz .LBB125_968
; %bb.967:
	s_clause 0x3
	buffer_load_dword v132, v129, s[0:3], 0 offen offset:8
	buffer_load_dword v133, v129, s[0:3], 0 offen offset:12
	buffer_load_dword v136, v129, s[0:3], 0 offen
	buffer_load_dword v137, v129, s[0:3], 0 offen offset:4
	s_waitcnt vmcnt(2) lgkmcnt(0)
	v_mul_f64 v[138:139], v[3:4], v[132:133]
	v_mul_f64 v[132:133], v[1:2], v[132:133]
	s_waitcnt vmcnt(0)
	v_fma_f64 v[1:2], v[1:2], v[136:137], -v[138:139]
	v_fma_f64 v[3:4], v[3:4], v[136:137], v[132:133]
.LBB125_968:
	s_mov_b32 s5, exec_lo
	v_cmpx_ne_u32_e32 14, v0
	s_cbranch_execz .LBB125_972
; %bb.969:
	v_add_nc_u32_e32 v132, 0x3f0, v135
	v_add3_u32 v133, 0, v135, 16
	v_mov_b32_e32 v134, v0
	s_mov_b32 s6, 0
	.p2align	6
.LBB125_970:                            ; =>This Inner Loop Header: Depth=1
	s_clause 0x3
	buffer_load_dword v140, v133, s[0:3], 0 offen offset:8
	buffer_load_dword v141, v133, s[0:3], 0 offen offset:12
	buffer_load_dword v142, v133, s[0:3], 0 offen
	buffer_load_dword v143, v133, s[0:3], 0 offen offset:4
	ds_read_b128 v[136:139], v132
	v_add_nc_u32_e32 v134, 1, v134
	v_add_nc_u32_e32 v132, 16, v132
	;; [unrolled: 1-line block ×3, first 2 shown]
	v_cmp_lt_u32_e32 vcc_lo, 13, v134
	s_or_b32 s6, vcc_lo, s6
	s_waitcnt vmcnt(2) lgkmcnt(0)
	v_mul_f64 v[144:145], v[138:139], v[140:141]
	v_mul_f64 v[140:141], v[136:137], v[140:141]
	s_waitcnt vmcnt(0)
	v_fma_f64 v[136:137], v[136:137], v[142:143], -v[144:145]
	v_fma_f64 v[138:139], v[138:139], v[142:143], v[140:141]
	v_add_f64 v[1:2], v[1:2], v[136:137]
	v_add_f64 v[3:4], v[3:4], v[138:139]
	s_andn2_b32 exec_lo, exec_lo, s6
	s_cbranch_execnz .LBB125_970
; %bb.971:
	s_or_b32 exec_lo, exec_lo, s6
.LBB125_972:
	s_or_b32 exec_lo, exec_lo, s5
	v_mov_b32_e32 v132, 0
	ds_read_b128 v[136:139], v132 offset:240
	s_waitcnt lgkmcnt(0)
	v_mul_f64 v[132:133], v[3:4], v[138:139]
	v_mul_f64 v[138:139], v[1:2], v[138:139]
	v_fma_f64 v[1:2], v[1:2], v[136:137], -v[132:133]
	v_fma_f64 v[3:4], v[3:4], v[136:137], v[138:139]
	buffer_store_dword v2, off, s[0:3], 0 offset:244
	buffer_store_dword v1, off, s[0:3], 0 offset:240
	;; [unrolled: 1-line block ×4, first 2 shown]
.LBB125_973:
	s_or_b32 exec_lo, exec_lo, s4
	v_mov_b32_e32 v4, s55
	s_mov_b32 s4, exec_lo
	s_clause 0x3
	buffer_load_dword v1, v4, s[0:3], 0 offen
	buffer_load_dword v2, v4, s[0:3], 0 offen offset:4
	buffer_load_dword v3, v4, s[0:3], 0 offen offset:8
	;; [unrolled: 1-line block ×3, first 2 shown]
	s_waitcnt vmcnt(0)
	ds_write_b128 v130, v[1:4]
	s_waitcnt lgkmcnt(0)
	s_waitcnt_vscnt null, 0x0
	s_barrier
	buffer_gl0_inv
	v_cmpx_gt_u32_e32 16, v0
	s_cbranch_execz .LBB125_981
; %bb.974:
	ds_read_b128 v[1:4], v130
	v_cmp_ne_u32_e32 vcc_lo, 1, v131
	s_cbranch_vccnz .LBB125_976
; %bb.975:
	s_clause 0x3
	buffer_load_dword v132, v129, s[0:3], 0 offen offset:8
	buffer_load_dword v133, v129, s[0:3], 0 offen offset:12
	buffer_load_dword v136, v129, s[0:3], 0 offen
	buffer_load_dword v137, v129, s[0:3], 0 offen offset:4
	s_waitcnt vmcnt(2) lgkmcnt(0)
	v_mul_f64 v[138:139], v[3:4], v[132:133]
	v_mul_f64 v[132:133], v[1:2], v[132:133]
	s_waitcnt vmcnt(0)
	v_fma_f64 v[1:2], v[1:2], v[136:137], -v[138:139]
	v_fma_f64 v[3:4], v[3:4], v[136:137], v[132:133]
.LBB125_976:
	s_mov_b32 s5, exec_lo
	v_cmpx_ne_u32_e32 15, v0
	s_cbranch_execz .LBB125_980
; %bb.977:
	v_add_nc_u32_e32 v132, 0x3f0, v135
	v_add3_u32 v133, 0, v135, 16
	v_mov_b32_e32 v134, v0
	s_mov_b32 s6, 0
	.p2align	6
.LBB125_978:                            ; =>This Inner Loop Header: Depth=1
	s_clause 0x3
	buffer_load_dword v140, v133, s[0:3], 0 offen offset:8
	buffer_load_dword v141, v133, s[0:3], 0 offen offset:12
	buffer_load_dword v142, v133, s[0:3], 0 offen
	buffer_load_dword v143, v133, s[0:3], 0 offen offset:4
	ds_read_b128 v[136:139], v132
	v_add_nc_u32_e32 v134, 1, v134
	v_add_nc_u32_e32 v132, 16, v132
	;; [unrolled: 1-line block ×3, first 2 shown]
	v_cmp_lt_u32_e32 vcc_lo, 14, v134
	s_or_b32 s6, vcc_lo, s6
	s_waitcnt vmcnt(2) lgkmcnt(0)
	v_mul_f64 v[144:145], v[138:139], v[140:141]
	v_mul_f64 v[140:141], v[136:137], v[140:141]
	s_waitcnt vmcnt(0)
	v_fma_f64 v[136:137], v[136:137], v[142:143], -v[144:145]
	v_fma_f64 v[138:139], v[138:139], v[142:143], v[140:141]
	v_add_f64 v[1:2], v[1:2], v[136:137]
	v_add_f64 v[3:4], v[3:4], v[138:139]
	s_andn2_b32 exec_lo, exec_lo, s6
	s_cbranch_execnz .LBB125_978
; %bb.979:
	s_or_b32 exec_lo, exec_lo, s6
.LBB125_980:
	s_or_b32 exec_lo, exec_lo, s5
	v_mov_b32_e32 v132, 0
	ds_read_b128 v[136:139], v132 offset:256
	s_waitcnt lgkmcnt(0)
	v_mul_f64 v[132:133], v[3:4], v[138:139]
	v_mul_f64 v[138:139], v[1:2], v[138:139]
	v_fma_f64 v[1:2], v[1:2], v[136:137], -v[132:133]
	v_fma_f64 v[3:4], v[3:4], v[136:137], v[138:139]
	buffer_store_dword v2, off, s[0:3], 0 offset:260
	buffer_store_dword v1, off, s[0:3], 0 offset:256
	;; [unrolled: 1-line block ×4, first 2 shown]
.LBB125_981:
	s_or_b32 exec_lo, exec_lo, s4
	v_mov_b32_e32 v4, s54
	s_mov_b32 s4, exec_lo
	s_clause 0x3
	buffer_load_dword v1, v4, s[0:3], 0 offen
	buffer_load_dword v2, v4, s[0:3], 0 offen offset:4
	buffer_load_dword v3, v4, s[0:3], 0 offen offset:8
	;; [unrolled: 1-line block ×3, first 2 shown]
	s_waitcnt vmcnt(0)
	ds_write_b128 v130, v[1:4]
	s_waitcnt lgkmcnt(0)
	s_waitcnt_vscnt null, 0x0
	s_barrier
	buffer_gl0_inv
	v_cmpx_gt_u32_e32 17, v0
	s_cbranch_execz .LBB125_989
; %bb.982:
	ds_read_b128 v[1:4], v130
	v_cmp_ne_u32_e32 vcc_lo, 1, v131
	s_cbranch_vccnz .LBB125_984
; %bb.983:
	s_clause 0x3
	buffer_load_dword v132, v129, s[0:3], 0 offen offset:8
	buffer_load_dword v133, v129, s[0:3], 0 offen offset:12
	buffer_load_dword v136, v129, s[0:3], 0 offen
	buffer_load_dword v137, v129, s[0:3], 0 offen offset:4
	s_waitcnt vmcnt(2) lgkmcnt(0)
	v_mul_f64 v[138:139], v[3:4], v[132:133]
	v_mul_f64 v[132:133], v[1:2], v[132:133]
	s_waitcnt vmcnt(0)
	v_fma_f64 v[1:2], v[1:2], v[136:137], -v[138:139]
	v_fma_f64 v[3:4], v[3:4], v[136:137], v[132:133]
.LBB125_984:
	s_mov_b32 s5, exec_lo
	v_cmpx_ne_u32_e32 16, v0
	s_cbranch_execz .LBB125_988
; %bb.985:
	v_add_nc_u32_e32 v132, 0x3f0, v135
	v_add3_u32 v133, 0, v135, 16
	v_mov_b32_e32 v134, v0
	s_mov_b32 s6, 0
	.p2align	6
.LBB125_986:                            ; =>This Inner Loop Header: Depth=1
	s_clause 0x3
	buffer_load_dword v140, v133, s[0:3], 0 offen offset:8
	buffer_load_dword v141, v133, s[0:3], 0 offen offset:12
	buffer_load_dword v142, v133, s[0:3], 0 offen
	buffer_load_dword v143, v133, s[0:3], 0 offen offset:4
	ds_read_b128 v[136:139], v132
	v_add_nc_u32_e32 v134, 1, v134
	v_add_nc_u32_e32 v132, 16, v132
	;; [unrolled: 1-line block ×3, first 2 shown]
	v_cmp_lt_u32_e32 vcc_lo, 15, v134
	s_or_b32 s6, vcc_lo, s6
	s_waitcnt vmcnt(2) lgkmcnt(0)
	v_mul_f64 v[144:145], v[138:139], v[140:141]
	v_mul_f64 v[140:141], v[136:137], v[140:141]
	s_waitcnt vmcnt(0)
	v_fma_f64 v[136:137], v[136:137], v[142:143], -v[144:145]
	v_fma_f64 v[138:139], v[138:139], v[142:143], v[140:141]
	v_add_f64 v[1:2], v[1:2], v[136:137]
	v_add_f64 v[3:4], v[3:4], v[138:139]
	s_andn2_b32 exec_lo, exec_lo, s6
	s_cbranch_execnz .LBB125_986
; %bb.987:
	s_or_b32 exec_lo, exec_lo, s6
.LBB125_988:
	s_or_b32 exec_lo, exec_lo, s5
	v_mov_b32_e32 v132, 0
	ds_read_b128 v[136:139], v132 offset:272
	s_waitcnt lgkmcnt(0)
	v_mul_f64 v[132:133], v[3:4], v[138:139]
	v_mul_f64 v[138:139], v[1:2], v[138:139]
	v_fma_f64 v[1:2], v[1:2], v[136:137], -v[132:133]
	v_fma_f64 v[3:4], v[3:4], v[136:137], v[138:139]
	buffer_store_dword v2, off, s[0:3], 0 offset:276
	buffer_store_dword v1, off, s[0:3], 0 offset:272
	buffer_store_dword v4, off, s[0:3], 0 offset:284
	buffer_store_dword v3, off, s[0:3], 0 offset:280
.LBB125_989:
	s_or_b32 exec_lo, exec_lo, s4
	v_mov_b32_e32 v4, s53
	s_mov_b32 s4, exec_lo
	s_clause 0x3
	buffer_load_dword v1, v4, s[0:3], 0 offen
	buffer_load_dword v2, v4, s[0:3], 0 offen offset:4
	buffer_load_dword v3, v4, s[0:3], 0 offen offset:8
	;; [unrolled: 1-line block ×3, first 2 shown]
	s_waitcnt vmcnt(0)
	ds_write_b128 v130, v[1:4]
	s_waitcnt lgkmcnt(0)
	s_waitcnt_vscnt null, 0x0
	s_barrier
	buffer_gl0_inv
	v_cmpx_gt_u32_e32 18, v0
	s_cbranch_execz .LBB125_997
; %bb.990:
	ds_read_b128 v[1:4], v130
	v_cmp_ne_u32_e32 vcc_lo, 1, v131
	s_cbranch_vccnz .LBB125_992
; %bb.991:
	s_clause 0x3
	buffer_load_dword v132, v129, s[0:3], 0 offen offset:8
	buffer_load_dword v133, v129, s[0:3], 0 offen offset:12
	buffer_load_dword v136, v129, s[0:3], 0 offen
	buffer_load_dword v137, v129, s[0:3], 0 offen offset:4
	s_waitcnt vmcnt(2) lgkmcnt(0)
	v_mul_f64 v[138:139], v[3:4], v[132:133]
	v_mul_f64 v[132:133], v[1:2], v[132:133]
	s_waitcnt vmcnt(0)
	v_fma_f64 v[1:2], v[1:2], v[136:137], -v[138:139]
	v_fma_f64 v[3:4], v[3:4], v[136:137], v[132:133]
.LBB125_992:
	s_mov_b32 s5, exec_lo
	v_cmpx_ne_u32_e32 17, v0
	s_cbranch_execz .LBB125_996
; %bb.993:
	v_add_nc_u32_e32 v132, 0x3f0, v135
	v_add3_u32 v133, 0, v135, 16
	v_mov_b32_e32 v134, v0
	s_mov_b32 s6, 0
	.p2align	6
.LBB125_994:                            ; =>This Inner Loop Header: Depth=1
	s_clause 0x3
	buffer_load_dword v140, v133, s[0:3], 0 offen offset:8
	buffer_load_dword v141, v133, s[0:3], 0 offen offset:12
	buffer_load_dword v142, v133, s[0:3], 0 offen
	buffer_load_dword v143, v133, s[0:3], 0 offen offset:4
	ds_read_b128 v[136:139], v132
	v_add_nc_u32_e32 v134, 1, v134
	v_add_nc_u32_e32 v132, 16, v132
	;; [unrolled: 1-line block ×3, first 2 shown]
	v_cmp_lt_u32_e32 vcc_lo, 16, v134
	s_or_b32 s6, vcc_lo, s6
	s_waitcnt vmcnt(2) lgkmcnt(0)
	v_mul_f64 v[144:145], v[138:139], v[140:141]
	v_mul_f64 v[140:141], v[136:137], v[140:141]
	s_waitcnt vmcnt(0)
	v_fma_f64 v[136:137], v[136:137], v[142:143], -v[144:145]
	v_fma_f64 v[138:139], v[138:139], v[142:143], v[140:141]
	v_add_f64 v[1:2], v[1:2], v[136:137]
	v_add_f64 v[3:4], v[3:4], v[138:139]
	s_andn2_b32 exec_lo, exec_lo, s6
	s_cbranch_execnz .LBB125_994
; %bb.995:
	s_or_b32 exec_lo, exec_lo, s6
.LBB125_996:
	s_or_b32 exec_lo, exec_lo, s5
	v_mov_b32_e32 v132, 0
	ds_read_b128 v[136:139], v132 offset:288
	s_waitcnt lgkmcnt(0)
	v_mul_f64 v[132:133], v[3:4], v[138:139]
	v_mul_f64 v[138:139], v[1:2], v[138:139]
	v_fma_f64 v[1:2], v[1:2], v[136:137], -v[132:133]
	v_fma_f64 v[3:4], v[3:4], v[136:137], v[138:139]
	buffer_store_dword v2, off, s[0:3], 0 offset:292
	buffer_store_dword v1, off, s[0:3], 0 offset:288
	;; [unrolled: 1-line block ×4, first 2 shown]
.LBB125_997:
	s_or_b32 exec_lo, exec_lo, s4
	v_mov_b32_e32 v4, s52
	s_mov_b32 s4, exec_lo
	s_clause 0x3
	buffer_load_dword v1, v4, s[0:3], 0 offen
	buffer_load_dword v2, v4, s[0:3], 0 offen offset:4
	buffer_load_dword v3, v4, s[0:3], 0 offen offset:8
	;; [unrolled: 1-line block ×3, first 2 shown]
	s_waitcnt vmcnt(0)
	ds_write_b128 v130, v[1:4]
	s_waitcnt lgkmcnt(0)
	s_waitcnt_vscnt null, 0x0
	s_barrier
	buffer_gl0_inv
	v_cmpx_gt_u32_e32 19, v0
	s_cbranch_execz .LBB125_1005
; %bb.998:
	ds_read_b128 v[1:4], v130
	v_cmp_ne_u32_e32 vcc_lo, 1, v131
	s_cbranch_vccnz .LBB125_1000
; %bb.999:
	s_clause 0x3
	buffer_load_dword v132, v129, s[0:3], 0 offen offset:8
	buffer_load_dword v133, v129, s[0:3], 0 offen offset:12
	buffer_load_dword v136, v129, s[0:3], 0 offen
	buffer_load_dword v137, v129, s[0:3], 0 offen offset:4
	s_waitcnt vmcnt(2) lgkmcnt(0)
	v_mul_f64 v[138:139], v[3:4], v[132:133]
	v_mul_f64 v[132:133], v[1:2], v[132:133]
	s_waitcnt vmcnt(0)
	v_fma_f64 v[1:2], v[1:2], v[136:137], -v[138:139]
	v_fma_f64 v[3:4], v[3:4], v[136:137], v[132:133]
.LBB125_1000:
	s_mov_b32 s5, exec_lo
	v_cmpx_ne_u32_e32 18, v0
	s_cbranch_execz .LBB125_1004
; %bb.1001:
	v_add_nc_u32_e32 v132, 0x3f0, v135
	v_add3_u32 v133, 0, v135, 16
	v_mov_b32_e32 v134, v0
	s_mov_b32 s6, 0
	.p2align	6
.LBB125_1002:                           ; =>This Inner Loop Header: Depth=1
	s_clause 0x3
	buffer_load_dword v140, v133, s[0:3], 0 offen offset:8
	buffer_load_dword v141, v133, s[0:3], 0 offen offset:12
	buffer_load_dword v142, v133, s[0:3], 0 offen
	buffer_load_dword v143, v133, s[0:3], 0 offen offset:4
	ds_read_b128 v[136:139], v132
	v_add_nc_u32_e32 v134, 1, v134
	v_add_nc_u32_e32 v132, 16, v132
	;; [unrolled: 1-line block ×3, first 2 shown]
	v_cmp_lt_u32_e32 vcc_lo, 17, v134
	s_or_b32 s6, vcc_lo, s6
	s_waitcnt vmcnt(2) lgkmcnt(0)
	v_mul_f64 v[144:145], v[138:139], v[140:141]
	v_mul_f64 v[140:141], v[136:137], v[140:141]
	s_waitcnt vmcnt(0)
	v_fma_f64 v[136:137], v[136:137], v[142:143], -v[144:145]
	v_fma_f64 v[138:139], v[138:139], v[142:143], v[140:141]
	v_add_f64 v[1:2], v[1:2], v[136:137]
	v_add_f64 v[3:4], v[3:4], v[138:139]
	s_andn2_b32 exec_lo, exec_lo, s6
	s_cbranch_execnz .LBB125_1002
; %bb.1003:
	s_or_b32 exec_lo, exec_lo, s6
.LBB125_1004:
	s_or_b32 exec_lo, exec_lo, s5
	v_mov_b32_e32 v132, 0
	ds_read_b128 v[136:139], v132 offset:304
	s_waitcnt lgkmcnt(0)
	v_mul_f64 v[132:133], v[3:4], v[138:139]
	v_mul_f64 v[138:139], v[1:2], v[138:139]
	v_fma_f64 v[1:2], v[1:2], v[136:137], -v[132:133]
	v_fma_f64 v[3:4], v[3:4], v[136:137], v[138:139]
	buffer_store_dword v2, off, s[0:3], 0 offset:308
	buffer_store_dword v1, off, s[0:3], 0 offset:304
	;; [unrolled: 1-line block ×4, first 2 shown]
.LBB125_1005:
	s_or_b32 exec_lo, exec_lo, s4
	v_mov_b32_e32 v4, s51
	s_mov_b32 s4, exec_lo
	s_clause 0x3
	buffer_load_dword v1, v4, s[0:3], 0 offen
	buffer_load_dword v2, v4, s[0:3], 0 offen offset:4
	buffer_load_dword v3, v4, s[0:3], 0 offen offset:8
	buffer_load_dword v4, v4, s[0:3], 0 offen offset:12
	s_waitcnt vmcnt(0)
	ds_write_b128 v130, v[1:4]
	s_waitcnt lgkmcnt(0)
	s_waitcnt_vscnt null, 0x0
	s_barrier
	buffer_gl0_inv
	v_cmpx_gt_u32_e32 20, v0
	s_cbranch_execz .LBB125_1013
; %bb.1006:
	ds_read_b128 v[1:4], v130
	v_cmp_ne_u32_e32 vcc_lo, 1, v131
	s_cbranch_vccnz .LBB125_1008
; %bb.1007:
	s_clause 0x3
	buffer_load_dword v132, v129, s[0:3], 0 offen offset:8
	buffer_load_dword v133, v129, s[0:3], 0 offen offset:12
	buffer_load_dword v136, v129, s[0:3], 0 offen
	buffer_load_dword v137, v129, s[0:3], 0 offen offset:4
	s_waitcnt vmcnt(2) lgkmcnt(0)
	v_mul_f64 v[138:139], v[3:4], v[132:133]
	v_mul_f64 v[132:133], v[1:2], v[132:133]
	s_waitcnt vmcnt(0)
	v_fma_f64 v[1:2], v[1:2], v[136:137], -v[138:139]
	v_fma_f64 v[3:4], v[3:4], v[136:137], v[132:133]
.LBB125_1008:
	s_mov_b32 s5, exec_lo
	v_cmpx_ne_u32_e32 19, v0
	s_cbranch_execz .LBB125_1012
; %bb.1009:
	v_add_nc_u32_e32 v132, 0x3f0, v135
	v_add3_u32 v133, 0, v135, 16
	v_mov_b32_e32 v134, v0
	s_mov_b32 s6, 0
	.p2align	6
.LBB125_1010:                           ; =>This Inner Loop Header: Depth=1
	s_clause 0x3
	buffer_load_dword v140, v133, s[0:3], 0 offen offset:8
	buffer_load_dword v141, v133, s[0:3], 0 offen offset:12
	buffer_load_dword v142, v133, s[0:3], 0 offen
	buffer_load_dword v143, v133, s[0:3], 0 offen offset:4
	ds_read_b128 v[136:139], v132
	v_add_nc_u32_e32 v134, 1, v134
	v_add_nc_u32_e32 v132, 16, v132
	;; [unrolled: 1-line block ×3, first 2 shown]
	v_cmp_lt_u32_e32 vcc_lo, 18, v134
	s_or_b32 s6, vcc_lo, s6
	s_waitcnt vmcnt(2) lgkmcnt(0)
	v_mul_f64 v[144:145], v[138:139], v[140:141]
	v_mul_f64 v[140:141], v[136:137], v[140:141]
	s_waitcnt vmcnt(0)
	v_fma_f64 v[136:137], v[136:137], v[142:143], -v[144:145]
	v_fma_f64 v[138:139], v[138:139], v[142:143], v[140:141]
	v_add_f64 v[1:2], v[1:2], v[136:137]
	v_add_f64 v[3:4], v[3:4], v[138:139]
	s_andn2_b32 exec_lo, exec_lo, s6
	s_cbranch_execnz .LBB125_1010
; %bb.1011:
	s_or_b32 exec_lo, exec_lo, s6
.LBB125_1012:
	s_or_b32 exec_lo, exec_lo, s5
	v_mov_b32_e32 v132, 0
	ds_read_b128 v[136:139], v132 offset:320
	s_waitcnt lgkmcnt(0)
	v_mul_f64 v[132:133], v[3:4], v[138:139]
	v_mul_f64 v[138:139], v[1:2], v[138:139]
	v_fma_f64 v[1:2], v[1:2], v[136:137], -v[132:133]
	v_fma_f64 v[3:4], v[3:4], v[136:137], v[138:139]
	buffer_store_dword v2, off, s[0:3], 0 offset:324
	buffer_store_dword v1, off, s[0:3], 0 offset:320
	;; [unrolled: 1-line block ×4, first 2 shown]
.LBB125_1013:
	s_or_b32 exec_lo, exec_lo, s4
	v_mov_b32_e32 v4, s50
	s_mov_b32 s4, exec_lo
	s_clause 0x3
	buffer_load_dword v1, v4, s[0:3], 0 offen
	buffer_load_dword v2, v4, s[0:3], 0 offen offset:4
	buffer_load_dword v3, v4, s[0:3], 0 offen offset:8
	;; [unrolled: 1-line block ×3, first 2 shown]
	s_waitcnt vmcnt(0)
	ds_write_b128 v130, v[1:4]
	s_waitcnt lgkmcnt(0)
	s_waitcnt_vscnt null, 0x0
	s_barrier
	buffer_gl0_inv
	v_cmpx_gt_u32_e32 21, v0
	s_cbranch_execz .LBB125_1021
; %bb.1014:
	ds_read_b128 v[1:4], v130
	v_cmp_ne_u32_e32 vcc_lo, 1, v131
	s_cbranch_vccnz .LBB125_1016
; %bb.1015:
	s_clause 0x3
	buffer_load_dword v132, v129, s[0:3], 0 offen offset:8
	buffer_load_dword v133, v129, s[0:3], 0 offen offset:12
	buffer_load_dword v136, v129, s[0:3], 0 offen
	buffer_load_dword v137, v129, s[0:3], 0 offen offset:4
	s_waitcnt vmcnt(2) lgkmcnt(0)
	v_mul_f64 v[138:139], v[3:4], v[132:133]
	v_mul_f64 v[132:133], v[1:2], v[132:133]
	s_waitcnt vmcnt(0)
	v_fma_f64 v[1:2], v[1:2], v[136:137], -v[138:139]
	v_fma_f64 v[3:4], v[3:4], v[136:137], v[132:133]
.LBB125_1016:
	s_mov_b32 s5, exec_lo
	v_cmpx_ne_u32_e32 20, v0
	s_cbranch_execz .LBB125_1020
; %bb.1017:
	v_add_nc_u32_e32 v132, 0x3f0, v135
	v_add3_u32 v133, 0, v135, 16
	v_mov_b32_e32 v134, v0
	s_mov_b32 s6, 0
	.p2align	6
.LBB125_1018:                           ; =>This Inner Loop Header: Depth=1
	s_clause 0x3
	buffer_load_dword v140, v133, s[0:3], 0 offen offset:8
	buffer_load_dword v141, v133, s[0:3], 0 offen offset:12
	buffer_load_dword v142, v133, s[0:3], 0 offen
	buffer_load_dword v143, v133, s[0:3], 0 offen offset:4
	ds_read_b128 v[136:139], v132
	v_add_nc_u32_e32 v134, 1, v134
	v_add_nc_u32_e32 v132, 16, v132
	;; [unrolled: 1-line block ×3, first 2 shown]
	v_cmp_lt_u32_e32 vcc_lo, 19, v134
	s_or_b32 s6, vcc_lo, s6
	s_waitcnt vmcnt(2) lgkmcnt(0)
	v_mul_f64 v[144:145], v[138:139], v[140:141]
	v_mul_f64 v[140:141], v[136:137], v[140:141]
	s_waitcnt vmcnt(0)
	v_fma_f64 v[136:137], v[136:137], v[142:143], -v[144:145]
	v_fma_f64 v[138:139], v[138:139], v[142:143], v[140:141]
	v_add_f64 v[1:2], v[1:2], v[136:137]
	v_add_f64 v[3:4], v[3:4], v[138:139]
	s_andn2_b32 exec_lo, exec_lo, s6
	s_cbranch_execnz .LBB125_1018
; %bb.1019:
	s_or_b32 exec_lo, exec_lo, s6
.LBB125_1020:
	s_or_b32 exec_lo, exec_lo, s5
	v_mov_b32_e32 v132, 0
	ds_read_b128 v[136:139], v132 offset:336
	s_waitcnt lgkmcnt(0)
	v_mul_f64 v[132:133], v[3:4], v[138:139]
	v_mul_f64 v[138:139], v[1:2], v[138:139]
	v_fma_f64 v[1:2], v[1:2], v[136:137], -v[132:133]
	v_fma_f64 v[3:4], v[3:4], v[136:137], v[138:139]
	buffer_store_dword v2, off, s[0:3], 0 offset:340
	buffer_store_dword v1, off, s[0:3], 0 offset:336
	;; [unrolled: 1-line block ×4, first 2 shown]
.LBB125_1021:
	s_or_b32 exec_lo, exec_lo, s4
	v_mov_b32_e32 v4, s49
	s_mov_b32 s4, exec_lo
	s_clause 0x3
	buffer_load_dword v1, v4, s[0:3], 0 offen
	buffer_load_dword v2, v4, s[0:3], 0 offen offset:4
	buffer_load_dword v3, v4, s[0:3], 0 offen offset:8
	;; [unrolled: 1-line block ×3, first 2 shown]
	s_waitcnt vmcnt(0)
	ds_write_b128 v130, v[1:4]
	s_waitcnt lgkmcnt(0)
	s_waitcnt_vscnt null, 0x0
	s_barrier
	buffer_gl0_inv
	v_cmpx_gt_u32_e32 22, v0
	s_cbranch_execz .LBB125_1029
; %bb.1022:
	ds_read_b128 v[1:4], v130
	v_cmp_ne_u32_e32 vcc_lo, 1, v131
	s_cbranch_vccnz .LBB125_1024
; %bb.1023:
	s_clause 0x3
	buffer_load_dword v132, v129, s[0:3], 0 offen offset:8
	buffer_load_dword v133, v129, s[0:3], 0 offen offset:12
	buffer_load_dword v136, v129, s[0:3], 0 offen
	buffer_load_dword v137, v129, s[0:3], 0 offen offset:4
	s_waitcnt vmcnt(2) lgkmcnt(0)
	v_mul_f64 v[138:139], v[3:4], v[132:133]
	v_mul_f64 v[132:133], v[1:2], v[132:133]
	s_waitcnt vmcnt(0)
	v_fma_f64 v[1:2], v[1:2], v[136:137], -v[138:139]
	v_fma_f64 v[3:4], v[3:4], v[136:137], v[132:133]
.LBB125_1024:
	s_mov_b32 s5, exec_lo
	v_cmpx_ne_u32_e32 21, v0
	s_cbranch_execz .LBB125_1028
; %bb.1025:
	v_add_nc_u32_e32 v132, 0x3f0, v135
	v_add3_u32 v133, 0, v135, 16
	v_mov_b32_e32 v134, v0
	s_mov_b32 s6, 0
	.p2align	6
.LBB125_1026:                           ; =>This Inner Loop Header: Depth=1
	s_clause 0x3
	buffer_load_dword v140, v133, s[0:3], 0 offen offset:8
	buffer_load_dword v141, v133, s[0:3], 0 offen offset:12
	buffer_load_dword v142, v133, s[0:3], 0 offen
	buffer_load_dword v143, v133, s[0:3], 0 offen offset:4
	ds_read_b128 v[136:139], v132
	v_add_nc_u32_e32 v134, 1, v134
	v_add_nc_u32_e32 v132, 16, v132
	;; [unrolled: 1-line block ×3, first 2 shown]
	v_cmp_lt_u32_e32 vcc_lo, 20, v134
	s_or_b32 s6, vcc_lo, s6
	s_waitcnt vmcnt(2) lgkmcnt(0)
	v_mul_f64 v[144:145], v[138:139], v[140:141]
	v_mul_f64 v[140:141], v[136:137], v[140:141]
	s_waitcnt vmcnt(0)
	v_fma_f64 v[136:137], v[136:137], v[142:143], -v[144:145]
	v_fma_f64 v[138:139], v[138:139], v[142:143], v[140:141]
	v_add_f64 v[1:2], v[1:2], v[136:137]
	v_add_f64 v[3:4], v[3:4], v[138:139]
	s_andn2_b32 exec_lo, exec_lo, s6
	s_cbranch_execnz .LBB125_1026
; %bb.1027:
	s_or_b32 exec_lo, exec_lo, s6
.LBB125_1028:
	s_or_b32 exec_lo, exec_lo, s5
	v_mov_b32_e32 v132, 0
	ds_read_b128 v[136:139], v132 offset:352
	s_waitcnt lgkmcnt(0)
	v_mul_f64 v[132:133], v[3:4], v[138:139]
	v_mul_f64 v[138:139], v[1:2], v[138:139]
	v_fma_f64 v[1:2], v[1:2], v[136:137], -v[132:133]
	v_fma_f64 v[3:4], v[3:4], v[136:137], v[138:139]
	buffer_store_dword v2, off, s[0:3], 0 offset:356
	buffer_store_dword v1, off, s[0:3], 0 offset:352
	;; [unrolled: 1-line block ×4, first 2 shown]
.LBB125_1029:
	s_or_b32 exec_lo, exec_lo, s4
	v_mov_b32_e32 v4, s48
	s_mov_b32 s4, exec_lo
	s_clause 0x3
	buffer_load_dword v1, v4, s[0:3], 0 offen
	buffer_load_dword v2, v4, s[0:3], 0 offen offset:4
	buffer_load_dword v3, v4, s[0:3], 0 offen offset:8
	buffer_load_dword v4, v4, s[0:3], 0 offen offset:12
	s_waitcnt vmcnt(0)
	ds_write_b128 v130, v[1:4]
	s_waitcnt lgkmcnt(0)
	s_waitcnt_vscnt null, 0x0
	s_barrier
	buffer_gl0_inv
	v_cmpx_gt_u32_e32 23, v0
	s_cbranch_execz .LBB125_1037
; %bb.1030:
	ds_read_b128 v[1:4], v130
	v_cmp_ne_u32_e32 vcc_lo, 1, v131
	s_cbranch_vccnz .LBB125_1032
; %bb.1031:
	s_clause 0x3
	buffer_load_dword v132, v129, s[0:3], 0 offen offset:8
	buffer_load_dword v133, v129, s[0:3], 0 offen offset:12
	buffer_load_dword v136, v129, s[0:3], 0 offen
	buffer_load_dword v137, v129, s[0:3], 0 offen offset:4
	s_waitcnt vmcnt(2) lgkmcnt(0)
	v_mul_f64 v[138:139], v[3:4], v[132:133]
	v_mul_f64 v[132:133], v[1:2], v[132:133]
	s_waitcnt vmcnt(0)
	v_fma_f64 v[1:2], v[1:2], v[136:137], -v[138:139]
	v_fma_f64 v[3:4], v[3:4], v[136:137], v[132:133]
.LBB125_1032:
	s_mov_b32 s5, exec_lo
	v_cmpx_ne_u32_e32 22, v0
	s_cbranch_execz .LBB125_1036
; %bb.1033:
	v_add_nc_u32_e32 v132, 0x3f0, v135
	v_add3_u32 v133, 0, v135, 16
	v_mov_b32_e32 v134, v0
	s_mov_b32 s6, 0
	.p2align	6
.LBB125_1034:                           ; =>This Inner Loop Header: Depth=1
	s_clause 0x3
	buffer_load_dword v140, v133, s[0:3], 0 offen offset:8
	buffer_load_dword v141, v133, s[0:3], 0 offen offset:12
	buffer_load_dword v142, v133, s[0:3], 0 offen
	buffer_load_dword v143, v133, s[0:3], 0 offen offset:4
	ds_read_b128 v[136:139], v132
	v_add_nc_u32_e32 v134, 1, v134
	v_add_nc_u32_e32 v132, 16, v132
	;; [unrolled: 1-line block ×3, first 2 shown]
	v_cmp_lt_u32_e32 vcc_lo, 21, v134
	s_or_b32 s6, vcc_lo, s6
	s_waitcnt vmcnt(2) lgkmcnt(0)
	v_mul_f64 v[144:145], v[138:139], v[140:141]
	v_mul_f64 v[140:141], v[136:137], v[140:141]
	s_waitcnt vmcnt(0)
	v_fma_f64 v[136:137], v[136:137], v[142:143], -v[144:145]
	v_fma_f64 v[138:139], v[138:139], v[142:143], v[140:141]
	v_add_f64 v[1:2], v[1:2], v[136:137]
	v_add_f64 v[3:4], v[3:4], v[138:139]
	s_andn2_b32 exec_lo, exec_lo, s6
	s_cbranch_execnz .LBB125_1034
; %bb.1035:
	s_or_b32 exec_lo, exec_lo, s6
.LBB125_1036:
	s_or_b32 exec_lo, exec_lo, s5
	v_mov_b32_e32 v132, 0
	ds_read_b128 v[136:139], v132 offset:368
	s_waitcnt lgkmcnt(0)
	v_mul_f64 v[132:133], v[3:4], v[138:139]
	v_mul_f64 v[138:139], v[1:2], v[138:139]
	v_fma_f64 v[1:2], v[1:2], v[136:137], -v[132:133]
	v_fma_f64 v[3:4], v[3:4], v[136:137], v[138:139]
	buffer_store_dword v2, off, s[0:3], 0 offset:372
	buffer_store_dword v1, off, s[0:3], 0 offset:368
	;; [unrolled: 1-line block ×4, first 2 shown]
.LBB125_1037:
	s_or_b32 exec_lo, exec_lo, s4
	v_mov_b32_e32 v4, s47
	s_mov_b32 s4, exec_lo
	s_clause 0x3
	buffer_load_dword v1, v4, s[0:3], 0 offen
	buffer_load_dword v2, v4, s[0:3], 0 offen offset:4
	buffer_load_dword v3, v4, s[0:3], 0 offen offset:8
	;; [unrolled: 1-line block ×3, first 2 shown]
	s_waitcnt vmcnt(0)
	ds_write_b128 v130, v[1:4]
	s_waitcnt lgkmcnt(0)
	s_waitcnt_vscnt null, 0x0
	s_barrier
	buffer_gl0_inv
	v_cmpx_gt_u32_e32 24, v0
	s_cbranch_execz .LBB125_1045
; %bb.1038:
	ds_read_b128 v[1:4], v130
	v_cmp_ne_u32_e32 vcc_lo, 1, v131
	s_cbranch_vccnz .LBB125_1040
; %bb.1039:
	s_clause 0x3
	buffer_load_dword v132, v129, s[0:3], 0 offen offset:8
	buffer_load_dword v133, v129, s[0:3], 0 offen offset:12
	buffer_load_dword v136, v129, s[0:3], 0 offen
	buffer_load_dword v137, v129, s[0:3], 0 offen offset:4
	s_waitcnt vmcnt(2) lgkmcnt(0)
	v_mul_f64 v[138:139], v[3:4], v[132:133]
	v_mul_f64 v[132:133], v[1:2], v[132:133]
	s_waitcnt vmcnt(0)
	v_fma_f64 v[1:2], v[1:2], v[136:137], -v[138:139]
	v_fma_f64 v[3:4], v[3:4], v[136:137], v[132:133]
.LBB125_1040:
	s_mov_b32 s5, exec_lo
	v_cmpx_ne_u32_e32 23, v0
	s_cbranch_execz .LBB125_1044
; %bb.1041:
	v_add_nc_u32_e32 v132, 0x3f0, v135
	v_add3_u32 v133, 0, v135, 16
	v_mov_b32_e32 v134, v0
	s_mov_b32 s6, 0
	.p2align	6
.LBB125_1042:                           ; =>This Inner Loop Header: Depth=1
	s_clause 0x3
	buffer_load_dword v140, v133, s[0:3], 0 offen offset:8
	buffer_load_dword v141, v133, s[0:3], 0 offen offset:12
	buffer_load_dword v142, v133, s[0:3], 0 offen
	buffer_load_dword v143, v133, s[0:3], 0 offen offset:4
	ds_read_b128 v[136:139], v132
	v_add_nc_u32_e32 v134, 1, v134
	v_add_nc_u32_e32 v132, 16, v132
	;; [unrolled: 1-line block ×3, first 2 shown]
	v_cmp_lt_u32_e32 vcc_lo, 22, v134
	s_or_b32 s6, vcc_lo, s6
	s_waitcnt vmcnt(2) lgkmcnt(0)
	v_mul_f64 v[144:145], v[138:139], v[140:141]
	v_mul_f64 v[140:141], v[136:137], v[140:141]
	s_waitcnt vmcnt(0)
	v_fma_f64 v[136:137], v[136:137], v[142:143], -v[144:145]
	v_fma_f64 v[138:139], v[138:139], v[142:143], v[140:141]
	v_add_f64 v[1:2], v[1:2], v[136:137]
	v_add_f64 v[3:4], v[3:4], v[138:139]
	s_andn2_b32 exec_lo, exec_lo, s6
	s_cbranch_execnz .LBB125_1042
; %bb.1043:
	s_or_b32 exec_lo, exec_lo, s6
.LBB125_1044:
	s_or_b32 exec_lo, exec_lo, s5
	v_mov_b32_e32 v132, 0
	ds_read_b128 v[136:139], v132 offset:384
	s_waitcnt lgkmcnt(0)
	v_mul_f64 v[132:133], v[3:4], v[138:139]
	v_mul_f64 v[138:139], v[1:2], v[138:139]
	v_fma_f64 v[1:2], v[1:2], v[136:137], -v[132:133]
	v_fma_f64 v[3:4], v[3:4], v[136:137], v[138:139]
	buffer_store_dword v2, off, s[0:3], 0 offset:388
	buffer_store_dword v1, off, s[0:3], 0 offset:384
	;; [unrolled: 1-line block ×4, first 2 shown]
.LBB125_1045:
	s_or_b32 exec_lo, exec_lo, s4
	v_mov_b32_e32 v4, s46
	s_mov_b32 s4, exec_lo
	s_clause 0x3
	buffer_load_dword v1, v4, s[0:3], 0 offen
	buffer_load_dword v2, v4, s[0:3], 0 offen offset:4
	buffer_load_dword v3, v4, s[0:3], 0 offen offset:8
	;; [unrolled: 1-line block ×3, first 2 shown]
	s_waitcnt vmcnt(0)
	ds_write_b128 v130, v[1:4]
	s_waitcnt lgkmcnt(0)
	s_waitcnt_vscnt null, 0x0
	s_barrier
	buffer_gl0_inv
	v_cmpx_gt_u32_e32 25, v0
	s_cbranch_execz .LBB125_1053
; %bb.1046:
	ds_read_b128 v[1:4], v130
	v_cmp_ne_u32_e32 vcc_lo, 1, v131
	s_cbranch_vccnz .LBB125_1048
; %bb.1047:
	s_clause 0x3
	buffer_load_dword v132, v129, s[0:3], 0 offen offset:8
	buffer_load_dword v133, v129, s[0:3], 0 offen offset:12
	buffer_load_dword v136, v129, s[0:3], 0 offen
	buffer_load_dword v137, v129, s[0:3], 0 offen offset:4
	s_waitcnt vmcnt(2) lgkmcnt(0)
	v_mul_f64 v[138:139], v[3:4], v[132:133]
	v_mul_f64 v[132:133], v[1:2], v[132:133]
	s_waitcnt vmcnt(0)
	v_fma_f64 v[1:2], v[1:2], v[136:137], -v[138:139]
	v_fma_f64 v[3:4], v[3:4], v[136:137], v[132:133]
.LBB125_1048:
	s_mov_b32 s5, exec_lo
	v_cmpx_ne_u32_e32 24, v0
	s_cbranch_execz .LBB125_1052
; %bb.1049:
	v_add_nc_u32_e32 v132, 0x3f0, v135
	v_add3_u32 v133, 0, v135, 16
	v_mov_b32_e32 v134, v0
	s_mov_b32 s6, 0
	.p2align	6
.LBB125_1050:                           ; =>This Inner Loop Header: Depth=1
	s_clause 0x3
	buffer_load_dword v140, v133, s[0:3], 0 offen offset:8
	buffer_load_dword v141, v133, s[0:3], 0 offen offset:12
	buffer_load_dword v142, v133, s[0:3], 0 offen
	buffer_load_dword v143, v133, s[0:3], 0 offen offset:4
	ds_read_b128 v[136:139], v132
	v_add_nc_u32_e32 v134, 1, v134
	v_add_nc_u32_e32 v132, 16, v132
	;; [unrolled: 1-line block ×3, first 2 shown]
	v_cmp_lt_u32_e32 vcc_lo, 23, v134
	s_or_b32 s6, vcc_lo, s6
	s_waitcnt vmcnt(2) lgkmcnt(0)
	v_mul_f64 v[144:145], v[138:139], v[140:141]
	v_mul_f64 v[140:141], v[136:137], v[140:141]
	s_waitcnt vmcnt(0)
	v_fma_f64 v[136:137], v[136:137], v[142:143], -v[144:145]
	v_fma_f64 v[138:139], v[138:139], v[142:143], v[140:141]
	v_add_f64 v[1:2], v[1:2], v[136:137]
	v_add_f64 v[3:4], v[3:4], v[138:139]
	s_andn2_b32 exec_lo, exec_lo, s6
	s_cbranch_execnz .LBB125_1050
; %bb.1051:
	s_or_b32 exec_lo, exec_lo, s6
.LBB125_1052:
	s_or_b32 exec_lo, exec_lo, s5
	v_mov_b32_e32 v132, 0
	ds_read_b128 v[136:139], v132 offset:400
	s_waitcnt lgkmcnt(0)
	v_mul_f64 v[132:133], v[3:4], v[138:139]
	v_mul_f64 v[138:139], v[1:2], v[138:139]
	v_fma_f64 v[1:2], v[1:2], v[136:137], -v[132:133]
	v_fma_f64 v[3:4], v[3:4], v[136:137], v[138:139]
	buffer_store_dword v2, off, s[0:3], 0 offset:404
	buffer_store_dword v1, off, s[0:3], 0 offset:400
	;; [unrolled: 1-line block ×4, first 2 shown]
.LBB125_1053:
	s_or_b32 exec_lo, exec_lo, s4
	v_mov_b32_e32 v4, s45
	s_mov_b32 s4, exec_lo
	s_clause 0x3
	buffer_load_dword v1, v4, s[0:3], 0 offen
	buffer_load_dword v2, v4, s[0:3], 0 offen offset:4
	buffer_load_dword v3, v4, s[0:3], 0 offen offset:8
	;; [unrolled: 1-line block ×3, first 2 shown]
	s_waitcnt vmcnt(0)
	ds_write_b128 v130, v[1:4]
	s_waitcnt lgkmcnt(0)
	s_waitcnt_vscnt null, 0x0
	s_barrier
	buffer_gl0_inv
	v_cmpx_gt_u32_e32 26, v0
	s_cbranch_execz .LBB125_1061
; %bb.1054:
	ds_read_b128 v[1:4], v130
	v_cmp_ne_u32_e32 vcc_lo, 1, v131
	s_cbranch_vccnz .LBB125_1056
; %bb.1055:
	s_clause 0x3
	buffer_load_dword v132, v129, s[0:3], 0 offen offset:8
	buffer_load_dword v133, v129, s[0:3], 0 offen offset:12
	buffer_load_dword v136, v129, s[0:3], 0 offen
	buffer_load_dword v137, v129, s[0:3], 0 offen offset:4
	s_waitcnt vmcnt(2) lgkmcnt(0)
	v_mul_f64 v[138:139], v[3:4], v[132:133]
	v_mul_f64 v[132:133], v[1:2], v[132:133]
	s_waitcnt vmcnt(0)
	v_fma_f64 v[1:2], v[1:2], v[136:137], -v[138:139]
	v_fma_f64 v[3:4], v[3:4], v[136:137], v[132:133]
.LBB125_1056:
	s_mov_b32 s5, exec_lo
	v_cmpx_ne_u32_e32 25, v0
	s_cbranch_execz .LBB125_1060
; %bb.1057:
	v_add_nc_u32_e32 v132, 0x3f0, v135
	v_add3_u32 v133, 0, v135, 16
	v_mov_b32_e32 v134, v0
	s_mov_b32 s6, 0
	.p2align	6
.LBB125_1058:                           ; =>This Inner Loop Header: Depth=1
	s_clause 0x3
	buffer_load_dword v140, v133, s[0:3], 0 offen offset:8
	buffer_load_dword v141, v133, s[0:3], 0 offen offset:12
	buffer_load_dword v142, v133, s[0:3], 0 offen
	buffer_load_dword v143, v133, s[0:3], 0 offen offset:4
	ds_read_b128 v[136:139], v132
	v_add_nc_u32_e32 v134, 1, v134
	v_add_nc_u32_e32 v132, 16, v132
	;; [unrolled: 1-line block ×3, first 2 shown]
	v_cmp_lt_u32_e32 vcc_lo, 24, v134
	s_or_b32 s6, vcc_lo, s6
	s_waitcnt vmcnt(2) lgkmcnt(0)
	v_mul_f64 v[144:145], v[138:139], v[140:141]
	v_mul_f64 v[140:141], v[136:137], v[140:141]
	s_waitcnt vmcnt(0)
	v_fma_f64 v[136:137], v[136:137], v[142:143], -v[144:145]
	v_fma_f64 v[138:139], v[138:139], v[142:143], v[140:141]
	v_add_f64 v[1:2], v[1:2], v[136:137]
	v_add_f64 v[3:4], v[3:4], v[138:139]
	s_andn2_b32 exec_lo, exec_lo, s6
	s_cbranch_execnz .LBB125_1058
; %bb.1059:
	s_or_b32 exec_lo, exec_lo, s6
.LBB125_1060:
	s_or_b32 exec_lo, exec_lo, s5
	v_mov_b32_e32 v132, 0
	ds_read_b128 v[136:139], v132 offset:416
	s_waitcnt lgkmcnt(0)
	v_mul_f64 v[132:133], v[3:4], v[138:139]
	v_mul_f64 v[138:139], v[1:2], v[138:139]
	v_fma_f64 v[1:2], v[1:2], v[136:137], -v[132:133]
	v_fma_f64 v[3:4], v[3:4], v[136:137], v[138:139]
	buffer_store_dword v2, off, s[0:3], 0 offset:420
	buffer_store_dword v1, off, s[0:3], 0 offset:416
	;; [unrolled: 1-line block ×4, first 2 shown]
.LBB125_1061:
	s_or_b32 exec_lo, exec_lo, s4
	v_mov_b32_e32 v4, s44
	s_mov_b32 s4, exec_lo
	s_clause 0x3
	buffer_load_dword v1, v4, s[0:3], 0 offen
	buffer_load_dword v2, v4, s[0:3], 0 offen offset:4
	buffer_load_dword v3, v4, s[0:3], 0 offen offset:8
	;; [unrolled: 1-line block ×3, first 2 shown]
	s_waitcnt vmcnt(0)
	ds_write_b128 v130, v[1:4]
	s_waitcnt lgkmcnt(0)
	s_waitcnt_vscnt null, 0x0
	s_barrier
	buffer_gl0_inv
	v_cmpx_gt_u32_e32 27, v0
	s_cbranch_execz .LBB125_1069
; %bb.1062:
	ds_read_b128 v[1:4], v130
	v_cmp_ne_u32_e32 vcc_lo, 1, v131
	s_cbranch_vccnz .LBB125_1064
; %bb.1063:
	s_clause 0x3
	buffer_load_dword v132, v129, s[0:3], 0 offen offset:8
	buffer_load_dword v133, v129, s[0:3], 0 offen offset:12
	buffer_load_dword v136, v129, s[0:3], 0 offen
	buffer_load_dword v137, v129, s[0:3], 0 offen offset:4
	s_waitcnt vmcnt(2) lgkmcnt(0)
	v_mul_f64 v[138:139], v[3:4], v[132:133]
	v_mul_f64 v[132:133], v[1:2], v[132:133]
	s_waitcnt vmcnt(0)
	v_fma_f64 v[1:2], v[1:2], v[136:137], -v[138:139]
	v_fma_f64 v[3:4], v[3:4], v[136:137], v[132:133]
.LBB125_1064:
	s_mov_b32 s5, exec_lo
	v_cmpx_ne_u32_e32 26, v0
	s_cbranch_execz .LBB125_1068
; %bb.1065:
	v_add_nc_u32_e32 v132, 0x3f0, v135
	v_add3_u32 v133, 0, v135, 16
	v_mov_b32_e32 v134, v0
	s_mov_b32 s6, 0
	.p2align	6
.LBB125_1066:                           ; =>This Inner Loop Header: Depth=1
	s_clause 0x3
	buffer_load_dword v140, v133, s[0:3], 0 offen offset:8
	buffer_load_dword v141, v133, s[0:3], 0 offen offset:12
	buffer_load_dword v142, v133, s[0:3], 0 offen
	buffer_load_dword v143, v133, s[0:3], 0 offen offset:4
	ds_read_b128 v[136:139], v132
	v_add_nc_u32_e32 v134, 1, v134
	v_add_nc_u32_e32 v132, 16, v132
	;; [unrolled: 1-line block ×3, first 2 shown]
	v_cmp_lt_u32_e32 vcc_lo, 25, v134
	s_or_b32 s6, vcc_lo, s6
	s_waitcnt vmcnt(2) lgkmcnt(0)
	v_mul_f64 v[144:145], v[138:139], v[140:141]
	v_mul_f64 v[140:141], v[136:137], v[140:141]
	s_waitcnt vmcnt(0)
	v_fma_f64 v[136:137], v[136:137], v[142:143], -v[144:145]
	v_fma_f64 v[138:139], v[138:139], v[142:143], v[140:141]
	v_add_f64 v[1:2], v[1:2], v[136:137]
	v_add_f64 v[3:4], v[3:4], v[138:139]
	s_andn2_b32 exec_lo, exec_lo, s6
	s_cbranch_execnz .LBB125_1066
; %bb.1067:
	s_or_b32 exec_lo, exec_lo, s6
.LBB125_1068:
	s_or_b32 exec_lo, exec_lo, s5
	v_mov_b32_e32 v132, 0
	ds_read_b128 v[136:139], v132 offset:432
	s_waitcnt lgkmcnt(0)
	v_mul_f64 v[132:133], v[3:4], v[138:139]
	v_mul_f64 v[138:139], v[1:2], v[138:139]
	v_fma_f64 v[1:2], v[1:2], v[136:137], -v[132:133]
	v_fma_f64 v[3:4], v[3:4], v[136:137], v[138:139]
	buffer_store_dword v2, off, s[0:3], 0 offset:436
	buffer_store_dword v1, off, s[0:3], 0 offset:432
	;; [unrolled: 1-line block ×4, first 2 shown]
.LBB125_1069:
	s_or_b32 exec_lo, exec_lo, s4
	v_mov_b32_e32 v4, s43
	s_mov_b32 s4, exec_lo
	s_clause 0x3
	buffer_load_dword v1, v4, s[0:3], 0 offen
	buffer_load_dword v2, v4, s[0:3], 0 offen offset:4
	buffer_load_dword v3, v4, s[0:3], 0 offen offset:8
	;; [unrolled: 1-line block ×3, first 2 shown]
	s_waitcnt vmcnt(0)
	ds_write_b128 v130, v[1:4]
	s_waitcnt lgkmcnt(0)
	s_waitcnt_vscnt null, 0x0
	s_barrier
	buffer_gl0_inv
	v_cmpx_gt_u32_e32 28, v0
	s_cbranch_execz .LBB125_1077
; %bb.1070:
	ds_read_b128 v[1:4], v130
	v_cmp_ne_u32_e32 vcc_lo, 1, v131
	s_cbranch_vccnz .LBB125_1072
; %bb.1071:
	s_clause 0x3
	buffer_load_dword v132, v129, s[0:3], 0 offen offset:8
	buffer_load_dword v133, v129, s[0:3], 0 offen offset:12
	buffer_load_dword v136, v129, s[0:3], 0 offen
	buffer_load_dword v137, v129, s[0:3], 0 offen offset:4
	s_waitcnt vmcnt(2) lgkmcnt(0)
	v_mul_f64 v[138:139], v[3:4], v[132:133]
	v_mul_f64 v[132:133], v[1:2], v[132:133]
	s_waitcnt vmcnt(0)
	v_fma_f64 v[1:2], v[1:2], v[136:137], -v[138:139]
	v_fma_f64 v[3:4], v[3:4], v[136:137], v[132:133]
.LBB125_1072:
	s_mov_b32 s5, exec_lo
	v_cmpx_ne_u32_e32 27, v0
	s_cbranch_execz .LBB125_1076
; %bb.1073:
	v_add_nc_u32_e32 v132, 0x3f0, v135
	v_add3_u32 v133, 0, v135, 16
	v_mov_b32_e32 v134, v0
	s_mov_b32 s6, 0
	.p2align	6
.LBB125_1074:                           ; =>This Inner Loop Header: Depth=1
	s_clause 0x3
	buffer_load_dword v140, v133, s[0:3], 0 offen offset:8
	buffer_load_dword v141, v133, s[0:3], 0 offen offset:12
	buffer_load_dword v142, v133, s[0:3], 0 offen
	buffer_load_dword v143, v133, s[0:3], 0 offen offset:4
	ds_read_b128 v[136:139], v132
	v_add_nc_u32_e32 v134, 1, v134
	v_add_nc_u32_e32 v132, 16, v132
	;; [unrolled: 1-line block ×3, first 2 shown]
	v_cmp_lt_u32_e32 vcc_lo, 26, v134
	s_or_b32 s6, vcc_lo, s6
	s_waitcnt vmcnt(2) lgkmcnt(0)
	v_mul_f64 v[144:145], v[138:139], v[140:141]
	v_mul_f64 v[140:141], v[136:137], v[140:141]
	s_waitcnt vmcnt(0)
	v_fma_f64 v[136:137], v[136:137], v[142:143], -v[144:145]
	v_fma_f64 v[138:139], v[138:139], v[142:143], v[140:141]
	v_add_f64 v[1:2], v[1:2], v[136:137]
	v_add_f64 v[3:4], v[3:4], v[138:139]
	s_andn2_b32 exec_lo, exec_lo, s6
	s_cbranch_execnz .LBB125_1074
; %bb.1075:
	s_or_b32 exec_lo, exec_lo, s6
.LBB125_1076:
	s_or_b32 exec_lo, exec_lo, s5
	v_mov_b32_e32 v132, 0
	ds_read_b128 v[136:139], v132 offset:448
	s_waitcnt lgkmcnt(0)
	v_mul_f64 v[132:133], v[3:4], v[138:139]
	v_mul_f64 v[138:139], v[1:2], v[138:139]
	v_fma_f64 v[1:2], v[1:2], v[136:137], -v[132:133]
	v_fma_f64 v[3:4], v[3:4], v[136:137], v[138:139]
	buffer_store_dword v2, off, s[0:3], 0 offset:452
	buffer_store_dword v1, off, s[0:3], 0 offset:448
	;; [unrolled: 1-line block ×4, first 2 shown]
.LBB125_1077:
	s_or_b32 exec_lo, exec_lo, s4
	v_mov_b32_e32 v4, s42
	s_mov_b32 s4, exec_lo
	s_clause 0x3
	buffer_load_dword v1, v4, s[0:3], 0 offen
	buffer_load_dword v2, v4, s[0:3], 0 offen offset:4
	buffer_load_dword v3, v4, s[0:3], 0 offen offset:8
	;; [unrolled: 1-line block ×3, first 2 shown]
	s_waitcnt vmcnt(0)
	ds_write_b128 v130, v[1:4]
	s_waitcnt lgkmcnt(0)
	s_waitcnt_vscnt null, 0x0
	s_barrier
	buffer_gl0_inv
	v_cmpx_gt_u32_e32 29, v0
	s_cbranch_execz .LBB125_1085
; %bb.1078:
	ds_read_b128 v[1:4], v130
	v_cmp_ne_u32_e32 vcc_lo, 1, v131
	s_cbranch_vccnz .LBB125_1080
; %bb.1079:
	s_clause 0x3
	buffer_load_dword v132, v129, s[0:3], 0 offen offset:8
	buffer_load_dword v133, v129, s[0:3], 0 offen offset:12
	buffer_load_dword v136, v129, s[0:3], 0 offen
	buffer_load_dword v137, v129, s[0:3], 0 offen offset:4
	s_waitcnt vmcnt(2) lgkmcnt(0)
	v_mul_f64 v[138:139], v[3:4], v[132:133]
	v_mul_f64 v[132:133], v[1:2], v[132:133]
	s_waitcnt vmcnt(0)
	v_fma_f64 v[1:2], v[1:2], v[136:137], -v[138:139]
	v_fma_f64 v[3:4], v[3:4], v[136:137], v[132:133]
.LBB125_1080:
	s_mov_b32 s5, exec_lo
	v_cmpx_ne_u32_e32 28, v0
	s_cbranch_execz .LBB125_1084
; %bb.1081:
	v_add_nc_u32_e32 v132, 0x3f0, v135
	v_add3_u32 v133, 0, v135, 16
	v_mov_b32_e32 v134, v0
	s_mov_b32 s6, 0
	.p2align	6
.LBB125_1082:                           ; =>This Inner Loop Header: Depth=1
	s_clause 0x3
	buffer_load_dword v140, v133, s[0:3], 0 offen offset:8
	buffer_load_dword v141, v133, s[0:3], 0 offen offset:12
	buffer_load_dword v142, v133, s[0:3], 0 offen
	buffer_load_dword v143, v133, s[0:3], 0 offen offset:4
	ds_read_b128 v[136:139], v132
	v_add_nc_u32_e32 v134, 1, v134
	v_add_nc_u32_e32 v132, 16, v132
	;; [unrolled: 1-line block ×3, first 2 shown]
	v_cmp_lt_u32_e32 vcc_lo, 27, v134
	s_or_b32 s6, vcc_lo, s6
	s_waitcnt vmcnt(2) lgkmcnt(0)
	v_mul_f64 v[144:145], v[138:139], v[140:141]
	v_mul_f64 v[140:141], v[136:137], v[140:141]
	s_waitcnt vmcnt(0)
	v_fma_f64 v[136:137], v[136:137], v[142:143], -v[144:145]
	v_fma_f64 v[138:139], v[138:139], v[142:143], v[140:141]
	v_add_f64 v[1:2], v[1:2], v[136:137]
	v_add_f64 v[3:4], v[3:4], v[138:139]
	s_andn2_b32 exec_lo, exec_lo, s6
	s_cbranch_execnz .LBB125_1082
; %bb.1083:
	s_or_b32 exec_lo, exec_lo, s6
.LBB125_1084:
	s_or_b32 exec_lo, exec_lo, s5
	v_mov_b32_e32 v132, 0
	ds_read_b128 v[136:139], v132 offset:464
	s_waitcnt lgkmcnt(0)
	v_mul_f64 v[132:133], v[3:4], v[138:139]
	v_mul_f64 v[138:139], v[1:2], v[138:139]
	v_fma_f64 v[1:2], v[1:2], v[136:137], -v[132:133]
	v_fma_f64 v[3:4], v[3:4], v[136:137], v[138:139]
	buffer_store_dword v2, off, s[0:3], 0 offset:468
	buffer_store_dword v1, off, s[0:3], 0 offset:464
	;; [unrolled: 1-line block ×4, first 2 shown]
.LBB125_1085:
	s_or_b32 exec_lo, exec_lo, s4
	v_mov_b32_e32 v4, s41
	s_mov_b32 s4, exec_lo
	s_clause 0x3
	buffer_load_dword v1, v4, s[0:3], 0 offen
	buffer_load_dword v2, v4, s[0:3], 0 offen offset:4
	buffer_load_dword v3, v4, s[0:3], 0 offen offset:8
	;; [unrolled: 1-line block ×3, first 2 shown]
	s_waitcnt vmcnt(0)
	ds_write_b128 v130, v[1:4]
	s_waitcnt lgkmcnt(0)
	s_waitcnt_vscnt null, 0x0
	s_barrier
	buffer_gl0_inv
	v_cmpx_gt_u32_e32 30, v0
	s_cbranch_execz .LBB125_1093
; %bb.1086:
	ds_read_b128 v[1:4], v130
	v_cmp_ne_u32_e32 vcc_lo, 1, v131
	s_cbranch_vccnz .LBB125_1088
; %bb.1087:
	s_clause 0x3
	buffer_load_dword v132, v129, s[0:3], 0 offen offset:8
	buffer_load_dword v133, v129, s[0:3], 0 offen offset:12
	buffer_load_dword v136, v129, s[0:3], 0 offen
	buffer_load_dword v137, v129, s[0:3], 0 offen offset:4
	s_waitcnt vmcnt(2) lgkmcnt(0)
	v_mul_f64 v[138:139], v[3:4], v[132:133]
	v_mul_f64 v[132:133], v[1:2], v[132:133]
	s_waitcnt vmcnt(0)
	v_fma_f64 v[1:2], v[1:2], v[136:137], -v[138:139]
	v_fma_f64 v[3:4], v[3:4], v[136:137], v[132:133]
.LBB125_1088:
	s_mov_b32 s5, exec_lo
	v_cmpx_ne_u32_e32 29, v0
	s_cbranch_execz .LBB125_1092
; %bb.1089:
	v_add_nc_u32_e32 v132, 0x3f0, v135
	v_add3_u32 v133, 0, v135, 16
	v_mov_b32_e32 v134, v0
	s_mov_b32 s6, 0
	.p2align	6
.LBB125_1090:                           ; =>This Inner Loop Header: Depth=1
	s_clause 0x3
	buffer_load_dword v140, v133, s[0:3], 0 offen offset:8
	buffer_load_dword v141, v133, s[0:3], 0 offen offset:12
	buffer_load_dword v142, v133, s[0:3], 0 offen
	buffer_load_dword v143, v133, s[0:3], 0 offen offset:4
	ds_read_b128 v[136:139], v132
	v_add_nc_u32_e32 v134, 1, v134
	v_add_nc_u32_e32 v132, 16, v132
	;; [unrolled: 1-line block ×3, first 2 shown]
	v_cmp_lt_u32_e32 vcc_lo, 28, v134
	s_or_b32 s6, vcc_lo, s6
	s_waitcnt vmcnt(2) lgkmcnt(0)
	v_mul_f64 v[144:145], v[138:139], v[140:141]
	v_mul_f64 v[140:141], v[136:137], v[140:141]
	s_waitcnt vmcnt(0)
	v_fma_f64 v[136:137], v[136:137], v[142:143], -v[144:145]
	v_fma_f64 v[138:139], v[138:139], v[142:143], v[140:141]
	v_add_f64 v[1:2], v[1:2], v[136:137]
	v_add_f64 v[3:4], v[3:4], v[138:139]
	s_andn2_b32 exec_lo, exec_lo, s6
	s_cbranch_execnz .LBB125_1090
; %bb.1091:
	s_or_b32 exec_lo, exec_lo, s6
.LBB125_1092:
	s_or_b32 exec_lo, exec_lo, s5
	v_mov_b32_e32 v132, 0
	ds_read_b128 v[136:139], v132 offset:480
	s_waitcnt lgkmcnt(0)
	v_mul_f64 v[132:133], v[3:4], v[138:139]
	v_mul_f64 v[138:139], v[1:2], v[138:139]
	v_fma_f64 v[1:2], v[1:2], v[136:137], -v[132:133]
	v_fma_f64 v[3:4], v[3:4], v[136:137], v[138:139]
	buffer_store_dword v2, off, s[0:3], 0 offset:484
	buffer_store_dword v1, off, s[0:3], 0 offset:480
	;; [unrolled: 1-line block ×4, first 2 shown]
.LBB125_1093:
	s_or_b32 exec_lo, exec_lo, s4
	v_mov_b32_e32 v4, s40
	s_mov_b32 s4, exec_lo
	s_clause 0x3
	buffer_load_dword v1, v4, s[0:3], 0 offen
	buffer_load_dword v2, v4, s[0:3], 0 offen offset:4
	buffer_load_dword v3, v4, s[0:3], 0 offen offset:8
	;; [unrolled: 1-line block ×3, first 2 shown]
	s_waitcnt vmcnt(0)
	ds_write_b128 v130, v[1:4]
	s_waitcnt lgkmcnt(0)
	s_waitcnt_vscnt null, 0x0
	s_barrier
	buffer_gl0_inv
	v_cmpx_gt_u32_e32 31, v0
	s_cbranch_execz .LBB125_1101
; %bb.1094:
	ds_read_b128 v[1:4], v130
	v_cmp_ne_u32_e32 vcc_lo, 1, v131
	s_cbranch_vccnz .LBB125_1096
; %bb.1095:
	s_clause 0x3
	buffer_load_dword v132, v129, s[0:3], 0 offen offset:8
	buffer_load_dword v133, v129, s[0:3], 0 offen offset:12
	buffer_load_dword v136, v129, s[0:3], 0 offen
	buffer_load_dword v137, v129, s[0:3], 0 offen offset:4
	s_waitcnt vmcnt(2) lgkmcnt(0)
	v_mul_f64 v[138:139], v[3:4], v[132:133]
	v_mul_f64 v[132:133], v[1:2], v[132:133]
	s_waitcnt vmcnt(0)
	v_fma_f64 v[1:2], v[1:2], v[136:137], -v[138:139]
	v_fma_f64 v[3:4], v[3:4], v[136:137], v[132:133]
.LBB125_1096:
	s_mov_b32 s5, exec_lo
	v_cmpx_ne_u32_e32 30, v0
	s_cbranch_execz .LBB125_1100
; %bb.1097:
	v_add_nc_u32_e32 v132, 0x3f0, v135
	v_add3_u32 v133, 0, v135, 16
	v_mov_b32_e32 v134, v0
	s_mov_b32 s6, 0
	.p2align	6
.LBB125_1098:                           ; =>This Inner Loop Header: Depth=1
	s_clause 0x3
	buffer_load_dword v140, v133, s[0:3], 0 offen offset:8
	buffer_load_dword v141, v133, s[0:3], 0 offen offset:12
	buffer_load_dword v142, v133, s[0:3], 0 offen
	buffer_load_dword v143, v133, s[0:3], 0 offen offset:4
	ds_read_b128 v[136:139], v132
	v_add_nc_u32_e32 v134, 1, v134
	v_add_nc_u32_e32 v132, 16, v132
	;; [unrolled: 1-line block ×3, first 2 shown]
	v_cmp_lt_u32_e32 vcc_lo, 29, v134
	s_or_b32 s6, vcc_lo, s6
	s_waitcnt vmcnt(2) lgkmcnt(0)
	v_mul_f64 v[144:145], v[138:139], v[140:141]
	v_mul_f64 v[140:141], v[136:137], v[140:141]
	s_waitcnt vmcnt(0)
	v_fma_f64 v[136:137], v[136:137], v[142:143], -v[144:145]
	v_fma_f64 v[138:139], v[138:139], v[142:143], v[140:141]
	v_add_f64 v[1:2], v[1:2], v[136:137]
	v_add_f64 v[3:4], v[3:4], v[138:139]
	s_andn2_b32 exec_lo, exec_lo, s6
	s_cbranch_execnz .LBB125_1098
; %bb.1099:
	s_or_b32 exec_lo, exec_lo, s6
.LBB125_1100:
	s_or_b32 exec_lo, exec_lo, s5
	v_mov_b32_e32 v132, 0
	ds_read_b128 v[136:139], v132 offset:496
	s_waitcnt lgkmcnt(0)
	v_mul_f64 v[132:133], v[3:4], v[138:139]
	v_mul_f64 v[138:139], v[1:2], v[138:139]
	v_fma_f64 v[1:2], v[1:2], v[136:137], -v[132:133]
	v_fma_f64 v[3:4], v[3:4], v[136:137], v[138:139]
	buffer_store_dword v2, off, s[0:3], 0 offset:500
	buffer_store_dword v1, off, s[0:3], 0 offset:496
	;; [unrolled: 1-line block ×4, first 2 shown]
.LBB125_1101:
	s_or_b32 exec_lo, exec_lo, s4
	v_mov_b32_e32 v4, s39
	s_mov_b32 s4, exec_lo
	s_clause 0x3
	buffer_load_dword v1, v4, s[0:3], 0 offen
	buffer_load_dword v2, v4, s[0:3], 0 offen offset:4
	buffer_load_dword v3, v4, s[0:3], 0 offen offset:8
	;; [unrolled: 1-line block ×3, first 2 shown]
	s_waitcnt vmcnt(0)
	ds_write_b128 v130, v[1:4]
	s_waitcnt lgkmcnt(0)
	s_waitcnt_vscnt null, 0x0
	s_barrier
	buffer_gl0_inv
	v_cmpx_gt_u32_e32 32, v0
	s_cbranch_execz .LBB125_1109
; %bb.1102:
	ds_read_b128 v[1:4], v130
	v_cmp_ne_u32_e32 vcc_lo, 1, v131
	s_cbranch_vccnz .LBB125_1104
; %bb.1103:
	s_clause 0x3
	buffer_load_dword v132, v129, s[0:3], 0 offen offset:8
	buffer_load_dword v133, v129, s[0:3], 0 offen offset:12
	buffer_load_dword v136, v129, s[0:3], 0 offen
	buffer_load_dword v137, v129, s[0:3], 0 offen offset:4
	s_waitcnt vmcnt(2) lgkmcnt(0)
	v_mul_f64 v[138:139], v[3:4], v[132:133]
	v_mul_f64 v[132:133], v[1:2], v[132:133]
	s_waitcnt vmcnt(0)
	v_fma_f64 v[1:2], v[1:2], v[136:137], -v[138:139]
	v_fma_f64 v[3:4], v[3:4], v[136:137], v[132:133]
.LBB125_1104:
	s_mov_b32 s5, exec_lo
	v_cmpx_ne_u32_e32 31, v0
	s_cbranch_execz .LBB125_1108
; %bb.1105:
	v_add_nc_u32_e32 v132, 0x3f0, v135
	v_add3_u32 v133, 0, v135, 16
	v_mov_b32_e32 v134, v0
	s_mov_b32 s6, 0
	.p2align	6
.LBB125_1106:                           ; =>This Inner Loop Header: Depth=1
	s_clause 0x3
	buffer_load_dword v140, v133, s[0:3], 0 offen offset:8
	buffer_load_dword v141, v133, s[0:3], 0 offen offset:12
	buffer_load_dword v142, v133, s[0:3], 0 offen
	buffer_load_dword v143, v133, s[0:3], 0 offen offset:4
	ds_read_b128 v[136:139], v132
	v_add_nc_u32_e32 v134, 1, v134
	v_add_nc_u32_e32 v132, 16, v132
	;; [unrolled: 1-line block ×3, first 2 shown]
	v_cmp_lt_u32_e32 vcc_lo, 30, v134
	s_or_b32 s6, vcc_lo, s6
	s_waitcnt vmcnt(2) lgkmcnt(0)
	v_mul_f64 v[144:145], v[138:139], v[140:141]
	v_mul_f64 v[140:141], v[136:137], v[140:141]
	s_waitcnt vmcnt(0)
	v_fma_f64 v[136:137], v[136:137], v[142:143], -v[144:145]
	v_fma_f64 v[138:139], v[138:139], v[142:143], v[140:141]
	v_add_f64 v[1:2], v[1:2], v[136:137]
	v_add_f64 v[3:4], v[3:4], v[138:139]
	s_andn2_b32 exec_lo, exec_lo, s6
	s_cbranch_execnz .LBB125_1106
; %bb.1107:
	s_or_b32 exec_lo, exec_lo, s6
.LBB125_1108:
	s_or_b32 exec_lo, exec_lo, s5
	v_mov_b32_e32 v132, 0
	ds_read_b128 v[136:139], v132 offset:512
	s_waitcnt lgkmcnt(0)
	v_mul_f64 v[132:133], v[3:4], v[138:139]
	v_mul_f64 v[138:139], v[1:2], v[138:139]
	v_fma_f64 v[1:2], v[1:2], v[136:137], -v[132:133]
	v_fma_f64 v[3:4], v[3:4], v[136:137], v[138:139]
	buffer_store_dword v2, off, s[0:3], 0 offset:516
	buffer_store_dword v1, off, s[0:3], 0 offset:512
	;; [unrolled: 1-line block ×4, first 2 shown]
.LBB125_1109:
	s_or_b32 exec_lo, exec_lo, s4
	v_mov_b32_e32 v4, s38
	s_mov_b32 s4, exec_lo
	s_clause 0x3
	buffer_load_dword v1, v4, s[0:3], 0 offen
	buffer_load_dword v2, v4, s[0:3], 0 offen offset:4
	buffer_load_dword v3, v4, s[0:3], 0 offen offset:8
	;; [unrolled: 1-line block ×3, first 2 shown]
	s_waitcnt vmcnt(0)
	ds_write_b128 v130, v[1:4]
	s_waitcnt lgkmcnt(0)
	s_waitcnt_vscnt null, 0x0
	s_barrier
	buffer_gl0_inv
	v_cmpx_gt_u32_e32 33, v0
	s_cbranch_execz .LBB125_1117
; %bb.1110:
	ds_read_b128 v[1:4], v130
	v_cmp_ne_u32_e32 vcc_lo, 1, v131
	s_cbranch_vccnz .LBB125_1112
; %bb.1111:
	s_clause 0x3
	buffer_load_dword v132, v129, s[0:3], 0 offen offset:8
	buffer_load_dword v133, v129, s[0:3], 0 offen offset:12
	buffer_load_dword v136, v129, s[0:3], 0 offen
	buffer_load_dword v137, v129, s[0:3], 0 offen offset:4
	s_waitcnt vmcnt(2) lgkmcnt(0)
	v_mul_f64 v[138:139], v[3:4], v[132:133]
	v_mul_f64 v[132:133], v[1:2], v[132:133]
	s_waitcnt vmcnt(0)
	v_fma_f64 v[1:2], v[1:2], v[136:137], -v[138:139]
	v_fma_f64 v[3:4], v[3:4], v[136:137], v[132:133]
.LBB125_1112:
	s_mov_b32 s5, exec_lo
	v_cmpx_ne_u32_e32 32, v0
	s_cbranch_execz .LBB125_1116
; %bb.1113:
	v_add_nc_u32_e32 v132, 0x3f0, v135
	v_add3_u32 v133, 0, v135, 16
	v_mov_b32_e32 v134, v0
	s_mov_b32 s6, 0
	.p2align	6
.LBB125_1114:                           ; =>This Inner Loop Header: Depth=1
	s_clause 0x3
	buffer_load_dword v140, v133, s[0:3], 0 offen offset:8
	buffer_load_dword v141, v133, s[0:3], 0 offen offset:12
	buffer_load_dword v142, v133, s[0:3], 0 offen
	buffer_load_dword v143, v133, s[0:3], 0 offen offset:4
	ds_read_b128 v[136:139], v132
	v_add_nc_u32_e32 v134, 1, v134
	v_add_nc_u32_e32 v132, 16, v132
	;; [unrolled: 1-line block ×3, first 2 shown]
	v_cmp_lt_u32_e32 vcc_lo, 31, v134
	s_or_b32 s6, vcc_lo, s6
	s_waitcnt vmcnt(2) lgkmcnt(0)
	v_mul_f64 v[144:145], v[138:139], v[140:141]
	v_mul_f64 v[140:141], v[136:137], v[140:141]
	s_waitcnt vmcnt(0)
	v_fma_f64 v[136:137], v[136:137], v[142:143], -v[144:145]
	v_fma_f64 v[138:139], v[138:139], v[142:143], v[140:141]
	v_add_f64 v[1:2], v[1:2], v[136:137]
	v_add_f64 v[3:4], v[3:4], v[138:139]
	s_andn2_b32 exec_lo, exec_lo, s6
	s_cbranch_execnz .LBB125_1114
; %bb.1115:
	s_or_b32 exec_lo, exec_lo, s6
.LBB125_1116:
	s_or_b32 exec_lo, exec_lo, s5
	v_mov_b32_e32 v132, 0
	ds_read_b128 v[136:139], v132 offset:528
	s_waitcnt lgkmcnt(0)
	v_mul_f64 v[132:133], v[3:4], v[138:139]
	v_mul_f64 v[138:139], v[1:2], v[138:139]
	v_fma_f64 v[1:2], v[1:2], v[136:137], -v[132:133]
	v_fma_f64 v[3:4], v[3:4], v[136:137], v[138:139]
	buffer_store_dword v2, off, s[0:3], 0 offset:532
	buffer_store_dword v1, off, s[0:3], 0 offset:528
	;; [unrolled: 1-line block ×4, first 2 shown]
.LBB125_1117:
	s_or_b32 exec_lo, exec_lo, s4
	v_mov_b32_e32 v4, s37
	s_mov_b32 s4, exec_lo
	s_clause 0x3
	buffer_load_dword v1, v4, s[0:3], 0 offen
	buffer_load_dword v2, v4, s[0:3], 0 offen offset:4
	buffer_load_dword v3, v4, s[0:3], 0 offen offset:8
	;; [unrolled: 1-line block ×3, first 2 shown]
	s_waitcnt vmcnt(0)
	ds_write_b128 v130, v[1:4]
	s_waitcnt lgkmcnt(0)
	s_waitcnt_vscnt null, 0x0
	s_barrier
	buffer_gl0_inv
	v_cmpx_gt_u32_e32 34, v0
	s_cbranch_execz .LBB125_1125
; %bb.1118:
	ds_read_b128 v[1:4], v130
	v_cmp_ne_u32_e32 vcc_lo, 1, v131
	s_cbranch_vccnz .LBB125_1120
; %bb.1119:
	s_clause 0x3
	buffer_load_dword v132, v129, s[0:3], 0 offen offset:8
	buffer_load_dword v133, v129, s[0:3], 0 offen offset:12
	buffer_load_dword v136, v129, s[0:3], 0 offen
	buffer_load_dword v137, v129, s[0:3], 0 offen offset:4
	s_waitcnt vmcnt(2) lgkmcnt(0)
	v_mul_f64 v[138:139], v[3:4], v[132:133]
	v_mul_f64 v[132:133], v[1:2], v[132:133]
	s_waitcnt vmcnt(0)
	v_fma_f64 v[1:2], v[1:2], v[136:137], -v[138:139]
	v_fma_f64 v[3:4], v[3:4], v[136:137], v[132:133]
.LBB125_1120:
	s_mov_b32 s5, exec_lo
	v_cmpx_ne_u32_e32 33, v0
	s_cbranch_execz .LBB125_1124
; %bb.1121:
	v_add_nc_u32_e32 v132, 0x3f0, v135
	v_add3_u32 v133, 0, v135, 16
	v_mov_b32_e32 v134, v0
	s_mov_b32 s6, 0
	.p2align	6
.LBB125_1122:                           ; =>This Inner Loop Header: Depth=1
	s_clause 0x3
	buffer_load_dword v140, v133, s[0:3], 0 offen offset:8
	buffer_load_dword v141, v133, s[0:3], 0 offen offset:12
	buffer_load_dword v142, v133, s[0:3], 0 offen
	buffer_load_dword v143, v133, s[0:3], 0 offen offset:4
	ds_read_b128 v[136:139], v132
	v_add_nc_u32_e32 v134, 1, v134
	v_add_nc_u32_e32 v132, 16, v132
	;; [unrolled: 1-line block ×3, first 2 shown]
	v_cmp_lt_u32_e32 vcc_lo, 32, v134
	s_or_b32 s6, vcc_lo, s6
	s_waitcnt vmcnt(2) lgkmcnt(0)
	v_mul_f64 v[144:145], v[138:139], v[140:141]
	v_mul_f64 v[140:141], v[136:137], v[140:141]
	s_waitcnt vmcnt(0)
	v_fma_f64 v[136:137], v[136:137], v[142:143], -v[144:145]
	v_fma_f64 v[138:139], v[138:139], v[142:143], v[140:141]
	v_add_f64 v[1:2], v[1:2], v[136:137]
	v_add_f64 v[3:4], v[3:4], v[138:139]
	s_andn2_b32 exec_lo, exec_lo, s6
	s_cbranch_execnz .LBB125_1122
; %bb.1123:
	s_or_b32 exec_lo, exec_lo, s6
.LBB125_1124:
	s_or_b32 exec_lo, exec_lo, s5
	v_mov_b32_e32 v132, 0
	ds_read_b128 v[136:139], v132 offset:544
	s_waitcnt lgkmcnt(0)
	v_mul_f64 v[132:133], v[3:4], v[138:139]
	v_mul_f64 v[138:139], v[1:2], v[138:139]
	v_fma_f64 v[1:2], v[1:2], v[136:137], -v[132:133]
	v_fma_f64 v[3:4], v[3:4], v[136:137], v[138:139]
	buffer_store_dword v2, off, s[0:3], 0 offset:548
	buffer_store_dword v1, off, s[0:3], 0 offset:544
	;; [unrolled: 1-line block ×4, first 2 shown]
.LBB125_1125:
	s_or_b32 exec_lo, exec_lo, s4
	v_mov_b32_e32 v4, s36
	s_mov_b32 s4, exec_lo
	s_clause 0x3
	buffer_load_dword v1, v4, s[0:3], 0 offen
	buffer_load_dword v2, v4, s[0:3], 0 offen offset:4
	buffer_load_dword v3, v4, s[0:3], 0 offen offset:8
	;; [unrolled: 1-line block ×3, first 2 shown]
	s_waitcnt vmcnt(0)
	ds_write_b128 v130, v[1:4]
	s_waitcnt lgkmcnt(0)
	s_waitcnt_vscnt null, 0x0
	s_barrier
	buffer_gl0_inv
	v_cmpx_gt_u32_e32 35, v0
	s_cbranch_execz .LBB125_1133
; %bb.1126:
	ds_read_b128 v[1:4], v130
	v_cmp_ne_u32_e32 vcc_lo, 1, v131
	s_cbranch_vccnz .LBB125_1128
; %bb.1127:
	s_clause 0x3
	buffer_load_dword v132, v129, s[0:3], 0 offen offset:8
	buffer_load_dword v133, v129, s[0:3], 0 offen offset:12
	buffer_load_dword v136, v129, s[0:3], 0 offen
	buffer_load_dword v137, v129, s[0:3], 0 offen offset:4
	s_waitcnt vmcnt(2) lgkmcnt(0)
	v_mul_f64 v[138:139], v[3:4], v[132:133]
	v_mul_f64 v[132:133], v[1:2], v[132:133]
	s_waitcnt vmcnt(0)
	v_fma_f64 v[1:2], v[1:2], v[136:137], -v[138:139]
	v_fma_f64 v[3:4], v[3:4], v[136:137], v[132:133]
.LBB125_1128:
	s_mov_b32 s5, exec_lo
	v_cmpx_ne_u32_e32 34, v0
	s_cbranch_execz .LBB125_1132
; %bb.1129:
	v_add_nc_u32_e32 v132, 0x3f0, v135
	v_add3_u32 v133, 0, v135, 16
	v_mov_b32_e32 v134, v0
	s_mov_b32 s6, 0
	.p2align	6
.LBB125_1130:                           ; =>This Inner Loop Header: Depth=1
	s_clause 0x3
	buffer_load_dword v140, v133, s[0:3], 0 offen offset:8
	buffer_load_dword v141, v133, s[0:3], 0 offen offset:12
	buffer_load_dword v142, v133, s[0:3], 0 offen
	buffer_load_dword v143, v133, s[0:3], 0 offen offset:4
	ds_read_b128 v[136:139], v132
	v_add_nc_u32_e32 v134, 1, v134
	v_add_nc_u32_e32 v132, 16, v132
	;; [unrolled: 1-line block ×3, first 2 shown]
	v_cmp_lt_u32_e32 vcc_lo, 33, v134
	s_or_b32 s6, vcc_lo, s6
	s_waitcnt vmcnt(2) lgkmcnt(0)
	v_mul_f64 v[144:145], v[138:139], v[140:141]
	v_mul_f64 v[140:141], v[136:137], v[140:141]
	s_waitcnt vmcnt(0)
	v_fma_f64 v[136:137], v[136:137], v[142:143], -v[144:145]
	v_fma_f64 v[138:139], v[138:139], v[142:143], v[140:141]
	v_add_f64 v[1:2], v[1:2], v[136:137]
	v_add_f64 v[3:4], v[3:4], v[138:139]
	s_andn2_b32 exec_lo, exec_lo, s6
	s_cbranch_execnz .LBB125_1130
; %bb.1131:
	s_or_b32 exec_lo, exec_lo, s6
.LBB125_1132:
	s_or_b32 exec_lo, exec_lo, s5
	v_mov_b32_e32 v132, 0
	ds_read_b128 v[136:139], v132 offset:560
	s_waitcnt lgkmcnt(0)
	v_mul_f64 v[132:133], v[3:4], v[138:139]
	v_mul_f64 v[138:139], v[1:2], v[138:139]
	v_fma_f64 v[1:2], v[1:2], v[136:137], -v[132:133]
	v_fma_f64 v[3:4], v[3:4], v[136:137], v[138:139]
	buffer_store_dword v2, off, s[0:3], 0 offset:564
	buffer_store_dword v1, off, s[0:3], 0 offset:560
	;; [unrolled: 1-line block ×4, first 2 shown]
.LBB125_1133:
	s_or_b32 exec_lo, exec_lo, s4
	v_mov_b32_e32 v4, s35
	s_mov_b32 s4, exec_lo
	s_clause 0x3
	buffer_load_dword v1, v4, s[0:3], 0 offen
	buffer_load_dword v2, v4, s[0:3], 0 offen offset:4
	buffer_load_dword v3, v4, s[0:3], 0 offen offset:8
	;; [unrolled: 1-line block ×3, first 2 shown]
	s_waitcnt vmcnt(0)
	ds_write_b128 v130, v[1:4]
	s_waitcnt lgkmcnt(0)
	s_waitcnt_vscnt null, 0x0
	s_barrier
	buffer_gl0_inv
	v_cmpx_gt_u32_e32 36, v0
	s_cbranch_execz .LBB125_1141
; %bb.1134:
	ds_read_b128 v[1:4], v130
	v_cmp_ne_u32_e32 vcc_lo, 1, v131
	s_cbranch_vccnz .LBB125_1136
; %bb.1135:
	s_clause 0x3
	buffer_load_dword v132, v129, s[0:3], 0 offen offset:8
	buffer_load_dword v133, v129, s[0:3], 0 offen offset:12
	buffer_load_dword v136, v129, s[0:3], 0 offen
	buffer_load_dword v137, v129, s[0:3], 0 offen offset:4
	s_waitcnt vmcnt(2) lgkmcnt(0)
	v_mul_f64 v[138:139], v[3:4], v[132:133]
	v_mul_f64 v[132:133], v[1:2], v[132:133]
	s_waitcnt vmcnt(0)
	v_fma_f64 v[1:2], v[1:2], v[136:137], -v[138:139]
	v_fma_f64 v[3:4], v[3:4], v[136:137], v[132:133]
.LBB125_1136:
	s_mov_b32 s5, exec_lo
	v_cmpx_ne_u32_e32 35, v0
	s_cbranch_execz .LBB125_1140
; %bb.1137:
	v_add_nc_u32_e32 v132, 0x3f0, v135
	v_add3_u32 v133, 0, v135, 16
	v_mov_b32_e32 v134, v0
	s_mov_b32 s6, 0
	.p2align	6
.LBB125_1138:                           ; =>This Inner Loop Header: Depth=1
	s_clause 0x3
	buffer_load_dword v140, v133, s[0:3], 0 offen offset:8
	buffer_load_dword v141, v133, s[0:3], 0 offen offset:12
	buffer_load_dword v142, v133, s[0:3], 0 offen
	buffer_load_dword v143, v133, s[0:3], 0 offen offset:4
	ds_read_b128 v[136:139], v132
	v_add_nc_u32_e32 v134, 1, v134
	v_add_nc_u32_e32 v132, 16, v132
	;; [unrolled: 1-line block ×3, first 2 shown]
	v_cmp_lt_u32_e32 vcc_lo, 34, v134
	s_or_b32 s6, vcc_lo, s6
	s_waitcnt vmcnt(2) lgkmcnt(0)
	v_mul_f64 v[144:145], v[138:139], v[140:141]
	v_mul_f64 v[140:141], v[136:137], v[140:141]
	s_waitcnt vmcnt(0)
	v_fma_f64 v[136:137], v[136:137], v[142:143], -v[144:145]
	v_fma_f64 v[138:139], v[138:139], v[142:143], v[140:141]
	v_add_f64 v[1:2], v[1:2], v[136:137]
	v_add_f64 v[3:4], v[3:4], v[138:139]
	s_andn2_b32 exec_lo, exec_lo, s6
	s_cbranch_execnz .LBB125_1138
; %bb.1139:
	s_or_b32 exec_lo, exec_lo, s6
.LBB125_1140:
	s_or_b32 exec_lo, exec_lo, s5
	v_mov_b32_e32 v132, 0
	ds_read_b128 v[136:139], v132 offset:576
	s_waitcnt lgkmcnt(0)
	v_mul_f64 v[132:133], v[3:4], v[138:139]
	v_mul_f64 v[138:139], v[1:2], v[138:139]
	v_fma_f64 v[1:2], v[1:2], v[136:137], -v[132:133]
	v_fma_f64 v[3:4], v[3:4], v[136:137], v[138:139]
	buffer_store_dword v2, off, s[0:3], 0 offset:580
	buffer_store_dword v1, off, s[0:3], 0 offset:576
	;; [unrolled: 1-line block ×4, first 2 shown]
.LBB125_1141:
	s_or_b32 exec_lo, exec_lo, s4
	v_mov_b32_e32 v4, s34
	s_mov_b32 s4, exec_lo
	s_clause 0x3
	buffer_load_dword v1, v4, s[0:3], 0 offen
	buffer_load_dword v2, v4, s[0:3], 0 offen offset:4
	buffer_load_dword v3, v4, s[0:3], 0 offen offset:8
	;; [unrolled: 1-line block ×3, first 2 shown]
	s_waitcnt vmcnt(0)
	ds_write_b128 v130, v[1:4]
	s_waitcnt lgkmcnt(0)
	s_waitcnt_vscnt null, 0x0
	s_barrier
	buffer_gl0_inv
	v_cmpx_gt_u32_e32 37, v0
	s_cbranch_execz .LBB125_1149
; %bb.1142:
	ds_read_b128 v[1:4], v130
	v_cmp_ne_u32_e32 vcc_lo, 1, v131
	s_cbranch_vccnz .LBB125_1144
; %bb.1143:
	s_clause 0x3
	buffer_load_dword v132, v129, s[0:3], 0 offen offset:8
	buffer_load_dword v133, v129, s[0:3], 0 offen offset:12
	buffer_load_dword v136, v129, s[0:3], 0 offen
	buffer_load_dword v137, v129, s[0:3], 0 offen offset:4
	s_waitcnt vmcnt(2) lgkmcnt(0)
	v_mul_f64 v[138:139], v[3:4], v[132:133]
	v_mul_f64 v[132:133], v[1:2], v[132:133]
	s_waitcnt vmcnt(0)
	v_fma_f64 v[1:2], v[1:2], v[136:137], -v[138:139]
	v_fma_f64 v[3:4], v[3:4], v[136:137], v[132:133]
.LBB125_1144:
	s_mov_b32 s5, exec_lo
	v_cmpx_ne_u32_e32 36, v0
	s_cbranch_execz .LBB125_1148
; %bb.1145:
	v_add_nc_u32_e32 v132, 0x3f0, v135
	v_add3_u32 v133, 0, v135, 16
	v_mov_b32_e32 v134, v0
	s_mov_b32 s6, 0
	.p2align	6
.LBB125_1146:                           ; =>This Inner Loop Header: Depth=1
	s_clause 0x3
	buffer_load_dword v140, v133, s[0:3], 0 offen offset:8
	buffer_load_dword v141, v133, s[0:3], 0 offen offset:12
	buffer_load_dword v142, v133, s[0:3], 0 offen
	buffer_load_dword v143, v133, s[0:3], 0 offen offset:4
	ds_read_b128 v[136:139], v132
	v_add_nc_u32_e32 v134, 1, v134
	v_add_nc_u32_e32 v132, 16, v132
	;; [unrolled: 1-line block ×3, first 2 shown]
	v_cmp_lt_u32_e32 vcc_lo, 35, v134
	s_or_b32 s6, vcc_lo, s6
	s_waitcnt vmcnt(2) lgkmcnt(0)
	v_mul_f64 v[144:145], v[138:139], v[140:141]
	v_mul_f64 v[140:141], v[136:137], v[140:141]
	s_waitcnt vmcnt(0)
	v_fma_f64 v[136:137], v[136:137], v[142:143], -v[144:145]
	v_fma_f64 v[138:139], v[138:139], v[142:143], v[140:141]
	v_add_f64 v[1:2], v[1:2], v[136:137]
	v_add_f64 v[3:4], v[3:4], v[138:139]
	s_andn2_b32 exec_lo, exec_lo, s6
	s_cbranch_execnz .LBB125_1146
; %bb.1147:
	s_or_b32 exec_lo, exec_lo, s6
.LBB125_1148:
	s_or_b32 exec_lo, exec_lo, s5
	v_mov_b32_e32 v132, 0
	ds_read_b128 v[136:139], v132 offset:592
	s_waitcnt lgkmcnt(0)
	v_mul_f64 v[132:133], v[3:4], v[138:139]
	v_mul_f64 v[138:139], v[1:2], v[138:139]
	v_fma_f64 v[1:2], v[1:2], v[136:137], -v[132:133]
	v_fma_f64 v[3:4], v[3:4], v[136:137], v[138:139]
	buffer_store_dword v2, off, s[0:3], 0 offset:596
	buffer_store_dword v1, off, s[0:3], 0 offset:592
	;; [unrolled: 1-line block ×4, first 2 shown]
.LBB125_1149:
	s_or_b32 exec_lo, exec_lo, s4
	v_mov_b32_e32 v4, s33
	s_mov_b32 s4, exec_lo
	s_clause 0x3
	buffer_load_dword v1, v4, s[0:3], 0 offen
	buffer_load_dword v2, v4, s[0:3], 0 offen offset:4
	buffer_load_dword v3, v4, s[0:3], 0 offen offset:8
	;; [unrolled: 1-line block ×3, first 2 shown]
	s_waitcnt vmcnt(0)
	ds_write_b128 v130, v[1:4]
	s_waitcnt lgkmcnt(0)
	s_waitcnt_vscnt null, 0x0
	s_barrier
	buffer_gl0_inv
	v_cmpx_gt_u32_e32 38, v0
	s_cbranch_execz .LBB125_1157
; %bb.1150:
	ds_read_b128 v[1:4], v130
	v_cmp_ne_u32_e32 vcc_lo, 1, v131
	s_cbranch_vccnz .LBB125_1152
; %bb.1151:
	s_clause 0x3
	buffer_load_dword v132, v129, s[0:3], 0 offen offset:8
	buffer_load_dword v133, v129, s[0:3], 0 offen offset:12
	buffer_load_dword v136, v129, s[0:3], 0 offen
	buffer_load_dword v137, v129, s[0:3], 0 offen offset:4
	s_waitcnt vmcnt(2) lgkmcnt(0)
	v_mul_f64 v[138:139], v[3:4], v[132:133]
	v_mul_f64 v[132:133], v[1:2], v[132:133]
	s_waitcnt vmcnt(0)
	v_fma_f64 v[1:2], v[1:2], v[136:137], -v[138:139]
	v_fma_f64 v[3:4], v[3:4], v[136:137], v[132:133]
.LBB125_1152:
	s_mov_b32 s5, exec_lo
	v_cmpx_ne_u32_e32 37, v0
	s_cbranch_execz .LBB125_1156
; %bb.1153:
	v_add_nc_u32_e32 v132, 0x3f0, v135
	v_add3_u32 v133, 0, v135, 16
	v_mov_b32_e32 v134, v0
	s_mov_b32 s6, 0
	.p2align	6
.LBB125_1154:                           ; =>This Inner Loop Header: Depth=1
	s_clause 0x3
	buffer_load_dword v140, v133, s[0:3], 0 offen offset:8
	buffer_load_dword v141, v133, s[0:3], 0 offen offset:12
	buffer_load_dword v142, v133, s[0:3], 0 offen
	buffer_load_dword v143, v133, s[0:3], 0 offen offset:4
	ds_read_b128 v[136:139], v132
	v_add_nc_u32_e32 v134, 1, v134
	v_add_nc_u32_e32 v132, 16, v132
	;; [unrolled: 1-line block ×3, first 2 shown]
	v_cmp_lt_u32_e32 vcc_lo, 36, v134
	s_or_b32 s6, vcc_lo, s6
	s_waitcnt vmcnt(2) lgkmcnt(0)
	v_mul_f64 v[144:145], v[138:139], v[140:141]
	v_mul_f64 v[140:141], v[136:137], v[140:141]
	s_waitcnt vmcnt(0)
	v_fma_f64 v[136:137], v[136:137], v[142:143], -v[144:145]
	v_fma_f64 v[138:139], v[138:139], v[142:143], v[140:141]
	v_add_f64 v[1:2], v[1:2], v[136:137]
	v_add_f64 v[3:4], v[3:4], v[138:139]
	s_andn2_b32 exec_lo, exec_lo, s6
	s_cbranch_execnz .LBB125_1154
; %bb.1155:
	s_or_b32 exec_lo, exec_lo, s6
.LBB125_1156:
	s_or_b32 exec_lo, exec_lo, s5
	v_mov_b32_e32 v132, 0
	ds_read_b128 v[136:139], v132 offset:608
	s_waitcnt lgkmcnt(0)
	v_mul_f64 v[132:133], v[3:4], v[138:139]
	v_mul_f64 v[138:139], v[1:2], v[138:139]
	v_fma_f64 v[1:2], v[1:2], v[136:137], -v[132:133]
	v_fma_f64 v[3:4], v[3:4], v[136:137], v[138:139]
	buffer_store_dword v2, off, s[0:3], 0 offset:612
	buffer_store_dword v1, off, s[0:3], 0 offset:608
	;; [unrolled: 1-line block ×4, first 2 shown]
.LBB125_1157:
	s_or_b32 exec_lo, exec_lo, s4
	v_mov_b32_e32 v4, s31
	s_mov_b32 s4, exec_lo
	s_clause 0x3
	buffer_load_dword v1, v4, s[0:3], 0 offen
	buffer_load_dword v2, v4, s[0:3], 0 offen offset:4
	buffer_load_dword v3, v4, s[0:3], 0 offen offset:8
	;; [unrolled: 1-line block ×3, first 2 shown]
	s_waitcnt vmcnt(0)
	ds_write_b128 v130, v[1:4]
	s_waitcnt lgkmcnt(0)
	s_waitcnt_vscnt null, 0x0
	s_barrier
	buffer_gl0_inv
	v_cmpx_gt_u32_e32 39, v0
	s_cbranch_execz .LBB125_1165
; %bb.1158:
	ds_read_b128 v[1:4], v130
	v_cmp_ne_u32_e32 vcc_lo, 1, v131
	s_cbranch_vccnz .LBB125_1160
; %bb.1159:
	s_clause 0x3
	buffer_load_dword v132, v129, s[0:3], 0 offen offset:8
	buffer_load_dword v133, v129, s[0:3], 0 offen offset:12
	buffer_load_dword v136, v129, s[0:3], 0 offen
	buffer_load_dword v137, v129, s[0:3], 0 offen offset:4
	s_waitcnt vmcnt(2) lgkmcnt(0)
	v_mul_f64 v[138:139], v[3:4], v[132:133]
	v_mul_f64 v[132:133], v[1:2], v[132:133]
	s_waitcnt vmcnt(0)
	v_fma_f64 v[1:2], v[1:2], v[136:137], -v[138:139]
	v_fma_f64 v[3:4], v[3:4], v[136:137], v[132:133]
.LBB125_1160:
	s_mov_b32 s5, exec_lo
	v_cmpx_ne_u32_e32 38, v0
	s_cbranch_execz .LBB125_1164
; %bb.1161:
	v_add_nc_u32_e32 v132, 0x3f0, v135
	v_add3_u32 v133, 0, v135, 16
	v_mov_b32_e32 v134, v0
	s_mov_b32 s6, 0
	.p2align	6
.LBB125_1162:                           ; =>This Inner Loop Header: Depth=1
	s_clause 0x3
	buffer_load_dword v140, v133, s[0:3], 0 offen offset:8
	buffer_load_dword v141, v133, s[0:3], 0 offen offset:12
	buffer_load_dword v142, v133, s[0:3], 0 offen
	buffer_load_dword v143, v133, s[0:3], 0 offen offset:4
	ds_read_b128 v[136:139], v132
	v_add_nc_u32_e32 v134, 1, v134
	v_add_nc_u32_e32 v132, 16, v132
	v_add_nc_u32_e32 v133, 16, v133
	v_cmp_lt_u32_e32 vcc_lo, 37, v134
	s_or_b32 s6, vcc_lo, s6
	s_waitcnt vmcnt(2) lgkmcnt(0)
	v_mul_f64 v[144:145], v[138:139], v[140:141]
	v_mul_f64 v[140:141], v[136:137], v[140:141]
	s_waitcnt vmcnt(0)
	v_fma_f64 v[136:137], v[136:137], v[142:143], -v[144:145]
	v_fma_f64 v[138:139], v[138:139], v[142:143], v[140:141]
	v_add_f64 v[1:2], v[1:2], v[136:137]
	v_add_f64 v[3:4], v[3:4], v[138:139]
	s_andn2_b32 exec_lo, exec_lo, s6
	s_cbranch_execnz .LBB125_1162
; %bb.1163:
	s_or_b32 exec_lo, exec_lo, s6
.LBB125_1164:
	s_or_b32 exec_lo, exec_lo, s5
	v_mov_b32_e32 v132, 0
	ds_read_b128 v[136:139], v132 offset:624
	s_waitcnt lgkmcnt(0)
	v_mul_f64 v[132:133], v[3:4], v[138:139]
	v_mul_f64 v[138:139], v[1:2], v[138:139]
	v_fma_f64 v[1:2], v[1:2], v[136:137], -v[132:133]
	v_fma_f64 v[3:4], v[3:4], v[136:137], v[138:139]
	buffer_store_dword v2, off, s[0:3], 0 offset:628
	buffer_store_dword v1, off, s[0:3], 0 offset:624
	;; [unrolled: 1-line block ×4, first 2 shown]
.LBB125_1165:
	s_or_b32 exec_lo, exec_lo, s4
	v_mov_b32_e32 v4, s30
	s_mov_b32 s4, exec_lo
	s_clause 0x3
	buffer_load_dword v1, v4, s[0:3], 0 offen
	buffer_load_dword v2, v4, s[0:3], 0 offen offset:4
	buffer_load_dword v3, v4, s[0:3], 0 offen offset:8
	;; [unrolled: 1-line block ×3, first 2 shown]
	s_waitcnt vmcnt(0)
	ds_write_b128 v130, v[1:4]
	s_waitcnt lgkmcnt(0)
	s_waitcnt_vscnt null, 0x0
	s_barrier
	buffer_gl0_inv
	v_cmpx_gt_u32_e32 40, v0
	s_cbranch_execz .LBB125_1173
; %bb.1166:
	ds_read_b128 v[1:4], v130
	v_cmp_ne_u32_e32 vcc_lo, 1, v131
	s_cbranch_vccnz .LBB125_1168
; %bb.1167:
	s_clause 0x3
	buffer_load_dword v132, v129, s[0:3], 0 offen offset:8
	buffer_load_dword v133, v129, s[0:3], 0 offen offset:12
	buffer_load_dword v136, v129, s[0:3], 0 offen
	buffer_load_dword v137, v129, s[0:3], 0 offen offset:4
	s_waitcnt vmcnt(2) lgkmcnt(0)
	v_mul_f64 v[138:139], v[3:4], v[132:133]
	v_mul_f64 v[132:133], v[1:2], v[132:133]
	s_waitcnt vmcnt(0)
	v_fma_f64 v[1:2], v[1:2], v[136:137], -v[138:139]
	v_fma_f64 v[3:4], v[3:4], v[136:137], v[132:133]
.LBB125_1168:
	s_mov_b32 s5, exec_lo
	v_cmpx_ne_u32_e32 39, v0
	s_cbranch_execz .LBB125_1172
; %bb.1169:
	v_add_nc_u32_e32 v132, 0x3f0, v135
	v_add3_u32 v133, 0, v135, 16
	v_mov_b32_e32 v134, v0
	s_mov_b32 s6, 0
	.p2align	6
.LBB125_1170:                           ; =>This Inner Loop Header: Depth=1
	s_clause 0x3
	buffer_load_dword v140, v133, s[0:3], 0 offen offset:8
	buffer_load_dword v141, v133, s[0:3], 0 offen offset:12
	buffer_load_dword v142, v133, s[0:3], 0 offen
	buffer_load_dword v143, v133, s[0:3], 0 offen offset:4
	ds_read_b128 v[136:139], v132
	v_add_nc_u32_e32 v134, 1, v134
	v_add_nc_u32_e32 v132, 16, v132
	;; [unrolled: 1-line block ×3, first 2 shown]
	v_cmp_lt_u32_e32 vcc_lo, 38, v134
	s_or_b32 s6, vcc_lo, s6
	s_waitcnt vmcnt(2) lgkmcnt(0)
	v_mul_f64 v[144:145], v[138:139], v[140:141]
	v_mul_f64 v[140:141], v[136:137], v[140:141]
	s_waitcnt vmcnt(0)
	v_fma_f64 v[136:137], v[136:137], v[142:143], -v[144:145]
	v_fma_f64 v[138:139], v[138:139], v[142:143], v[140:141]
	v_add_f64 v[1:2], v[1:2], v[136:137]
	v_add_f64 v[3:4], v[3:4], v[138:139]
	s_andn2_b32 exec_lo, exec_lo, s6
	s_cbranch_execnz .LBB125_1170
; %bb.1171:
	s_or_b32 exec_lo, exec_lo, s6
.LBB125_1172:
	s_or_b32 exec_lo, exec_lo, s5
	v_mov_b32_e32 v132, 0
	ds_read_b128 v[136:139], v132 offset:640
	s_waitcnt lgkmcnt(0)
	v_mul_f64 v[132:133], v[3:4], v[138:139]
	v_mul_f64 v[138:139], v[1:2], v[138:139]
	v_fma_f64 v[1:2], v[1:2], v[136:137], -v[132:133]
	v_fma_f64 v[3:4], v[3:4], v[136:137], v[138:139]
	buffer_store_dword v2, off, s[0:3], 0 offset:644
	buffer_store_dword v1, off, s[0:3], 0 offset:640
	;; [unrolled: 1-line block ×4, first 2 shown]
.LBB125_1173:
	s_or_b32 exec_lo, exec_lo, s4
	v_mov_b32_e32 v4, s29
	s_mov_b32 s4, exec_lo
	s_clause 0x3
	buffer_load_dword v1, v4, s[0:3], 0 offen
	buffer_load_dword v2, v4, s[0:3], 0 offen offset:4
	buffer_load_dword v3, v4, s[0:3], 0 offen offset:8
	;; [unrolled: 1-line block ×3, first 2 shown]
	s_waitcnt vmcnt(0)
	ds_write_b128 v130, v[1:4]
	s_waitcnt lgkmcnt(0)
	s_waitcnt_vscnt null, 0x0
	s_barrier
	buffer_gl0_inv
	v_cmpx_gt_u32_e32 41, v0
	s_cbranch_execz .LBB125_1181
; %bb.1174:
	ds_read_b128 v[1:4], v130
	v_cmp_ne_u32_e32 vcc_lo, 1, v131
	s_cbranch_vccnz .LBB125_1176
; %bb.1175:
	s_clause 0x3
	buffer_load_dword v132, v129, s[0:3], 0 offen offset:8
	buffer_load_dword v133, v129, s[0:3], 0 offen offset:12
	buffer_load_dword v136, v129, s[0:3], 0 offen
	buffer_load_dword v137, v129, s[0:3], 0 offen offset:4
	s_waitcnt vmcnt(2) lgkmcnt(0)
	v_mul_f64 v[138:139], v[3:4], v[132:133]
	v_mul_f64 v[132:133], v[1:2], v[132:133]
	s_waitcnt vmcnt(0)
	v_fma_f64 v[1:2], v[1:2], v[136:137], -v[138:139]
	v_fma_f64 v[3:4], v[3:4], v[136:137], v[132:133]
.LBB125_1176:
	s_mov_b32 s5, exec_lo
	v_cmpx_ne_u32_e32 40, v0
	s_cbranch_execz .LBB125_1180
; %bb.1177:
	v_add_nc_u32_e32 v132, 0x3f0, v135
	v_add3_u32 v133, 0, v135, 16
	v_mov_b32_e32 v134, v0
	s_mov_b32 s6, 0
	.p2align	6
.LBB125_1178:                           ; =>This Inner Loop Header: Depth=1
	s_clause 0x3
	buffer_load_dword v140, v133, s[0:3], 0 offen offset:8
	buffer_load_dword v141, v133, s[0:3], 0 offen offset:12
	buffer_load_dword v142, v133, s[0:3], 0 offen
	buffer_load_dword v143, v133, s[0:3], 0 offen offset:4
	ds_read_b128 v[136:139], v132
	v_add_nc_u32_e32 v134, 1, v134
	v_add_nc_u32_e32 v132, 16, v132
	v_add_nc_u32_e32 v133, 16, v133
	v_cmp_lt_u32_e32 vcc_lo, 39, v134
	s_or_b32 s6, vcc_lo, s6
	s_waitcnt vmcnt(2) lgkmcnt(0)
	v_mul_f64 v[144:145], v[138:139], v[140:141]
	v_mul_f64 v[140:141], v[136:137], v[140:141]
	s_waitcnt vmcnt(0)
	v_fma_f64 v[136:137], v[136:137], v[142:143], -v[144:145]
	v_fma_f64 v[138:139], v[138:139], v[142:143], v[140:141]
	v_add_f64 v[1:2], v[1:2], v[136:137]
	v_add_f64 v[3:4], v[3:4], v[138:139]
	s_andn2_b32 exec_lo, exec_lo, s6
	s_cbranch_execnz .LBB125_1178
; %bb.1179:
	s_or_b32 exec_lo, exec_lo, s6
.LBB125_1180:
	s_or_b32 exec_lo, exec_lo, s5
	v_mov_b32_e32 v132, 0
	ds_read_b128 v[136:139], v132 offset:656
	s_waitcnt lgkmcnt(0)
	v_mul_f64 v[132:133], v[3:4], v[138:139]
	v_mul_f64 v[138:139], v[1:2], v[138:139]
	v_fma_f64 v[1:2], v[1:2], v[136:137], -v[132:133]
	v_fma_f64 v[3:4], v[3:4], v[136:137], v[138:139]
	buffer_store_dword v2, off, s[0:3], 0 offset:660
	buffer_store_dword v1, off, s[0:3], 0 offset:656
	;; [unrolled: 1-line block ×4, first 2 shown]
.LBB125_1181:
	s_or_b32 exec_lo, exec_lo, s4
	v_mov_b32_e32 v4, s28
	s_mov_b32 s4, exec_lo
	s_clause 0x3
	buffer_load_dword v1, v4, s[0:3], 0 offen
	buffer_load_dword v2, v4, s[0:3], 0 offen offset:4
	buffer_load_dword v3, v4, s[0:3], 0 offen offset:8
	;; [unrolled: 1-line block ×3, first 2 shown]
	s_waitcnt vmcnt(0)
	ds_write_b128 v130, v[1:4]
	s_waitcnt lgkmcnt(0)
	s_waitcnt_vscnt null, 0x0
	s_barrier
	buffer_gl0_inv
	v_cmpx_gt_u32_e32 42, v0
	s_cbranch_execz .LBB125_1189
; %bb.1182:
	ds_read_b128 v[1:4], v130
	v_cmp_ne_u32_e32 vcc_lo, 1, v131
	s_cbranch_vccnz .LBB125_1184
; %bb.1183:
	s_clause 0x3
	buffer_load_dword v132, v129, s[0:3], 0 offen offset:8
	buffer_load_dword v133, v129, s[0:3], 0 offen offset:12
	buffer_load_dword v136, v129, s[0:3], 0 offen
	buffer_load_dword v137, v129, s[0:3], 0 offen offset:4
	s_waitcnt vmcnt(2) lgkmcnt(0)
	v_mul_f64 v[138:139], v[3:4], v[132:133]
	v_mul_f64 v[132:133], v[1:2], v[132:133]
	s_waitcnt vmcnt(0)
	v_fma_f64 v[1:2], v[1:2], v[136:137], -v[138:139]
	v_fma_f64 v[3:4], v[3:4], v[136:137], v[132:133]
.LBB125_1184:
	s_mov_b32 s5, exec_lo
	v_cmpx_ne_u32_e32 41, v0
	s_cbranch_execz .LBB125_1188
; %bb.1185:
	v_add_nc_u32_e32 v132, 0x3f0, v135
	v_add3_u32 v133, 0, v135, 16
	v_mov_b32_e32 v134, v0
	s_mov_b32 s6, 0
	.p2align	6
.LBB125_1186:                           ; =>This Inner Loop Header: Depth=1
	s_clause 0x3
	buffer_load_dword v140, v133, s[0:3], 0 offen offset:8
	buffer_load_dword v141, v133, s[0:3], 0 offen offset:12
	buffer_load_dword v142, v133, s[0:3], 0 offen
	buffer_load_dword v143, v133, s[0:3], 0 offen offset:4
	ds_read_b128 v[136:139], v132
	v_add_nc_u32_e32 v134, 1, v134
	v_add_nc_u32_e32 v132, 16, v132
	;; [unrolled: 1-line block ×3, first 2 shown]
	v_cmp_lt_u32_e32 vcc_lo, 40, v134
	s_or_b32 s6, vcc_lo, s6
	s_waitcnt vmcnt(2) lgkmcnt(0)
	v_mul_f64 v[144:145], v[138:139], v[140:141]
	v_mul_f64 v[140:141], v[136:137], v[140:141]
	s_waitcnt vmcnt(0)
	v_fma_f64 v[136:137], v[136:137], v[142:143], -v[144:145]
	v_fma_f64 v[138:139], v[138:139], v[142:143], v[140:141]
	v_add_f64 v[1:2], v[1:2], v[136:137]
	v_add_f64 v[3:4], v[3:4], v[138:139]
	s_andn2_b32 exec_lo, exec_lo, s6
	s_cbranch_execnz .LBB125_1186
; %bb.1187:
	s_or_b32 exec_lo, exec_lo, s6
.LBB125_1188:
	s_or_b32 exec_lo, exec_lo, s5
	v_mov_b32_e32 v132, 0
	ds_read_b128 v[136:139], v132 offset:672
	s_waitcnt lgkmcnt(0)
	v_mul_f64 v[132:133], v[3:4], v[138:139]
	v_mul_f64 v[138:139], v[1:2], v[138:139]
	v_fma_f64 v[1:2], v[1:2], v[136:137], -v[132:133]
	v_fma_f64 v[3:4], v[3:4], v[136:137], v[138:139]
	buffer_store_dword v2, off, s[0:3], 0 offset:676
	buffer_store_dword v1, off, s[0:3], 0 offset:672
	;; [unrolled: 1-line block ×4, first 2 shown]
.LBB125_1189:
	s_or_b32 exec_lo, exec_lo, s4
	v_mov_b32_e32 v4, s27
	s_mov_b32 s4, exec_lo
	s_clause 0x3
	buffer_load_dword v1, v4, s[0:3], 0 offen
	buffer_load_dword v2, v4, s[0:3], 0 offen offset:4
	buffer_load_dword v3, v4, s[0:3], 0 offen offset:8
	buffer_load_dword v4, v4, s[0:3], 0 offen offset:12
	s_waitcnt vmcnt(0)
	ds_write_b128 v130, v[1:4]
	s_waitcnt lgkmcnt(0)
	s_waitcnt_vscnt null, 0x0
	s_barrier
	buffer_gl0_inv
	v_cmpx_gt_u32_e32 43, v0
	s_cbranch_execz .LBB125_1197
; %bb.1190:
	ds_read_b128 v[1:4], v130
	v_cmp_ne_u32_e32 vcc_lo, 1, v131
	s_cbranch_vccnz .LBB125_1192
; %bb.1191:
	s_clause 0x3
	buffer_load_dword v132, v129, s[0:3], 0 offen offset:8
	buffer_load_dword v133, v129, s[0:3], 0 offen offset:12
	buffer_load_dword v136, v129, s[0:3], 0 offen
	buffer_load_dword v137, v129, s[0:3], 0 offen offset:4
	s_waitcnt vmcnt(2) lgkmcnt(0)
	v_mul_f64 v[138:139], v[3:4], v[132:133]
	v_mul_f64 v[132:133], v[1:2], v[132:133]
	s_waitcnt vmcnt(0)
	v_fma_f64 v[1:2], v[1:2], v[136:137], -v[138:139]
	v_fma_f64 v[3:4], v[3:4], v[136:137], v[132:133]
.LBB125_1192:
	s_mov_b32 s5, exec_lo
	v_cmpx_ne_u32_e32 42, v0
	s_cbranch_execz .LBB125_1196
; %bb.1193:
	v_add_nc_u32_e32 v132, 0x3f0, v135
	v_add3_u32 v133, 0, v135, 16
	v_mov_b32_e32 v134, v0
	s_mov_b32 s6, 0
	.p2align	6
.LBB125_1194:                           ; =>This Inner Loop Header: Depth=1
	s_clause 0x3
	buffer_load_dword v140, v133, s[0:3], 0 offen offset:8
	buffer_load_dword v141, v133, s[0:3], 0 offen offset:12
	buffer_load_dword v142, v133, s[0:3], 0 offen
	buffer_load_dword v143, v133, s[0:3], 0 offen offset:4
	ds_read_b128 v[136:139], v132
	v_add_nc_u32_e32 v134, 1, v134
	v_add_nc_u32_e32 v132, 16, v132
	;; [unrolled: 1-line block ×3, first 2 shown]
	v_cmp_lt_u32_e32 vcc_lo, 41, v134
	s_or_b32 s6, vcc_lo, s6
	s_waitcnt vmcnt(2) lgkmcnt(0)
	v_mul_f64 v[144:145], v[138:139], v[140:141]
	v_mul_f64 v[140:141], v[136:137], v[140:141]
	s_waitcnt vmcnt(0)
	v_fma_f64 v[136:137], v[136:137], v[142:143], -v[144:145]
	v_fma_f64 v[138:139], v[138:139], v[142:143], v[140:141]
	v_add_f64 v[1:2], v[1:2], v[136:137]
	v_add_f64 v[3:4], v[3:4], v[138:139]
	s_andn2_b32 exec_lo, exec_lo, s6
	s_cbranch_execnz .LBB125_1194
; %bb.1195:
	s_or_b32 exec_lo, exec_lo, s6
.LBB125_1196:
	s_or_b32 exec_lo, exec_lo, s5
	v_mov_b32_e32 v132, 0
	ds_read_b128 v[136:139], v132 offset:688
	s_waitcnt lgkmcnt(0)
	v_mul_f64 v[132:133], v[3:4], v[138:139]
	v_mul_f64 v[138:139], v[1:2], v[138:139]
	v_fma_f64 v[1:2], v[1:2], v[136:137], -v[132:133]
	v_fma_f64 v[3:4], v[3:4], v[136:137], v[138:139]
	buffer_store_dword v2, off, s[0:3], 0 offset:692
	buffer_store_dword v1, off, s[0:3], 0 offset:688
	;; [unrolled: 1-line block ×4, first 2 shown]
.LBB125_1197:
	s_or_b32 exec_lo, exec_lo, s4
	v_mov_b32_e32 v4, s26
	s_mov_b32 s4, exec_lo
	s_clause 0x3
	buffer_load_dword v1, v4, s[0:3], 0 offen
	buffer_load_dword v2, v4, s[0:3], 0 offen offset:4
	buffer_load_dword v3, v4, s[0:3], 0 offen offset:8
	;; [unrolled: 1-line block ×3, first 2 shown]
	s_waitcnt vmcnt(0)
	ds_write_b128 v130, v[1:4]
	s_waitcnt lgkmcnt(0)
	s_waitcnt_vscnt null, 0x0
	s_barrier
	buffer_gl0_inv
	v_cmpx_gt_u32_e32 44, v0
	s_cbranch_execz .LBB125_1205
; %bb.1198:
	ds_read_b128 v[1:4], v130
	v_cmp_ne_u32_e32 vcc_lo, 1, v131
	s_cbranch_vccnz .LBB125_1200
; %bb.1199:
	s_clause 0x3
	buffer_load_dword v132, v129, s[0:3], 0 offen offset:8
	buffer_load_dword v133, v129, s[0:3], 0 offen offset:12
	buffer_load_dword v136, v129, s[0:3], 0 offen
	buffer_load_dword v137, v129, s[0:3], 0 offen offset:4
	s_waitcnt vmcnt(2) lgkmcnt(0)
	v_mul_f64 v[138:139], v[3:4], v[132:133]
	v_mul_f64 v[132:133], v[1:2], v[132:133]
	s_waitcnt vmcnt(0)
	v_fma_f64 v[1:2], v[1:2], v[136:137], -v[138:139]
	v_fma_f64 v[3:4], v[3:4], v[136:137], v[132:133]
.LBB125_1200:
	s_mov_b32 s5, exec_lo
	v_cmpx_ne_u32_e32 43, v0
	s_cbranch_execz .LBB125_1204
; %bb.1201:
	v_add_nc_u32_e32 v132, 0x3f0, v135
	v_add3_u32 v133, 0, v135, 16
	v_mov_b32_e32 v134, v0
	s_mov_b32 s6, 0
	.p2align	6
.LBB125_1202:                           ; =>This Inner Loop Header: Depth=1
	s_clause 0x3
	buffer_load_dword v140, v133, s[0:3], 0 offen offset:8
	buffer_load_dword v141, v133, s[0:3], 0 offen offset:12
	buffer_load_dword v142, v133, s[0:3], 0 offen
	buffer_load_dword v143, v133, s[0:3], 0 offen offset:4
	ds_read_b128 v[136:139], v132
	v_add_nc_u32_e32 v134, 1, v134
	v_add_nc_u32_e32 v132, 16, v132
	;; [unrolled: 1-line block ×3, first 2 shown]
	v_cmp_lt_u32_e32 vcc_lo, 42, v134
	s_or_b32 s6, vcc_lo, s6
	s_waitcnt vmcnt(2) lgkmcnt(0)
	v_mul_f64 v[144:145], v[138:139], v[140:141]
	v_mul_f64 v[140:141], v[136:137], v[140:141]
	s_waitcnt vmcnt(0)
	v_fma_f64 v[136:137], v[136:137], v[142:143], -v[144:145]
	v_fma_f64 v[138:139], v[138:139], v[142:143], v[140:141]
	v_add_f64 v[1:2], v[1:2], v[136:137]
	v_add_f64 v[3:4], v[3:4], v[138:139]
	s_andn2_b32 exec_lo, exec_lo, s6
	s_cbranch_execnz .LBB125_1202
; %bb.1203:
	s_or_b32 exec_lo, exec_lo, s6
.LBB125_1204:
	s_or_b32 exec_lo, exec_lo, s5
	v_mov_b32_e32 v132, 0
	ds_read_b128 v[136:139], v132 offset:704
	s_waitcnt lgkmcnt(0)
	v_mul_f64 v[132:133], v[3:4], v[138:139]
	v_mul_f64 v[138:139], v[1:2], v[138:139]
	v_fma_f64 v[1:2], v[1:2], v[136:137], -v[132:133]
	v_fma_f64 v[3:4], v[3:4], v[136:137], v[138:139]
	buffer_store_dword v2, off, s[0:3], 0 offset:708
	buffer_store_dword v1, off, s[0:3], 0 offset:704
	;; [unrolled: 1-line block ×4, first 2 shown]
.LBB125_1205:
	s_or_b32 exec_lo, exec_lo, s4
	v_mov_b32_e32 v4, s25
	s_mov_b32 s4, exec_lo
	s_clause 0x3
	buffer_load_dword v1, v4, s[0:3], 0 offen
	buffer_load_dword v2, v4, s[0:3], 0 offen offset:4
	buffer_load_dword v3, v4, s[0:3], 0 offen offset:8
	;; [unrolled: 1-line block ×3, first 2 shown]
	s_waitcnt vmcnt(0)
	ds_write_b128 v130, v[1:4]
	s_waitcnt lgkmcnt(0)
	s_waitcnt_vscnt null, 0x0
	s_barrier
	buffer_gl0_inv
	v_cmpx_gt_u32_e32 45, v0
	s_cbranch_execz .LBB125_1213
; %bb.1206:
	ds_read_b128 v[1:4], v130
	v_cmp_ne_u32_e32 vcc_lo, 1, v131
	s_cbranch_vccnz .LBB125_1208
; %bb.1207:
	s_clause 0x3
	buffer_load_dword v132, v129, s[0:3], 0 offen offset:8
	buffer_load_dword v133, v129, s[0:3], 0 offen offset:12
	buffer_load_dword v136, v129, s[0:3], 0 offen
	buffer_load_dword v137, v129, s[0:3], 0 offen offset:4
	s_waitcnt vmcnt(2) lgkmcnt(0)
	v_mul_f64 v[138:139], v[3:4], v[132:133]
	v_mul_f64 v[132:133], v[1:2], v[132:133]
	s_waitcnt vmcnt(0)
	v_fma_f64 v[1:2], v[1:2], v[136:137], -v[138:139]
	v_fma_f64 v[3:4], v[3:4], v[136:137], v[132:133]
.LBB125_1208:
	s_mov_b32 s5, exec_lo
	v_cmpx_ne_u32_e32 44, v0
	s_cbranch_execz .LBB125_1212
; %bb.1209:
	v_add_nc_u32_e32 v132, 0x3f0, v135
	v_add3_u32 v133, 0, v135, 16
	v_mov_b32_e32 v134, v0
	s_mov_b32 s6, 0
	.p2align	6
.LBB125_1210:                           ; =>This Inner Loop Header: Depth=1
	s_clause 0x3
	buffer_load_dword v140, v133, s[0:3], 0 offen offset:8
	buffer_load_dword v141, v133, s[0:3], 0 offen offset:12
	buffer_load_dword v142, v133, s[0:3], 0 offen
	buffer_load_dword v143, v133, s[0:3], 0 offen offset:4
	ds_read_b128 v[136:139], v132
	v_add_nc_u32_e32 v134, 1, v134
	v_add_nc_u32_e32 v132, 16, v132
	;; [unrolled: 1-line block ×3, first 2 shown]
	v_cmp_lt_u32_e32 vcc_lo, 43, v134
	s_or_b32 s6, vcc_lo, s6
	s_waitcnt vmcnt(2) lgkmcnt(0)
	v_mul_f64 v[144:145], v[138:139], v[140:141]
	v_mul_f64 v[140:141], v[136:137], v[140:141]
	s_waitcnt vmcnt(0)
	v_fma_f64 v[136:137], v[136:137], v[142:143], -v[144:145]
	v_fma_f64 v[138:139], v[138:139], v[142:143], v[140:141]
	v_add_f64 v[1:2], v[1:2], v[136:137]
	v_add_f64 v[3:4], v[3:4], v[138:139]
	s_andn2_b32 exec_lo, exec_lo, s6
	s_cbranch_execnz .LBB125_1210
; %bb.1211:
	s_or_b32 exec_lo, exec_lo, s6
.LBB125_1212:
	s_or_b32 exec_lo, exec_lo, s5
	v_mov_b32_e32 v132, 0
	ds_read_b128 v[136:139], v132 offset:720
	s_waitcnt lgkmcnt(0)
	v_mul_f64 v[132:133], v[3:4], v[138:139]
	v_mul_f64 v[138:139], v[1:2], v[138:139]
	v_fma_f64 v[1:2], v[1:2], v[136:137], -v[132:133]
	v_fma_f64 v[3:4], v[3:4], v[136:137], v[138:139]
	buffer_store_dword v2, off, s[0:3], 0 offset:724
	buffer_store_dword v1, off, s[0:3], 0 offset:720
	;; [unrolled: 1-line block ×4, first 2 shown]
.LBB125_1213:
	s_or_b32 exec_lo, exec_lo, s4
	v_mov_b32_e32 v4, s24
	s_mov_b32 s4, exec_lo
	s_clause 0x3
	buffer_load_dword v1, v4, s[0:3], 0 offen
	buffer_load_dword v2, v4, s[0:3], 0 offen offset:4
	buffer_load_dword v3, v4, s[0:3], 0 offen offset:8
	;; [unrolled: 1-line block ×3, first 2 shown]
	s_waitcnt vmcnt(0)
	ds_write_b128 v130, v[1:4]
	s_waitcnt lgkmcnt(0)
	s_waitcnt_vscnt null, 0x0
	s_barrier
	buffer_gl0_inv
	v_cmpx_gt_u32_e32 46, v0
	s_cbranch_execz .LBB125_1221
; %bb.1214:
	ds_read_b128 v[1:4], v130
	v_cmp_ne_u32_e32 vcc_lo, 1, v131
	s_cbranch_vccnz .LBB125_1216
; %bb.1215:
	s_clause 0x3
	buffer_load_dword v132, v129, s[0:3], 0 offen offset:8
	buffer_load_dword v133, v129, s[0:3], 0 offen offset:12
	buffer_load_dword v136, v129, s[0:3], 0 offen
	buffer_load_dword v137, v129, s[0:3], 0 offen offset:4
	s_waitcnt vmcnt(2) lgkmcnt(0)
	v_mul_f64 v[138:139], v[3:4], v[132:133]
	v_mul_f64 v[132:133], v[1:2], v[132:133]
	s_waitcnt vmcnt(0)
	v_fma_f64 v[1:2], v[1:2], v[136:137], -v[138:139]
	v_fma_f64 v[3:4], v[3:4], v[136:137], v[132:133]
.LBB125_1216:
	s_mov_b32 s5, exec_lo
	v_cmpx_ne_u32_e32 45, v0
	s_cbranch_execz .LBB125_1220
; %bb.1217:
	v_add_nc_u32_e32 v132, 0x3f0, v135
	v_add3_u32 v133, 0, v135, 16
	v_mov_b32_e32 v134, v0
	s_mov_b32 s6, 0
	.p2align	6
.LBB125_1218:                           ; =>This Inner Loop Header: Depth=1
	s_clause 0x3
	buffer_load_dword v140, v133, s[0:3], 0 offen offset:8
	buffer_load_dword v141, v133, s[0:3], 0 offen offset:12
	buffer_load_dword v142, v133, s[0:3], 0 offen
	buffer_load_dword v143, v133, s[0:3], 0 offen offset:4
	ds_read_b128 v[136:139], v132
	v_add_nc_u32_e32 v134, 1, v134
	v_add_nc_u32_e32 v132, 16, v132
	;; [unrolled: 1-line block ×3, first 2 shown]
	v_cmp_lt_u32_e32 vcc_lo, 44, v134
	s_or_b32 s6, vcc_lo, s6
	s_waitcnt vmcnt(2) lgkmcnt(0)
	v_mul_f64 v[144:145], v[138:139], v[140:141]
	v_mul_f64 v[140:141], v[136:137], v[140:141]
	s_waitcnt vmcnt(0)
	v_fma_f64 v[136:137], v[136:137], v[142:143], -v[144:145]
	v_fma_f64 v[138:139], v[138:139], v[142:143], v[140:141]
	v_add_f64 v[1:2], v[1:2], v[136:137]
	v_add_f64 v[3:4], v[3:4], v[138:139]
	s_andn2_b32 exec_lo, exec_lo, s6
	s_cbranch_execnz .LBB125_1218
; %bb.1219:
	s_or_b32 exec_lo, exec_lo, s6
.LBB125_1220:
	s_or_b32 exec_lo, exec_lo, s5
	v_mov_b32_e32 v132, 0
	ds_read_b128 v[136:139], v132 offset:736
	s_waitcnt lgkmcnt(0)
	v_mul_f64 v[132:133], v[3:4], v[138:139]
	v_mul_f64 v[138:139], v[1:2], v[138:139]
	v_fma_f64 v[1:2], v[1:2], v[136:137], -v[132:133]
	v_fma_f64 v[3:4], v[3:4], v[136:137], v[138:139]
	buffer_store_dword v2, off, s[0:3], 0 offset:740
	buffer_store_dword v1, off, s[0:3], 0 offset:736
	;; [unrolled: 1-line block ×4, first 2 shown]
.LBB125_1221:
	s_or_b32 exec_lo, exec_lo, s4
	v_mov_b32_e32 v4, s23
	s_mov_b32 s4, exec_lo
	s_clause 0x3
	buffer_load_dword v1, v4, s[0:3], 0 offen
	buffer_load_dword v2, v4, s[0:3], 0 offen offset:4
	buffer_load_dword v3, v4, s[0:3], 0 offen offset:8
	;; [unrolled: 1-line block ×3, first 2 shown]
	s_waitcnt vmcnt(0)
	ds_write_b128 v130, v[1:4]
	s_waitcnt lgkmcnt(0)
	s_waitcnt_vscnt null, 0x0
	s_barrier
	buffer_gl0_inv
	v_cmpx_gt_u32_e32 47, v0
	s_cbranch_execz .LBB125_1229
; %bb.1222:
	ds_read_b128 v[1:4], v130
	v_cmp_ne_u32_e32 vcc_lo, 1, v131
	s_cbranch_vccnz .LBB125_1224
; %bb.1223:
	s_clause 0x3
	buffer_load_dword v132, v129, s[0:3], 0 offen offset:8
	buffer_load_dword v133, v129, s[0:3], 0 offen offset:12
	buffer_load_dword v136, v129, s[0:3], 0 offen
	buffer_load_dword v137, v129, s[0:3], 0 offen offset:4
	s_waitcnt vmcnt(2) lgkmcnt(0)
	v_mul_f64 v[138:139], v[3:4], v[132:133]
	v_mul_f64 v[132:133], v[1:2], v[132:133]
	s_waitcnt vmcnt(0)
	v_fma_f64 v[1:2], v[1:2], v[136:137], -v[138:139]
	v_fma_f64 v[3:4], v[3:4], v[136:137], v[132:133]
.LBB125_1224:
	s_mov_b32 s5, exec_lo
	v_cmpx_ne_u32_e32 46, v0
	s_cbranch_execz .LBB125_1228
; %bb.1225:
	v_add_nc_u32_e32 v132, 0x3f0, v135
	v_add3_u32 v133, 0, v135, 16
	v_mov_b32_e32 v134, v0
	s_mov_b32 s6, 0
	.p2align	6
.LBB125_1226:                           ; =>This Inner Loop Header: Depth=1
	s_clause 0x3
	buffer_load_dword v140, v133, s[0:3], 0 offen offset:8
	buffer_load_dword v141, v133, s[0:3], 0 offen offset:12
	buffer_load_dword v142, v133, s[0:3], 0 offen
	buffer_load_dword v143, v133, s[0:3], 0 offen offset:4
	ds_read_b128 v[136:139], v132
	v_add_nc_u32_e32 v134, 1, v134
	v_add_nc_u32_e32 v132, 16, v132
	;; [unrolled: 1-line block ×3, first 2 shown]
	v_cmp_lt_u32_e32 vcc_lo, 45, v134
	s_or_b32 s6, vcc_lo, s6
	s_waitcnt vmcnt(2) lgkmcnt(0)
	v_mul_f64 v[144:145], v[138:139], v[140:141]
	v_mul_f64 v[140:141], v[136:137], v[140:141]
	s_waitcnt vmcnt(0)
	v_fma_f64 v[136:137], v[136:137], v[142:143], -v[144:145]
	v_fma_f64 v[138:139], v[138:139], v[142:143], v[140:141]
	v_add_f64 v[1:2], v[1:2], v[136:137]
	v_add_f64 v[3:4], v[3:4], v[138:139]
	s_andn2_b32 exec_lo, exec_lo, s6
	s_cbranch_execnz .LBB125_1226
; %bb.1227:
	s_or_b32 exec_lo, exec_lo, s6
.LBB125_1228:
	s_or_b32 exec_lo, exec_lo, s5
	v_mov_b32_e32 v132, 0
	ds_read_b128 v[136:139], v132 offset:752
	s_waitcnt lgkmcnt(0)
	v_mul_f64 v[132:133], v[3:4], v[138:139]
	v_mul_f64 v[138:139], v[1:2], v[138:139]
	v_fma_f64 v[1:2], v[1:2], v[136:137], -v[132:133]
	v_fma_f64 v[3:4], v[3:4], v[136:137], v[138:139]
	buffer_store_dword v2, off, s[0:3], 0 offset:756
	buffer_store_dword v1, off, s[0:3], 0 offset:752
	;; [unrolled: 1-line block ×4, first 2 shown]
.LBB125_1229:
	s_or_b32 exec_lo, exec_lo, s4
	v_mov_b32_e32 v4, s22
	s_mov_b32 s4, exec_lo
	s_clause 0x3
	buffer_load_dword v1, v4, s[0:3], 0 offen
	buffer_load_dword v2, v4, s[0:3], 0 offen offset:4
	buffer_load_dword v3, v4, s[0:3], 0 offen offset:8
	;; [unrolled: 1-line block ×3, first 2 shown]
	s_waitcnt vmcnt(0)
	ds_write_b128 v130, v[1:4]
	s_waitcnt lgkmcnt(0)
	s_waitcnt_vscnt null, 0x0
	s_barrier
	buffer_gl0_inv
	v_cmpx_gt_u32_e32 48, v0
	s_cbranch_execz .LBB125_1237
; %bb.1230:
	ds_read_b128 v[1:4], v130
	v_cmp_ne_u32_e32 vcc_lo, 1, v131
	s_cbranch_vccnz .LBB125_1232
; %bb.1231:
	s_clause 0x3
	buffer_load_dword v132, v129, s[0:3], 0 offen offset:8
	buffer_load_dword v133, v129, s[0:3], 0 offen offset:12
	buffer_load_dword v136, v129, s[0:3], 0 offen
	buffer_load_dword v137, v129, s[0:3], 0 offen offset:4
	s_waitcnt vmcnt(2) lgkmcnt(0)
	v_mul_f64 v[138:139], v[3:4], v[132:133]
	v_mul_f64 v[132:133], v[1:2], v[132:133]
	s_waitcnt vmcnt(0)
	v_fma_f64 v[1:2], v[1:2], v[136:137], -v[138:139]
	v_fma_f64 v[3:4], v[3:4], v[136:137], v[132:133]
.LBB125_1232:
	s_mov_b32 s5, exec_lo
	v_cmpx_ne_u32_e32 47, v0
	s_cbranch_execz .LBB125_1236
; %bb.1233:
	v_add_nc_u32_e32 v132, 0x3f0, v135
	v_add3_u32 v133, 0, v135, 16
	v_mov_b32_e32 v134, v0
	s_mov_b32 s6, 0
	.p2align	6
.LBB125_1234:                           ; =>This Inner Loop Header: Depth=1
	s_clause 0x3
	buffer_load_dword v140, v133, s[0:3], 0 offen offset:8
	buffer_load_dword v141, v133, s[0:3], 0 offen offset:12
	buffer_load_dword v142, v133, s[0:3], 0 offen
	buffer_load_dword v143, v133, s[0:3], 0 offen offset:4
	ds_read_b128 v[136:139], v132
	v_add_nc_u32_e32 v134, 1, v134
	v_add_nc_u32_e32 v132, 16, v132
	;; [unrolled: 1-line block ×3, first 2 shown]
	v_cmp_lt_u32_e32 vcc_lo, 46, v134
	s_or_b32 s6, vcc_lo, s6
	s_waitcnt vmcnt(2) lgkmcnt(0)
	v_mul_f64 v[144:145], v[138:139], v[140:141]
	v_mul_f64 v[140:141], v[136:137], v[140:141]
	s_waitcnt vmcnt(0)
	v_fma_f64 v[136:137], v[136:137], v[142:143], -v[144:145]
	v_fma_f64 v[138:139], v[138:139], v[142:143], v[140:141]
	v_add_f64 v[1:2], v[1:2], v[136:137]
	v_add_f64 v[3:4], v[3:4], v[138:139]
	s_andn2_b32 exec_lo, exec_lo, s6
	s_cbranch_execnz .LBB125_1234
; %bb.1235:
	s_or_b32 exec_lo, exec_lo, s6
.LBB125_1236:
	s_or_b32 exec_lo, exec_lo, s5
	v_mov_b32_e32 v132, 0
	ds_read_b128 v[136:139], v132 offset:768
	s_waitcnt lgkmcnt(0)
	v_mul_f64 v[132:133], v[3:4], v[138:139]
	v_mul_f64 v[138:139], v[1:2], v[138:139]
	v_fma_f64 v[1:2], v[1:2], v[136:137], -v[132:133]
	v_fma_f64 v[3:4], v[3:4], v[136:137], v[138:139]
	buffer_store_dword v2, off, s[0:3], 0 offset:772
	buffer_store_dword v1, off, s[0:3], 0 offset:768
	;; [unrolled: 1-line block ×4, first 2 shown]
.LBB125_1237:
	s_or_b32 exec_lo, exec_lo, s4
	v_mov_b32_e32 v4, s21
	s_mov_b32 s4, exec_lo
	s_clause 0x3
	buffer_load_dword v1, v4, s[0:3], 0 offen
	buffer_load_dword v2, v4, s[0:3], 0 offen offset:4
	buffer_load_dword v3, v4, s[0:3], 0 offen offset:8
	;; [unrolled: 1-line block ×3, first 2 shown]
	s_waitcnt vmcnt(0)
	ds_write_b128 v130, v[1:4]
	s_waitcnt lgkmcnt(0)
	s_waitcnt_vscnt null, 0x0
	s_barrier
	buffer_gl0_inv
	v_cmpx_gt_u32_e32 49, v0
	s_cbranch_execz .LBB125_1245
; %bb.1238:
	ds_read_b128 v[1:4], v130
	v_cmp_ne_u32_e32 vcc_lo, 1, v131
	s_cbranch_vccnz .LBB125_1240
; %bb.1239:
	s_clause 0x3
	buffer_load_dword v132, v129, s[0:3], 0 offen offset:8
	buffer_load_dword v133, v129, s[0:3], 0 offen offset:12
	buffer_load_dword v136, v129, s[0:3], 0 offen
	buffer_load_dword v137, v129, s[0:3], 0 offen offset:4
	s_waitcnt vmcnt(2) lgkmcnt(0)
	v_mul_f64 v[138:139], v[3:4], v[132:133]
	v_mul_f64 v[132:133], v[1:2], v[132:133]
	s_waitcnt vmcnt(0)
	v_fma_f64 v[1:2], v[1:2], v[136:137], -v[138:139]
	v_fma_f64 v[3:4], v[3:4], v[136:137], v[132:133]
.LBB125_1240:
	s_mov_b32 s5, exec_lo
	v_cmpx_ne_u32_e32 48, v0
	s_cbranch_execz .LBB125_1244
; %bb.1241:
	v_add_nc_u32_e32 v132, 0x3f0, v135
	v_add3_u32 v133, 0, v135, 16
	v_mov_b32_e32 v134, v0
	s_mov_b32 s6, 0
	.p2align	6
.LBB125_1242:                           ; =>This Inner Loop Header: Depth=1
	s_clause 0x3
	buffer_load_dword v140, v133, s[0:3], 0 offen offset:8
	buffer_load_dword v141, v133, s[0:3], 0 offen offset:12
	buffer_load_dword v142, v133, s[0:3], 0 offen
	buffer_load_dword v143, v133, s[0:3], 0 offen offset:4
	ds_read_b128 v[136:139], v132
	v_add_nc_u32_e32 v134, 1, v134
	v_add_nc_u32_e32 v132, 16, v132
	;; [unrolled: 1-line block ×3, first 2 shown]
	v_cmp_lt_u32_e32 vcc_lo, 47, v134
	s_or_b32 s6, vcc_lo, s6
	s_waitcnt vmcnt(2) lgkmcnt(0)
	v_mul_f64 v[144:145], v[138:139], v[140:141]
	v_mul_f64 v[140:141], v[136:137], v[140:141]
	s_waitcnt vmcnt(0)
	v_fma_f64 v[136:137], v[136:137], v[142:143], -v[144:145]
	v_fma_f64 v[138:139], v[138:139], v[142:143], v[140:141]
	v_add_f64 v[1:2], v[1:2], v[136:137]
	v_add_f64 v[3:4], v[3:4], v[138:139]
	s_andn2_b32 exec_lo, exec_lo, s6
	s_cbranch_execnz .LBB125_1242
; %bb.1243:
	s_or_b32 exec_lo, exec_lo, s6
.LBB125_1244:
	s_or_b32 exec_lo, exec_lo, s5
	v_mov_b32_e32 v132, 0
	ds_read_b128 v[136:139], v132 offset:784
	s_waitcnt lgkmcnt(0)
	v_mul_f64 v[132:133], v[3:4], v[138:139]
	v_mul_f64 v[138:139], v[1:2], v[138:139]
	v_fma_f64 v[1:2], v[1:2], v[136:137], -v[132:133]
	v_fma_f64 v[3:4], v[3:4], v[136:137], v[138:139]
	buffer_store_dword v2, off, s[0:3], 0 offset:788
	buffer_store_dword v1, off, s[0:3], 0 offset:784
	;; [unrolled: 1-line block ×4, first 2 shown]
.LBB125_1245:
	s_or_b32 exec_lo, exec_lo, s4
	v_mov_b32_e32 v4, s20
	s_mov_b32 s4, exec_lo
	s_clause 0x3
	buffer_load_dword v1, v4, s[0:3], 0 offen
	buffer_load_dword v2, v4, s[0:3], 0 offen offset:4
	buffer_load_dword v3, v4, s[0:3], 0 offen offset:8
	;; [unrolled: 1-line block ×3, first 2 shown]
	s_waitcnt vmcnt(0)
	ds_write_b128 v130, v[1:4]
	s_waitcnt lgkmcnt(0)
	s_waitcnt_vscnt null, 0x0
	s_barrier
	buffer_gl0_inv
	v_cmpx_gt_u32_e32 50, v0
	s_cbranch_execz .LBB125_1253
; %bb.1246:
	ds_read_b128 v[1:4], v130
	v_cmp_ne_u32_e32 vcc_lo, 1, v131
	s_cbranch_vccnz .LBB125_1248
; %bb.1247:
	s_clause 0x3
	buffer_load_dword v132, v129, s[0:3], 0 offen offset:8
	buffer_load_dword v133, v129, s[0:3], 0 offen offset:12
	buffer_load_dword v136, v129, s[0:3], 0 offen
	buffer_load_dword v137, v129, s[0:3], 0 offen offset:4
	s_waitcnt vmcnt(2) lgkmcnt(0)
	v_mul_f64 v[138:139], v[3:4], v[132:133]
	v_mul_f64 v[132:133], v[1:2], v[132:133]
	s_waitcnt vmcnt(0)
	v_fma_f64 v[1:2], v[1:2], v[136:137], -v[138:139]
	v_fma_f64 v[3:4], v[3:4], v[136:137], v[132:133]
.LBB125_1248:
	s_mov_b32 s5, exec_lo
	v_cmpx_ne_u32_e32 49, v0
	s_cbranch_execz .LBB125_1252
; %bb.1249:
	v_add_nc_u32_e32 v132, 0x3f0, v135
	v_add3_u32 v133, 0, v135, 16
	v_mov_b32_e32 v134, v0
	s_mov_b32 s6, 0
	.p2align	6
.LBB125_1250:                           ; =>This Inner Loop Header: Depth=1
	s_clause 0x3
	buffer_load_dword v140, v133, s[0:3], 0 offen offset:8
	buffer_load_dword v141, v133, s[0:3], 0 offen offset:12
	buffer_load_dword v142, v133, s[0:3], 0 offen
	buffer_load_dword v143, v133, s[0:3], 0 offen offset:4
	ds_read_b128 v[136:139], v132
	v_add_nc_u32_e32 v134, 1, v134
	v_add_nc_u32_e32 v132, 16, v132
	;; [unrolled: 1-line block ×3, first 2 shown]
	v_cmp_lt_u32_e32 vcc_lo, 48, v134
	s_or_b32 s6, vcc_lo, s6
	s_waitcnt vmcnt(2) lgkmcnt(0)
	v_mul_f64 v[144:145], v[138:139], v[140:141]
	v_mul_f64 v[140:141], v[136:137], v[140:141]
	s_waitcnt vmcnt(0)
	v_fma_f64 v[136:137], v[136:137], v[142:143], -v[144:145]
	v_fma_f64 v[138:139], v[138:139], v[142:143], v[140:141]
	v_add_f64 v[1:2], v[1:2], v[136:137]
	v_add_f64 v[3:4], v[3:4], v[138:139]
	s_andn2_b32 exec_lo, exec_lo, s6
	s_cbranch_execnz .LBB125_1250
; %bb.1251:
	s_or_b32 exec_lo, exec_lo, s6
.LBB125_1252:
	s_or_b32 exec_lo, exec_lo, s5
	v_mov_b32_e32 v132, 0
	ds_read_b128 v[136:139], v132 offset:800
	s_waitcnt lgkmcnt(0)
	v_mul_f64 v[132:133], v[3:4], v[138:139]
	v_mul_f64 v[138:139], v[1:2], v[138:139]
	v_fma_f64 v[1:2], v[1:2], v[136:137], -v[132:133]
	v_fma_f64 v[3:4], v[3:4], v[136:137], v[138:139]
	buffer_store_dword v2, off, s[0:3], 0 offset:804
	buffer_store_dword v1, off, s[0:3], 0 offset:800
	;; [unrolled: 1-line block ×4, first 2 shown]
.LBB125_1253:
	s_or_b32 exec_lo, exec_lo, s4
	v_mov_b32_e32 v4, s19
	s_mov_b32 s4, exec_lo
	s_clause 0x3
	buffer_load_dword v1, v4, s[0:3], 0 offen
	buffer_load_dword v2, v4, s[0:3], 0 offen offset:4
	buffer_load_dword v3, v4, s[0:3], 0 offen offset:8
	;; [unrolled: 1-line block ×3, first 2 shown]
	s_waitcnt vmcnt(0)
	ds_write_b128 v130, v[1:4]
	s_waitcnt lgkmcnt(0)
	s_waitcnt_vscnt null, 0x0
	s_barrier
	buffer_gl0_inv
	v_cmpx_gt_u32_e32 51, v0
	s_cbranch_execz .LBB125_1261
; %bb.1254:
	ds_read_b128 v[1:4], v130
	v_cmp_ne_u32_e32 vcc_lo, 1, v131
	s_cbranch_vccnz .LBB125_1256
; %bb.1255:
	s_clause 0x3
	buffer_load_dword v132, v129, s[0:3], 0 offen offset:8
	buffer_load_dword v133, v129, s[0:3], 0 offen offset:12
	buffer_load_dword v136, v129, s[0:3], 0 offen
	buffer_load_dword v137, v129, s[0:3], 0 offen offset:4
	s_waitcnt vmcnt(2) lgkmcnt(0)
	v_mul_f64 v[138:139], v[3:4], v[132:133]
	v_mul_f64 v[132:133], v[1:2], v[132:133]
	s_waitcnt vmcnt(0)
	v_fma_f64 v[1:2], v[1:2], v[136:137], -v[138:139]
	v_fma_f64 v[3:4], v[3:4], v[136:137], v[132:133]
.LBB125_1256:
	s_mov_b32 s5, exec_lo
	v_cmpx_ne_u32_e32 50, v0
	s_cbranch_execz .LBB125_1260
; %bb.1257:
	v_add_nc_u32_e32 v132, 0x3f0, v135
	v_add3_u32 v133, 0, v135, 16
	v_mov_b32_e32 v134, v0
	s_mov_b32 s6, 0
	.p2align	6
.LBB125_1258:                           ; =>This Inner Loop Header: Depth=1
	s_clause 0x3
	buffer_load_dword v140, v133, s[0:3], 0 offen offset:8
	buffer_load_dword v141, v133, s[0:3], 0 offen offset:12
	buffer_load_dword v142, v133, s[0:3], 0 offen
	buffer_load_dword v143, v133, s[0:3], 0 offen offset:4
	ds_read_b128 v[136:139], v132
	v_add_nc_u32_e32 v134, 1, v134
	v_add_nc_u32_e32 v132, 16, v132
	;; [unrolled: 1-line block ×3, first 2 shown]
	v_cmp_lt_u32_e32 vcc_lo, 49, v134
	s_or_b32 s6, vcc_lo, s6
	s_waitcnt vmcnt(2) lgkmcnt(0)
	v_mul_f64 v[144:145], v[138:139], v[140:141]
	v_mul_f64 v[140:141], v[136:137], v[140:141]
	s_waitcnt vmcnt(0)
	v_fma_f64 v[136:137], v[136:137], v[142:143], -v[144:145]
	v_fma_f64 v[138:139], v[138:139], v[142:143], v[140:141]
	v_add_f64 v[1:2], v[1:2], v[136:137]
	v_add_f64 v[3:4], v[3:4], v[138:139]
	s_andn2_b32 exec_lo, exec_lo, s6
	s_cbranch_execnz .LBB125_1258
; %bb.1259:
	s_or_b32 exec_lo, exec_lo, s6
.LBB125_1260:
	s_or_b32 exec_lo, exec_lo, s5
	v_mov_b32_e32 v132, 0
	ds_read_b128 v[136:139], v132 offset:816
	s_waitcnt lgkmcnt(0)
	v_mul_f64 v[132:133], v[3:4], v[138:139]
	v_mul_f64 v[138:139], v[1:2], v[138:139]
	v_fma_f64 v[1:2], v[1:2], v[136:137], -v[132:133]
	v_fma_f64 v[3:4], v[3:4], v[136:137], v[138:139]
	buffer_store_dword v2, off, s[0:3], 0 offset:820
	buffer_store_dword v1, off, s[0:3], 0 offset:816
	;; [unrolled: 1-line block ×4, first 2 shown]
.LBB125_1261:
	s_or_b32 exec_lo, exec_lo, s4
	v_mov_b32_e32 v4, s18
	s_mov_b32 s4, exec_lo
	s_clause 0x3
	buffer_load_dword v1, v4, s[0:3], 0 offen
	buffer_load_dword v2, v4, s[0:3], 0 offen offset:4
	buffer_load_dword v3, v4, s[0:3], 0 offen offset:8
	;; [unrolled: 1-line block ×3, first 2 shown]
	s_waitcnt vmcnt(0)
	ds_write_b128 v130, v[1:4]
	s_waitcnt lgkmcnt(0)
	s_waitcnt_vscnt null, 0x0
	s_barrier
	buffer_gl0_inv
	v_cmpx_gt_u32_e32 52, v0
	s_cbranch_execz .LBB125_1269
; %bb.1262:
	ds_read_b128 v[1:4], v130
	v_cmp_ne_u32_e32 vcc_lo, 1, v131
	s_cbranch_vccnz .LBB125_1264
; %bb.1263:
	s_clause 0x3
	buffer_load_dword v132, v129, s[0:3], 0 offen offset:8
	buffer_load_dword v133, v129, s[0:3], 0 offen offset:12
	buffer_load_dword v136, v129, s[0:3], 0 offen
	buffer_load_dword v137, v129, s[0:3], 0 offen offset:4
	s_waitcnt vmcnt(2) lgkmcnt(0)
	v_mul_f64 v[138:139], v[3:4], v[132:133]
	v_mul_f64 v[132:133], v[1:2], v[132:133]
	s_waitcnt vmcnt(0)
	v_fma_f64 v[1:2], v[1:2], v[136:137], -v[138:139]
	v_fma_f64 v[3:4], v[3:4], v[136:137], v[132:133]
.LBB125_1264:
	s_mov_b32 s5, exec_lo
	v_cmpx_ne_u32_e32 51, v0
	s_cbranch_execz .LBB125_1268
; %bb.1265:
	v_add_nc_u32_e32 v132, 0x3f0, v135
	v_add3_u32 v133, 0, v135, 16
	v_mov_b32_e32 v134, v0
	s_mov_b32 s6, 0
	.p2align	6
.LBB125_1266:                           ; =>This Inner Loop Header: Depth=1
	s_clause 0x3
	buffer_load_dword v140, v133, s[0:3], 0 offen offset:8
	buffer_load_dword v141, v133, s[0:3], 0 offen offset:12
	buffer_load_dword v142, v133, s[0:3], 0 offen
	buffer_load_dword v143, v133, s[0:3], 0 offen offset:4
	ds_read_b128 v[136:139], v132
	v_add_nc_u32_e32 v134, 1, v134
	v_add_nc_u32_e32 v132, 16, v132
	;; [unrolled: 1-line block ×3, first 2 shown]
	v_cmp_lt_u32_e32 vcc_lo, 50, v134
	s_or_b32 s6, vcc_lo, s6
	s_waitcnt vmcnt(2) lgkmcnt(0)
	v_mul_f64 v[144:145], v[138:139], v[140:141]
	v_mul_f64 v[140:141], v[136:137], v[140:141]
	s_waitcnt vmcnt(0)
	v_fma_f64 v[136:137], v[136:137], v[142:143], -v[144:145]
	v_fma_f64 v[138:139], v[138:139], v[142:143], v[140:141]
	v_add_f64 v[1:2], v[1:2], v[136:137]
	v_add_f64 v[3:4], v[3:4], v[138:139]
	s_andn2_b32 exec_lo, exec_lo, s6
	s_cbranch_execnz .LBB125_1266
; %bb.1267:
	s_or_b32 exec_lo, exec_lo, s6
.LBB125_1268:
	s_or_b32 exec_lo, exec_lo, s5
	v_mov_b32_e32 v132, 0
	ds_read_b128 v[136:139], v132 offset:832
	s_waitcnt lgkmcnt(0)
	v_mul_f64 v[132:133], v[3:4], v[138:139]
	v_mul_f64 v[138:139], v[1:2], v[138:139]
	v_fma_f64 v[1:2], v[1:2], v[136:137], -v[132:133]
	v_fma_f64 v[3:4], v[3:4], v[136:137], v[138:139]
	buffer_store_dword v2, off, s[0:3], 0 offset:836
	buffer_store_dword v1, off, s[0:3], 0 offset:832
	buffer_store_dword v4, off, s[0:3], 0 offset:844
	buffer_store_dword v3, off, s[0:3], 0 offset:840
.LBB125_1269:
	s_or_b32 exec_lo, exec_lo, s4
	v_mov_b32_e32 v4, s17
	s_mov_b32 s4, exec_lo
	s_clause 0x3
	buffer_load_dword v1, v4, s[0:3], 0 offen
	buffer_load_dword v2, v4, s[0:3], 0 offen offset:4
	buffer_load_dword v3, v4, s[0:3], 0 offen offset:8
	;; [unrolled: 1-line block ×3, first 2 shown]
	s_waitcnt vmcnt(0)
	ds_write_b128 v130, v[1:4]
	s_waitcnt lgkmcnt(0)
	s_waitcnt_vscnt null, 0x0
	s_barrier
	buffer_gl0_inv
	v_cmpx_gt_u32_e32 53, v0
	s_cbranch_execz .LBB125_1277
; %bb.1270:
	ds_read_b128 v[1:4], v130
	v_cmp_ne_u32_e32 vcc_lo, 1, v131
	s_cbranch_vccnz .LBB125_1272
; %bb.1271:
	s_clause 0x3
	buffer_load_dword v132, v129, s[0:3], 0 offen offset:8
	buffer_load_dword v133, v129, s[0:3], 0 offen offset:12
	buffer_load_dword v136, v129, s[0:3], 0 offen
	buffer_load_dword v137, v129, s[0:3], 0 offen offset:4
	s_waitcnt vmcnt(2) lgkmcnt(0)
	v_mul_f64 v[138:139], v[3:4], v[132:133]
	v_mul_f64 v[132:133], v[1:2], v[132:133]
	s_waitcnt vmcnt(0)
	v_fma_f64 v[1:2], v[1:2], v[136:137], -v[138:139]
	v_fma_f64 v[3:4], v[3:4], v[136:137], v[132:133]
.LBB125_1272:
	s_mov_b32 s5, exec_lo
	v_cmpx_ne_u32_e32 52, v0
	s_cbranch_execz .LBB125_1276
; %bb.1273:
	v_add_nc_u32_e32 v132, 0x3f0, v135
	v_add3_u32 v133, 0, v135, 16
	v_mov_b32_e32 v134, v0
	s_mov_b32 s6, 0
	.p2align	6
.LBB125_1274:                           ; =>This Inner Loop Header: Depth=1
	s_clause 0x3
	buffer_load_dword v140, v133, s[0:3], 0 offen offset:8
	buffer_load_dword v141, v133, s[0:3], 0 offen offset:12
	buffer_load_dword v142, v133, s[0:3], 0 offen
	buffer_load_dword v143, v133, s[0:3], 0 offen offset:4
	ds_read_b128 v[136:139], v132
	v_add_nc_u32_e32 v134, 1, v134
	v_add_nc_u32_e32 v132, 16, v132
	;; [unrolled: 1-line block ×3, first 2 shown]
	v_cmp_lt_u32_e32 vcc_lo, 51, v134
	s_or_b32 s6, vcc_lo, s6
	s_waitcnt vmcnt(2) lgkmcnt(0)
	v_mul_f64 v[144:145], v[138:139], v[140:141]
	v_mul_f64 v[140:141], v[136:137], v[140:141]
	s_waitcnt vmcnt(0)
	v_fma_f64 v[136:137], v[136:137], v[142:143], -v[144:145]
	v_fma_f64 v[138:139], v[138:139], v[142:143], v[140:141]
	v_add_f64 v[1:2], v[1:2], v[136:137]
	v_add_f64 v[3:4], v[3:4], v[138:139]
	s_andn2_b32 exec_lo, exec_lo, s6
	s_cbranch_execnz .LBB125_1274
; %bb.1275:
	s_or_b32 exec_lo, exec_lo, s6
.LBB125_1276:
	s_or_b32 exec_lo, exec_lo, s5
	v_mov_b32_e32 v132, 0
	ds_read_b128 v[136:139], v132 offset:848
	s_waitcnt lgkmcnt(0)
	v_mul_f64 v[132:133], v[3:4], v[138:139]
	v_mul_f64 v[138:139], v[1:2], v[138:139]
	v_fma_f64 v[1:2], v[1:2], v[136:137], -v[132:133]
	v_fma_f64 v[3:4], v[3:4], v[136:137], v[138:139]
	buffer_store_dword v2, off, s[0:3], 0 offset:852
	buffer_store_dword v1, off, s[0:3], 0 offset:848
	;; [unrolled: 1-line block ×4, first 2 shown]
.LBB125_1277:
	s_or_b32 exec_lo, exec_lo, s4
	v_mov_b32_e32 v4, s16
	s_mov_b32 s4, exec_lo
	s_clause 0x3
	buffer_load_dword v1, v4, s[0:3], 0 offen
	buffer_load_dword v2, v4, s[0:3], 0 offen offset:4
	buffer_load_dword v3, v4, s[0:3], 0 offen offset:8
	;; [unrolled: 1-line block ×3, first 2 shown]
	s_waitcnt vmcnt(0)
	ds_write_b128 v130, v[1:4]
	s_waitcnt lgkmcnt(0)
	s_waitcnt_vscnt null, 0x0
	s_barrier
	buffer_gl0_inv
	v_cmpx_gt_u32_e32 54, v0
	s_cbranch_execz .LBB125_1285
; %bb.1278:
	ds_read_b128 v[1:4], v130
	v_cmp_ne_u32_e32 vcc_lo, 1, v131
	s_cbranch_vccnz .LBB125_1280
; %bb.1279:
	s_clause 0x3
	buffer_load_dword v132, v129, s[0:3], 0 offen offset:8
	buffer_load_dword v133, v129, s[0:3], 0 offen offset:12
	buffer_load_dword v136, v129, s[0:3], 0 offen
	buffer_load_dword v137, v129, s[0:3], 0 offen offset:4
	s_waitcnt vmcnt(2) lgkmcnt(0)
	v_mul_f64 v[138:139], v[3:4], v[132:133]
	v_mul_f64 v[132:133], v[1:2], v[132:133]
	s_waitcnt vmcnt(0)
	v_fma_f64 v[1:2], v[1:2], v[136:137], -v[138:139]
	v_fma_f64 v[3:4], v[3:4], v[136:137], v[132:133]
.LBB125_1280:
	s_mov_b32 s5, exec_lo
	v_cmpx_ne_u32_e32 53, v0
	s_cbranch_execz .LBB125_1284
; %bb.1281:
	v_add_nc_u32_e32 v132, 0x3f0, v135
	v_add3_u32 v133, 0, v135, 16
	v_mov_b32_e32 v134, v0
	s_mov_b32 s6, 0
	.p2align	6
.LBB125_1282:                           ; =>This Inner Loop Header: Depth=1
	s_clause 0x3
	buffer_load_dword v140, v133, s[0:3], 0 offen offset:8
	buffer_load_dword v141, v133, s[0:3], 0 offen offset:12
	buffer_load_dword v142, v133, s[0:3], 0 offen
	buffer_load_dword v143, v133, s[0:3], 0 offen offset:4
	ds_read_b128 v[136:139], v132
	v_add_nc_u32_e32 v134, 1, v134
	v_add_nc_u32_e32 v132, 16, v132
	v_add_nc_u32_e32 v133, 16, v133
	v_cmp_lt_u32_e32 vcc_lo, 52, v134
	s_or_b32 s6, vcc_lo, s6
	s_waitcnt vmcnt(2) lgkmcnt(0)
	v_mul_f64 v[144:145], v[138:139], v[140:141]
	v_mul_f64 v[140:141], v[136:137], v[140:141]
	s_waitcnt vmcnt(0)
	v_fma_f64 v[136:137], v[136:137], v[142:143], -v[144:145]
	v_fma_f64 v[138:139], v[138:139], v[142:143], v[140:141]
	v_add_f64 v[1:2], v[1:2], v[136:137]
	v_add_f64 v[3:4], v[3:4], v[138:139]
	s_andn2_b32 exec_lo, exec_lo, s6
	s_cbranch_execnz .LBB125_1282
; %bb.1283:
	s_or_b32 exec_lo, exec_lo, s6
.LBB125_1284:
	s_or_b32 exec_lo, exec_lo, s5
	v_mov_b32_e32 v132, 0
	ds_read_b128 v[136:139], v132 offset:864
	s_waitcnt lgkmcnt(0)
	v_mul_f64 v[132:133], v[3:4], v[138:139]
	v_mul_f64 v[138:139], v[1:2], v[138:139]
	v_fma_f64 v[1:2], v[1:2], v[136:137], -v[132:133]
	v_fma_f64 v[3:4], v[3:4], v[136:137], v[138:139]
	buffer_store_dword v2, off, s[0:3], 0 offset:868
	buffer_store_dword v1, off, s[0:3], 0 offset:864
	;; [unrolled: 1-line block ×4, first 2 shown]
.LBB125_1285:
	s_or_b32 exec_lo, exec_lo, s4
	v_mov_b32_e32 v4, s15
	s_mov_b32 s4, exec_lo
	s_clause 0x3
	buffer_load_dword v1, v4, s[0:3], 0 offen
	buffer_load_dword v2, v4, s[0:3], 0 offen offset:4
	buffer_load_dword v3, v4, s[0:3], 0 offen offset:8
	;; [unrolled: 1-line block ×3, first 2 shown]
	s_waitcnt vmcnt(0)
	ds_write_b128 v130, v[1:4]
	s_waitcnt lgkmcnt(0)
	s_waitcnt_vscnt null, 0x0
	s_barrier
	buffer_gl0_inv
	v_cmpx_gt_u32_e32 55, v0
	s_cbranch_execz .LBB125_1293
; %bb.1286:
	ds_read_b128 v[1:4], v130
	v_cmp_ne_u32_e32 vcc_lo, 1, v131
	s_cbranch_vccnz .LBB125_1288
; %bb.1287:
	s_clause 0x3
	buffer_load_dword v132, v129, s[0:3], 0 offen offset:8
	buffer_load_dword v133, v129, s[0:3], 0 offen offset:12
	buffer_load_dword v136, v129, s[0:3], 0 offen
	buffer_load_dword v137, v129, s[0:3], 0 offen offset:4
	s_waitcnt vmcnt(2) lgkmcnt(0)
	v_mul_f64 v[138:139], v[3:4], v[132:133]
	v_mul_f64 v[132:133], v[1:2], v[132:133]
	s_waitcnt vmcnt(0)
	v_fma_f64 v[1:2], v[1:2], v[136:137], -v[138:139]
	v_fma_f64 v[3:4], v[3:4], v[136:137], v[132:133]
.LBB125_1288:
	s_mov_b32 s5, exec_lo
	v_cmpx_ne_u32_e32 54, v0
	s_cbranch_execz .LBB125_1292
; %bb.1289:
	v_add_nc_u32_e32 v132, 0x3f0, v135
	v_add3_u32 v133, 0, v135, 16
	v_mov_b32_e32 v134, v0
	s_mov_b32 s6, 0
	.p2align	6
.LBB125_1290:                           ; =>This Inner Loop Header: Depth=1
	s_clause 0x3
	buffer_load_dword v140, v133, s[0:3], 0 offen offset:8
	buffer_load_dword v141, v133, s[0:3], 0 offen offset:12
	buffer_load_dword v142, v133, s[0:3], 0 offen
	buffer_load_dword v143, v133, s[0:3], 0 offen offset:4
	ds_read_b128 v[136:139], v132
	v_add_nc_u32_e32 v134, 1, v134
	v_add_nc_u32_e32 v132, 16, v132
	;; [unrolled: 1-line block ×3, first 2 shown]
	v_cmp_lt_u32_e32 vcc_lo, 53, v134
	s_or_b32 s6, vcc_lo, s6
	s_waitcnt vmcnt(2) lgkmcnt(0)
	v_mul_f64 v[144:145], v[138:139], v[140:141]
	v_mul_f64 v[140:141], v[136:137], v[140:141]
	s_waitcnt vmcnt(0)
	v_fma_f64 v[136:137], v[136:137], v[142:143], -v[144:145]
	v_fma_f64 v[138:139], v[138:139], v[142:143], v[140:141]
	v_add_f64 v[1:2], v[1:2], v[136:137]
	v_add_f64 v[3:4], v[3:4], v[138:139]
	s_andn2_b32 exec_lo, exec_lo, s6
	s_cbranch_execnz .LBB125_1290
; %bb.1291:
	s_or_b32 exec_lo, exec_lo, s6
.LBB125_1292:
	s_or_b32 exec_lo, exec_lo, s5
	v_mov_b32_e32 v132, 0
	ds_read_b128 v[136:139], v132 offset:880
	s_waitcnt lgkmcnt(0)
	v_mul_f64 v[132:133], v[3:4], v[138:139]
	v_mul_f64 v[138:139], v[1:2], v[138:139]
	v_fma_f64 v[1:2], v[1:2], v[136:137], -v[132:133]
	v_fma_f64 v[3:4], v[3:4], v[136:137], v[138:139]
	buffer_store_dword v2, off, s[0:3], 0 offset:884
	buffer_store_dword v1, off, s[0:3], 0 offset:880
	;; [unrolled: 1-line block ×4, first 2 shown]
.LBB125_1293:
	s_or_b32 exec_lo, exec_lo, s4
	v_mov_b32_e32 v4, s14
	s_mov_b32 s4, exec_lo
	s_clause 0x3
	buffer_load_dword v1, v4, s[0:3], 0 offen
	buffer_load_dword v2, v4, s[0:3], 0 offen offset:4
	buffer_load_dword v3, v4, s[0:3], 0 offen offset:8
	;; [unrolled: 1-line block ×3, first 2 shown]
	s_waitcnt vmcnt(0)
	ds_write_b128 v130, v[1:4]
	s_waitcnt lgkmcnt(0)
	s_waitcnt_vscnt null, 0x0
	s_barrier
	buffer_gl0_inv
	v_cmpx_gt_u32_e32 56, v0
	s_cbranch_execz .LBB125_1301
; %bb.1294:
	ds_read_b128 v[1:4], v130
	v_cmp_ne_u32_e32 vcc_lo, 1, v131
	s_cbranch_vccnz .LBB125_1296
; %bb.1295:
	s_clause 0x3
	buffer_load_dword v132, v129, s[0:3], 0 offen offset:8
	buffer_load_dword v133, v129, s[0:3], 0 offen offset:12
	buffer_load_dword v136, v129, s[0:3], 0 offen
	buffer_load_dword v137, v129, s[0:3], 0 offen offset:4
	s_waitcnt vmcnt(2) lgkmcnt(0)
	v_mul_f64 v[138:139], v[3:4], v[132:133]
	v_mul_f64 v[132:133], v[1:2], v[132:133]
	s_waitcnt vmcnt(0)
	v_fma_f64 v[1:2], v[1:2], v[136:137], -v[138:139]
	v_fma_f64 v[3:4], v[3:4], v[136:137], v[132:133]
.LBB125_1296:
	s_mov_b32 s5, exec_lo
	v_cmpx_ne_u32_e32 55, v0
	s_cbranch_execz .LBB125_1300
; %bb.1297:
	v_add_nc_u32_e32 v132, 0x3f0, v135
	v_add3_u32 v133, 0, v135, 16
	v_mov_b32_e32 v134, v0
	s_mov_b32 s6, 0
	.p2align	6
.LBB125_1298:                           ; =>This Inner Loop Header: Depth=1
	s_clause 0x3
	buffer_load_dword v140, v133, s[0:3], 0 offen offset:8
	buffer_load_dword v141, v133, s[0:3], 0 offen offset:12
	buffer_load_dword v142, v133, s[0:3], 0 offen
	buffer_load_dword v143, v133, s[0:3], 0 offen offset:4
	ds_read_b128 v[136:139], v132
	v_add_nc_u32_e32 v134, 1, v134
	v_add_nc_u32_e32 v132, 16, v132
	;; [unrolled: 1-line block ×3, first 2 shown]
	v_cmp_lt_u32_e32 vcc_lo, 54, v134
	s_or_b32 s6, vcc_lo, s6
	s_waitcnt vmcnt(2) lgkmcnt(0)
	v_mul_f64 v[144:145], v[138:139], v[140:141]
	v_mul_f64 v[140:141], v[136:137], v[140:141]
	s_waitcnt vmcnt(0)
	v_fma_f64 v[136:137], v[136:137], v[142:143], -v[144:145]
	v_fma_f64 v[138:139], v[138:139], v[142:143], v[140:141]
	v_add_f64 v[1:2], v[1:2], v[136:137]
	v_add_f64 v[3:4], v[3:4], v[138:139]
	s_andn2_b32 exec_lo, exec_lo, s6
	s_cbranch_execnz .LBB125_1298
; %bb.1299:
	s_or_b32 exec_lo, exec_lo, s6
.LBB125_1300:
	s_or_b32 exec_lo, exec_lo, s5
	v_mov_b32_e32 v132, 0
	ds_read_b128 v[136:139], v132 offset:896
	s_waitcnt lgkmcnt(0)
	v_mul_f64 v[132:133], v[3:4], v[138:139]
	v_mul_f64 v[138:139], v[1:2], v[138:139]
	v_fma_f64 v[1:2], v[1:2], v[136:137], -v[132:133]
	v_fma_f64 v[3:4], v[3:4], v[136:137], v[138:139]
	buffer_store_dword v2, off, s[0:3], 0 offset:900
	buffer_store_dword v1, off, s[0:3], 0 offset:896
	;; [unrolled: 1-line block ×4, first 2 shown]
.LBB125_1301:
	s_or_b32 exec_lo, exec_lo, s4
	v_mov_b32_e32 v4, s13
	s_mov_b32 s4, exec_lo
	s_clause 0x3
	buffer_load_dword v1, v4, s[0:3], 0 offen
	buffer_load_dword v2, v4, s[0:3], 0 offen offset:4
	buffer_load_dword v3, v4, s[0:3], 0 offen offset:8
	;; [unrolled: 1-line block ×3, first 2 shown]
	s_waitcnt vmcnt(0)
	ds_write_b128 v130, v[1:4]
	s_waitcnt lgkmcnt(0)
	s_waitcnt_vscnt null, 0x0
	s_barrier
	buffer_gl0_inv
	v_cmpx_gt_u32_e32 57, v0
	s_cbranch_execz .LBB125_1309
; %bb.1302:
	ds_read_b128 v[1:4], v130
	v_cmp_ne_u32_e32 vcc_lo, 1, v131
	s_cbranch_vccnz .LBB125_1304
; %bb.1303:
	s_clause 0x3
	buffer_load_dword v132, v129, s[0:3], 0 offen offset:8
	buffer_load_dword v133, v129, s[0:3], 0 offen offset:12
	buffer_load_dword v136, v129, s[0:3], 0 offen
	buffer_load_dword v137, v129, s[0:3], 0 offen offset:4
	s_waitcnt vmcnt(2) lgkmcnt(0)
	v_mul_f64 v[138:139], v[3:4], v[132:133]
	v_mul_f64 v[132:133], v[1:2], v[132:133]
	s_waitcnt vmcnt(0)
	v_fma_f64 v[1:2], v[1:2], v[136:137], -v[138:139]
	v_fma_f64 v[3:4], v[3:4], v[136:137], v[132:133]
.LBB125_1304:
	s_mov_b32 s5, exec_lo
	v_cmpx_ne_u32_e32 56, v0
	s_cbranch_execz .LBB125_1308
; %bb.1305:
	v_add_nc_u32_e32 v132, 0x3f0, v135
	v_add3_u32 v133, 0, v135, 16
	v_mov_b32_e32 v134, v0
	s_mov_b32 s6, 0
	.p2align	6
.LBB125_1306:                           ; =>This Inner Loop Header: Depth=1
	s_clause 0x3
	buffer_load_dword v140, v133, s[0:3], 0 offen offset:8
	buffer_load_dword v141, v133, s[0:3], 0 offen offset:12
	buffer_load_dword v142, v133, s[0:3], 0 offen
	buffer_load_dword v143, v133, s[0:3], 0 offen offset:4
	ds_read_b128 v[136:139], v132
	v_add_nc_u32_e32 v134, 1, v134
	v_add_nc_u32_e32 v132, 16, v132
	;; [unrolled: 1-line block ×3, first 2 shown]
	v_cmp_lt_u32_e32 vcc_lo, 55, v134
	s_or_b32 s6, vcc_lo, s6
	s_waitcnt vmcnt(2) lgkmcnt(0)
	v_mul_f64 v[144:145], v[138:139], v[140:141]
	v_mul_f64 v[140:141], v[136:137], v[140:141]
	s_waitcnt vmcnt(0)
	v_fma_f64 v[136:137], v[136:137], v[142:143], -v[144:145]
	v_fma_f64 v[138:139], v[138:139], v[142:143], v[140:141]
	v_add_f64 v[1:2], v[1:2], v[136:137]
	v_add_f64 v[3:4], v[3:4], v[138:139]
	s_andn2_b32 exec_lo, exec_lo, s6
	s_cbranch_execnz .LBB125_1306
; %bb.1307:
	s_or_b32 exec_lo, exec_lo, s6
.LBB125_1308:
	s_or_b32 exec_lo, exec_lo, s5
	v_mov_b32_e32 v132, 0
	ds_read_b128 v[136:139], v132 offset:912
	s_waitcnt lgkmcnt(0)
	v_mul_f64 v[132:133], v[3:4], v[138:139]
	v_mul_f64 v[138:139], v[1:2], v[138:139]
	v_fma_f64 v[1:2], v[1:2], v[136:137], -v[132:133]
	v_fma_f64 v[3:4], v[3:4], v[136:137], v[138:139]
	buffer_store_dword v2, off, s[0:3], 0 offset:916
	buffer_store_dword v1, off, s[0:3], 0 offset:912
	;; [unrolled: 1-line block ×4, first 2 shown]
.LBB125_1309:
	s_or_b32 exec_lo, exec_lo, s4
	v_mov_b32_e32 v4, s12
	s_mov_b32 s4, exec_lo
	s_clause 0x3
	buffer_load_dword v1, v4, s[0:3], 0 offen
	buffer_load_dword v2, v4, s[0:3], 0 offen offset:4
	buffer_load_dword v3, v4, s[0:3], 0 offen offset:8
	;; [unrolled: 1-line block ×3, first 2 shown]
	s_waitcnt vmcnt(0)
	ds_write_b128 v130, v[1:4]
	s_waitcnt lgkmcnt(0)
	s_waitcnt_vscnt null, 0x0
	s_barrier
	buffer_gl0_inv
	v_cmpx_gt_u32_e32 58, v0
	s_cbranch_execz .LBB125_1317
; %bb.1310:
	ds_read_b128 v[1:4], v130
	v_cmp_ne_u32_e32 vcc_lo, 1, v131
	s_cbranch_vccnz .LBB125_1312
; %bb.1311:
	s_clause 0x3
	buffer_load_dword v132, v129, s[0:3], 0 offen offset:8
	buffer_load_dword v133, v129, s[0:3], 0 offen offset:12
	buffer_load_dword v136, v129, s[0:3], 0 offen
	buffer_load_dword v137, v129, s[0:3], 0 offen offset:4
	s_waitcnt vmcnt(2) lgkmcnt(0)
	v_mul_f64 v[138:139], v[3:4], v[132:133]
	v_mul_f64 v[132:133], v[1:2], v[132:133]
	s_waitcnt vmcnt(0)
	v_fma_f64 v[1:2], v[1:2], v[136:137], -v[138:139]
	v_fma_f64 v[3:4], v[3:4], v[136:137], v[132:133]
.LBB125_1312:
	s_mov_b32 s5, exec_lo
	v_cmpx_ne_u32_e32 57, v0
	s_cbranch_execz .LBB125_1316
; %bb.1313:
	v_add_nc_u32_e32 v132, 0x3f0, v135
	v_add3_u32 v133, 0, v135, 16
	v_mov_b32_e32 v134, v0
	s_mov_b32 s6, 0
	.p2align	6
.LBB125_1314:                           ; =>This Inner Loop Header: Depth=1
	s_clause 0x3
	buffer_load_dword v140, v133, s[0:3], 0 offen offset:8
	buffer_load_dword v141, v133, s[0:3], 0 offen offset:12
	buffer_load_dword v142, v133, s[0:3], 0 offen
	buffer_load_dword v143, v133, s[0:3], 0 offen offset:4
	ds_read_b128 v[136:139], v132
	v_add_nc_u32_e32 v134, 1, v134
	v_add_nc_u32_e32 v132, 16, v132
	;; [unrolled: 1-line block ×3, first 2 shown]
	v_cmp_lt_u32_e32 vcc_lo, 56, v134
	s_or_b32 s6, vcc_lo, s6
	s_waitcnt vmcnt(2) lgkmcnt(0)
	v_mul_f64 v[144:145], v[138:139], v[140:141]
	v_mul_f64 v[140:141], v[136:137], v[140:141]
	s_waitcnt vmcnt(0)
	v_fma_f64 v[136:137], v[136:137], v[142:143], -v[144:145]
	v_fma_f64 v[138:139], v[138:139], v[142:143], v[140:141]
	v_add_f64 v[1:2], v[1:2], v[136:137]
	v_add_f64 v[3:4], v[3:4], v[138:139]
	s_andn2_b32 exec_lo, exec_lo, s6
	s_cbranch_execnz .LBB125_1314
; %bb.1315:
	s_or_b32 exec_lo, exec_lo, s6
.LBB125_1316:
	s_or_b32 exec_lo, exec_lo, s5
	v_mov_b32_e32 v132, 0
	ds_read_b128 v[136:139], v132 offset:928
	s_waitcnt lgkmcnt(0)
	v_mul_f64 v[132:133], v[3:4], v[138:139]
	v_mul_f64 v[138:139], v[1:2], v[138:139]
	v_fma_f64 v[1:2], v[1:2], v[136:137], -v[132:133]
	v_fma_f64 v[3:4], v[3:4], v[136:137], v[138:139]
	buffer_store_dword v2, off, s[0:3], 0 offset:932
	buffer_store_dword v1, off, s[0:3], 0 offset:928
	buffer_store_dword v4, off, s[0:3], 0 offset:940
	buffer_store_dword v3, off, s[0:3], 0 offset:936
.LBB125_1317:
	s_or_b32 exec_lo, exec_lo, s4
	v_mov_b32_e32 v4, s11
	s_mov_b32 s4, exec_lo
	s_clause 0x3
	buffer_load_dword v1, v4, s[0:3], 0 offen
	buffer_load_dword v2, v4, s[0:3], 0 offen offset:4
	buffer_load_dword v3, v4, s[0:3], 0 offen offset:8
	buffer_load_dword v4, v4, s[0:3], 0 offen offset:12
	s_waitcnt vmcnt(0)
	ds_write_b128 v130, v[1:4]
	s_waitcnt lgkmcnt(0)
	s_waitcnt_vscnt null, 0x0
	s_barrier
	buffer_gl0_inv
	v_cmpx_gt_u32_e32 59, v0
	s_cbranch_execz .LBB125_1325
; %bb.1318:
	ds_read_b128 v[1:4], v130
	v_cmp_ne_u32_e32 vcc_lo, 1, v131
	s_cbranch_vccnz .LBB125_1320
; %bb.1319:
	s_clause 0x3
	buffer_load_dword v132, v129, s[0:3], 0 offen offset:8
	buffer_load_dword v133, v129, s[0:3], 0 offen offset:12
	buffer_load_dword v136, v129, s[0:3], 0 offen
	buffer_load_dword v137, v129, s[0:3], 0 offen offset:4
	s_waitcnt vmcnt(2) lgkmcnt(0)
	v_mul_f64 v[138:139], v[3:4], v[132:133]
	v_mul_f64 v[132:133], v[1:2], v[132:133]
	s_waitcnt vmcnt(0)
	v_fma_f64 v[1:2], v[1:2], v[136:137], -v[138:139]
	v_fma_f64 v[3:4], v[3:4], v[136:137], v[132:133]
.LBB125_1320:
	s_mov_b32 s5, exec_lo
	v_cmpx_ne_u32_e32 58, v0
	s_cbranch_execz .LBB125_1324
; %bb.1321:
	v_add_nc_u32_e32 v132, 0x3f0, v135
	v_add3_u32 v133, 0, v135, 16
	v_mov_b32_e32 v134, v0
	s_mov_b32 s6, 0
	.p2align	6
.LBB125_1322:                           ; =>This Inner Loop Header: Depth=1
	s_clause 0x3
	buffer_load_dword v140, v133, s[0:3], 0 offen offset:8
	buffer_load_dword v141, v133, s[0:3], 0 offen offset:12
	buffer_load_dword v142, v133, s[0:3], 0 offen
	buffer_load_dword v143, v133, s[0:3], 0 offen offset:4
	ds_read_b128 v[136:139], v132
	v_add_nc_u32_e32 v134, 1, v134
	v_add_nc_u32_e32 v132, 16, v132
	;; [unrolled: 1-line block ×3, first 2 shown]
	v_cmp_lt_u32_e32 vcc_lo, 57, v134
	s_or_b32 s6, vcc_lo, s6
	s_waitcnt vmcnt(2) lgkmcnt(0)
	v_mul_f64 v[144:145], v[138:139], v[140:141]
	v_mul_f64 v[140:141], v[136:137], v[140:141]
	s_waitcnt vmcnt(0)
	v_fma_f64 v[136:137], v[136:137], v[142:143], -v[144:145]
	v_fma_f64 v[138:139], v[138:139], v[142:143], v[140:141]
	v_add_f64 v[1:2], v[1:2], v[136:137]
	v_add_f64 v[3:4], v[3:4], v[138:139]
	s_andn2_b32 exec_lo, exec_lo, s6
	s_cbranch_execnz .LBB125_1322
; %bb.1323:
	s_or_b32 exec_lo, exec_lo, s6
.LBB125_1324:
	s_or_b32 exec_lo, exec_lo, s5
	v_mov_b32_e32 v132, 0
	ds_read_b128 v[136:139], v132 offset:944
	s_waitcnt lgkmcnt(0)
	v_mul_f64 v[132:133], v[3:4], v[138:139]
	v_mul_f64 v[138:139], v[1:2], v[138:139]
	v_fma_f64 v[1:2], v[1:2], v[136:137], -v[132:133]
	v_fma_f64 v[3:4], v[3:4], v[136:137], v[138:139]
	buffer_store_dword v2, off, s[0:3], 0 offset:948
	buffer_store_dword v1, off, s[0:3], 0 offset:944
	buffer_store_dword v4, off, s[0:3], 0 offset:956
	buffer_store_dword v3, off, s[0:3], 0 offset:952
.LBB125_1325:
	s_or_b32 exec_lo, exec_lo, s4
	v_mov_b32_e32 v4, s10
	v_cmp_gt_u32_e64 s4, 60, v0
	s_clause 0x3
	buffer_load_dword v1, v4, s[0:3], 0 offen
	buffer_load_dword v2, v4, s[0:3], 0 offen offset:4
	buffer_load_dword v3, v4, s[0:3], 0 offen offset:8
	;; [unrolled: 1-line block ×3, first 2 shown]
	s_waitcnt vmcnt(0)
	ds_write_b128 v130, v[1:4]
	s_waitcnt lgkmcnt(0)
	s_waitcnt_vscnt null, 0x0
	s_barrier
	buffer_gl0_inv
	s_and_saveexec_b32 s5, s4
	s_cbranch_execz .LBB125_1333
; %bb.1326:
	ds_read_b128 v[1:4], v130
	v_cmp_ne_u32_e32 vcc_lo, 1, v131
	s_cbranch_vccnz .LBB125_1328
; %bb.1327:
	s_clause 0x3
	buffer_load_dword v132, v129, s[0:3], 0 offen offset:8
	buffer_load_dword v133, v129, s[0:3], 0 offen offset:12
	buffer_load_dword v136, v129, s[0:3], 0 offen
	buffer_load_dword v137, v129, s[0:3], 0 offen offset:4
	s_waitcnt vmcnt(2) lgkmcnt(0)
	v_mul_f64 v[138:139], v[3:4], v[132:133]
	v_mul_f64 v[132:133], v[1:2], v[132:133]
	s_waitcnt vmcnt(0)
	v_fma_f64 v[1:2], v[1:2], v[136:137], -v[138:139]
	v_fma_f64 v[3:4], v[3:4], v[136:137], v[132:133]
.LBB125_1328:
	s_mov_b32 s6, exec_lo
	v_cmpx_ne_u32_e32 59, v0
	s_cbranch_execz .LBB125_1332
; %bb.1329:
	v_add_nc_u32_e32 v132, 0x3f0, v135
	v_add3_u32 v133, 0, v135, 16
	v_mov_b32_e32 v134, v0
	s_mov_b32 s7, 0
	.p2align	6
.LBB125_1330:                           ; =>This Inner Loop Header: Depth=1
	s_clause 0x3
	buffer_load_dword v140, v133, s[0:3], 0 offen offset:8
	buffer_load_dword v141, v133, s[0:3], 0 offen offset:12
	buffer_load_dword v142, v133, s[0:3], 0 offen
	buffer_load_dword v143, v133, s[0:3], 0 offen offset:4
	ds_read_b128 v[136:139], v132
	v_add_nc_u32_e32 v134, 1, v134
	v_add_nc_u32_e32 v132, 16, v132
	;; [unrolled: 1-line block ×3, first 2 shown]
	v_cmp_lt_u32_e32 vcc_lo, 58, v134
	s_or_b32 s7, vcc_lo, s7
	s_waitcnt vmcnt(2) lgkmcnt(0)
	v_mul_f64 v[144:145], v[138:139], v[140:141]
	v_mul_f64 v[140:141], v[136:137], v[140:141]
	s_waitcnt vmcnt(0)
	v_fma_f64 v[136:137], v[136:137], v[142:143], -v[144:145]
	v_fma_f64 v[138:139], v[138:139], v[142:143], v[140:141]
	v_add_f64 v[1:2], v[1:2], v[136:137]
	v_add_f64 v[3:4], v[3:4], v[138:139]
	s_andn2_b32 exec_lo, exec_lo, s7
	s_cbranch_execnz .LBB125_1330
; %bb.1331:
	s_or_b32 exec_lo, exec_lo, s7
.LBB125_1332:
	s_or_b32 exec_lo, exec_lo, s6
	v_mov_b32_e32 v132, 0
	ds_read_b128 v[136:139], v132 offset:960
	s_waitcnt lgkmcnt(0)
	v_mul_f64 v[132:133], v[3:4], v[138:139]
	v_mul_f64 v[138:139], v[1:2], v[138:139]
	v_fma_f64 v[1:2], v[1:2], v[136:137], -v[132:133]
	v_fma_f64 v[3:4], v[3:4], v[136:137], v[138:139]
	buffer_store_dword v2, off, s[0:3], 0 offset:964
	buffer_store_dword v1, off, s[0:3], 0 offset:960
	buffer_store_dword v4, off, s[0:3], 0 offset:972
	buffer_store_dword v3, off, s[0:3], 0 offset:968
.LBB125_1333:
	s_or_b32 exec_lo, exec_lo, s5
	v_mov_b32_e32 v4, s9
	s_mov_b32 s5, exec_lo
                                        ; implicit-def: $sgpr71
	s_clause 0x3
	buffer_load_dword v1, v4, s[0:3], 0 offen
	buffer_load_dword v2, v4, s[0:3], 0 offen offset:4
	buffer_load_dword v3, v4, s[0:3], 0 offen offset:8
	;; [unrolled: 1-line block ×3, first 2 shown]
	s_waitcnt vmcnt(0)
	ds_write_b128 v130, v[1:4]
	s_waitcnt lgkmcnt(0)
	s_waitcnt_vscnt null, 0x0
	s_barrier
	buffer_gl0_inv
                                        ; implicit-def: $vgpr1_vgpr2
	v_cmpx_ne_u32_e32 61, v0
	s_cbranch_execz .LBB125_1341
; %bb.1334:
	ds_read_b128 v[1:4], v130
	v_cmp_ne_u32_e32 vcc_lo, 1, v131
	s_cbranch_vccnz .LBB125_1336
; %bb.1335:
	s_clause 0x3
	buffer_load_dword v130, v129, s[0:3], 0 offen offset:8
	buffer_load_dword v131, v129, s[0:3], 0 offen offset:12
	buffer_load_dword v132, v129, s[0:3], 0 offen
	buffer_load_dword v133, v129, s[0:3], 0 offen offset:4
	s_waitcnt vmcnt(2) lgkmcnt(0)
	v_mul_f64 v[136:137], v[3:4], v[130:131]
	v_mul_f64 v[129:130], v[1:2], v[130:131]
	s_waitcnt vmcnt(0)
	v_fma_f64 v[1:2], v[1:2], v[132:133], -v[136:137]
	v_fma_f64 v[3:4], v[3:4], v[132:133], v[129:130]
.LBB125_1336:
	s_and_saveexec_b32 s6, s4
	s_cbranch_execz .LBB125_1340
; %bb.1337:
	v_add_nc_u32_e32 v129, 0x3f0, v135
	v_add3_u32 v130, 0, v135, 16
	s_mov_b32 s4, 0
	.p2align	6
.LBB125_1338:                           ; =>This Inner Loop Header: Depth=1
	s_clause 0x3
	buffer_load_dword v135, v130, s[0:3], 0 offen offset:8
	buffer_load_dword v136, v130, s[0:3], 0 offen offset:12
	buffer_load_dword v137, v130, s[0:3], 0 offen
	buffer_load_dword v138, v130, s[0:3], 0 offen offset:4
	ds_read_b128 v[131:134], v129
	v_add_nc_u32_e32 v0, 1, v0
	v_add_nc_u32_e32 v129, 16, v129
	;; [unrolled: 1-line block ×3, first 2 shown]
	v_cmp_lt_u32_e32 vcc_lo, 59, v0
	s_or_b32 s4, vcc_lo, s4
	s_waitcnt vmcnt(2) lgkmcnt(0)
	v_mul_f64 v[139:140], v[133:134], v[135:136]
	v_mul_f64 v[135:136], v[131:132], v[135:136]
	s_waitcnt vmcnt(0)
	v_fma_f64 v[131:132], v[131:132], v[137:138], -v[139:140]
	v_fma_f64 v[133:134], v[133:134], v[137:138], v[135:136]
	v_add_f64 v[1:2], v[1:2], v[131:132]
	v_add_f64 v[3:4], v[3:4], v[133:134]
	s_andn2_b32 exec_lo, exec_lo, s4
	s_cbranch_execnz .LBB125_1338
; %bb.1339:
	s_or_b32 exec_lo, exec_lo, s4
.LBB125_1340:
	s_or_b32 exec_lo, exec_lo, s6
	v_mov_b32_e32 v0, 0
	s_movk_i32 s71, 0x3d8
	s_or_b32 s8, s8, exec_lo
	ds_read_b128 v[129:132], v0 offset:976
	s_waitcnt lgkmcnt(0)
	v_mul_f64 v[133:134], v[3:4], v[131:132]
	v_mul_f64 v[131:132], v[1:2], v[131:132]
	v_fma_f64 v[133:134], v[1:2], v[129:130], -v[133:134]
	v_fma_f64 v[1:2], v[3:4], v[129:130], v[131:132]
	buffer_store_dword v134, off, s[0:3], 0 offset:980
	buffer_store_dword v133, off, s[0:3], 0 offset:976
.LBB125_1341:
	s_or_b32 exec_lo, exec_lo, s5
.LBB125_1342:
	s_and_saveexec_b32 s4, s8
	s_cbranch_execz .LBB125_1344
; %bb.1343:
	v_mov_b32_e32 v0, s71
	buffer_store_dword v2, v0, s[0:3], 0 offen offset:4
	buffer_store_dword v1, v0, s[0:3], 0 offen
.LBB125_1344:
	s_or_b32 exec_lo, exec_lo, s4
	s_clause 0x3
	buffer_load_dword v0, off, s[0:3], 0
	buffer_load_dword v1, off, s[0:3], 0 offset:4
	buffer_load_dword v2, off, s[0:3], 0 offset:8
	;; [unrolled: 1-line block ×3, first 2 shown]
	v_mov_b32_e32 v4, s70
	s_waitcnt vmcnt(0)
	flat_store_dwordx4 v[5:6], v[0:3]
	s_clause 0x3
	buffer_load_dword v0, v4, s[0:3], 0 offen
	buffer_load_dword v1, v4, s[0:3], 0 offen offset:4
	buffer_load_dword v2, v4, s[0:3], 0 offen offset:8
	buffer_load_dword v3, v4, s[0:3], 0 offen offset:12
	v_mov_b32_e32 v4, s69
	s_waitcnt vmcnt(0)
	flat_store_dwordx4 v[59:60], v[0:3]
	s_clause 0x3
	buffer_load_dword v0, v4, s[0:3], 0 offen
	buffer_load_dword v1, v4, s[0:3], 0 offen offset:4
	buffer_load_dword v2, v4, s[0:3], 0 offen offset:8
	buffer_load_dword v3, v4, s[0:3], 0 offen offset:12
	;; [unrolled: 8-line block ×61, first 2 shown]
	s_waitcnt vmcnt(0)
	flat_store_dwordx4 v[127:128], v[0:3]
.LBB125_1345:
	s_endpgm
	.section	.rodata,"a",@progbits
	.p2align	6, 0x0
	.amdhsa_kernel _ZN9rocsolver6v33100L18trti2_kernel_smallILi62E19rocblas_complex_numIdEPKPS3_EEv13rocblas_fill_17rocblas_diagonal_T1_iil
		.amdhsa_group_segment_fixed_size 1984
		.amdhsa_private_segment_fixed_size 1008
		.amdhsa_kernarg_size 32
		.amdhsa_user_sgpr_count 6
		.amdhsa_user_sgpr_private_segment_buffer 1
		.amdhsa_user_sgpr_dispatch_ptr 0
		.amdhsa_user_sgpr_queue_ptr 0
		.amdhsa_user_sgpr_kernarg_segment_ptr 1
		.amdhsa_user_sgpr_dispatch_id 0
		.amdhsa_user_sgpr_flat_scratch_init 0
		.amdhsa_user_sgpr_private_segment_size 0
		.amdhsa_wavefront_size32 1
		.amdhsa_uses_dynamic_stack 0
		.amdhsa_system_sgpr_private_segment_wavefront_offset 1
		.amdhsa_system_sgpr_workgroup_id_x 1
		.amdhsa_system_sgpr_workgroup_id_y 0
		.amdhsa_system_sgpr_workgroup_id_z 0
		.amdhsa_system_sgpr_workgroup_info 0
		.amdhsa_system_vgpr_workitem_id 0
		.amdhsa_next_free_vgpr 187
		.amdhsa_next_free_sgpr 98
		.amdhsa_reserve_vcc 1
		.amdhsa_reserve_flat_scratch 0
		.amdhsa_float_round_mode_32 0
		.amdhsa_float_round_mode_16_64 0
		.amdhsa_float_denorm_mode_32 3
		.amdhsa_float_denorm_mode_16_64 3
		.amdhsa_dx10_clamp 1
		.amdhsa_ieee_mode 1
		.amdhsa_fp16_overflow 0
		.amdhsa_workgroup_processor_mode 1
		.amdhsa_memory_ordered 1
		.amdhsa_forward_progress 1
		.amdhsa_shared_vgpr_count 0
		.amdhsa_exception_fp_ieee_invalid_op 0
		.amdhsa_exception_fp_denorm_src 0
		.amdhsa_exception_fp_ieee_div_zero 0
		.amdhsa_exception_fp_ieee_overflow 0
		.amdhsa_exception_fp_ieee_underflow 0
		.amdhsa_exception_fp_ieee_inexact 0
		.amdhsa_exception_int_div_zero 0
	.end_amdhsa_kernel
	.section	.text._ZN9rocsolver6v33100L18trti2_kernel_smallILi62E19rocblas_complex_numIdEPKPS3_EEv13rocblas_fill_17rocblas_diagonal_T1_iil,"axG",@progbits,_ZN9rocsolver6v33100L18trti2_kernel_smallILi62E19rocblas_complex_numIdEPKPS3_EEv13rocblas_fill_17rocblas_diagonal_T1_iil,comdat
.Lfunc_end125:
	.size	_ZN9rocsolver6v33100L18trti2_kernel_smallILi62E19rocblas_complex_numIdEPKPS3_EEv13rocblas_fill_17rocblas_diagonal_T1_iil, .Lfunc_end125-_ZN9rocsolver6v33100L18trti2_kernel_smallILi62E19rocblas_complex_numIdEPKPS3_EEv13rocblas_fill_17rocblas_diagonal_T1_iil
                                        ; -- End function
	.set _ZN9rocsolver6v33100L18trti2_kernel_smallILi62E19rocblas_complex_numIdEPKPS3_EEv13rocblas_fill_17rocblas_diagonal_T1_iil.num_vgpr, 187
	.set _ZN9rocsolver6v33100L18trti2_kernel_smallILi62E19rocblas_complex_numIdEPKPS3_EEv13rocblas_fill_17rocblas_diagonal_T1_iil.num_agpr, 0
	.set _ZN9rocsolver6v33100L18trti2_kernel_smallILi62E19rocblas_complex_numIdEPKPS3_EEv13rocblas_fill_17rocblas_diagonal_T1_iil.numbered_sgpr, 98
	.set _ZN9rocsolver6v33100L18trti2_kernel_smallILi62E19rocblas_complex_numIdEPKPS3_EEv13rocblas_fill_17rocblas_diagonal_T1_iil.num_named_barrier, 0
	.set _ZN9rocsolver6v33100L18trti2_kernel_smallILi62E19rocblas_complex_numIdEPKPS3_EEv13rocblas_fill_17rocblas_diagonal_T1_iil.private_seg_size, 1008
	.set _ZN9rocsolver6v33100L18trti2_kernel_smallILi62E19rocblas_complex_numIdEPKPS3_EEv13rocblas_fill_17rocblas_diagonal_T1_iil.uses_vcc, 1
	.set _ZN9rocsolver6v33100L18trti2_kernel_smallILi62E19rocblas_complex_numIdEPKPS3_EEv13rocblas_fill_17rocblas_diagonal_T1_iil.uses_flat_scratch, 0
	.set _ZN9rocsolver6v33100L18trti2_kernel_smallILi62E19rocblas_complex_numIdEPKPS3_EEv13rocblas_fill_17rocblas_diagonal_T1_iil.has_dyn_sized_stack, 0
	.set _ZN9rocsolver6v33100L18trti2_kernel_smallILi62E19rocblas_complex_numIdEPKPS3_EEv13rocblas_fill_17rocblas_diagonal_T1_iil.has_recursion, 0
	.set _ZN9rocsolver6v33100L18trti2_kernel_smallILi62E19rocblas_complex_numIdEPKPS3_EEv13rocblas_fill_17rocblas_diagonal_T1_iil.has_indirect_call, 0
	.section	.AMDGPU.csdata,"",@progbits
; Kernel info:
; codeLenInByte = 116940
; TotalNumSgprs: 100
; NumVgprs: 187
; ScratchSize: 1008
; MemoryBound: 0
; FloatMode: 240
; IeeeMode: 1
; LDSByteSize: 1984 bytes/workgroup (compile time only)
; SGPRBlocks: 0
; VGPRBlocks: 23
; NumSGPRsForWavesPerEU: 100
; NumVGPRsForWavesPerEU: 187
; Occupancy: 5
; WaveLimiterHint : 1
; COMPUTE_PGM_RSRC2:SCRATCH_EN: 1
; COMPUTE_PGM_RSRC2:USER_SGPR: 6
; COMPUTE_PGM_RSRC2:TRAP_HANDLER: 0
; COMPUTE_PGM_RSRC2:TGID_X_EN: 1
; COMPUTE_PGM_RSRC2:TGID_Y_EN: 0
; COMPUTE_PGM_RSRC2:TGID_Z_EN: 0
; COMPUTE_PGM_RSRC2:TIDIG_COMP_CNT: 0
	.section	.text._ZN9rocsolver6v33100L18trti2_kernel_smallILi63E19rocblas_complex_numIdEPKPS3_EEv13rocblas_fill_17rocblas_diagonal_T1_iil,"axG",@progbits,_ZN9rocsolver6v33100L18trti2_kernel_smallILi63E19rocblas_complex_numIdEPKPS3_EEv13rocblas_fill_17rocblas_diagonal_T1_iil,comdat
	.globl	_ZN9rocsolver6v33100L18trti2_kernel_smallILi63E19rocblas_complex_numIdEPKPS3_EEv13rocblas_fill_17rocblas_diagonal_T1_iil ; -- Begin function _ZN9rocsolver6v33100L18trti2_kernel_smallILi63E19rocblas_complex_numIdEPKPS3_EEv13rocblas_fill_17rocblas_diagonal_T1_iil
	.p2align	8
	.type	_ZN9rocsolver6v33100L18trti2_kernel_smallILi63E19rocblas_complex_numIdEPKPS3_EEv13rocblas_fill_17rocblas_diagonal_T1_iil,@function
_ZN9rocsolver6v33100L18trti2_kernel_smallILi63E19rocblas_complex_numIdEPKPS3_EEv13rocblas_fill_17rocblas_diagonal_T1_iil: ; @_ZN9rocsolver6v33100L18trti2_kernel_smallILi63E19rocblas_complex_numIdEPKPS3_EEv13rocblas_fill_17rocblas_diagonal_T1_iil
; %bb.0:
	s_add_u32 s0, s0, s7
	s_addc_u32 s1, s1, 0
	s_mov_b32 s7, exec_lo
	v_cmpx_gt_u32_e32 63, v0
	s_cbranch_execz .LBB126_1367
; %bb.1:
	s_clause 0x1
	s_load_dwordx2 s[12:13], s[4:5], 0x10
	s_load_dwordx4 s[8:11], s[4:5], 0x0
	s_ashr_i32 s7, s6, 31
	v_lshlrev_b32_e32 v137, 4, v0
	s_lshl_b64 s[4:5], s[6:7], 3
	s_movk_i32 s14, 0xc0
	s_movk_i32 s15, 0xd0
	;; [unrolled: 1-line block ×15, first 2 shown]
	s_waitcnt lgkmcnt(0)
	s_ashr_i32 s7, s12, 31
	s_add_u32 s4, s10, s4
	s_addc_u32 s5, s11, s5
	s_mov_b32 s6, s12
	s_load_dwordx2 s[4:5], s[4:5], 0x0
	s_lshl_b64 s[6:7], s[6:7], 4
	v_add3_u32 v7, s13, s13, v0
	s_movk_i32 s10, 0x80
	s_movk_i32 s11, 0x90
	;; [unrolled: 1-line block ×4, first 2 shown]
	v_ashrrev_i32_e32 v8, 31, v7
	s_movk_i32 s30, 0x1c0
	s_movk_i32 s31, 0x1d0
	;; [unrolled: 1-line block ×4, first 2 shown]
	v_lshlrev_b64 v[8:9], 4, v[7:8]
	v_add_nc_u32_e32 v7, s13, v7
	s_movk_i32 s35, 0x200
	s_movk_i32 s36, 0x210
	;; [unrolled: 1-line block ×6, first 2 shown]
	s_waitcnt lgkmcnt(0)
	s_add_u32 s6, s4, s6
	s_addc_u32 s7, s5, s7
	v_add_co_u32 v5, s4, s6, v137
	v_add_co_ci_u32_e64 v6, null, s7, 0, s4
	s_mov_b32 s4, s13
	s_ashr_i32 s5, s13, 31
	s_movk_i32 s75, 0x260
	flat_load_dwordx4 v[1:4], v[5:6]
	s_lshl_b64 s[4:5], s[4:5], 4
	s_cmpk_lg_i32 s9, 0x84
	v_add_co_u32 v59, vcc_lo, v5, s4
	v_add_co_ci_u32_e64 v60, null, s5, v6, vcc_lo
	v_add_co_u32 v57, vcc_lo, s6, v8
	v_add_co_ci_u32_e64 v58, null, s7, v9, vcc_lo
	v_ashrrev_i32_e32 v8, 31, v7
	s_movk_i32 s4, 0x50
	s_movk_i32 s5, 0x60
	s_movk_i32 s76, 0x270
	s_movk_i32 s77, 0x280
	v_lshlrev_b64 v[8:9], 4, v[7:8]
	v_add_nc_u32_e32 v7, s13, v7
	s_movk_i32 s78, 0x290
	s_movk_i32 s79, 0x2a0
	s_movk_i32 s80, 0x2b0
	s_movk_i32 s81, 0x2c0
	v_add_co_u32 v55, vcc_lo, s6, v8
	v_add_co_ci_u32_e64 v56, null, s7, v9, vcc_lo
	v_ashrrev_i32_e32 v8, 31, v7
	s_movk_i32 s82, 0x2d0
	s_movk_i32 s83, 0x2e0
	s_movk_i32 s84, 0x2f0
	s_movk_i32 s85, 0x300
	v_lshlrev_b64 v[8:9], 4, v[7:8]
	v_add_nc_u32_e32 v7, s13, v7
	s_movk_i32 s86, 0x310
	s_movk_i32 s87, 0x320
	s_movk_i32 s88, 0x330
	s_movk_i32 s89, 0x340
	;; [unrolled: 13-line block ×3, first 2 shown]
	v_add_co_u32 v49, vcc_lo, s6, v8
	v_add_co_ci_u32_e64 v50, null, s7, v9, vcc_lo
	v_ashrrev_i32_e32 v8, 31, v7
	s_movk_i32 s98, 0x3d0
	s_movk_i32 s99, 0x3e0
	s_waitcnt vmcnt(0) lgkmcnt(0)
	buffer_store_dword v4, off, s[0:3], 0 offset:12
	buffer_store_dword v3, off, s[0:3], 0 offset:8
	;; [unrolled: 1-line block ×3, first 2 shown]
	buffer_store_dword v1, off, s[0:3], 0
	flat_load_dwordx4 v[1:4], v[59:60]
	v_lshlrev_b64 v[8:9], 4, v[7:8]
	v_add_nc_u32_e32 v7, s13, v7
	s_waitcnt vmcnt(0) lgkmcnt(0)
	buffer_store_dword v4, off, s[0:3], 0 offset:28
	buffer_store_dword v3, off, s[0:3], 0 offset:24
	buffer_store_dword v2, off, s[0:3], 0 offset:20
	buffer_store_dword v1, off, s[0:3], 0 offset:16
	flat_load_dwordx4 v[1:4], v[57:58]
	v_add_co_u32 v47, vcc_lo, s6, v8
	v_add_co_ci_u32_e64 v48, null, s7, v9, vcc_lo
	v_ashrrev_i32_e32 v8, 31, v7
	s_waitcnt vmcnt(0) lgkmcnt(0)
	buffer_store_dword v4, off, s[0:3], 0 offset:44
	buffer_store_dword v3, off, s[0:3], 0 offset:40
	buffer_store_dword v2, off, s[0:3], 0 offset:36
	buffer_store_dword v1, off, s[0:3], 0 offset:32
	flat_load_dwordx4 v[1:4], v[55:56]
	v_lshlrev_b64 v[8:9], 4, v[7:8]
	v_add_nc_u32_e32 v7, s13, v7
	s_waitcnt vmcnt(0) lgkmcnt(0)
	buffer_store_dword v4, off, s[0:3], 0 offset:60
	buffer_store_dword v3, off, s[0:3], 0 offset:56
	buffer_store_dword v2, off, s[0:3], 0 offset:52
	buffer_store_dword v1, off, s[0:3], 0 offset:48
	flat_load_dwordx4 v[1:4], v[53:54]
	v_add_co_u32 v45, vcc_lo, s6, v8
	v_add_co_ci_u32_e64 v46, null, s7, v9, vcc_lo
	v_ashrrev_i32_e32 v8, 31, v7
	s_waitcnt vmcnt(0) lgkmcnt(0)
	buffer_store_dword v4, off, s[0:3], 0 offset:76
	buffer_store_dword v3, off, s[0:3], 0 offset:72
	buffer_store_dword v2, off, s[0:3], 0 offset:68
	buffer_store_dword v1, off, s[0:3], 0 offset:64
	;; [unrolled: 17-line block ×4, first 2 shown]
	flat_load_dwordx4 v[1:4], v[41:42]
	v_lshlrev_b64 v[8:9], 4, v[7:8]
	v_add_nc_u32_e32 v7, s13, v7
	s_waitcnt vmcnt(0) lgkmcnt(0)
	buffer_store_dword v4, off, s[0:3], 0 offset:156
	buffer_store_dword v3, off, s[0:3], 0 offset:152
	;; [unrolled: 1-line block ×4, first 2 shown]
	v_add_co_u32 v39, vcc_lo, s6, v8
	v_add_co_ci_u32_e64 v40, null, s7, v9, vcc_lo
	v_ashrrev_i32_e32 v8, 31, v7
	flat_load_dwordx4 v[1:4], v[39:40]
	s_waitcnt vmcnt(0) lgkmcnt(0)
	buffer_store_dword v4, off, s[0:3], 0 offset:172
	buffer_store_dword v3, off, s[0:3], 0 offset:168
	buffer_store_dword v2, off, s[0:3], 0 offset:164
	buffer_store_dword v1, off, s[0:3], 0 offset:160
	v_lshlrev_b64 v[8:9], 4, v[7:8]
	v_add_nc_u32_e32 v7, s13, v7
	v_add_co_u32 v37, vcc_lo, s6, v8
	v_add_co_ci_u32_e64 v38, null, s7, v9, vcc_lo
	v_ashrrev_i32_e32 v8, 31, v7
	flat_load_dwordx4 v[1:4], v[37:38]
	s_waitcnt vmcnt(0) lgkmcnt(0)
	buffer_store_dword v4, off, s[0:3], 0 offset:188
	buffer_store_dword v3, off, s[0:3], 0 offset:184
	buffer_store_dword v2, off, s[0:3], 0 offset:180
	buffer_store_dword v1, off, s[0:3], 0 offset:176
	v_lshlrev_b64 v[8:9], 4, v[7:8]
	v_add_nc_u32_e32 v7, s13, v7
	;; [unrolled: 11-line block ×13, first 2 shown]
	v_add_co_u32 v11, vcc_lo, s6, v8
	v_add_co_ci_u32_e64 v12, null, s7, v9, vcc_lo
	v_ashrrev_i32_e32 v8, 31, v7
	v_add_nc_u32_e32 v33, s13, v7
	flat_load_dwordx4 v[1:4], v[11:12]
	s_waitcnt vmcnt(0) lgkmcnt(0)
	buffer_store_dword v4, off, s[0:3], 0 offset:380
	buffer_store_dword v3, off, s[0:3], 0 offset:376
	;; [unrolled: 1-line block ×4, first 2 shown]
	v_lshlrev_b64 v[9:10], 4, v[7:8]
	v_ashrrev_i32_e32 v34, 31, v33
	v_add_nc_u32_e32 v51, s13, v33
	v_add_co_u32 v9, vcc_lo, s6, v9
	v_add_co_ci_u32_e64 v10, null, s7, v10, vcc_lo
	v_lshlrev_b64 v[7:8], 4, v[33:34]
	v_ashrrev_i32_e32 v52, 31, v51
	v_add_nc_u32_e32 v61, s13, v51
	flat_load_dwordx4 v[1:4], v[9:10]
	s_waitcnt vmcnt(0) lgkmcnt(0)
	buffer_store_dword v4, off, s[0:3], 0 offset:396
	buffer_store_dword v3, off, s[0:3], 0 offset:392
	buffer_store_dword v2, off, s[0:3], 0 offset:388
	buffer_store_dword v1, off, s[0:3], 0 offset:384
	v_add_co_u32 v7, vcc_lo, s6, v7
	v_add_co_ci_u32_e64 v8, null, s7, v8, vcc_lo
	v_lshlrev_b64 v[33:34], 4, v[51:52]
	v_ashrrev_i32_e32 v62, 31, v61
	v_add_nc_u32_e32 v63, s13, v61
	flat_load_dwordx4 v[1:4], v[7:8]
	s_waitcnt vmcnt(0) lgkmcnt(0)
	buffer_store_dword v4, off, s[0:3], 0 offset:412
	buffer_store_dword v3, off, s[0:3], 0 offset:408
	buffer_store_dword v2, off, s[0:3], 0 offset:404
	buffer_store_dword v1, off, s[0:3], 0 offset:400
	;; [unrolled: 11-line block ×35, first 2 shown]
	v_add_co_u32 v123, vcc_lo, s6, v123
	v_add_co_ci_u32_e64 v124, null, s7, v124, vcc_lo
	v_lshlrev_b64 v[125:126], 4, v[127:128]
	v_ashrrev_i32_e32 v130, 31, v129
	flat_load_dwordx4 v[1:4], v[123:124]
	s_waitcnt vmcnt(0) lgkmcnt(0)
	buffer_store_dword v4, off, s[0:3], 0 offset:956
	buffer_store_dword v3, off, s[0:3], 0 offset:952
	;; [unrolled: 1-line block ×4, first 2 shown]
	v_add_co_u32 v125, vcc_lo, s6, v125
	v_add_co_ci_u32_e64 v126, null, s7, v126, vcc_lo
	v_lshlrev_b64 v[127:128], 4, v[129:130]
	v_add_nc_u32_e32 v129, s13, v129
	s_movk_i32 s13, 0xb0
	flat_load_dwordx4 v[1:4], v[125:126]
	s_waitcnt vmcnt(0) lgkmcnt(0)
	buffer_store_dword v4, off, s[0:3], 0 offset:972
	buffer_store_dword v3, off, s[0:3], 0 offset:968
	;; [unrolled: 1-line block ×4, first 2 shown]
	v_add_co_u32 v127, vcc_lo, s6, v127
	v_add_co_ci_u32_e64 v128, null, s7, v128, vcc_lo
	v_ashrrev_i32_e32 v130, 31, v129
	flat_load_dwordx4 v[1:4], v[127:128]
	s_waitcnt vmcnt(0) lgkmcnt(0)
	buffer_store_dword v4, off, s[0:3], 0 offset:988
	buffer_store_dword v3, off, s[0:3], 0 offset:984
	;; [unrolled: 1-line block ×4, first 2 shown]
	v_lshlrev_b64 v[129:130], 4, v[129:130]
	v_add_co_u32 v129, vcc_lo, s6, v129
	v_add_co_ci_u32_e64 v130, null, s7, v130, vcc_lo
	s_movk_i32 s6, 0x70
	s_cselect_b32 s7, -1, 0
	s_cmpk_eq_i32 s9, 0x84
	flat_load_dwordx4 v[1:4], v[129:130]
	s_waitcnt vmcnt(0) lgkmcnt(0)
	buffer_store_dword v4, off, s[0:3], 0 offset:1004
	buffer_store_dword v3, off, s[0:3], 0 offset:1000
	;; [unrolled: 1-line block ×4, first 2 shown]
	s_cbranch_scc1 .LBB126_7
; %bb.2:
	v_lshl_add_u32 v138, v0, 4, 0
                                        ; implicit-def: $vgpr133_vgpr134
                                        ; implicit-def: $vgpr3_vgpr4
	s_clause 0x3
	buffer_load_dword v131, v138, s[0:3], 0 offen
	buffer_load_dword v132, v138, s[0:3], 0 offen offset:4
	buffer_load_dword v135, v138, s[0:3], 0 offen offset:8
	;; [unrolled: 1-line block ×3, first 2 shown]
	s_waitcnt vmcnt(0)
	v_cmp_ngt_f64_e64 s9, |v[131:132]|, |v[135:136]|
	s_and_saveexec_b32 s38, s9
	s_xor_b32 s9, exec_lo, s38
	s_cbranch_execz .LBB126_4
; %bb.3:
	v_div_scale_f64 v[1:2], null, v[135:136], v[135:136], v[131:132]
	v_div_scale_f64 v[139:140], vcc_lo, v[131:132], v[135:136], v[131:132]
	v_rcp_f64_e32 v[3:4], v[1:2]
	v_fma_f64 v[133:134], -v[1:2], v[3:4], 1.0
	v_fma_f64 v[3:4], v[3:4], v[133:134], v[3:4]
	v_fma_f64 v[133:134], -v[1:2], v[3:4], 1.0
	v_fma_f64 v[3:4], v[3:4], v[133:134], v[3:4]
	v_mul_f64 v[133:134], v[139:140], v[3:4]
	v_fma_f64 v[1:2], -v[1:2], v[133:134], v[139:140]
	v_div_fmas_f64 v[1:2], v[1:2], v[3:4], v[133:134]
	v_div_fixup_f64 v[1:2], v[1:2], v[135:136], v[131:132]
	v_fma_f64 v[3:4], v[131:132], v[1:2], v[135:136]
	v_div_scale_f64 v[131:132], null, v[3:4], v[3:4], 1.0
	v_div_scale_f64 v[139:140], vcc_lo, 1.0, v[3:4], 1.0
	v_rcp_f64_e32 v[133:134], v[131:132]
	v_fma_f64 v[135:136], -v[131:132], v[133:134], 1.0
	v_fma_f64 v[133:134], v[133:134], v[135:136], v[133:134]
	v_fma_f64 v[135:136], -v[131:132], v[133:134], 1.0
	v_fma_f64 v[133:134], v[133:134], v[135:136], v[133:134]
	v_mul_f64 v[135:136], v[139:140], v[133:134]
	v_fma_f64 v[131:132], -v[131:132], v[135:136], v[139:140]
	v_div_fmas_f64 v[131:132], v[131:132], v[133:134], v[135:136]
                                        ; implicit-def: $vgpr135_vgpr136
	v_div_fixup_f64 v[3:4], v[131:132], v[3:4], 1.0
                                        ; implicit-def: $vgpr131_vgpr132
	v_mul_f64 v[133:134], v[1:2], v[3:4]
	v_xor_b32_e32 v4, 0x80000000, v4
	v_xor_b32_e32 v2, 0x80000000, v134
	v_mov_b32_e32 v1, v133
.LBB126_4:
	s_andn2_saveexec_b32 s9, s9
	s_cbranch_execz .LBB126_6
; %bb.5:
	v_div_scale_f64 v[1:2], null, v[131:132], v[131:132], v[135:136]
	v_div_scale_f64 v[139:140], vcc_lo, v[135:136], v[131:132], v[135:136]
	v_rcp_f64_e32 v[3:4], v[1:2]
	v_fma_f64 v[133:134], -v[1:2], v[3:4], 1.0
	v_fma_f64 v[3:4], v[3:4], v[133:134], v[3:4]
	v_fma_f64 v[133:134], -v[1:2], v[3:4], 1.0
	v_fma_f64 v[3:4], v[3:4], v[133:134], v[3:4]
	v_mul_f64 v[133:134], v[139:140], v[3:4]
	v_fma_f64 v[1:2], -v[1:2], v[133:134], v[139:140]
	v_div_fmas_f64 v[1:2], v[1:2], v[3:4], v[133:134]
	v_div_fixup_f64 v[1:2], v[1:2], v[131:132], v[135:136]
	v_fma_f64 v[3:4], v[135:136], v[1:2], v[131:132]
	v_div_scale_f64 v[131:132], null, v[3:4], v[3:4], 1.0
	v_rcp_f64_e32 v[133:134], v[131:132]
	v_fma_f64 v[135:136], -v[131:132], v[133:134], 1.0
	v_fma_f64 v[133:134], v[133:134], v[135:136], v[133:134]
	v_fma_f64 v[135:136], -v[131:132], v[133:134], 1.0
	v_fma_f64 v[133:134], v[133:134], v[135:136], v[133:134]
	v_div_scale_f64 v[135:136], vcc_lo, 1.0, v[3:4], 1.0
	v_mul_f64 v[139:140], v[135:136], v[133:134]
	v_fma_f64 v[131:132], -v[131:132], v[139:140], v[135:136]
	v_div_fmas_f64 v[131:132], v[131:132], v[133:134], v[139:140]
	v_div_fixup_f64 v[133:134], v[131:132], v[3:4], 1.0
	v_mul_f64 v[3:4], v[1:2], -v[133:134]
	v_xor_b32_e32 v2, 0x80000000, v134
	v_mov_b32_e32 v1, v133
.LBB126_6:
	s_or_b32 exec_lo, exec_lo, s9
	buffer_store_dword v4, v138, s[0:3], 0 offen offset:12
	v_xor_b32_e32 v4, 0x80000000, v4
	buffer_store_dword v134, v138, s[0:3], 0 offen offset:4
	buffer_store_dword v133, v138, s[0:3], 0 offen
	buffer_store_dword v3, v138, s[0:3], 0 offen offset:8
	s_branch .LBB126_8
.LBB126_7:
	v_mov_b32_e32 v1, 0
	v_mov_b32_e32 v3, 0
	;; [unrolled: 1-line block ×4, first 2 shown]
.LBB126_8:
	v_add_nc_u32_e32 v132, 0x3f0, v137
	v_mov_b32_e32 v131, v137
	s_mov_b32 s71, 16
	s_mov_b32 s70, 32
	s_mov_b32 s69, 48
	s_mov_b32 s68, 64
	s_mov_b32 s67, s4
	s_mov_b32 s66, s5
	s_mov_b32 s65, s6
	s_mov_b32 s64, s10
	s_mov_b32 s63, s11
	s_mov_b32 s62, s12
	s_mov_b32 s61, s13
	s_mov_b32 s60, s14
	s_mov_b32 s59, s15
	s_mov_b32 s58, s16
	s_mov_b32 s57, s17
	s_mov_b32 s56, s18
	s_mov_b32 s55, s19
	s_mov_b32 s54, s20
	s_mov_b32 s53, s21
	s_mov_b32 s52, s22
	s_mov_b32 s51, s23
	s_mov_b32 s50, s24
	s_mov_b32 s49, s25
	s_mov_b32 s48, s26
	s_mov_b32 s47, s27
	s_mov_b32 s46, s28
	s_mov_b32 s45, s29
	s_mov_b32 s44, s30
	s_mov_b32 s43, s31
	s_mov_b32 s42, s33
	s_mov_b32 s41, s34
	s_mov_b32 s40, s35
	s_mov_b32 s39, s36
	s_mov_b32 s38, s37
	s_mov_b32 s37, s72
	s_mov_b32 s36, s73
	s_mov_b32 s35, s74
	s_mov_b32 s34, s75
	s_mov_b32 s33, s76
	s_mov_b32 s31, s77
	s_mov_b32 s30, s78
	s_mov_b32 s29, s79
	s_mov_b32 s28, s80
	s_mov_b32 s27, s81
	s_mov_b32 s26, s82
	s_mov_b32 s25, s83
	s_mov_b32 s24, s84
	s_mov_b32 s23, s85
	s_mov_b32 s22, s86
	s_mov_b32 s21, s87
	s_mov_b32 s20, s88
	s_mov_b32 s19, s89
	s_mov_b32 s18, s90
	s_mov_b32 s17, s91
	s_mov_b32 s16, s92
	s_mov_b32 s15, s93
	s_mov_b32 s14, s94
	s_mov_b32 s13, s95
	s_mov_b32 s12, s96
	s_mov_b32 s11, s97
	s_mov_b32 s10, s98
	s_mov_b32 s9, s99
	s_cmpk_eq_i32 s8, 0x79
	ds_write_b128 v137, v[1:4]
	s_cbranch_scc1 .LBB126_860
; %bb.9:
	v_mov_b32_e32 v4, s10
	v_cmp_eq_u32_e64 s4, 62, v0
	s_clause 0x3
	buffer_load_dword v1, v4, s[0:3], 0 offen
	buffer_load_dword v2, v4, s[0:3], 0 offen offset:4
	buffer_load_dword v3, v4, s[0:3], 0 offen offset:8
	;; [unrolled: 1-line block ×3, first 2 shown]
	s_waitcnt vmcnt(0)
	ds_write_b128 v132, v[1:4]
	s_waitcnt lgkmcnt(0)
	s_waitcnt_vscnt null, 0x0
	s_barrier
	buffer_gl0_inv
	s_and_saveexec_b32 s5, s4
	s_cbranch_execz .LBB126_13
; %bb.10:
	ds_read_b128 v[1:4], v132
	s_andn2_b32 vcc_lo, exec_lo, s7
	s_cbranch_vccnz .LBB126_12
; %bb.11:
	s_clause 0x3
	buffer_load_dword v133, v131, s[0:3], 0 offen offset:8
	buffer_load_dword v134, v131, s[0:3], 0 offen offset:12
	buffer_load_dword v135, v131, s[0:3], 0 offen
	buffer_load_dword v136, v131, s[0:3], 0 offen offset:4
	s_waitcnt vmcnt(2) lgkmcnt(0)
	v_mul_f64 v[138:139], v[3:4], v[133:134]
	v_mul_f64 v[133:134], v[1:2], v[133:134]
	s_waitcnt vmcnt(0)
	v_fma_f64 v[1:2], v[1:2], v[135:136], -v[138:139]
	v_fma_f64 v[3:4], v[3:4], v[135:136], v[133:134]
.LBB126_12:
	v_mov_b32_e32 v133, 0
	ds_read_b128 v[133:136], v133 offset:976
	s_waitcnt lgkmcnt(0)
	v_mul_f64 v[138:139], v[3:4], v[135:136]
	v_mul_f64 v[135:136], v[1:2], v[135:136]
	v_fma_f64 v[1:2], v[1:2], v[133:134], -v[138:139]
	v_fma_f64 v[3:4], v[3:4], v[133:134], v[135:136]
	buffer_store_dword v2, off, s[0:3], 0 offset:980
	buffer_store_dword v1, off, s[0:3], 0 offset:976
	buffer_store_dword v4, off, s[0:3], 0 offset:988
	buffer_store_dword v3, off, s[0:3], 0 offset:984
.LBB126_13:
	s_or_b32 exec_lo, exec_lo, s5
	v_mov_b32_e32 v4, s11
	v_cmp_lt_u32_e64 s5, 60, v0
	s_clause 0x3
	buffer_load_dword v1, v4, s[0:3], 0 offen
	buffer_load_dword v2, v4, s[0:3], 0 offen offset:4
	buffer_load_dword v3, v4, s[0:3], 0 offen offset:8
	;; [unrolled: 1-line block ×3, first 2 shown]
	s_waitcnt vmcnt(0)
	ds_write_b128 v132, v[1:4]
	s_waitcnt lgkmcnt(0)
	s_waitcnt_vscnt null, 0x0
	s_barrier
	buffer_gl0_inv
	s_and_saveexec_b32 s6, s5
	s_cbranch_execz .LBB126_19
; %bb.14:
	ds_read_b128 v[1:4], v132
	s_andn2_b32 vcc_lo, exec_lo, s7
	s_cbranch_vccnz .LBB126_16
; %bb.15:
	s_clause 0x3
	buffer_load_dword v133, v131, s[0:3], 0 offen offset:8
	buffer_load_dword v134, v131, s[0:3], 0 offen offset:12
	buffer_load_dword v135, v131, s[0:3], 0 offen
	buffer_load_dword v136, v131, s[0:3], 0 offen offset:4
	s_waitcnt vmcnt(2) lgkmcnt(0)
	v_mul_f64 v[138:139], v[3:4], v[133:134]
	v_mul_f64 v[133:134], v[1:2], v[133:134]
	s_waitcnt vmcnt(0)
	v_fma_f64 v[1:2], v[1:2], v[135:136], -v[138:139]
	v_fma_f64 v[3:4], v[3:4], v[135:136], v[133:134]
.LBB126_16:
	s_and_saveexec_b32 s8, s4
	s_cbranch_execz .LBB126_18
; %bb.17:
	s_clause 0x3
	buffer_load_dword v138, off, s[0:3], 0 offset:984
	buffer_load_dword v139, off, s[0:3], 0 offset:988
	;; [unrolled: 1-line block ×4, first 2 shown]
	v_mov_b32_e32 v133, 0
	ds_read_b128 v[133:136], v133 offset:1984
	s_waitcnt vmcnt(2) lgkmcnt(0)
	v_mul_f64 v[142:143], v[133:134], v[138:139]
	v_mul_f64 v[138:139], v[135:136], v[138:139]
	s_waitcnt vmcnt(0)
	v_fma_f64 v[135:136], v[135:136], v[140:141], v[142:143]
	v_fma_f64 v[133:134], v[133:134], v[140:141], -v[138:139]
	v_add_f64 v[3:4], v[3:4], v[135:136]
	v_add_f64 v[1:2], v[1:2], v[133:134]
.LBB126_18:
	s_or_b32 exec_lo, exec_lo, s8
	v_mov_b32_e32 v133, 0
	ds_read_b128 v[133:136], v133 offset:960
	s_waitcnt lgkmcnt(0)
	v_mul_f64 v[138:139], v[3:4], v[135:136]
	v_mul_f64 v[135:136], v[1:2], v[135:136]
	v_fma_f64 v[1:2], v[1:2], v[133:134], -v[138:139]
	v_fma_f64 v[3:4], v[3:4], v[133:134], v[135:136]
	buffer_store_dword v2, off, s[0:3], 0 offset:964
	buffer_store_dword v1, off, s[0:3], 0 offset:960
	;; [unrolled: 1-line block ×4, first 2 shown]
.LBB126_19:
	s_or_b32 exec_lo, exec_lo, s6
	v_mov_b32_e32 v4, s12
	v_cmp_lt_u32_e64 s4, 59, v0
	s_clause 0x3
	buffer_load_dword v1, v4, s[0:3], 0 offen
	buffer_load_dword v2, v4, s[0:3], 0 offen offset:4
	buffer_load_dword v3, v4, s[0:3], 0 offen offset:8
	;; [unrolled: 1-line block ×3, first 2 shown]
	s_waitcnt vmcnt(0)
	ds_write_b128 v132, v[1:4]
	s_waitcnt lgkmcnt(0)
	s_waitcnt_vscnt null, 0x0
	s_barrier
	buffer_gl0_inv
	s_and_saveexec_b32 s6, s4
	s_cbranch_execz .LBB126_33
; %bb.20:
	ds_read_b128 v[1:4], v132
	s_andn2_b32 vcc_lo, exec_lo, s7
	s_cbranch_vccnz .LBB126_22
; %bb.21:
	s_clause 0x3
	buffer_load_dword v133, v131, s[0:3], 0 offen offset:8
	buffer_load_dword v134, v131, s[0:3], 0 offen offset:12
	buffer_load_dword v135, v131, s[0:3], 0 offen
	buffer_load_dword v136, v131, s[0:3], 0 offen offset:4
	s_waitcnt vmcnt(2) lgkmcnt(0)
	v_mul_f64 v[138:139], v[3:4], v[133:134]
	v_mul_f64 v[133:134], v[1:2], v[133:134]
	s_waitcnt vmcnt(0)
	v_fma_f64 v[1:2], v[1:2], v[135:136], -v[138:139]
	v_fma_f64 v[3:4], v[3:4], v[135:136], v[133:134]
.LBB126_22:
	s_and_saveexec_b32 s8, s5
	s_cbranch_execz .LBB126_32
; %bb.23:
	v_subrev_nc_u32_e32 v134, 61, v0
	v_mov_b32_e32 v135, 60
	v_subrev_nc_u32_e32 v133, 60, v0
	s_mov_b32 s5, exec_lo
	v_cmpx_lt_u32_e32 6, v134
	s_cbranch_execz .LBB126_27
; %bb.24:
	v_and_b32_e32 v134, -8, v133
	s_movk_i32 s73, 0x7b0
	s_mov_b32 s72, 0
	s_mov_b32 s74, s11
	;; [unrolled: 1-line block ×3, first 2 shown]
.LBB126_25:                             ; =>This Inner Loop Header: Depth=1
	v_mov_b32_e32 v138, s74
	v_mov_b32_e32 v188, s73
	s_add_i32 s76, s75, 8
	s_addk_i32 s75, 0x44
	v_cmp_eq_u32_e32 vcc_lo, s76, v134
	s_clause 0x1f
	buffer_load_dword v135, v138, s[0:3], 0 offen offset:8
	buffer_load_dword v136, v138, s[0:3], 0 offen offset:12
	;; [unrolled: 1-line block ×4, first 2 shown]
	buffer_load_dword v156, v138, s[0:3], 0 offen
	buffer_load_dword v157, v138, s[0:3], 0 offen offset:4
	buffer_load_dword v158, v138, s[0:3], 0 offen offset:40
	;; [unrolled: 1-line block ×27, first 2 shown]
	ds_read_b128 v[138:141], v188
	ds_read_b128 v[142:145], v188 offset:16
	ds_read_b128 v[146:149], v188 offset:32
	;; [unrolled: 1-line block ×3, first 2 shown]
	s_addk_i32 s73, 0x80
	s_addk_i32 s74, 0x80
	s_or_b32 s72, vcc_lo, s72
	s_waitcnt vmcnt(30) lgkmcnt(3)
	v_mul_f64 v[184:185], v[140:141], v[135:136]
	v_mul_f64 v[135:136], v[138:139], v[135:136]
	s_waitcnt vmcnt(28) lgkmcnt(2)
	v_mul_f64 v[186:187], v[144:145], v[154:155]
	v_mul_f64 v[154:155], v[142:143], v[154:155]
	s_waitcnt vmcnt(26)
	v_fma_f64 v[138:139], v[138:139], v[156:157], -v[184:185]
	v_fma_f64 v[135:136], v[140:141], v[156:157], v[135:136]
	s_waitcnt vmcnt(24) lgkmcnt(1)
	v_mul_f64 v[140:141], v[148:149], v[158:159]
	v_mul_f64 v[156:157], v[146:147], v[158:159]
	s_waitcnt vmcnt(22)
	v_fma_f64 v[142:143], v[142:143], v[160:161], -v[186:187]
	v_fma_f64 v[144:145], v[144:145], v[160:161], v[154:155]
	v_add_f64 v[1:2], v[1:2], v[138:139]
	v_add_f64 v[3:4], v[3:4], v[135:136]
	s_waitcnt vmcnt(20) lgkmcnt(0)
	v_mul_f64 v[135:136], v[152:153], v[162:163]
	v_mul_f64 v[138:139], v[150:151], v[162:163]
	s_waitcnt vmcnt(18)
	v_fma_f64 v[140:141], v[146:147], v[164:165], -v[140:141]
	v_fma_f64 v[146:147], v[148:149], v[164:165], v[156:157]
	v_add_f64 v[142:143], v[1:2], v[142:143]
	v_add_f64 v[144:145], v[3:4], v[144:145]
	ds_read_b128 v[1:4], v188 offset:64
	s_waitcnt vmcnt(14)
	v_fma_f64 v[135:136], v[150:151], v[168:169], -v[135:136]
	v_fma_f64 v[150:151], v[152:153], v[168:169], v[138:139]
	v_add_f64 v[142:143], v[142:143], v[140:141]
	v_add_f64 v[144:145], v[144:145], v[146:147]
	ds_read_b128 v[138:141], v188 offset:80
	s_waitcnt lgkmcnt(1)
	v_mul_f64 v[148:149], v[3:4], v[166:167]
	v_mul_f64 v[154:155], v[1:2], v[166:167]
	s_waitcnt vmcnt(12) lgkmcnt(0)
	v_mul_f64 v[146:147], v[140:141], v[170:171]
	v_mul_f64 v[152:153], v[138:139], v[170:171]
	v_add_f64 v[135:136], v[142:143], v[135:136]
	s_waitcnt vmcnt(10)
	v_fma_f64 v[148:149], v[1:2], v[172:173], -v[148:149]
	v_fma_f64 v[154:155], v[3:4], v[172:173], v[154:155]
	v_add_f64 v[142:143], v[144:145], v[150:151]
	ds_read_b128 v[1:4], v188 offset:96
	s_waitcnt vmcnt(6)
	v_fma_f64 v[146:147], v[138:139], v[176:177], -v[146:147]
	v_fma_f64 v[152:153], v[140:141], v[176:177], v[152:153]
	ds_read_b128 v[138:141], v188 offset:112
	v_add_f64 v[135:136], v[135:136], v[148:149]
	s_waitcnt lgkmcnt(1)
	v_mul_f64 v[144:145], v[3:4], v[174:175]
	v_mul_f64 v[150:151], v[1:2], v[174:175]
	v_add_f64 v[142:143], v[142:143], v[154:155]
	s_waitcnt vmcnt(4) lgkmcnt(0)
	v_mul_f64 v[148:149], v[140:141], v[178:179]
	v_mul_f64 v[154:155], v[138:139], v[178:179]
	v_add_f64 v[135:136], v[135:136], v[146:147]
	s_waitcnt vmcnt(2)
	v_fma_f64 v[1:2], v[1:2], v[180:181], -v[144:145]
	v_fma_f64 v[3:4], v[3:4], v[180:181], v[150:151]
	v_add_f64 v[142:143], v[142:143], v[152:153]
	s_waitcnt vmcnt(0)
	v_fma_f64 v[138:139], v[138:139], v[182:183], -v[148:149]
	v_fma_f64 v[140:141], v[140:141], v[182:183], v[154:155]
	v_add_f64 v[1:2], v[135:136], v[1:2]
	v_mov_b32_e32 v135, s75
	v_add_f64 v[3:4], v[142:143], v[3:4]
	s_mov_b32 s75, s76
	v_add_f64 v[1:2], v[1:2], v[138:139]
	v_add_f64 v[3:4], v[3:4], v[140:141]
	s_andn2_b32 exec_lo, exec_lo, s72
	s_cbranch_execnz .LBB126_25
; %bb.26:
	s_or_b32 exec_lo, exec_lo, s72
.LBB126_27:
	s_or_b32 exec_lo, exec_lo, s5
	v_and_b32_e32 v133, 7, v133
	s_mov_b32 s72, 0
	s_mov_b32 s5, exec_lo
	v_cmpx_ne_u32_e32 0, v133
	s_cbranch_execz .LBB126_31
; %bb.28:
	v_lshlrev_b32_e32 v135, 4, v135
	v_add_nc_u32_e32 v134, 0x3f0, v135
	.p2align	6
.LBB126_29:                             ; =>This Inner Loop Header: Depth=1
	s_clause 0x3
	buffer_load_dword v142, v135, s[0:3], 0 offen offset:8
	buffer_load_dword v143, v135, s[0:3], 0 offen offset:12
	buffer_load_dword v144, v135, s[0:3], 0 offen
	buffer_load_dword v145, v135, s[0:3], 0 offen offset:4
	ds_read_b128 v[138:141], v134
	v_add_nc_u32_e32 v133, -1, v133
	v_add_nc_u32_e32 v134, 16, v134
	v_add_nc_u32_e32 v135, 16, v135
	v_cmp_eq_u32_e32 vcc_lo, 0, v133
	s_or_b32 s72, vcc_lo, s72
	s_waitcnt vmcnt(2) lgkmcnt(0)
	v_mul_f64 v[146:147], v[140:141], v[142:143]
	v_mul_f64 v[142:143], v[138:139], v[142:143]
	s_waitcnt vmcnt(0)
	v_fma_f64 v[138:139], v[138:139], v[144:145], -v[146:147]
	v_fma_f64 v[140:141], v[140:141], v[144:145], v[142:143]
	v_add_f64 v[1:2], v[1:2], v[138:139]
	v_add_f64 v[3:4], v[3:4], v[140:141]
	s_andn2_b32 exec_lo, exec_lo, s72
	s_cbranch_execnz .LBB126_29
; %bb.30:
	s_or_b32 exec_lo, exec_lo, s72
.LBB126_31:
	s_or_b32 exec_lo, exec_lo, s5
.LBB126_32:
	s_or_b32 exec_lo, exec_lo, s8
	v_mov_b32_e32 v133, 0
	ds_read_b128 v[133:136], v133 offset:944
	s_waitcnt lgkmcnt(0)
	v_mul_f64 v[138:139], v[3:4], v[135:136]
	v_mul_f64 v[135:136], v[1:2], v[135:136]
	v_fma_f64 v[1:2], v[1:2], v[133:134], -v[138:139]
	v_fma_f64 v[3:4], v[3:4], v[133:134], v[135:136]
	buffer_store_dword v2, off, s[0:3], 0 offset:948
	buffer_store_dword v1, off, s[0:3], 0 offset:944
	;; [unrolled: 1-line block ×4, first 2 shown]
.LBB126_33:
	s_or_b32 exec_lo, exec_lo, s6
	v_mov_b32_e32 v4, s13
	v_cmp_lt_u32_e64 s5, 58, v0
	s_clause 0x3
	buffer_load_dword v1, v4, s[0:3], 0 offen
	buffer_load_dword v2, v4, s[0:3], 0 offen offset:4
	buffer_load_dword v3, v4, s[0:3], 0 offen offset:8
	;; [unrolled: 1-line block ×3, first 2 shown]
	s_waitcnt vmcnt(0)
	ds_write_b128 v132, v[1:4]
	s_waitcnt lgkmcnt(0)
	s_waitcnt_vscnt null, 0x0
	s_barrier
	buffer_gl0_inv
	s_and_saveexec_b32 s6, s5
	s_cbranch_execz .LBB126_47
; %bb.34:
	ds_read_b128 v[1:4], v132
	s_andn2_b32 vcc_lo, exec_lo, s7
	s_cbranch_vccnz .LBB126_36
; %bb.35:
	s_clause 0x3
	buffer_load_dword v133, v131, s[0:3], 0 offen offset:8
	buffer_load_dword v134, v131, s[0:3], 0 offen offset:12
	buffer_load_dword v135, v131, s[0:3], 0 offen
	buffer_load_dword v136, v131, s[0:3], 0 offen offset:4
	s_waitcnt vmcnt(2) lgkmcnt(0)
	v_mul_f64 v[138:139], v[3:4], v[133:134]
	v_mul_f64 v[133:134], v[1:2], v[133:134]
	s_waitcnt vmcnt(0)
	v_fma_f64 v[1:2], v[1:2], v[135:136], -v[138:139]
	v_fma_f64 v[3:4], v[3:4], v[135:136], v[133:134]
.LBB126_36:
	s_and_saveexec_b32 s8, s4
	s_cbranch_execz .LBB126_46
; %bb.37:
	v_subrev_nc_u32_e32 v134, 60, v0
	v_mov_b32_e32 v135, 59
	v_subrev_nc_u32_e32 v133, 59, v0
	s_mov_b32 s4, exec_lo
	v_cmpx_lt_u32_e32 6, v134
	s_cbranch_execz .LBB126_41
; %bb.38:
	v_and_b32_e32 v134, -8, v133
	s_movk_i32 s73, 0x7a0
	s_mov_b32 s72, 0
	s_mov_b32 s74, s12
	;; [unrolled: 1-line block ×3, first 2 shown]
.LBB126_39:                             ; =>This Inner Loop Header: Depth=1
	v_mov_b32_e32 v138, s74
	v_mov_b32_e32 v184, s73
	s_add_i32 s76, s75, 8
	s_addk_i32 s75, 0x43
	v_cmp_eq_u32_e32 vcc_lo, s76, v134
	s_clause 0x1f
	buffer_load_dword v135, v138, s[0:3], 0 offen offset:8
	buffer_load_dword v136, v138, s[0:3], 0 offen offset:12
	buffer_load_dword v146, v138, s[0:3], 0 offen
	buffer_load_dword v147, v138, s[0:3], 0 offen offset:4
	buffer_load_dword v148, v138, s[0:3], 0 offen offset:24
	;; [unrolled: 1-line block ×29, first 2 shown]
	ds_read_b128 v[138:141], v184
	ds_read_b128 v[142:145], v184 offset:16
	s_addk_i32 s73, 0x80
	s_addk_i32 s74, 0x80
	s_or_b32 s72, vcc_lo, s72
	s_waitcnt vmcnt(30) lgkmcnt(1)
	v_mul_f64 v[176:177], v[140:141], v[135:136]
	v_mul_f64 v[135:136], v[138:139], v[135:136]
	s_waitcnt vmcnt(26) lgkmcnt(0)
	v_mul_f64 v[178:179], v[144:145], v[148:149]
	v_mul_f64 v[180:181], v[142:143], v[148:149]
	v_fma_f64 v[176:177], v[138:139], v[146:147], -v[176:177]
	v_fma_f64 v[135:136], v[140:141], v[146:147], v[135:136]
	ds_read_b128 v[138:141], v184 offset:32
	ds_read_b128 v[146:149], v184 offset:48
	s_waitcnt vmcnt(24)
	v_fma_f64 v[142:143], v[142:143], v[150:151], -v[178:179]
	v_fma_f64 v[144:145], v[144:145], v[150:151], v[180:181]
	s_waitcnt vmcnt(22) lgkmcnt(1)
	v_mul_f64 v[182:183], v[140:141], v[152:153]
	v_mul_f64 v[152:153], v[138:139], v[152:153]
	v_add_f64 v[1:2], v[1:2], v[176:177]
	v_add_f64 v[3:4], v[3:4], v[135:136]
	s_waitcnt vmcnt(18) lgkmcnt(0)
	v_mul_f64 v[135:136], v[148:149], v[156:157]
	v_mul_f64 v[150:151], v[146:147], v[156:157]
	v_fma_f64 v[156:157], v[138:139], v[154:155], -v[182:183]
	v_fma_f64 v[152:153], v[140:141], v[154:155], v[152:153]
	v_add_f64 v[142:143], v[1:2], v[142:143]
	v_add_f64 v[144:145], v[3:4], v[144:145]
	ds_read_b128 v[1:4], v184 offset:64
	ds_read_b128 v[138:141], v184 offset:80
	s_waitcnt vmcnt(16)
	v_fma_f64 v[135:136], v[146:147], v[158:159], -v[135:136]
	v_fma_f64 v[146:147], v[148:149], v[158:159], v[150:151]
	s_waitcnt vmcnt(12) lgkmcnt(1)
	v_mul_f64 v[154:155], v[3:4], v[160:161]
	v_mul_f64 v[160:161], v[1:2], v[160:161]
	v_add_f64 v[142:143], v[142:143], v[156:157]
	v_add_f64 v[144:145], v[144:145], v[152:153]
	s_waitcnt vmcnt(10) lgkmcnt(0)
	v_mul_f64 v[148:149], v[140:141], v[162:163]
	v_mul_f64 v[150:151], v[138:139], v[162:163]
	s_waitcnt vmcnt(8)
	v_fma_f64 v[152:153], v[1:2], v[166:167], -v[154:155]
	v_fma_f64 v[154:155], v[3:4], v[166:167], v[160:161]
	v_add_f64 v[135:136], v[142:143], v[135:136]
	v_add_f64 v[146:147], v[144:145], v[146:147]
	ds_read_b128 v[1:4], v184 offset:96
	ds_read_b128 v[142:145], v184 offset:112
	v_fma_f64 v[138:139], v[138:139], v[164:165], -v[148:149]
	v_fma_f64 v[140:141], v[140:141], v[164:165], v[150:151]
	s_waitcnt vmcnt(4) lgkmcnt(1)
	v_mul_f64 v[156:157], v[3:4], v[168:169]
	v_mul_f64 v[158:159], v[1:2], v[168:169]
	v_add_f64 v[135:136], v[135:136], v[152:153]
	v_add_f64 v[146:147], v[146:147], v[154:155]
	s_waitcnt vmcnt(2) lgkmcnt(0)
	v_mul_f64 v[148:149], v[144:145], v[170:171]
	v_mul_f64 v[150:151], v[142:143], v[170:171]
	s_waitcnt vmcnt(0)
	v_fma_f64 v[1:2], v[1:2], v[174:175], -v[156:157]
	v_fma_f64 v[3:4], v[3:4], v[174:175], v[158:159]
	v_add_f64 v[135:136], v[135:136], v[138:139]
	v_add_f64 v[138:139], v[146:147], v[140:141]
	v_fma_f64 v[140:141], v[142:143], v[172:173], -v[148:149]
	v_fma_f64 v[142:143], v[144:145], v[172:173], v[150:151]
	v_add_f64 v[1:2], v[135:136], v[1:2]
	v_add_f64 v[3:4], v[138:139], v[3:4]
	v_mov_b32_e32 v135, s75
	s_mov_b32 s75, s76
	v_add_f64 v[1:2], v[1:2], v[140:141]
	v_add_f64 v[3:4], v[3:4], v[142:143]
	s_andn2_b32 exec_lo, exec_lo, s72
	s_cbranch_execnz .LBB126_39
; %bb.40:
	s_or_b32 exec_lo, exec_lo, s72
.LBB126_41:
	s_or_b32 exec_lo, exec_lo, s4
	v_and_b32_e32 v133, 7, v133
	s_mov_b32 s72, 0
	s_mov_b32 s4, exec_lo
	v_cmpx_ne_u32_e32 0, v133
	s_cbranch_execz .LBB126_45
; %bb.42:
	v_lshlrev_b32_e32 v135, 4, v135
	v_add_nc_u32_e32 v134, 0x3f0, v135
	.p2align	6
.LBB126_43:                             ; =>This Inner Loop Header: Depth=1
	s_clause 0x3
	buffer_load_dword v142, v135, s[0:3], 0 offen offset:8
	buffer_load_dword v143, v135, s[0:3], 0 offen offset:12
	buffer_load_dword v144, v135, s[0:3], 0 offen
	buffer_load_dword v145, v135, s[0:3], 0 offen offset:4
	ds_read_b128 v[138:141], v134
	v_add_nc_u32_e32 v133, -1, v133
	v_add_nc_u32_e32 v134, 16, v134
	v_add_nc_u32_e32 v135, 16, v135
	v_cmp_eq_u32_e32 vcc_lo, 0, v133
	s_or_b32 s72, vcc_lo, s72
	s_waitcnt vmcnt(2) lgkmcnt(0)
	v_mul_f64 v[146:147], v[140:141], v[142:143]
	v_mul_f64 v[142:143], v[138:139], v[142:143]
	s_waitcnt vmcnt(0)
	v_fma_f64 v[138:139], v[138:139], v[144:145], -v[146:147]
	v_fma_f64 v[140:141], v[140:141], v[144:145], v[142:143]
	v_add_f64 v[1:2], v[1:2], v[138:139]
	v_add_f64 v[3:4], v[3:4], v[140:141]
	s_andn2_b32 exec_lo, exec_lo, s72
	s_cbranch_execnz .LBB126_43
; %bb.44:
	s_or_b32 exec_lo, exec_lo, s72
.LBB126_45:
	s_or_b32 exec_lo, exec_lo, s4
.LBB126_46:
	s_or_b32 exec_lo, exec_lo, s8
	v_mov_b32_e32 v133, 0
	ds_read_b128 v[133:136], v133 offset:928
	s_waitcnt lgkmcnt(0)
	v_mul_f64 v[138:139], v[3:4], v[135:136]
	v_mul_f64 v[135:136], v[1:2], v[135:136]
	v_fma_f64 v[1:2], v[1:2], v[133:134], -v[138:139]
	v_fma_f64 v[3:4], v[3:4], v[133:134], v[135:136]
	buffer_store_dword v2, off, s[0:3], 0 offset:932
	buffer_store_dword v1, off, s[0:3], 0 offset:928
	;; [unrolled: 1-line block ×4, first 2 shown]
.LBB126_47:
	s_or_b32 exec_lo, exec_lo, s6
	v_mov_b32_e32 v4, s14
	v_cmp_lt_u32_e64 s4, 57, v0
	s_clause 0x3
	buffer_load_dword v1, v4, s[0:3], 0 offen
	buffer_load_dword v2, v4, s[0:3], 0 offen offset:4
	buffer_load_dword v3, v4, s[0:3], 0 offen offset:8
	;; [unrolled: 1-line block ×3, first 2 shown]
	s_waitcnt vmcnt(0)
	ds_write_b128 v132, v[1:4]
	s_waitcnt lgkmcnt(0)
	s_waitcnt_vscnt null, 0x0
	s_barrier
	buffer_gl0_inv
	s_and_saveexec_b32 s6, s4
	s_cbranch_execz .LBB126_61
; %bb.48:
	ds_read_b128 v[1:4], v132
	s_andn2_b32 vcc_lo, exec_lo, s7
	s_cbranch_vccnz .LBB126_50
; %bb.49:
	s_clause 0x3
	buffer_load_dword v133, v131, s[0:3], 0 offen offset:8
	buffer_load_dword v134, v131, s[0:3], 0 offen offset:12
	buffer_load_dword v135, v131, s[0:3], 0 offen
	buffer_load_dword v136, v131, s[0:3], 0 offen offset:4
	s_waitcnt vmcnt(2) lgkmcnt(0)
	v_mul_f64 v[138:139], v[3:4], v[133:134]
	v_mul_f64 v[133:134], v[1:2], v[133:134]
	s_waitcnt vmcnt(0)
	v_fma_f64 v[1:2], v[1:2], v[135:136], -v[138:139]
	v_fma_f64 v[3:4], v[3:4], v[135:136], v[133:134]
.LBB126_50:
	s_and_saveexec_b32 s8, s5
	s_cbranch_execz .LBB126_60
; %bb.51:
	v_subrev_nc_u32_e32 v134, 59, v0
	v_mov_b32_e32 v135, 58
	v_subrev_nc_u32_e32 v133, 58, v0
	s_mov_b32 s5, exec_lo
	v_cmpx_lt_u32_e32 6, v134
	s_cbranch_execz .LBB126_55
; %bb.52:
	v_and_b32_e32 v134, -8, v133
	s_movk_i32 s73, 0x790
	s_mov_b32 s72, 0
	s_mov_b32 s74, s13
	;; [unrolled: 1-line block ×3, first 2 shown]
.LBB126_53:                             ; =>This Inner Loop Header: Depth=1
	v_mov_b32_e32 v138, s74
	v_mov_b32_e32 v184, s73
	s_add_i32 s76, s75, 8
	s_addk_i32 s75, 0x42
	v_cmp_eq_u32_e32 vcc_lo, s76, v134
	s_clause 0x1f
	buffer_load_dword v135, v138, s[0:3], 0 offen offset:8
	buffer_load_dword v136, v138, s[0:3], 0 offen offset:12
	buffer_load_dword v146, v138, s[0:3], 0 offen
	buffer_load_dword v147, v138, s[0:3], 0 offen offset:4
	buffer_load_dword v148, v138, s[0:3], 0 offen offset:24
	;; [unrolled: 1-line block ×29, first 2 shown]
	ds_read_b128 v[138:141], v184
	ds_read_b128 v[142:145], v184 offset:16
	s_addk_i32 s73, 0x80
	s_addk_i32 s74, 0x80
	s_or_b32 s72, vcc_lo, s72
	s_waitcnt vmcnt(30) lgkmcnt(1)
	v_mul_f64 v[176:177], v[140:141], v[135:136]
	v_mul_f64 v[135:136], v[138:139], v[135:136]
	s_waitcnt vmcnt(26) lgkmcnt(0)
	v_mul_f64 v[178:179], v[144:145], v[148:149]
	v_mul_f64 v[180:181], v[142:143], v[148:149]
	v_fma_f64 v[176:177], v[138:139], v[146:147], -v[176:177]
	v_fma_f64 v[135:136], v[140:141], v[146:147], v[135:136]
	ds_read_b128 v[138:141], v184 offset:32
	ds_read_b128 v[146:149], v184 offset:48
	s_waitcnt vmcnt(24)
	v_fma_f64 v[142:143], v[142:143], v[150:151], -v[178:179]
	v_fma_f64 v[144:145], v[144:145], v[150:151], v[180:181]
	s_waitcnt vmcnt(22) lgkmcnt(1)
	v_mul_f64 v[182:183], v[140:141], v[152:153]
	v_mul_f64 v[152:153], v[138:139], v[152:153]
	v_add_f64 v[1:2], v[1:2], v[176:177]
	v_add_f64 v[3:4], v[3:4], v[135:136]
	s_waitcnt vmcnt(18) lgkmcnt(0)
	v_mul_f64 v[135:136], v[148:149], v[156:157]
	v_mul_f64 v[150:151], v[146:147], v[156:157]
	v_fma_f64 v[156:157], v[138:139], v[154:155], -v[182:183]
	v_fma_f64 v[152:153], v[140:141], v[154:155], v[152:153]
	v_add_f64 v[142:143], v[1:2], v[142:143]
	v_add_f64 v[144:145], v[3:4], v[144:145]
	ds_read_b128 v[1:4], v184 offset:64
	ds_read_b128 v[138:141], v184 offset:80
	s_waitcnt vmcnt(16)
	v_fma_f64 v[135:136], v[146:147], v[158:159], -v[135:136]
	v_fma_f64 v[146:147], v[148:149], v[158:159], v[150:151]
	s_waitcnt vmcnt(12) lgkmcnt(1)
	v_mul_f64 v[154:155], v[3:4], v[160:161]
	v_mul_f64 v[160:161], v[1:2], v[160:161]
	v_add_f64 v[142:143], v[142:143], v[156:157]
	v_add_f64 v[144:145], v[144:145], v[152:153]
	s_waitcnt vmcnt(10) lgkmcnt(0)
	v_mul_f64 v[148:149], v[140:141], v[162:163]
	v_mul_f64 v[150:151], v[138:139], v[162:163]
	s_waitcnt vmcnt(8)
	v_fma_f64 v[152:153], v[1:2], v[166:167], -v[154:155]
	v_fma_f64 v[154:155], v[3:4], v[166:167], v[160:161]
	v_add_f64 v[135:136], v[142:143], v[135:136]
	v_add_f64 v[146:147], v[144:145], v[146:147]
	ds_read_b128 v[1:4], v184 offset:96
	ds_read_b128 v[142:145], v184 offset:112
	v_fma_f64 v[138:139], v[138:139], v[164:165], -v[148:149]
	v_fma_f64 v[140:141], v[140:141], v[164:165], v[150:151]
	s_waitcnt vmcnt(4) lgkmcnt(1)
	v_mul_f64 v[156:157], v[3:4], v[168:169]
	v_mul_f64 v[158:159], v[1:2], v[168:169]
	v_add_f64 v[135:136], v[135:136], v[152:153]
	v_add_f64 v[146:147], v[146:147], v[154:155]
	s_waitcnt vmcnt(2) lgkmcnt(0)
	v_mul_f64 v[148:149], v[144:145], v[170:171]
	v_mul_f64 v[150:151], v[142:143], v[170:171]
	s_waitcnt vmcnt(0)
	v_fma_f64 v[1:2], v[1:2], v[174:175], -v[156:157]
	v_fma_f64 v[3:4], v[3:4], v[174:175], v[158:159]
	v_add_f64 v[135:136], v[135:136], v[138:139]
	v_add_f64 v[138:139], v[146:147], v[140:141]
	v_fma_f64 v[140:141], v[142:143], v[172:173], -v[148:149]
	v_fma_f64 v[142:143], v[144:145], v[172:173], v[150:151]
	v_add_f64 v[1:2], v[135:136], v[1:2]
	v_add_f64 v[3:4], v[138:139], v[3:4]
	v_mov_b32_e32 v135, s75
	s_mov_b32 s75, s76
	v_add_f64 v[1:2], v[1:2], v[140:141]
	v_add_f64 v[3:4], v[3:4], v[142:143]
	s_andn2_b32 exec_lo, exec_lo, s72
	s_cbranch_execnz .LBB126_53
; %bb.54:
	s_or_b32 exec_lo, exec_lo, s72
.LBB126_55:
	s_or_b32 exec_lo, exec_lo, s5
	v_and_b32_e32 v133, 7, v133
	s_mov_b32 s72, 0
	s_mov_b32 s5, exec_lo
	v_cmpx_ne_u32_e32 0, v133
	s_cbranch_execz .LBB126_59
; %bb.56:
	v_lshlrev_b32_e32 v135, 4, v135
	v_add_nc_u32_e32 v134, 0x3f0, v135
	.p2align	6
.LBB126_57:                             ; =>This Inner Loop Header: Depth=1
	s_clause 0x3
	buffer_load_dword v142, v135, s[0:3], 0 offen offset:8
	buffer_load_dword v143, v135, s[0:3], 0 offen offset:12
	buffer_load_dword v144, v135, s[0:3], 0 offen
	buffer_load_dword v145, v135, s[0:3], 0 offen offset:4
	ds_read_b128 v[138:141], v134
	v_add_nc_u32_e32 v133, -1, v133
	v_add_nc_u32_e32 v134, 16, v134
	v_add_nc_u32_e32 v135, 16, v135
	v_cmp_eq_u32_e32 vcc_lo, 0, v133
	s_or_b32 s72, vcc_lo, s72
	s_waitcnt vmcnt(2) lgkmcnt(0)
	v_mul_f64 v[146:147], v[140:141], v[142:143]
	v_mul_f64 v[142:143], v[138:139], v[142:143]
	s_waitcnt vmcnt(0)
	v_fma_f64 v[138:139], v[138:139], v[144:145], -v[146:147]
	v_fma_f64 v[140:141], v[140:141], v[144:145], v[142:143]
	v_add_f64 v[1:2], v[1:2], v[138:139]
	v_add_f64 v[3:4], v[3:4], v[140:141]
	s_andn2_b32 exec_lo, exec_lo, s72
	s_cbranch_execnz .LBB126_57
; %bb.58:
	s_or_b32 exec_lo, exec_lo, s72
.LBB126_59:
	s_or_b32 exec_lo, exec_lo, s5
.LBB126_60:
	s_or_b32 exec_lo, exec_lo, s8
	v_mov_b32_e32 v133, 0
	ds_read_b128 v[133:136], v133 offset:912
	s_waitcnt lgkmcnt(0)
	v_mul_f64 v[138:139], v[3:4], v[135:136]
	v_mul_f64 v[135:136], v[1:2], v[135:136]
	v_fma_f64 v[1:2], v[1:2], v[133:134], -v[138:139]
	v_fma_f64 v[3:4], v[3:4], v[133:134], v[135:136]
	buffer_store_dword v2, off, s[0:3], 0 offset:916
	buffer_store_dword v1, off, s[0:3], 0 offset:912
	;; [unrolled: 1-line block ×4, first 2 shown]
.LBB126_61:
	s_or_b32 exec_lo, exec_lo, s6
	v_mov_b32_e32 v4, s15
	v_cmp_lt_u32_e64 s5, 56, v0
	s_clause 0x3
	buffer_load_dword v1, v4, s[0:3], 0 offen
	buffer_load_dword v2, v4, s[0:3], 0 offen offset:4
	buffer_load_dword v3, v4, s[0:3], 0 offen offset:8
	;; [unrolled: 1-line block ×3, first 2 shown]
	s_waitcnt vmcnt(0)
	ds_write_b128 v132, v[1:4]
	s_waitcnt lgkmcnt(0)
	s_waitcnt_vscnt null, 0x0
	s_barrier
	buffer_gl0_inv
	s_and_saveexec_b32 s6, s5
	s_cbranch_execz .LBB126_75
; %bb.62:
	ds_read_b128 v[1:4], v132
	s_andn2_b32 vcc_lo, exec_lo, s7
	s_cbranch_vccnz .LBB126_64
; %bb.63:
	s_clause 0x3
	buffer_load_dword v133, v131, s[0:3], 0 offen offset:8
	buffer_load_dword v134, v131, s[0:3], 0 offen offset:12
	buffer_load_dword v135, v131, s[0:3], 0 offen
	buffer_load_dword v136, v131, s[0:3], 0 offen offset:4
	s_waitcnt vmcnt(2) lgkmcnt(0)
	v_mul_f64 v[138:139], v[3:4], v[133:134]
	v_mul_f64 v[133:134], v[1:2], v[133:134]
	s_waitcnt vmcnt(0)
	v_fma_f64 v[1:2], v[1:2], v[135:136], -v[138:139]
	v_fma_f64 v[3:4], v[3:4], v[135:136], v[133:134]
.LBB126_64:
	s_and_saveexec_b32 s8, s4
	s_cbranch_execz .LBB126_74
; %bb.65:
	v_subrev_nc_u32_e32 v134, 58, v0
	v_mov_b32_e32 v135, 57
	v_subrev_nc_u32_e32 v133, 57, v0
	s_mov_b32 s4, exec_lo
	v_cmpx_lt_u32_e32 6, v134
	s_cbranch_execz .LBB126_69
; %bb.66:
	v_and_b32_e32 v134, -8, v133
	s_movk_i32 s73, 0x780
	s_mov_b32 s72, 0
	s_mov_b32 s74, s14
	;; [unrolled: 1-line block ×3, first 2 shown]
.LBB126_67:                             ; =>This Inner Loop Header: Depth=1
	v_mov_b32_e32 v138, s74
	v_mov_b32_e32 v184, s73
	s_add_i32 s76, s75, 8
	s_addk_i32 s75, 0x41
	v_cmp_eq_u32_e32 vcc_lo, s76, v134
	s_clause 0x1f
	buffer_load_dword v135, v138, s[0:3], 0 offen offset:8
	buffer_load_dword v136, v138, s[0:3], 0 offen offset:12
	buffer_load_dword v146, v138, s[0:3], 0 offen
	buffer_load_dword v147, v138, s[0:3], 0 offen offset:4
	buffer_load_dword v148, v138, s[0:3], 0 offen offset:24
	;; [unrolled: 1-line block ×29, first 2 shown]
	ds_read_b128 v[138:141], v184
	ds_read_b128 v[142:145], v184 offset:16
	s_addk_i32 s73, 0x80
	s_addk_i32 s74, 0x80
	s_or_b32 s72, vcc_lo, s72
	s_waitcnt vmcnt(30) lgkmcnt(1)
	v_mul_f64 v[176:177], v[140:141], v[135:136]
	v_mul_f64 v[135:136], v[138:139], v[135:136]
	s_waitcnt vmcnt(26) lgkmcnt(0)
	v_mul_f64 v[178:179], v[144:145], v[148:149]
	v_mul_f64 v[180:181], v[142:143], v[148:149]
	v_fma_f64 v[176:177], v[138:139], v[146:147], -v[176:177]
	v_fma_f64 v[135:136], v[140:141], v[146:147], v[135:136]
	ds_read_b128 v[138:141], v184 offset:32
	ds_read_b128 v[146:149], v184 offset:48
	s_waitcnt vmcnt(24)
	v_fma_f64 v[142:143], v[142:143], v[150:151], -v[178:179]
	v_fma_f64 v[144:145], v[144:145], v[150:151], v[180:181]
	s_waitcnt vmcnt(22) lgkmcnt(1)
	v_mul_f64 v[182:183], v[140:141], v[152:153]
	v_mul_f64 v[152:153], v[138:139], v[152:153]
	v_add_f64 v[1:2], v[1:2], v[176:177]
	v_add_f64 v[3:4], v[3:4], v[135:136]
	s_waitcnt vmcnt(18) lgkmcnt(0)
	v_mul_f64 v[135:136], v[148:149], v[156:157]
	v_mul_f64 v[150:151], v[146:147], v[156:157]
	v_fma_f64 v[156:157], v[138:139], v[154:155], -v[182:183]
	v_fma_f64 v[152:153], v[140:141], v[154:155], v[152:153]
	v_add_f64 v[142:143], v[1:2], v[142:143]
	v_add_f64 v[144:145], v[3:4], v[144:145]
	ds_read_b128 v[1:4], v184 offset:64
	ds_read_b128 v[138:141], v184 offset:80
	s_waitcnt vmcnt(16)
	v_fma_f64 v[135:136], v[146:147], v[158:159], -v[135:136]
	v_fma_f64 v[146:147], v[148:149], v[158:159], v[150:151]
	s_waitcnt vmcnt(12) lgkmcnt(1)
	v_mul_f64 v[154:155], v[3:4], v[160:161]
	v_mul_f64 v[160:161], v[1:2], v[160:161]
	v_add_f64 v[142:143], v[142:143], v[156:157]
	v_add_f64 v[144:145], v[144:145], v[152:153]
	s_waitcnt vmcnt(10) lgkmcnt(0)
	v_mul_f64 v[148:149], v[140:141], v[162:163]
	v_mul_f64 v[150:151], v[138:139], v[162:163]
	s_waitcnt vmcnt(8)
	v_fma_f64 v[152:153], v[1:2], v[166:167], -v[154:155]
	v_fma_f64 v[154:155], v[3:4], v[166:167], v[160:161]
	v_add_f64 v[135:136], v[142:143], v[135:136]
	v_add_f64 v[146:147], v[144:145], v[146:147]
	ds_read_b128 v[1:4], v184 offset:96
	ds_read_b128 v[142:145], v184 offset:112
	v_fma_f64 v[138:139], v[138:139], v[164:165], -v[148:149]
	v_fma_f64 v[140:141], v[140:141], v[164:165], v[150:151]
	s_waitcnt vmcnt(4) lgkmcnt(1)
	v_mul_f64 v[156:157], v[3:4], v[168:169]
	v_mul_f64 v[158:159], v[1:2], v[168:169]
	v_add_f64 v[135:136], v[135:136], v[152:153]
	v_add_f64 v[146:147], v[146:147], v[154:155]
	s_waitcnt vmcnt(2) lgkmcnt(0)
	v_mul_f64 v[148:149], v[144:145], v[170:171]
	v_mul_f64 v[150:151], v[142:143], v[170:171]
	s_waitcnt vmcnt(0)
	v_fma_f64 v[1:2], v[1:2], v[174:175], -v[156:157]
	v_fma_f64 v[3:4], v[3:4], v[174:175], v[158:159]
	v_add_f64 v[135:136], v[135:136], v[138:139]
	v_add_f64 v[138:139], v[146:147], v[140:141]
	v_fma_f64 v[140:141], v[142:143], v[172:173], -v[148:149]
	v_fma_f64 v[142:143], v[144:145], v[172:173], v[150:151]
	v_add_f64 v[1:2], v[135:136], v[1:2]
	v_add_f64 v[3:4], v[138:139], v[3:4]
	v_mov_b32_e32 v135, s75
	s_mov_b32 s75, s76
	v_add_f64 v[1:2], v[1:2], v[140:141]
	v_add_f64 v[3:4], v[3:4], v[142:143]
	s_andn2_b32 exec_lo, exec_lo, s72
	s_cbranch_execnz .LBB126_67
; %bb.68:
	s_or_b32 exec_lo, exec_lo, s72
.LBB126_69:
	s_or_b32 exec_lo, exec_lo, s4
	v_and_b32_e32 v133, 7, v133
	s_mov_b32 s72, 0
	s_mov_b32 s4, exec_lo
	v_cmpx_ne_u32_e32 0, v133
	s_cbranch_execz .LBB126_73
; %bb.70:
	v_lshlrev_b32_e32 v135, 4, v135
	v_add_nc_u32_e32 v134, 0x3f0, v135
	.p2align	6
.LBB126_71:                             ; =>This Inner Loop Header: Depth=1
	s_clause 0x3
	buffer_load_dword v142, v135, s[0:3], 0 offen offset:8
	buffer_load_dword v143, v135, s[0:3], 0 offen offset:12
	buffer_load_dword v144, v135, s[0:3], 0 offen
	buffer_load_dword v145, v135, s[0:3], 0 offen offset:4
	ds_read_b128 v[138:141], v134
	v_add_nc_u32_e32 v133, -1, v133
	v_add_nc_u32_e32 v134, 16, v134
	v_add_nc_u32_e32 v135, 16, v135
	v_cmp_eq_u32_e32 vcc_lo, 0, v133
	s_or_b32 s72, vcc_lo, s72
	s_waitcnt vmcnt(2) lgkmcnt(0)
	v_mul_f64 v[146:147], v[140:141], v[142:143]
	v_mul_f64 v[142:143], v[138:139], v[142:143]
	s_waitcnt vmcnt(0)
	v_fma_f64 v[138:139], v[138:139], v[144:145], -v[146:147]
	v_fma_f64 v[140:141], v[140:141], v[144:145], v[142:143]
	v_add_f64 v[1:2], v[1:2], v[138:139]
	v_add_f64 v[3:4], v[3:4], v[140:141]
	s_andn2_b32 exec_lo, exec_lo, s72
	s_cbranch_execnz .LBB126_71
; %bb.72:
	s_or_b32 exec_lo, exec_lo, s72
.LBB126_73:
	s_or_b32 exec_lo, exec_lo, s4
.LBB126_74:
	s_or_b32 exec_lo, exec_lo, s8
	v_mov_b32_e32 v133, 0
	ds_read_b128 v[133:136], v133 offset:896
	s_waitcnt lgkmcnt(0)
	v_mul_f64 v[138:139], v[3:4], v[135:136]
	v_mul_f64 v[135:136], v[1:2], v[135:136]
	v_fma_f64 v[1:2], v[1:2], v[133:134], -v[138:139]
	v_fma_f64 v[3:4], v[3:4], v[133:134], v[135:136]
	buffer_store_dword v2, off, s[0:3], 0 offset:900
	buffer_store_dword v1, off, s[0:3], 0 offset:896
	;; [unrolled: 1-line block ×4, first 2 shown]
.LBB126_75:
	s_or_b32 exec_lo, exec_lo, s6
	v_mov_b32_e32 v4, s16
	v_cmp_lt_u32_e64 s6, 55, v0
	s_clause 0x3
	buffer_load_dword v1, v4, s[0:3], 0 offen
	buffer_load_dword v2, v4, s[0:3], 0 offen offset:4
	buffer_load_dword v3, v4, s[0:3], 0 offen offset:8
	;; [unrolled: 1-line block ×3, first 2 shown]
	s_waitcnt vmcnt(0)
	ds_write_b128 v132, v[1:4]
	s_waitcnt lgkmcnt(0)
	s_waitcnt_vscnt null, 0x0
	s_barrier
	buffer_gl0_inv
	s_and_saveexec_b32 s4, s6
	s_cbranch_execz .LBB126_89
; %bb.76:
	ds_read_b128 v[1:4], v132
	s_andn2_b32 vcc_lo, exec_lo, s7
	s_cbranch_vccnz .LBB126_78
; %bb.77:
	s_clause 0x3
	buffer_load_dword v133, v131, s[0:3], 0 offen offset:8
	buffer_load_dword v134, v131, s[0:3], 0 offen offset:12
	buffer_load_dword v135, v131, s[0:3], 0 offen
	buffer_load_dword v136, v131, s[0:3], 0 offen offset:4
	s_waitcnt vmcnt(2) lgkmcnt(0)
	v_mul_f64 v[138:139], v[3:4], v[133:134]
	v_mul_f64 v[133:134], v[1:2], v[133:134]
	s_waitcnt vmcnt(0)
	v_fma_f64 v[1:2], v[1:2], v[135:136], -v[138:139]
	v_fma_f64 v[3:4], v[3:4], v[135:136], v[133:134]
.LBB126_78:
	s_and_saveexec_b32 s8, s5
	s_cbranch_execz .LBB126_88
; %bb.79:
	v_subrev_nc_u32_e32 v133, 57, v0
	v_cmp_lt_u32_e32 vcc_lo, 6, v133
	v_mov_b32_e32 v133, 56
	s_and_saveexec_b32 s5, vcc_lo
	s_cbranch_execz .LBB126_83
; %bb.80:
	v_and_b32_e32 v133, 56, v0
	s_mov_b32 s72, 56
	s_movk_i32 s74, 0x770
	s_mov_b32 s73, 0
	s_mov_b32 s75, s15
.LBB126_81:                             ; =>This Inner Loop Header: Depth=1
	v_mov_b32_e32 v136, s75
	s_add_i32 s72, s72, 8
	s_addk_i32 s75, 0x80
	v_cmp_eq_u32_e32 vcc_lo, s72, v133
	s_clause 0x1f
	buffer_load_dword v134, v136, s[0:3], 0 offen offset:8
	buffer_load_dword v135, v136, s[0:3], 0 offen offset:12
	buffer_load_dword v146, v136, s[0:3], 0 offen
	buffer_load_dword v147, v136, s[0:3], 0 offen offset:4
	buffer_load_dword v148, v136, s[0:3], 0 offen offset:24
	;; [unrolled: 1-line block ×29, first 2 shown]
	v_mov_b32_e32 v136, s74
	s_addk_i32 s74, 0x80
	s_or_b32 s73, vcc_lo, s73
	ds_read_b128 v[138:141], v136
	ds_read_b128 v[142:145], v136 offset:16
	s_waitcnt vmcnt(30) lgkmcnt(1)
	v_mul_f64 v[176:177], v[140:141], v[134:135]
	v_mul_f64 v[134:135], v[138:139], v[134:135]
	s_waitcnt vmcnt(26) lgkmcnt(0)
	v_mul_f64 v[178:179], v[144:145], v[148:149]
	v_mul_f64 v[180:181], v[142:143], v[148:149]
	v_fma_f64 v[176:177], v[138:139], v[146:147], -v[176:177]
	v_fma_f64 v[134:135], v[140:141], v[146:147], v[134:135]
	ds_read_b128 v[138:141], v136 offset:32
	ds_read_b128 v[146:149], v136 offset:48
	s_waitcnt vmcnt(24)
	v_fma_f64 v[142:143], v[142:143], v[150:151], -v[178:179]
	v_fma_f64 v[144:145], v[144:145], v[150:151], v[180:181]
	s_waitcnt vmcnt(22) lgkmcnt(1)
	v_mul_f64 v[182:183], v[140:141], v[152:153]
	v_mul_f64 v[152:153], v[138:139], v[152:153]
	v_add_f64 v[1:2], v[1:2], v[176:177]
	v_add_f64 v[3:4], v[3:4], v[134:135]
	s_waitcnt vmcnt(18) lgkmcnt(0)
	v_mul_f64 v[134:135], v[148:149], v[156:157]
	v_mul_f64 v[150:151], v[146:147], v[156:157]
	v_fma_f64 v[156:157], v[138:139], v[154:155], -v[182:183]
	v_fma_f64 v[152:153], v[140:141], v[154:155], v[152:153]
	v_add_f64 v[142:143], v[1:2], v[142:143]
	v_add_f64 v[144:145], v[3:4], v[144:145]
	ds_read_b128 v[1:4], v136 offset:64
	ds_read_b128 v[138:141], v136 offset:80
	s_waitcnt vmcnt(16)
	v_fma_f64 v[134:135], v[146:147], v[158:159], -v[134:135]
	v_fma_f64 v[146:147], v[148:149], v[158:159], v[150:151]
	s_waitcnt vmcnt(12) lgkmcnt(1)
	v_mul_f64 v[154:155], v[3:4], v[160:161]
	v_mul_f64 v[160:161], v[1:2], v[160:161]
	v_add_f64 v[142:143], v[142:143], v[156:157]
	v_add_f64 v[144:145], v[144:145], v[152:153]
	s_waitcnt vmcnt(10) lgkmcnt(0)
	v_mul_f64 v[148:149], v[140:141], v[162:163]
	v_mul_f64 v[150:151], v[138:139], v[162:163]
	s_waitcnt vmcnt(8)
	v_fma_f64 v[152:153], v[1:2], v[166:167], -v[154:155]
	v_fma_f64 v[154:155], v[3:4], v[166:167], v[160:161]
	v_add_f64 v[134:135], v[142:143], v[134:135]
	v_add_f64 v[146:147], v[144:145], v[146:147]
	ds_read_b128 v[1:4], v136 offset:96
	ds_read_b128 v[142:145], v136 offset:112
	v_fma_f64 v[138:139], v[138:139], v[164:165], -v[148:149]
	v_fma_f64 v[140:141], v[140:141], v[164:165], v[150:151]
	s_waitcnt vmcnt(4) lgkmcnt(1)
	v_mul_f64 v[156:157], v[3:4], v[168:169]
	v_mul_f64 v[158:159], v[1:2], v[168:169]
	v_add_f64 v[134:135], v[134:135], v[152:153]
	v_add_f64 v[146:147], v[146:147], v[154:155]
	s_waitcnt vmcnt(2) lgkmcnt(0)
	v_mul_f64 v[148:149], v[144:145], v[170:171]
	v_mul_f64 v[150:151], v[142:143], v[170:171]
	s_waitcnt vmcnt(0)
	v_fma_f64 v[1:2], v[1:2], v[174:175], -v[156:157]
	v_fma_f64 v[3:4], v[3:4], v[174:175], v[158:159]
	v_add_f64 v[134:135], v[134:135], v[138:139]
	v_add_f64 v[138:139], v[146:147], v[140:141]
	v_fma_f64 v[140:141], v[142:143], v[172:173], -v[148:149]
	v_fma_f64 v[142:143], v[144:145], v[172:173], v[150:151]
	v_add_f64 v[1:2], v[134:135], v[1:2]
	v_add_f64 v[3:4], v[138:139], v[3:4]
	v_add_f64 v[1:2], v[1:2], v[140:141]
	v_add_f64 v[3:4], v[3:4], v[142:143]
	s_andn2_b32 exec_lo, exec_lo, s73
	s_cbranch_execnz .LBB126_81
; %bb.82:
	s_or_b32 exec_lo, exec_lo, s73
.LBB126_83:
	s_or_b32 exec_lo, exec_lo, s5
	v_and_b32_e32 v134, 7, v0
	s_mov_b32 s72, 0
	s_mov_b32 s5, exec_lo
	v_cmpx_ne_u32_e32 0, v134
	s_cbranch_execz .LBB126_87
; %bb.84:
	v_lshlrev_b32_e32 v135, 4, v133
	v_add_nc_u32_e32 v133, 0x3f0, v135
	.p2align	6
.LBB126_85:                             ; =>This Inner Loop Header: Depth=1
	s_clause 0x3
	buffer_load_dword v142, v135, s[0:3], 0 offen offset:8
	buffer_load_dword v143, v135, s[0:3], 0 offen offset:12
	buffer_load_dword v144, v135, s[0:3], 0 offen
	buffer_load_dword v145, v135, s[0:3], 0 offen offset:4
	ds_read_b128 v[138:141], v133
	v_add_nc_u32_e32 v134, -1, v134
	v_add_nc_u32_e32 v133, 16, v133
	v_add_nc_u32_e32 v135, 16, v135
	v_cmp_eq_u32_e32 vcc_lo, 0, v134
	s_or_b32 s72, vcc_lo, s72
	s_waitcnt vmcnt(2) lgkmcnt(0)
	v_mul_f64 v[146:147], v[140:141], v[142:143]
	v_mul_f64 v[142:143], v[138:139], v[142:143]
	s_waitcnt vmcnt(0)
	v_fma_f64 v[138:139], v[138:139], v[144:145], -v[146:147]
	v_fma_f64 v[140:141], v[140:141], v[144:145], v[142:143]
	v_add_f64 v[1:2], v[1:2], v[138:139]
	v_add_f64 v[3:4], v[3:4], v[140:141]
	s_andn2_b32 exec_lo, exec_lo, s72
	s_cbranch_execnz .LBB126_85
; %bb.86:
	s_or_b32 exec_lo, exec_lo, s72
.LBB126_87:
	s_or_b32 exec_lo, exec_lo, s5
.LBB126_88:
	s_or_b32 exec_lo, exec_lo, s8
	v_mov_b32_e32 v133, 0
	ds_read_b128 v[133:136], v133 offset:880
	s_waitcnt lgkmcnt(0)
	v_mul_f64 v[138:139], v[3:4], v[135:136]
	v_mul_f64 v[135:136], v[1:2], v[135:136]
	v_fma_f64 v[1:2], v[1:2], v[133:134], -v[138:139]
	v_fma_f64 v[3:4], v[3:4], v[133:134], v[135:136]
	buffer_store_dword v2, off, s[0:3], 0 offset:884
	buffer_store_dword v1, off, s[0:3], 0 offset:880
	;; [unrolled: 1-line block ×4, first 2 shown]
.LBB126_89:
	s_or_b32 exec_lo, exec_lo, s4
	v_mov_b32_e32 v4, s17
	v_cmp_lt_u32_e64 s4, 54, v0
	s_clause 0x3
	buffer_load_dword v1, v4, s[0:3], 0 offen
	buffer_load_dword v2, v4, s[0:3], 0 offen offset:4
	buffer_load_dword v3, v4, s[0:3], 0 offen offset:8
	;; [unrolled: 1-line block ×3, first 2 shown]
	s_waitcnt vmcnt(0)
	ds_write_b128 v132, v[1:4]
	s_waitcnt lgkmcnt(0)
	s_waitcnt_vscnt null, 0x0
	s_barrier
	buffer_gl0_inv
	s_and_saveexec_b32 s5, s4
	s_cbranch_execz .LBB126_103
; %bb.90:
	ds_read_b128 v[1:4], v132
	s_andn2_b32 vcc_lo, exec_lo, s7
	s_cbranch_vccnz .LBB126_92
; %bb.91:
	s_clause 0x3
	buffer_load_dword v133, v131, s[0:3], 0 offen offset:8
	buffer_load_dword v134, v131, s[0:3], 0 offen offset:12
	buffer_load_dword v135, v131, s[0:3], 0 offen
	buffer_load_dword v136, v131, s[0:3], 0 offen offset:4
	s_waitcnt vmcnt(2) lgkmcnt(0)
	v_mul_f64 v[138:139], v[3:4], v[133:134]
	v_mul_f64 v[133:134], v[1:2], v[133:134]
	s_waitcnt vmcnt(0)
	v_fma_f64 v[1:2], v[1:2], v[135:136], -v[138:139]
	v_fma_f64 v[3:4], v[3:4], v[135:136], v[133:134]
.LBB126_92:
	s_and_saveexec_b32 s8, s6
	s_cbranch_execz .LBB126_102
; %bb.93:
	v_subrev_nc_u32_e32 v134, 56, v0
	v_mov_b32_e32 v135, 55
	v_subrev_nc_u32_e32 v133, 55, v0
	s_mov_b32 s6, exec_lo
	v_cmpx_lt_u32_e32 6, v134
	s_cbranch_execz .LBB126_97
; %bb.94:
	v_and_b32_e32 v134, -8, v133
	s_movk_i32 s73, 0x760
	s_mov_b32 s72, 0
	s_mov_b32 s74, s16
	;; [unrolled: 1-line block ×3, first 2 shown]
.LBB126_95:                             ; =>This Inner Loop Header: Depth=1
	v_mov_b32_e32 v138, s74
	v_mov_b32_e32 v184, s73
	s_add_i32 s76, s75, 8
	s_add_i32 s75, s75, 63
	v_cmp_eq_u32_e32 vcc_lo, s76, v134
	s_clause 0x1f
	buffer_load_dword v135, v138, s[0:3], 0 offen offset:8
	buffer_load_dword v136, v138, s[0:3], 0 offen offset:12
	buffer_load_dword v146, v138, s[0:3], 0 offen
	buffer_load_dword v147, v138, s[0:3], 0 offen offset:4
	buffer_load_dword v148, v138, s[0:3], 0 offen offset:24
	;; [unrolled: 1-line block ×29, first 2 shown]
	ds_read_b128 v[138:141], v184
	ds_read_b128 v[142:145], v184 offset:16
	s_addk_i32 s73, 0x80
	s_addk_i32 s74, 0x80
	s_or_b32 s72, vcc_lo, s72
	s_waitcnt vmcnt(30) lgkmcnt(1)
	v_mul_f64 v[176:177], v[140:141], v[135:136]
	v_mul_f64 v[135:136], v[138:139], v[135:136]
	s_waitcnt vmcnt(26) lgkmcnt(0)
	v_mul_f64 v[178:179], v[144:145], v[148:149]
	v_mul_f64 v[180:181], v[142:143], v[148:149]
	v_fma_f64 v[176:177], v[138:139], v[146:147], -v[176:177]
	v_fma_f64 v[135:136], v[140:141], v[146:147], v[135:136]
	ds_read_b128 v[138:141], v184 offset:32
	ds_read_b128 v[146:149], v184 offset:48
	s_waitcnt vmcnt(24)
	v_fma_f64 v[142:143], v[142:143], v[150:151], -v[178:179]
	v_fma_f64 v[144:145], v[144:145], v[150:151], v[180:181]
	s_waitcnt vmcnt(22) lgkmcnt(1)
	v_mul_f64 v[182:183], v[140:141], v[152:153]
	v_mul_f64 v[152:153], v[138:139], v[152:153]
	v_add_f64 v[1:2], v[1:2], v[176:177]
	v_add_f64 v[3:4], v[3:4], v[135:136]
	s_waitcnt vmcnt(18) lgkmcnt(0)
	v_mul_f64 v[135:136], v[148:149], v[156:157]
	v_mul_f64 v[150:151], v[146:147], v[156:157]
	v_fma_f64 v[156:157], v[138:139], v[154:155], -v[182:183]
	v_fma_f64 v[152:153], v[140:141], v[154:155], v[152:153]
	v_add_f64 v[142:143], v[1:2], v[142:143]
	v_add_f64 v[144:145], v[3:4], v[144:145]
	ds_read_b128 v[1:4], v184 offset:64
	ds_read_b128 v[138:141], v184 offset:80
	s_waitcnt vmcnt(16)
	v_fma_f64 v[135:136], v[146:147], v[158:159], -v[135:136]
	v_fma_f64 v[146:147], v[148:149], v[158:159], v[150:151]
	s_waitcnt vmcnt(12) lgkmcnt(1)
	v_mul_f64 v[154:155], v[3:4], v[160:161]
	v_mul_f64 v[160:161], v[1:2], v[160:161]
	v_add_f64 v[142:143], v[142:143], v[156:157]
	v_add_f64 v[144:145], v[144:145], v[152:153]
	s_waitcnt vmcnt(10) lgkmcnt(0)
	v_mul_f64 v[148:149], v[140:141], v[162:163]
	v_mul_f64 v[150:151], v[138:139], v[162:163]
	s_waitcnt vmcnt(8)
	v_fma_f64 v[152:153], v[1:2], v[166:167], -v[154:155]
	v_fma_f64 v[154:155], v[3:4], v[166:167], v[160:161]
	v_add_f64 v[135:136], v[142:143], v[135:136]
	v_add_f64 v[146:147], v[144:145], v[146:147]
	ds_read_b128 v[1:4], v184 offset:96
	ds_read_b128 v[142:145], v184 offset:112
	v_fma_f64 v[138:139], v[138:139], v[164:165], -v[148:149]
	v_fma_f64 v[140:141], v[140:141], v[164:165], v[150:151]
	s_waitcnt vmcnt(4) lgkmcnt(1)
	v_mul_f64 v[156:157], v[3:4], v[168:169]
	v_mul_f64 v[158:159], v[1:2], v[168:169]
	v_add_f64 v[135:136], v[135:136], v[152:153]
	v_add_f64 v[146:147], v[146:147], v[154:155]
	s_waitcnt vmcnt(2) lgkmcnt(0)
	v_mul_f64 v[148:149], v[144:145], v[170:171]
	v_mul_f64 v[150:151], v[142:143], v[170:171]
	s_waitcnt vmcnt(0)
	v_fma_f64 v[1:2], v[1:2], v[174:175], -v[156:157]
	v_fma_f64 v[3:4], v[3:4], v[174:175], v[158:159]
	v_add_f64 v[135:136], v[135:136], v[138:139]
	v_add_f64 v[138:139], v[146:147], v[140:141]
	v_fma_f64 v[140:141], v[142:143], v[172:173], -v[148:149]
	v_fma_f64 v[142:143], v[144:145], v[172:173], v[150:151]
	v_add_f64 v[1:2], v[135:136], v[1:2]
	v_add_f64 v[3:4], v[138:139], v[3:4]
	v_mov_b32_e32 v135, s75
	s_mov_b32 s75, s76
	v_add_f64 v[1:2], v[1:2], v[140:141]
	v_add_f64 v[3:4], v[3:4], v[142:143]
	s_andn2_b32 exec_lo, exec_lo, s72
	s_cbranch_execnz .LBB126_95
; %bb.96:
	s_or_b32 exec_lo, exec_lo, s72
.LBB126_97:
	s_or_b32 exec_lo, exec_lo, s6
	v_and_b32_e32 v133, 7, v133
	s_mov_b32 s72, 0
	s_mov_b32 s6, exec_lo
	v_cmpx_ne_u32_e32 0, v133
	s_cbranch_execz .LBB126_101
; %bb.98:
	v_lshlrev_b32_e32 v135, 4, v135
	v_add_nc_u32_e32 v134, 0x3f0, v135
	.p2align	6
.LBB126_99:                             ; =>This Inner Loop Header: Depth=1
	s_clause 0x3
	buffer_load_dword v142, v135, s[0:3], 0 offen offset:8
	buffer_load_dword v143, v135, s[0:3], 0 offen offset:12
	buffer_load_dword v144, v135, s[0:3], 0 offen
	buffer_load_dword v145, v135, s[0:3], 0 offen offset:4
	ds_read_b128 v[138:141], v134
	v_add_nc_u32_e32 v133, -1, v133
	v_add_nc_u32_e32 v134, 16, v134
	v_add_nc_u32_e32 v135, 16, v135
	v_cmp_eq_u32_e32 vcc_lo, 0, v133
	s_or_b32 s72, vcc_lo, s72
	s_waitcnt vmcnt(2) lgkmcnt(0)
	v_mul_f64 v[146:147], v[140:141], v[142:143]
	v_mul_f64 v[142:143], v[138:139], v[142:143]
	s_waitcnt vmcnt(0)
	v_fma_f64 v[138:139], v[138:139], v[144:145], -v[146:147]
	v_fma_f64 v[140:141], v[140:141], v[144:145], v[142:143]
	v_add_f64 v[1:2], v[1:2], v[138:139]
	v_add_f64 v[3:4], v[3:4], v[140:141]
	s_andn2_b32 exec_lo, exec_lo, s72
	s_cbranch_execnz .LBB126_99
; %bb.100:
	s_or_b32 exec_lo, exec_lo, s72
.LBB126_101:
	s_or_b32 exec_lo, exec_lo, s6
.LBB126_102:
	s_or_b32 exec_lo, exec_lo, s8
	v_mov_b32_e32 v133, 0
	ds_read_b128 v[133:136], v133 offset:864
	s_waitcnt lgkmcnt(0)
	v_mul_f64 v[138:139], v[3:4], v[135:136]
	v_mul_f64 v[135:136], v[1:2], v[135:136]
	v_fma_f64 v[1:2], v[1:2], v[133:134], -v[138:139]
	v_fma_f64 v[3:4], v[3:4], v[133:134], v[135:136]
	buffer_store_dword v2, off, s[0:3], 0 offset:868
	buffer_store_dword v1, off, s[0:3], 0 offset:864
	;; [unrolled: 1-line block ×4, first 2 shown]
.LBB126_103:
	s_or_b32 exec_lo, exec_lo, s5
	v_mov_b32_e32 v4, s18
	v_cmp_lt_u32_e64 s5, 53, v0
	s_clause 0x3
	buffer_load_dword v1, v4, s[0:3], 0 offen
	buffer_load_dword v2, v4, s[0:3], 0 offen offset:4
	buffer_load_dword v3, v4, s[0:3], 0 offen offset:8
	buffer_load_dword v4, v4, s[0:3], 0 offen offset:12
	s_waitcnt vmcnt(0)
	ds_write_b128 v132, v[1:4]
	s_waitcnt lgkmcnt(0)
	s_waitcnt_vscnt null, 0x0
	s_barrier
	buffer_gl0_inv
	s_and_saveexec_b32 s6, s5
	s_cbranch_execz .LBB126_117
; %bb.104:
	ds_read_b128 v[1:4], v132
	s_andn2_b32 vcc_lo, exec_lo, s7
	s_cbranch_vccnz .LBB126_106
; %bb.105:
	s_clause 0x3
	buffer_load_dword v133, v131, s[0:3], 0 offen offset:8
	buffer_load_dword v134, v131, s[0:3], 0 offen offset:12
	buffer_load_dword v135, v131, s[0:3], 0 offen
	buffer_load_dword v136, v131, s[0:3], 0 offen offset:4
	s_waitcnt vmcnt(2) lgkmcnt(0)
	v_mul_f64 v[138:139], v[3:4], v[133:134]
	v_mul_f64 v[133:134], v[1:2], v[133:134]
	s_waitcnt vmcnt(0)
	v_fma_f64 v[1:2], v[1:2], v[135:136], -v[138:139]
	v_fma_f64 v[3:4], v[3:4], v[135:136], v[133:134]
.LBB126_106:
	s_and_saveexec_b32 s8, s4
	s_cbranch_execz .LBB126_116
; %bb.107:
	v_subrev_nc_u32_e32 v134, 55, v0
	v_mov_b32_e32 v135, 54
	v_subrev_nc_u32_e32 v133, 54, v0
	s_mov_b32 s4, exec_lo
	v_cmpx_lt_u32_e32 6, v134
	s_cbranch_execz .LBB126_111
; %bb.108:
	v_and_b32_e32 v134, -8, v133
	s_movk_i32 s73, 0x750
	s_mov_b32 s72, 0
	s_mov_b32 s74, s17
	;; [unrolled: 1-line block ×3, first 2 shown]
.LBB126_109:                            ; =>This Inner Loop Header: Depth=1
	v_mov_b32_e32 v138, s74
	v_mov_b32_e32 v184, s73
	s_add_i32 s76, s75, 8
	s_add_i32 s75, s75, 62
	v_cmp_eq_u32_e32 vcc_lo, s76, v134
	s_clause 0x1f
	buffer_load_dword v135, v138, s[0:3], 0 offen offset:8
	buffer_load_dword v136, v138, s[0:3], 0 offen offset:12
	buffer_load_dword v146, v138, s[0:3], 0 offen
	buffer_load_dword v147, v138, s[0:3], 0 offen offset:4
	buffer_load_dword v148, v138, s[0:3], 0 offen offset:24
	;; [unrolled: 1-line block ×29, first 2 shown]
	ds_read_b128 v[138:141], v184
	ds_read_b128 v[142:145], v184 offset:16
	s_addk_i32 s73, 0x80
	s_addk_i32 s74, 0x80
	s_or_b32 s72, vcc_lo, s72
	s_waitcnt vmcnt(30) lgkmcnt(1)
	v_mul_f64 v[176:177], v[140:141], v[135:136]
	v_mul_f64 v[135:136], v[138:139], v[135:136]
	s_waitcnt vmcnt(26) lgkmcnt(0)
	v_mul_f64 v[178:179], v[144:145], v[148:149]
	v_mul_f64 v[180:181], v[142:143], v[148:149]
	v_fma_f64 v[176:177], v[138:139], v[146:147], -v[176:177]
	v_fma_f64 v[135:136], v[140:141], v[146:147], v[135:136]
	ds_read_b128 v[138:141], v184 offset:32
	ds_read_b128 v[146:149], v184 offset:48
	s_waitcnt vmcnt(24)
	v_fma_f64 v[142:143], v[142:143], v[150:151], -v[178:179]
	v_fma_f64 v[144:145], v[144:145], v[150:151], v[180:181]
	s_waitcnt vmcnt(22) lgkmcnt(1)
	v_mul_f64 v[182:183], v[140:141], v[152:153]
	v_mul_f64 v[152:153], v[138:139], v[152:153]
	v_add_f64 v[1:2], v[1:2], v[176:177]
	v_add_f64 v[3:4], v[3:4], v[135:136]
	s_waitcnt vmcnt(18) lgkmcnt(0)
	v_mul_f64 v[135:136], v[148:149], v[156:157]
	v_mul_f64 v[150:151], v[146:147], v[156:157]
	v_fma_f64 v[156:157], v[138:139], v[154:155], -v[182:183]
	v_fma_f64 v[152:153], v[140:141], v[154:155], v[152:153]
	v_add_f64 v[142:143], v[1:2], v[142:143]
	v_add_f64 v[144:145], v[3:4], v[144:145]
	ds_read_b128 v[1:4], v184 offset:64
	ds_read_b128 v[138:141], v184 offset:80
	s_waitcnt vmcnt(16)
	v_fma_f64 v[135:136], v[146:147], v[158:159], -v[135:136]
	v_fma_f64 v[146:147], v[148:149], v[158:159], v[150:151]
	s_waitcnt vmcnt(12) lgkmcnt(1)
	v_mul_f64 v[154:155], v[3:4], v[160:161]
	v_mul_f64 v[160:161], v[1:2], v[160:161]
	v_add_f64 v[142:143], v[142:143], v[156:157]
	v_add_f64 v[144:145], v[144:145], v[152:153]
	s_waitcnt vmcnt(10) lgkmcnt(0)
	v_mul_f64 v[148:149], v[140:141], v[162:163]
	v_mul_f64 v[150:151], v[138:139], v[162:163]
	s_waitcnt vmcnt(8)
	v_fma_f64 v[152:153], v[1:2], v[166:167], -v[154:155]
	v_fma_f64 v[154:155], v[3:4], v[166:167], v[160:161]
	v_add_f64 v[135:136], v[142:143], v[135:136]
	v_add_f64 v[146:147], v[144:145], v[146:147]
	ds_read_b128 v[1:4], v184 offset:96
	ds_read_b128 v[142:145], v184 offset:112
	v_fma_f64 v[138:139], v[138:139], v[164:165], -v[148:149]
	v_fma_f64 v[140:141], v[140:141], v[164:165], v[150:151]
	s_waitcnt vmcnt(4) lgkmcnt(1)
	v_mul_f64 v[156:157], v[3:4], v[168:169]
	v_mul_f64 v[158:159], v[1:2], v[168:169]
	v_add_f64 v[135:136], v[135:136], v[152:153]
	v_add_f64 v[146:147], v[146:147], v[154:155]
	s_waitcnt vmcnt(2) lgkmcnt(0)
	v_mul_f64 v[148:149], v[144:145], v[170:171]
	v_mul_f64 v[150:151], v[142:143], v[170:171]
	s_waitcnt vmcnt(0)
	v_fma_f64 v[1:2], v[1:2], v[174:175], -v[156:157]
	v_fma_f64 v[3:4], v[3:4], v[174:175], v[158:159]
	v_add_f64 v[135:136], v[135:136], v[138:139]
	v_add_f64 v[138:139], v[146:147], v[140:141]
	v_fma_f64 v[140:141], v[142:143], v[172:173], -v[148:149]
	v_fma_f64 v[142:143], v[144:145], v[172:173], v[150:151]
	v_add_f64 v[1:2], v[135:136], v[1:2]
	v_add_f64 v[3:4], v[138:139], v[3:4]
	v_mov_b32_e32 v135, s75
	s_mov_b32 s75, s76
	v_add_f64 v[1:2], v[1:2], v[140:141]
	v_add_f64 v[3:4], v[3:4], v[142:143]
	s_andn2_b32 exec_lo, exec_lo, s72
	s_cbranch_execnz .LBB126_109
; %bb.110:
	s_or_b32 exec_lo, exec_lo, s72
.LBB126_111:
	s_or_b32 exec_lo, exec_lo, s4
	v_and_b32_e32 v133, 7, v133
	s_mov_b32 s72, 0
	s_mov_b32 s4, exec_lo
	v_cmpx_ne_u32_e32 0, v133
	s_cbranch_execz .LBB126_115
; %bb.112:
	v_lshlrev_b32_e32 v135, 4, v135
	v_add_nc_u32_e32 v134, 0x3f0, v135
	.p2align	6
.LBB126_113:                            ; =>This Inner Loop Header: Depth=1
	s_clause 0x3
	buffer_load_dword v142, v135, s[0:3], 0 offen offset:8
	buffer_load_dword v143, v135, s[0:3], 0 offen offset:12
	buffer_load_dword v144, v135, s[0:3], 0 offen
	buffer_load_dword v145, v135, s[0:3], 0 offen offset:4
	ds_read_b128 v[138:141], v134
	v_add_nc_u32_e32 v133, -1, v133
	v_add_nc_u32_e32 v134, 16, v134
	v_add_nc_u32_e32 v135, 16, v135
	v_cmp_eq_u32_e32 vcc_lo, 0, v133
	s_or_b32 s72, vcc_lo, s72
	s_waitcnt vmcnt(2) lgkmcnt(0)
	v_mul_f64 v[146:147], v[140:141], v[142:143]
	v_mul_f64 v[142:143], v[138:139], v[142:143]
	s_waitcnt vmcnt(0)
	v_fma_f64 v[138:139], v[138:139], v[144:145], -v[146:147]
	v_fma_f64 v[140:141], v[140:141], v[144:145], v[142:143]
	v_add_f64 v[1:2], v[1:2], v[138:139]
	v_add_f64 v[3:4], v[3:4], v[140:141]
	s_andn2_b32 exec_lo, exec_lo, s72
	s_cbranch_execnz .LBB126_113
; %bb.114:
	s_or_b32 exec_lo, exec_lo, s72
.LBB126_115:
	s_or_b32 exec_lo, exec_lo, s4
.LBB126_116:
	s_or_b32 exec_lo, exec_lo, s8
	v_mov_b32_e32 v133, 0
	ds_read_b128 v[133:136], v133 offset:848
	s_waitcnt lgkmcnt(0)
	v_mul_f64 v[138:139], v[3:4], v[135:136]
	v_mul_f64 v[135:136], v[1:2], v[135:136]
	v_fma_f64 v[1:2], v[1:2], v[133:134], -v[138:139]
	v_fma_f64 v[3:4], v[3:4], v[133:134], v[135:136]
	buffer_store_dword v2, off, s[0:3], 0 offset:852
	buffer_store_dword v1, off, s[0:3], 0 offset:848
	;; [unrolled: 1-line block ×4, first 2 shown]
.LBB126_117:
	s_or_b32 exec_lo, exec_lo, s6
	v_mov_b32_e32 v4, s19
	v_cmp_lt_u32_e64 s4, 52, v0
	s_clause 0x3
	buffer_load_dword v1, v4, s[0:3], 0 offen
	buffer_load_dword v2, v4, s[0:3], 0 offen offset:4
	buffer_load_dword v3, v4, s[0:3], 0 offen offset:8
	;; [unrolled: 1-line block ×3, first 2 shown]
	s_waitcnt vmcnt(0)
	ds_write_b128 v132, v[1:4]
	s_waitcnt lgkmcnt(0)
	s_waitcnt_vscnt null, 0x0
	s_barrier
	buffer_gl0_inv
	s_and_saveexec_b32 s6, s4
	s_cbranch_execz .LBB126_131
; %bb.118:
	ds_read_b128 v[1:4], v132
	s_andn2_b32 vcc_lo, exec_lo, s7
	s_cbranch_vccnz .LBB126_120
; %bb.119:
	s_clause 0x3
	buffer_load_dword v133, v131, s[0:3], 0 offen offset:8
	buffer_load_dword v134, v131, s[0:3], 0 offen offset:12
	buffer_load_dword v135, v131, s[0:3], 0 offen
	buffer_load_dword v136, v131, s[0:3], 0 offen offset:4
	s_waitcnt vmcnt(2) lgkmcnt(0)
	v_mul_f64 v[138:139], v[3:4], v[133:134]
	v_mul_f64 v[133:134], v[1:2], v[133:134]
	s_waitcnt vmcnt(0)
	v_fma_f64 v[1:2], v[1:2], v[135:136], -v[138:139]
	v_fma_f64 v[3:4], v[3:4], v[135:136], v[133:134]
.LBB126_120:
	s_and_saveexec_b32 s8, s5
	s_cbranch_execz .LBB126_130
; %bb.121:
	v_subrev_nc_u32_e32 v134, 54, v0
	v_mov_b32_e32 v135, 53
	v_subrev_nc_u32_e32 v133, 53, v0
	s_mov_b32 s5, exec_lo
	v_cmpx_lt_u32_e32 6, v134
	s_cbranch_execz .LBB126_125
; %bb.122:
	v_and_b32_e32 v134, -8, v133
	s_movk_i32 s73, 0x740
	s_mov_b32 s72, 0
	s_mov_b32 s74, s18
	;; [unrolled: 1-line block ×3, first 2 shown]
.LBB126_123:                            ; =>This Inner Loop Header: Depth=1
	v_mov_b32_e32 v138, s74
	v_mov_b32_e32 v184, s73
	s_add_i32 s76, s75, 8
	s_add_i32 s75, s75, 61
	v_cmp_eq_u32_e32 vcc_lo, s76, v134
	s_clause 0x1f
	buffer_load_dword v135, v138, s[0:3], 0 offen offset:8
	buffer_load_dword v136, v138, s[0:3], 0 offen offset:12
	buffer_load_dword v146, v138, s[0:3], 0 offen
	buffer_load_dword v147, v138, s[0:3], 0 offen offset:4
	buffer_load_dword v148, v138, s[0:3], 0 offen offset:24
	;; [unrolled: 1-line block ×29, first 2 shown]
	ds_read_b128 v[138:141], v184
	ds_read_b128 v[142:145], v184 offset:16
	s_addk_i32 s73, 0x80
	s_addk_i32 s74, 0x80
	s_or_b32 s72, vcc_lo, s72
	s_waitcnt vmcnt(30) lgkmcnt(1)
	v_mul_f64 v[176:177], v[140:141], v[135:136]
	v_mul_f64 v[135:136], v[138:139], v[135:136]
	s_waitcnt vmcnt(26) lgkmcnt(0)
	v_mul_f64 v[178:179], v[144:145], v[148:149]
	v_mul_f64 v[180:181], v[142:143], v[148:149]
	v_fma_f64 v[176:177], v[138:139], v[146:147], -v[176:177]
	v_fma_f64 v[135:136], v[140:141], v[146:147], v[135:136]
	ds_read_b128 v[138:141], v184 offset:32
	ds_read_b128 v[146:149], v184 offset:48
	s_waitcnt vmcnt(24)
	v_fma_f64 v[142:143], v[142:143], v[150:151], -v[178:179]
	v_fma_f64 v[144:145], v[144:145], v[150:151], v[180:181]
	s_waitcnt vmcnt(22) lgkmcnt(1)
	v_mul_f64 v[182:183], v[140:141], v[152:153]
	v_mul_f64 v[152:153], v[138:139], v[152:153]
	v_add_f64 v[1:2], v[1:2], v[176:177]
	v_add_f64 v[3:4], v[3:4], v[135:136]
	s_waitcnt vmcnt(18) lgkmcnt(0)
	v_mul_f64 v[135:136], v[148:149], v[156:157]
	v_mul_f64 v[150:151], v[146:147], v[156:157]
	v_fma_f64 v[156:157], v[138:139], v[154:155], -v[182:183]
	v_fma_f64 v[152:153], v[140:141], v[154:155], v[152:153]
	v_add_f64 v[142:143], v[1:2], v[142:143]
	v_add_f64 v[144:145], v[3:4], v[144:145]
	ds_read_b128 v[1:4], v184 offset:64
	ds_read_b128 v[138:141], v184 offset:80
	s_waitcnt vmcnt(16)
	v_fma_f64 v[135:136], v[146:147], v[158:159], -v[135:136]
	v_fma_f64 v[146:147], v[148:149], v[158:159], v[150:151]
	s_waitcnt vmcnt(12) lgkmcnt(1)
	v_mul_f64 v[154:155], v[3:4], v[160:161]
	v_mul_f64 v[160:161], v[1:2], v[160:161]
	v_add_f64 v[142:143], v[142:143], v[156:157]
	v_add_f64 v[144:145], v[144:145], v[152:153]
	s_waitcnt vmcnt(10) lgkmcnt(0)
	v_mul_f64 v[148:149], v[140:141], v[162:163]
	v_mul_f64 v[150:151], v[138:139], v[162:163]
	s_waitcnt vmcnt(8)
	v_fma_f64 v[152:153], v[1:2], v[166:167], -v[154:155]
	v_fma_f64 v[154:155], v[3:4], v[166:167], v[160:161]
	v_add_f64 v[135:136], v[142:143], v[135:136]
	v_add_f64 v[146:147], v[144:145], v[146:147]
	ds_read_b128 v[1:4], v184 offset:96
	ds_read_b128 v[142:145], v184 offset:112
	v_fma_f64 v[138:139], v[138:139], v[164:165], -v[148:149]
	v_fma_f64 v[140:141], v[140:141], v[164:165], v[150:151]
	s_waitcnt vmcnt(4) lgkmcnt(1)
	v_mul_f64 v[156:157], v[3:4], v[168:169]
	v_mul_f64 v[158:159], v[1:2], v[168:169]
	v_add_f64 v[135:136], v[135:136], v[152:153]
	v_add_f64 v[146:147], v[146:147], v[154:155]
	s_waitcnt vmcnt(2) lgkmcnt(0)
	v_mul_f64 v[148:149], v[144:145], v[170:171]
	v_mul_f64 v[150:151], v[142:143], v[170:171]
	s_waitcnt vmcnt(0)
	v_fma_f64 v[1:2], v[1:2], v[174:175], -v[156:157]
	v_fma_f64 v[3:4], v[3:4], v[174:175], v[158:159]
	v_add_f64 v[135:136], v[135:136], v[138:139]
	v_add_f64 v[138:139], v[146:147], v[140:141]
	v_fma_f64 v[140:141], v[142:143], v[172:173], -v[148:149]
	v_fma_f64 v[142:143], v[144:145], v[172:173], v[150:151]
	v_add_f64 v[1:2], v[135:136], v[1:2]
	v_add_f64 v[3:4], v[138:139], v[3:4]
	v_mov_b32_e32 v135, s75
	s_mov_b32 s75, s76
	v_add_f64 v[1:2], v[1:2], v[140:141]
	v_add_f64 v[3:4], v[3:4], v[142:143]
	s_andn2_b32 exec_lo, exec_lo, s72
	s_cbranch_execnz .LBB126_123
; %bb.124:
	s_or_b32 exec_lo, exec_lo, s72
.LBB126_125:
	s_or_b32 exec_lo, exec_lo, s5
	v_and_b32_e32 v133, 7, v133
	s_mov_b32 s72, 0
	s_mov_b32 s5, exec_lo
	v_cmpx_ne_u32_e32 0, v133
	s_cbranch_execz .LBB126_129
; %bb.126:
	v_lshlrev_b32_e32 v135, 4, v135
	v_add_nc_u32_e32 v134, 0x3f0, v135
	.p2align	6
.LBB126_127:                            ; =>This Inner Loop Header: Depth=1
	s_clause 0x3
	buffer_load_dword v142, v135, s[0:3], 0 offen offset:8
	buffer_load_dword v143, v135, s[0:3], 0 offen offset:12
	buffer_load_dword v144, v135, s[0:3], 0 offen
	buffer_load_dword v145, v135, s[0:3], 0 offen offset:4
	ds_read_b128 v[138:141], v134
	v_add_nc_u32_e32 v133, -1, v133
	v_add_nc_u32_e32 v134, 16, v134
	v_add_nc_u32_e32 v135, 16, v135
	v_cmp_eq_u32_e32 vcc_lo, 0, v133
	s_or_b32 s72, vcc_lo, s72
	s_waitcnt vmcnt(2) lgkmcnt(0)
	v_mul_f64 v[146:147], v[140:141], v[142:143]
	v_mul_f64 v[142:143], v[138:139], v[142:143]
	s_waitcnt vmcnt(0)
	v_fma_f64 v[138:139], v[138:139], v[144:145], -v[146:147]
	v_fma_f64 v[140:141], v[140:141], v[144:145], v[142:143]
	v_add_f64 v[1:2], v[1:2], v[138:139]
	v_add_f64 v[3:4], v[3:4], v[140:141]
	s_andn2_b32 exec_lo, exec_lo, s72
	s_cbranch_execnz .LBB126_127
; %bb.128:
	s_or_b32 exec_lo, exec_lo, s72
.LBB126_129:
	s_or_b32 exec_lo, exec_lo, s5
.LBB126_130:
	s_or_b32 exec_lo, exec_lo, s8
	v_mov_b32_e32 v133, 0
	ds_read_b128 v[133:136], v133 offset:832
	s_waitcnt lgkmcnt(0)
	v_mul_f64 v[138:139], v[3:4], v[135:136]
	v_mul_f64 v[135:136], v[1:2], v[135:136]
	v_fma_f64 v[1:2], v[1:2], v[133:134], -v[138:139]
	v_fma_f64 v[3:4], v[3:4], v[133:134], v[135:136]
	buffer_store_dword v2, off, s[0:3], 0 offset:836
	buffer_store_dword v1, off, s[0:3], 0 offset:832
	;; [unrolled: 1-line block ×4, first 2 shown]
.LBB126_131:
	s_or_b32 exec_lo, exec_lo, s6
	v_mov_b32_e32 v4, s20
	v_cmp_lt_u32_e64 s5, 51, v0
	s_clause 0x3
	buffer_load_dword v1, v4, s[0:3], 0 offen
	buffer_load_dword v2, v4, s[0:3], 0 offen offset:4
	buffer_load_dword v3, v4, s[0:3], 0 offen offset:8
	;; [unrolled: 1-line block ×3, first 2 shown]
	s_waitcnt vmcnt(0)
	ds_write_b128 v132, v[1:4]
	s_waitcnt lgkmcnt(0)
	s_waitcnt_vscnt null, 0x0
	s_barrier
	buffer_gl0_inv
	s_and_saveexec_b32 s6, s5
	s_cbranch_execz .LBB126_145
; %bb.132:
	ds_read_b128 v[1:4], v132
	s_andn2_b32 vcc_lo, exec_lo, s7
	s_cbranch_vccnz .LBB126_134
; %bb.133:
	s_clause 0x3
	buffer_load_dword v133, v131, s[0:3], 0 offen offset:8
	buffer_load_dword v134, v131, s[0:3], 0 offen offset:12
	buffer_load_dword v135, v131, s[0:3], 0 offen
	buffer_load_dword v136, v131, s[0:3], 0 offen offset:4
	s_waitcnt vmcnt(2) lgkmcnt(0)
	v_mul_f64 v[138:139], v[3:4], v[133:134]
	v_mul_f64 v[133:134], v[1:2], v[133:134]
	s_waitcnt vmcnt(0)
	v_fma_f64 v[1:2], v[1:2], v[135:136], -v[138:139]
	v_fma_f64 v[3:4], v[3:4], v[135:136], v[133:134]
.LBB126_134:
	s_and_saveexec_b32 s8, s4
	s_cbranch_execz .LBB126_144
; %bb.135:
	v_subrev_nc_u32_e32 v134, 53, v0
	v_mov_b32_e32 v135, 52
	v_subrev_nc_u32_e32 v133, 52, v0
	s_mov_b32 s4, exec_lo
	v_cmpx_lt_u32_e32 6, v134
	s_cbranch_execz .LBB126_139
; %bb.136:
	v_and_b32_e32 v134, -8, v133
	s_movk_i32 s73, 0x730
	s_mov_b32 s72, 0
	s_mov_b32 s74, s19
	;; [unrolled: 1-line block ×3, first 2 shown]
.LBB126_137:                            ; =>This Inner Loop Header: Depth=1
	v_mov_b32_e32 v138, s74
	v_mov_b32_e32 v184, s73
	s_add_i32 s76, s75, 8
	s_add_i32 s75, s75, 60
	v_cmp_eq_u32_e32 vcc_lo, s76, v134
	s_clause 0x1f
	buffer_load_dword v135, v138, s[0:3], 0 offen offset:8
	buffer_load_dword v136, v138, s[0:3], 0 offen offset:12
	buffer_load_dword v146, v138, s[0:3], 0 offen
	buffer_load_dword v147, v138, s[0:3], 0 offen offset:4
	buffer_load_dword v148, v138, s[0:3], 0 offen offset:24
	;; [unrolled: 1-line block ×29, first 2 shown]
	ds_read_b128 v[138:141], v184
	ds_read_b128 v[142:145], v184 offset:16
	s_addk_i32 s73, 0x80
	s_addk_i32 s74, 0x80
	s_or_b32 s72, vcc_lo, s72
	s_waitcnt vmcnt(30) lgkmcnt(1)
	v_mul_f64 v[176:177], v[140:141], v[135:136]
	v_mul_f64 v[135:136], v[138:139], v[135:136]
	s_waitcnt vmcnt(26) lgkmcnt(0)
	v_mul_f64 v[178:179], v[144:145], v[148:149]
	v_mul_f64 v[180:181], v[142:143], v[148:149]
	v_fma_f64 v[176:177], v[138:139], v[146:147], -v[176:177]
	v_fma_f64 v[135:136], v[140:141], v[146:147], v[135:136]
	ds_read_b128 v[138:141], v184 offset:32
	ds_read_b128 v[146:149], v184 offset:48
	s_waitcnt vmcnt(24)
	v_fma_f64 v[142:143], v[142:143], v[150:151], -v[178:179]
	v_fma_f64 v[144:145], v[144:145], v[150:151], v[180:181]
	s_waitcnt vmcnt(22) lgkmcnt(1)
	v_mul_f64 v[182:183], v[140:141], v[152:153]
	v_mul_f64 v[152:153], v[138:139], v[152:153]
	v_add_f64 v[1:2], v[1:2], v[176:177]
	v_add_f64 v[3:4], v[3:4], v[135:136]
	s_waitcnt vmcnt(18) lgkmcnt(0)
	v_mul_f64 v[135:136], v[148:149], v[156:157]
	v_mul_f64 v[150:151], v[146:147], v[156:157]
	v_fma_f64 v[156:157], v[138:139], v[154:155], -v[182:183]
	v_fma_f64 v[152:153], v[140:141], v[154:155], v[152:153]
	v_add_f64 v[142:143], v[1:2], v[142:143]
	v_add_f64 v[144:145], v[3:4], v[144:145]
	ds_read_b128 v[1:4], v184 offset:64
	ds_read_b128 v[138:141], v184 offset:80
	s_waitcnt vmcnt(16)
	v_fma_f64 v[135:136], v[146:147], v[158:159], -v[135:136]
	v_fma_f64 v[146:147], v[148:149], v[158:159], v[150:151]
	s_waitcnt vmcnt(12) lgkmcnt(1)
	v_mul_f64 v[154:155], v[3:4], v[160:161]
	v_mul_f64 v[160:161], v[1:2], v[160:161]
	v_add_f64 v[142:143], v[142:143], v[156:157]
	v_add_f64 v[144:145], v[144:145], v[152:153]
	s_waitcnt vmcnt(10) lgkmcnt(0)
	v_mul_f64 v[148:149], v[140:141], v[162:163]
	v_mul_f64 v[150:151], v[138:139], v[162:163]
	s_waitcnt vmcnt(8)
	v_fma_f64 v[152:153], v[1:2], v[166:167], -v[154:155]
	v_fma_f64 v[154:155], v[3:4], v[166:167], v[160:161]
	v_add_f64 v[135:136], v[142:143], v[135:136]
	v_add_f64 v[146:147], v[144:145], v[146:147]
	ds_read_b128 v[1:4], v184 offset:96
	ds_read_b128 v[142:145], v184 offset:112
	v_fma_f64 v[138:139], v[138:139], v[164:165], -v[148:149]
	v_fma_f64 v[140:141], v[140:141], v[164:165], v[150:151]
	s_waitcnt vmcnt(4) lgkmcnt(1)
	v_mul_f64 v[156:157], v[3:4], v[168:169]
	v_mul_f64 v[158:159], v[1:2], v[168:169]
	v_add_f64 v[135:136], v[135:136], v[152:153]
	v_add_f64 v[146:147], v[146:147], v[154:155]
	s_waitcnt vmcnt(2) lgkmcnt(0)
	v_mul_f64 v[148:149], v[144:145], v[170:171]
	v_mul_f64 v[150:151], v[142:143], v[170:171]
	s_waitcnt vmcnt(0)
	v_fma_f64 v[1:2], v[1:2], v[174:175], -v[156:157]
	v_fma_f64 v[3:4], v[3:4], v[174:175], v[158:159]
	v_add_f64 v[135:136], v[135:136], v[138:139]
	v_add_f64 v[138:139], v[146:147], v[140:141]
	v_fma_f64 v[140:141], v[142:143], v[172:173], -v[148:149]
	v_fma_f64 v[142:143], v[144:145], v[172:173], v[150:151]
	v_add_f64 v[1:2], v[135:136], v[1:2]
	v_add_f64 v[3:4], v[138:139], v[3:4]
	v_mov_b32_e32 v135, s75
	s_mov_b32 s75, s76
	v_add_f64 v[1:2], v[1:2], v[140:141]
	v_add_f64 v[3:4], v[3:4], v[142:143]
	s_andn2_b32 exec_lo, exec_lo, s72
	s_cbranch_execnz .LBB126_137
; %bb.138:
	s_or_b32 exec_lo, exec_lo, s72
.LBB126_139:
	s_or_b32 exec_lo, exec_lo, s4
	v_and_b32_e32 v133, 7, v133
	s_mov_b32 s72, 0
	s_mov_b32 s4, exec_lo
	v_cmpx_ne_u32_e32 0, v133
	s_cbranch_execz .LBB126_143
; %bb.140:
	v_lshlrev_b32_e32 v135, 4, v135
	v_add_nc_u32_e32 v134, 0x3f0, v135
	.p2align	6
.LBB126_141:                            ; =>This Inner Loop Header: Depth=1
	s_clause 0x3
	buffer_load_dword v142, v135, s[0:3], 0 offen offset:8
	buffer_load_dword v143, v135, s[0:3], 0 offen offset:12
	buffer_load_dword v144, v135, s[0:3], 0 offen
	buffer_load_dword v145, v135, s[0:3], 0 offen offset:4
	ds_read_b128 v[138:141], v134
	v_add_nc_u32_e32 v133, -1, v133
	v_add_nc_u32_e32 v134, 16, v134
	v_add_nc_u32_e32 v135, 16, v135
	v_cmp_eq_u32_e32 vcc_lo, 0, v133
	s_or_b32 s72, vcc_lo, s72
	s_waitcnt vmcnt(2) lgkmcnt(0)
	v_mul_f64 v[146:147], v[140:141], v[142:143]
	v_mul_f64 v[142:143], v[138:139], v[142:143]
	s_waitcnt vmcnt(0)
	v_fma_f64 v[138:139], v[138:139], v[144:145], -v[146:147]
	v_fma_f64 v[140:141], v[140:141], v[144:145], v[142:143]
	v_add_f64 v[1:2], v[1:2], v[138:139]
	v_add_f64 v[3:4], v[3:4], v[140:141]
	s_andn2_b32 exec_lo, exec_lo, s72
	s_cbranch_execnz .LBB126_141
; %bb.142:
	s_or_b32 exec_lo, exec_lo, s72
.LBB126_143:
	s_or_b32 exec_lo, exec_lo, s4
.LBB126_144:
	s_or_b32 exec_lo, exec_lo, s8
	v_mov_b32_e32 v133, 0
	ds_read_b128 v[133:136], v133 offset:816
	s_waitcnt lgkmcnt(0)
	v_mul_f64 v[138:139], v[3:4], v[135:136]
	v_mul_f64 v[135:136], v[1:2], v[135:136]
	v_fma_f64 v[1:2], v[1:2], v[133:134], -v[138:139]
	v_fma_f64 v[3:4], v[3:4], v[133:134], v[135:136]
	buffer_store_dword v2, off, s[0:3], 0 offset:820
	buffer_store_dword v1, off, s[0:3], 0 offset:816
	;; [unrolled: 1-line block ×4, first 2 shown]
.LBB126_145:
	s_or_b32 exec_lo, exec_lo, s6
	v_mov_b32_e32 v4, s21
	v_cmp_lt_u32_e64 s4, 50, v0
	s_clause 0x3
	buffer_load_dword v1, v4, s[0:3], 0 offen
	buffer_load_dword v2, v4, s[0:3], 0 offen offset:4
	buffer_load_dword v3, v4, s[0:3], 0 offen offset:8
	;; [unrolled: 1-line block ×3, first 2 shown]
	s_waitcnt vmcnt(0)
	ds_write_b128 v132, v[1:4]
	s_waitcnt lgkmcnt(0)
	s_waitcnt_vscnt null, 0x0
	s_barrier
	buffer_gl0_inv
	s_and_saveexec_b32 s6, s4
	s_cbranch_execz .LBB126_159
; %bb.146:
	ds_read_b128 v[1:4], v132
	s_andn2_b32 vcc_lo, exec_lo, s7
	s_cbranch_vccnz .LBB126_148
; %bb.147:
	s_clause 0x3
	buffer_load_dword v133, v131, s[0:3], 0 offen offset:8
	buffer_load_dword v134, v131, s[0:3], 0 offen offset:12
	buffer_load_dword v135, v131, s[0:3], 0 offen
	buffer_load_dword v136, v131, s[0:3], 0 offen offset:4
	s_waitcnt vmcnt(2) lgkmcnt(0)
	v_mul_f64 v[138:139], v[3:4], v[133:134]
	v_mul_f64 v[133:134], v[1:2], v[133:134]
	s_waitcnt vmcnt(0)
	v_fma_f64 v[1:2], v[1:2], v[135:136], -v[138:139]
	v_fma_f64 v[3:4], v[3:4], v[135:136], v[133:134]
.LBB126_148:
	s_and_saveexec_b32 s8, s5
	s_cbranch_execz .LBB126_158
; %bb.149:
	v_subrev_nc_u32_e32 v134, 52, v0
	v_mov_b32_e32 v135, 51
	v_subrev_nc_u32_e32 v133, 51, v0
	s_mov_b32 s5, exec_lo
	v_cmpx_lt_u32_e32 6, v134
	s_cbranch_execz .LBB126_153
; %bb.150:
	v_and_b32_e32 v134, -8, v133
	s_movk_i32 s73, 0x720
	s_mov_b32 s72, 0
	s_mov_b32 s74, s20
	;; [unrolled: 1-line block ×3, first 2 shown]
.LBB126_151:                            ; =>This Inner Loop Header: Depth=1
	v_mov_b32_e32 v138, s74
	v_mov_b32_e32 v184, s73
	s_add_i32 s76, s75, 8
	s_add_i32 s75, s75, 59
	v_cmp_eq_u32_e32 vcc_lo, s76, v134
	s_clause 0x1f
	buffer_load_dword v135, v138, s[0:3], 0 offen offset:8
	buffer_load_dword v136, v138, s[0:3], 0 offen offset:12
	buffer_load_dword v146, v138, s[0:3], 0 offen
	buffer_load_dword v147, v138, s[0:3], 0 offen offset:4
	buffer_load_dword v148, v138, s[0:3], 0 offen offset:24
	buffer_load_dword v149, v138, s[0:3], 0 offen offset:28
	buffer_load_dword v150, v138, s[0:3], 0 offen offset:16
	buffer_load_dword v151, v138, s[0:3], 0 offen offset:20
	buffer_load_dword v152, v138, s[0:3], 0 offen offset:40
	buffer_load_dword v153, v138, s[0:3], 0 offen offset:44
	buffer_load_dword v154, v138, s[0:3], 0 offen offset:32
	buffer_load_dword v155, v138, s[0:3], 0 offen offset:36
	buffer_load_dword v156, v138, s[0:3], 0 offen offset:56
	buffer_load_dword v157, v138, s[0:3], 0 offen offset:60
	buffer_load_dword v158, v138, s[0:3], 0 offen offset:48
	buffer_load_dword v159, v138, s[0:3], 0 offen offset:52
	buffer_load_dword v161, v138, s[0:3], 0 offen offset:76
	buffer_load_dword v162, v138, s[0:3], 0 offen offset:88
	buffer_load_dword v164, v138, s[0:3], 0 offen offset:80
	buffer_load_dword v160, v138, s[0:3], 0 offen offset:72
	buffer_load_dword v165, v138, s[0:3], 0 offen offset:84
	buffer_load_dword v163, v138, s[0:3], 0 offen offset:92
	buffer_load_dword v167, v138, s[0:3], 0 offen offset:68
	buffer_load_dword v166, v138, s[0:3], 0 offen offset:64
	buffer_load_dword v169, v138, s[0:3], 0 offen offset:108
	buffer_load_dword v170, v138, s[0:3], 0 offen offset:120
	buffer_load_dword v172, v138, s[0:3], 0 offen offset:112
	buffer_load_dword v168, v138, s[0:3], 0 offen offset:104
	buffer_load_dword v173, v138, s[0:3], 0 offen offset:116
	buffer_load_dword v171, v138, s[0:3], 0 offen offset:124
	buffer_load_dword v175, v138, s[0:3], 0 offen offset:100
	buffer_load_dword v174, v138, s[0:3], 0 offen offset:96
	ds_read_b128 v[138:141], v184
	ds_read_b128 v[142:145], v184 offset:16
	s_addk_i32 s73, 0x80
	s_addk_i32 s74, 0x80
	s_or_b32 s72, vcc_lo, s72
	s_waitcnt vmcnt(30) lgkmcnt(1)
	v_mul_f64 v[176:177], v[140:141], v[135:136]
	v_mul_f64 v[135:136], v[138:139], v[135:136]
	s_waitcnt vmcnt(26) lgkmcnt(0)
	v_mul_f64 v[178:179], v[144:145], v[148:149]
	v_mul_f64 v[180:181], v[142:143], v[148:149]
	v_fma_f64 v[176:177], v[138:139], v[146:147], -v[176:177]
	v_fma_f64 v[135:136], v[140:141], v[146:147], v[135:136]
	ds_read_b128 v[138:141], v184 offset:32
	ds_read_b128 v[146:149], v184 offset:48
	s_waitcnt vmcnt(24)
	v_fma_f64 v[142:143], v[142:143], v[150:151], -v[178:179]
	v_fma_f64 v[144:145], v[144:145], v[150:151], v[180:181]
	s_waitcnt vmcnt(22) lgkmcnt(1)
	v_mul_f64 v[182:183], v[140:141], v[152:153]
	v_mul_f64 v[152:153], v[138:139], v[152:153]
	v_add_f64 v[1:2], v[1:2], v[176:177]
	v_add_f64 v[3:4], v[3:4], v[135:136]
	s_waitcnt vmcnt(18) lgkmcnt(0)
	v_mul_f64 v[135:136], v[148:149], v[156:157]
	v_mul_f64 v[150:151], v[146:147], v[156:157]
	v_fma_f64 v[156:157], v[138:139], v[154:155], -v[182:183]
	v_fma_f64 v[152:153], v[140:141], v[154:155], v[152:153]
	v_add_f64 v[142:143], v[1:2], v[142:143]
	v_add_f64 v[144:145], v[3:4], v[144:145]
	ds_read_b128 v[1:4], v184 offset:64
	ds_read_b128 v[138:141], v184 offset:80
	s_waitcnt vmcnt(16)
	v_fma_f64 v[135:136], v[146:147], v[158:159], -v[135:136]
	v_fma_f64 v[146:147], v[148:149], v[158:159], v[150:151]
	s_waitcnt vmcnt(12) lgkmcnt(1)
	v_mul_f64 v[154:155], v[3:4], v[160:161]
	v_mul_f64 v[160:161], v[1:2], v[160:161]
	v_add_f64 v[142:143], v[142:143], v[156:157]
	v_add_f64 v[144:145], v[144:145], v[152:153]
	s_waitcnt vmcnt(10) lgkmcnt(0)
	v_mul_f64 v[148:149], v[140:141], v[162:163]
	v_mul_f64 v[150:151], v[138:139], v[162:163]
	s_waitcnt vmcnt(8)
	v_fma_f64 v[152:153], v[1:2], v[166:167], -v[154:155]
	v_fma_f64 v[154:155], v[3:4], v[166:167], v[160:161]
	v_add_f64 v[135:136], v[142:143], v[135:136]
	v_add_f64 v[146:147], v[144:145], v[146:147]
	ds_read_b128 v[1:4], v184 offset:96
	ds_read_b128 v[142:145], v184 offset:112
	v_fma_f64 v[138:139], v[138:139], v[164:165], -v[148:149]
	v_fma_f64 v[140:141], v[140:141], v[164:165], v[150:151]
	s_waitcnt vmcnt(4) lgkmcnt(1)
	v_mul_f64 v[156:157], v[3:4], v[168:169]
	v_mul_f64 v[158:159], v[1:2], v[168:169]
	v_add_f64 v[135:136], v[135:136], v[152:153]
	v_add_f64 v[146:147], v[146:147], v[154:155]
	s_waitcnt vmcnt(2) lgkmcnt(0)
	v_mul_f64 v[148:149], v[144:145], v[170:171]
	v_mul_f64 v[150:151], v[142:143], v[170:171]
	s_waitcnt vmcnt(0)
	v_fma_f64 v[1:2], v[1:2], v[174:175], -v[156:157]
	v_fma_f64 v[3:4], v[3:4], v[174:175], v[158:159]
	v_add_f64 v[135:136], v[135:136], v[138:139]
	v_add_f64 v[138:139], v[146:147], v[140:141]
	v_fma_f64 v[140:141], v[142:143], v[172:173], -v[148:149]
	v_fma_f64 v[142:143], v[144:145], v[172:173], v[150:151]
	v_add_f64 v[1:2], v[135:136], v[1:2]
	v_add_f64 v[3:4], v[138:139], v[3:4]
	v_mov_b32_e32 v135, s75
	s_mov_b32 s75, s76
	v_add_f64 v[1:2], v[1:2], v[140:141]
	v_add_f64 v[3:4], v[3:4], v[142:143]
	s_andn2_b32 exec_lo, exec_lo, s72
	s_cbranch_execnz .LBB126_151
; %bb.152:
	s_or_b32 exec_lo, exec_lo, s72
.LBB126_153:
	s_or_b32 exec_lo, exec_lo, s5
	v_and_b32_e32 v133, 7, v133
	s_mov_b32 s72, 0
	s_mov_b32 s5, exec_lo
	v_cmpx_ne_u32_e32 0, v133
	s_cbranch_execz .LBB126_157
; %bb.154:
	v_lshlrev_b32_e32 v135, 4, v135
	v_add_nc_u32_e32 v134, 0x3f0, v135
	.p2align	6
.LBB126_155:                            ; =>This Inner Loop Header: Depth=1
	s_clause 0x3
	buffer_load_dword v142, v135, s[0:3], 0 offen offset:8
	buffer_load_dword v143, v135, s[0:3], 0 offen offset:12
	buffer_load_dword v144, v135, s[0:3], 0 offen
	buffer_load_dword v145, v135, s[0:3], 0 offen offset:4
	ds_read_b128 v[138:141], v134
	v_add_nc_u32_e32 v133, -1, v133
	v_add_nc_u32_e32 v134, 16, v134
	v_add_nc_u32_e32 v135, 16, v135
	v_cmp_eq_u32_e32 vcc_lo, 0, v133
	s_or_b32 s72, vcc_lo, s72
	s_waitcnt vmcnt(2) lgkmcnt(0)
	v_mul_f64 v[146:147], v[140:141], v[142:143]
	v_mul_f64 v[142:143], v[138:139], v[142:143]
	s_waitcnt vmcnt(0)
	v_fma_f64 v[138:139], v[138:139], v[144:145], -v[146:147]
	v_fma_f64 v[140:141], v[140:141], v[144:145], v[142:143]
	v_add_f64 v[1:2], v[1:2], v[138:139]
	v_add_f64 v[3:4], v[3:4], v[140:141]
	s_andn2_b32 exec_lo, exec_lo, s72
	s_cbranch_execnz .LBB126_155
; %bb.156:
	s_or_b32 exec_lo, exec_lo, s72
.LBB126_157:
	s_or_b32 exec_lo, exec_lo, s5
.LBB126_158:
	s_or_b32 exec_lo, exec_lo, s8
	v_mov_b32_e32 v133, 0
	ds_read_b128 v[133:136], v133 offset:800
	s_waitcnt lgkmcnt(0)
	v_mul_f64 v[138:139], v[3:4], v[135:136]
	v_mul_f64 v[135:136], v[1:2], v[135:136]
	v_fma_f64 v[1:2], v[1:2], v[133:134], -v[138:139]
	v_fma_f64 v[3:4], v[3:4], v[133:134], v[135:136]
	buffer_store_dword v2, off, s[0:3], 0 offset:804
	buffer_store_dword v1, off, s[0:3], 0 offset:800
	;; [unrolled: 1-line block ×4, first 2 shown]
.LBB126_159:
	s_or_b32 exec_lo, exec_lo, s6
	v_mov_b32_e32 v4, s22
	v_cmp_lt_u32_e64 s5, 49, v0
	s_clause 0x3
	buffer_load_dword v1, v4, s[0:3], 0 offen
	buffer_load_dword v2, v4, s[0:3], 0 offen offset:4
	buffer_load_dword v3, v4, s[0:3], 0 offen offset:8
	;; [unrolled: 1-line block ×3, first 2 shown]
	s_waitcnt vmcnt(0)
	ds_write_b128 v132, v[1:4]
	s_waitcnt lgkmcnt(0)
	s_waitcnt_vscnt null, 0x0
	s_barrier
	buffer_gl0_inv
	s_and_saveexec_b32 s6, s5
	s_cbranch_execz .LBB126_173
; %bb.160:
	ds_read_b128 v[1:4], v132
	s_andn2_b32 vcc_lo, exec_lo, s7
	s_cbranch_vccnz .LBB126_162
; %bb.161:
	s_clause 0x3
	buffer_load_dword v133, v131, s[0:3], 0 offen offset:8
	buffer_load_dword v134, v131, s[0:3], 0 offen offset:12
	buffer_load_dword v135, v131, s[0:3], 0 offen
	buffer_load_dword v136, v131, s[0:3], 0 offen offset:4
	s_waitcnt vmcnt(2) lgkmcnt(0)
	v_mul_f64 v[138:139], v[3:4], v[133:134]
	v_mul_f64 v[133:134], v[1:2], v[133:134]
	s_waitcnt vmcnt(0)
	v_fma_f64 v[1:2], v[1:2], v[135:136], -v[138:139]
	v_fma_f64 v[3:4], v[3:4], v[135:136], v[133:134]
.LBB126_162:
	s_and_saveexec_b32 s8, s4
	s_cbranch_execz .LBB126_172
; %bb.163:
	v_subrev_nc_u32_e32 v134, 51, v0
	v_mov_b32_e32 v135, 50
	v_subrev_nc_u32_e32 v133, 50, v0
	s_mov_b32 s4, exec_lo
	v_cmpx_lt_u32_e32 6, v134
	s_cbranch_execz .LBB126_167
; %bb.164:
	v_and_b32_e32 v134, -8, v133
	s_movk_i32 s73, 0x710
	s_mov_b32 s72, 0
	s_mov_b32 s74, s21
	;; [unrolled: 1-line block ×3, first 2 shown]
.LBB126_165:                            ; =>This Inner Loop Header: Depth=1
	v_mov_b32_e32 v138, s74
	v_mov_b32_e32 v184, s73
	s_add_i32 s76, s75, 8
	s_add_i32 s75, s75, 58
	v_cmp_eq_u32_e32 vcc_lo, s76, v134
	s_clause 0x1f
	buffer_load_dword v135, v138, s[0:3], 0 offen offset:8
	buffer_load_dword v136, v138, s[0:3], 0 offen offset:12
	buffer_load_dword v146, v138, s[0:3], 0 offen
	buffer_load_dword v147, v138, s[0:3], 0 offen offset:4
	buffer_load_dword v148, v138, s[0:3], 0 offen offset:24
	;; [unrolled: 1-line block ×29, first 2 shown]
	ds_read_b128 v[138:141], v184
	ds_read_b128 v[142:145], v184 offset:16
	s_addk_i32 s73, 0x80
	s_addk_i32 s74, 0x80
	s_or_b32 s72, vcc_lo, s72
	s_waitcnt vmcnt(30) lgkmcnt(1)
	v_mul_f64 v[176:177], v[140:141], v[135:136]
	v_mul_f64 v[135:136], v[138:139], v[135:136]
	s_waitcnt vmcnt(26) lgkmcnt(0)
	v_mul_f64 v[178:179], v[144:145], v[148:149]
	v_mul_f64 v[180:181], v[142:143], v[148:149]
	v_fma_f64 v[176:177], v[138:139], v[146:147], -v[176:177]
	v_fma_f64 v[135:136], v[140:141], v[146:147], v[135:136]
	ds_read_b128 v[138:141], v184 offset:32
	ds_read_b128 v[146:149], v184 offset:48
	s_waitcnt vmcnt(24)
	v_fma_f64 v[142:143], v[142:143], v[150:151], -v[178:179]
	v_fma_f64 v[144:145], v[144:145], v[150:151], v[180:181]
	s_waitcnt vmcnt(22) lgkmcnt(1)
	v_mul_f64 v[182:183], v[140:141], v[152:153]
	v_mul_f64 v[152:153], v[138:139], v[152:153]
	v_add_f64 v[1:2], v[1:2], v[176:177]
	v_add_f64 v[3:4], v[3:4], v[135:136]
	s_waitcnt vmcnt(18) lgkmcnt(0)
	v_mul_f64 v[135:136], v[148:149], v[156:157]
	v_mul_f64 v[150:151], v[146:147], v[156:157]
	v_fma_f64 v[156:157], v[138:139], v[154:155], -v[182:183]
	v_fma_f64 v[152:153], v[140:141], v[154:155], v[152:153]
	v_add_f64 v[142:143], v[1:2], v[142:143]
	v_add_f64 v[144:145], v[3:4], v[144:145]
	ds_read_b128 v[1:4], v184 offset:64
	ds_read_b128 v[138:141], v184 offset:80
	s_waitcnt vmcnt(16)
	v_fma_f64 v[135:136], v[146:147], v[158:159], -v[135:136]
	v_fma_f64 v[146:147], v[148:149], v[158:159], v[150:151]
	s_waitcnt vmcnt(12) lgkmcnt(1)
	v_mul_f64 v[154:155], v[3:4], v[160:161]
	v_mul_f64 v[160:161], v[1:2], v[160:161]
	v_add_f64 v[142:143], v[142:143], v[156:157]
	v_add_f64 v[144:145], v[144:145], v[152:153]
	s_waitcnt vmcnt(10) lgkmcnt(0)
	v_mul_f64 v[148:149], v[140:141], v[162:163]
	v_mul_f64 v[150:151], v[138:139], v[162:163]
	s_waitcnt vmcnt(8)
	v_fma_f64 v[152:153], v[1:2], v[166:167], -v[154:155]
	v_fma_f64 v[154:155], v[3:4], v[166:167], v[160:161]
	v_add_f64 v[135:136], v[142:143], v[135:136]
	v_add_f64 v[146:147], v[144:145], v[146:147]
	ds_read_b128 v[1:4], v184 offset:96
	ds_read_b128 v[142:145], v184 offset:112
	v_fma_f64 v[138:139], v[138:139], v[164:165], -v[148:149]
	v_fma_f64 v[140:141], v[140:141], v[164:165], v[150:151]
	s_waitcnt vmcnt(4) lgkmcnt(1)
	v_mul_f64 v[156:157], v[3:4], v[168:169]
	v_mul_f64 v[158:159], v[1:2], v[168:169]
	v_add_f64 v[135:136], v[135:136], v[152:153]
	v_add_f64 v[146:147], v[146:147], v[154:155]
	s_waitcnt vmcnt(2) lgkmcnt(0)
	v_mul_f64 v[148:149], v[144:145], v[170:171]
	v_mul_f64 v[150:151], v[142:143], v[170:171]
	s_waitcnt vmcnt(0)
	v_fma_f64 v[1:2], v[1:2], v[174:175], -v[156:157]
	v_fma_f64 v[3:4], v[3:4], v[174:175], v[158:159]
	v_add_f64 v[135:136], v[135:136], v[138:139]
	v_add_f64 v[138:139], v[146:147], v[140:141]
	v_fma_f64 v[140:141], v[142:143], v[172:173], -v[148:149]
	v_fma_f64 v[142:143], v[144:145], v[172:173], v[150:151]
	v_add_f64 v[1:2], v[135:136], v[1:2]
	v_add_f64 v[3:4], v[138:139], v[3:4]
	v_mov_b32_e32 v135, s75
	s_mov_b32 s75, s76
	v_add_f64 v[1:2], v[1:2], v[140:141]
	v_add_f64 v[3:4], v[3:4], v[142:143]
	s_andn2_b32 exec_lo, exec_lo, s72
	s_cbranch_execnz .LBB126_165
; %bb.166:
	s_or_b32 exec_lo, exec_lo, s72
.LBB126_167:
	s_or_b32 exec_lo, exec_lo, s4
	v_and_b32_e32 v133, 7, v133
	s_mov_b32 s72, 0
	s_mov_b32 s4, exec_lo
	v_cmpx_ne_u32_e32 0, v133
	s_cbranch_execz .LBB126_171
; %bb.168:
	v_lshlrev_b32_e32 v135, 4, v135
	v_add_nc_u32_e32 v134, 0x3f0, v135
	.p2align	6
.LBB126_169:                            ; =>This Inner Loop Header: Depth=1
	s_clause 0x3
	buffer_load_dword v142, v135, s[0:3], 0 offen offset:8
	buffer_load_dword v143, v135, s[0:3], 0 offen offset:12
	buffer_load_dword v144, v135, s[0:3], 0 offen
	buffer_load_dword v145, v135, s[0:3], 0 offen offset:4
	ds_read_b128 v[138:141], v134
	v_add_nc_u32_e32 v133, -1, v133
	v_add_nc_u32_e32 v134, 16, v134
	v_add_nc_u32_e32 v135, 16, v135
	v_cmp_eq_u32_e32 vcc_lo, 0, v133
	s_or_b32 s72, vcc_lo, s72
	s_waitcnt vmcnt(2) lgkmcnt(0)
	v_mul_f64 v[146:147], v[140:141], v[142:143]
	v_mul_f64 v[142:143], v[138:139], v[142:143]
	s_waitcnt vmcnt(0)
	v_fma_f64 v[138:139], v[138:139], v[144:145], -v[146:147]
	v_fma_f64 v[140:141], v[140:141], v[144:145], v[142:143]
	v_add_f64 v[1:2], v[1:2], v[138:139]
	v_add_f64 v[3:4], v[3:4], v[140:141]
	s_andn2_b32 exec_lo, exec_lo, s72
	s_cbranch_execnz .LBB126_169
; %bb.170:
	s_or_b32 exec_lo, exec_lo, s72
.LBB126_171:
	s_or_b32 exec_lo, exec_lo, s4
.LBB126_172:
	s_or_b32 exec_lo, exec_lo, s8
	v_mov_b32_e32 v133, 0
	ds_read_b128 v[133:136], v133 offset:784
	s_waitcnt lgkmcnt(0)
	v_mul_f64 v[138:139], v[3:4], v[135:136]
	v_mul_f64 v[135:136], v[1:2], v[135:136]
	v_fma_f64 v[1:2], v[1:2], v[133:134], -v[138:139]
	v_fma_f64 v[3:4], v[3:4], v[133:134], v[135:136]
	buffer_store_dword v2, off, s[0:3], 0 offset:788
	buffer_store_dword v1, off, s[0:3], 0 offset:784
	;; [unrolled: 1-line block ×4, first 2 shown]
.LBB126_173:
	s_or_b32 exec_lo, exec_lo, s6
	v_mov_b32_e32 v4, s23
	v_cmp_lt_u32_e64 s4, 48, v0
	s_clause 0x3
	buffer_load_dword v1, v4, s[0:3], 0 offen
	buffer_load_dword v2, v4, s[0:3], 0 offen offset:4
	buffer_load_dword v3, v4, s[0:3], 0 offen offset:8
	;; [unrolled: 1-line block ×3, first 2 shown]
	s_waitcnt vmcnt(0)
	ds_write_b128 v132, v[1:4]
	s_waitcnt lgkmcnt(0)
	s_waitcnt_vscnt null, 0x0
	s_barrier
	buffer_gl0_inv
	s_and_saveexec_b32 s6, s4
	s_cbranch_execz .LBB126_187
; %bb.174:
	ds_read_b128 v[1:4], v132
	s_andn2_b32 vcc_lo, exec_lo, s7
	s_cbranch_vccnz .LBB126_176
; %bb.175:
	s_clause 0x3
	buffer_load_dword v133, v131, s[0:3], 0 offen offset:8
	buffer_load_dword v134, v131, s[0:3], 0 offen offset:12
	buffer_load_dword v135, v131, s[0:3], 0 offen
	buffer_load_dword v136, v131, s[0:3], 0 offen offset:4
	s_waitcnt vmcnt(2) lgkmcnt(0)
	v_mul_f64 v[138:139], v[3:4], v[133:134]
	v_mul_f64 v[133:134], v[1:2], v[133:134]
	s_waitcnt vmcnt(0)
	v_fma_f64 v[1:2], v[1:2], v[135:136], -v[138:139]
	v_fma_f64 v[3:4], v[3:4], v[135:136], v[133:134]
.LBB126_176:
	s_and_saveexec_b32 s8, s5
	s_cbranch_execz .LBB126_186
; %bb.177:
	v_subrev_nc_u32_e32 v134, 50, v0
	v_mov_b32_e32 v135, 49
	v_subrev_nc_u32_e32 v133, 49, v0
	s_mov_b32 s5, exec_lo
	v_cmpx_lt_u32_e32 6, v134
	s_cbranch_execz .LBB126_181
; %bb.178:
	v_and_b32_e32 v134, -8, v133
	s_movk_i32 s73, 0x700
	s_mov_b32 s72, 0
	s_mov_b32 s74, s22
	;; [unrolled: 1-line block ×3, first 2 shown]
.LBB126_179:                            ; =>This Inner Loop Header: Depth=1
	v_mov_b32_e32 v138, s74
	v_mov_b32_e32 v184, s73
	s_add_i32 s76, s75, 8
	s_add_i32 s75, s75, 57
	v_cmp_eq_u32_e32 vcc_lo, s76, v134
	s_clause 0x1f
	buffer_load_dword v135, v138, s[0:3], 0 offen offset:8
	buffer_load_dword v136, v138, s[0:3], 0 offen offset:12
	buffer_load_dword v146, v138, s[0:3], 0 offen
	buffer_load_dword v147, v138, s[0:3], 0 offen offset:4
	buffer_load_dword v148, v138, s[0:3], 0 offen offset:24
	;; [unrolled: 1-line block ×29, first 2 shown]
	ds_read_b128 v[138:141], v184
	ds_read_b128 v[142:145], v184 offset:16
	s_addk_i32 s73, 0x80
	s_addk_i32 s74, 0x80
	s_or_b32 s72, vcc_lo, s72
	s_waitcnt vmcnt(30) lgkmcnt(1)
	v_mul_f64 v[176:177], v[140:141], v[135:136]
	v_mul_f64 v[135:136], v[138:139], v[135:136]
	s_waitcnt vmcnt(26) lgkmcnt(0)
	v_mul_f64 v[178:179], v[144:145], v[148:149]
	v_mul_f64 v[180:181], v[142:143], v[148:149]
	v_fma_f64 v[176:177], v[138:139], v[146:147], -v[176:177]
	v_fma_f64 v[135:136], v[140:141], v[146:147], v[135:136]
	ds_read_b128 v[138:141], v184 offset:32
	ds_read_b128 v[146:149], v184 offset:48
	s_waitcnt vmcnt(24)
	v_fma_f64 v[142:143], v[142:143], v[150:151], -v[178:179]
	v_fma_f64 v[144:145], v[144:145], v[150:151], v[180:181]
	s_waitcnt vmcnt(22) lgkmcnt(1)
	v_mul_f64 v[182:183], v[140:141], v[152:153]
	v_mul_f64 v[152:153], v[138:139], v[152:153]
	v_add_f64 v[1:2], v[1:2], v[176:177]
	v_add_f64 v[3:4], v[3:4], v[135:136]
	s_waitcnt vmcnt(18) lgkmcnt(0)
	v_mul_f64 v[135:136], v[148:149], v[156:157]
	v_mul_f64 v[150:151], v[146:147], v[156:157]
	v_fma_f64 v[156:157], v[138:139], v[154:155], -v[182:183]
	v_fma_f64 v[152:153], v[140:141], v[154:155], v[152:153]
	v_add_f64 v[142:143], v[1:2], v[142:143]
	v_add_f64 v[144:145], v[3:4], v[144:145]
	ds_read_b128 v[1:4], v184 offset:64
	ds_read_b128 v[138:141], v184 offset:80
	s_waitcnt vmcnt(16)
	v_fma_f64 v[135:136], v[146:147], v[158:159], -v[135:136]
	v_fma_f64 v[146:147], v[148:149], v[158:159], v[150:151]
	s_waitcnt vmcnt(12) lgkmcnt(1)
	v_mul_f64 v[154:155], v[3:4], v[160:161]
	v_mul_f64 v[160:161], v[1:2], v[160:161]
	v_add_f64 v[142:143], v[142:143], v[156:157]
	v_add_f64 v[144:145], v[144:145], v[152:153]
	s_waitcnt vmcnt(10) lgkmcnt(0)
	v_mul_f64 v[148:149], v[140:141], v[162:163]
	v_mul_f64 v[150:151], v[138:139], v[162:163]
	s_waitcnt vmcnt(8)
	v_fma_f64 v[152:153], v[1:2], v[166:167], -v[154:155]
	v_fma_f64 v[154:155], v[3:4], v[166:167], v[160:161]
	v_add_f64 v[135:136], v[142:143], v[135:136]
	v_add_f64 v[146:147], v[144:145], v[146:147]
	ds_read_b128 v[1:4], v184 offset:96
	ds_read_b128 v[142:145], v184 offset:112
	v_fma_f64 v[138:139], v[138:139], v[164:165], -v[148:149]
	v_fma_f64 v[140:141], v[140:141], v[164:165], v[150:151]
	s_waitcnt vmcnt(4) lgkmcnt(1)
	v_mul_f64 v[156:157], v[3:4], v[168:169]
	v_mul_f64 v[158:159], v[1:2], v[168:169]
	v_add_f64 v[135:136], v[135:136], v[152:153]
	v_add_f64 v[146:147], v[146:147], v[154:155]
	s_waitcnt vmcnt(2) lgkmcnt(0)
	v_mul_f64 v[148:149], v[144:145], v[170:171]
	v_mul_f64 v[150:151], v[142:143], v[170:171]
	s_waitcnt vmcnt(0)
	v_fma_f64 v[1:2], v[1:2], v[174:175], -v[156:157]
	v_fma_f64 v[3:4], v[3:4], v[174:175], v[158:159]
	v_add_f64 v[135:136], v[135:136], v[138:139]
	v_add_f64 v[138:139], v[146:147], v[140:141]
	v_fma_f64 v[140:141], v[142:143], v[172:173], -v[148:149]
	v_fma_f64 v[142:143], v[144:145], v[172:173], v[150:151]
	v_add_f64 v[1:2], v[135:136], v[1:2]
	v_add_f64 v[3:4], v[138:139], v[3:4]
	v_mov_b32_e32 v135, s75
	s_mov_b32 s75, s76
	v_add_f64 v[1:2], v[1:2], v[140:141]
	v_add_f64 v[3:4], v[3:4], v[142:143]
	s_andn2_b32 exec_lo, exec_lo, s72
	s_cbranch_execnz .LBB126_179
; %bb.180:
	s_or_b32 exec_lo, exec_lo, s72
.LBB126_181:
	s_or_b32 exec_lo, exec_lo, s5
	v_and_b32_e32 v133, 7, v133
	s_mov_b32 s72, 0
	s_mov_b32 s5, exec_lo
	v_cmpx_ne_u32_e32 0, v133
	s_cbranch_execz .LBB126_185
; %bb.182:
	v_lshlrev_b32_e32 v135, 4, v135
	v_add_nc_u32_e32 v134, 0x3f0, v135
	.p2align	6
.LBB126_183:                            ; =>This Inner Loop Header: Depth=1
	s_clause 0x3
	buffer_load_dword v142, v135, s[0:3], 0 offen offset:8
	buffer_load_dword v143, v135, s[0:3], 0 offen offset:12
	buffer_load_dword v144, v135, s[0:3], 0 offen
	buffer_load_dword v145, v135, s[0:3], 0 offen offset:4
	ds_read_b128 v[138:141], v134
	v_add_nc_u32_e32 v133, -1, v133
	v_add_nc_u32_e32 v134, 16, v134
	v_add_nc_u32_e32 v135, 16, v135
	v_cmp_eq_u32_e32 vcc_lo, 0, v133
	s_or_b32 s72, vcc_lo, s72
	s_waitcnt vmcnt(2) lgkmcnt(0)
	v_mul_f64 v[146:147], v[140:141], v[142:143]
	v_mul_f64 v[142:143], v[138:139], v[142:143]
	s_waitcnt vmcnt(0)
	v_fma_f64 v[138:139], v[138:139], v[144:145], -v[146:147]
	v_fma_f64 v[140:141], v[140:141], v[144:145], v[142:143]
	v_add_f64 v[1:2], v[1:2], v[138:139]
	v_add_f64 v[3:4], v[3:4], v[140:141]
	s_andn2_b32 exec_lo, exec_lo, s72
	s_cbranch_execnz .LBB126_183
; %bb.184:
	s_or_b32 exec_lo, exec_lo, s72
.LBB126_185:
	s_or_b32 exec_lo, exec_lo, s5
.LBB126_186:
	s_or_b32 exec_lo, exec_lo, s8
	v_mov_b32_e32 v133, 0
	ds_read_b128 v[133:136], v133 offset:768
	s_waitcnt lgkmcnt(0)
	v_mul_f64 v[138:139], v[3:4], v[135:136]
	v_mul_f64 v[135:136], v[1:2], v[135:136]
	v_fma_f64 v[1:2], v[1:2], v[133:134], -v[138:139]
	v_fma_f64 v[3:4], v[3:4], v[133:134], v[135:136]
	buffer_store_dword v2, off, s[0:3], 0 offset:772
	buffer_store_dword v1, off, s[0:3], 0 offset:768
	;; [unrolled: 1-line block ×4, first 2 shown]
.LBB126_187:
	s_or_b32 exec_lo, exec_lo, s6
	v_mov_b32_e32 v4, s24
	v_cmp_lt_u32_e64 s5, 47, v0
	s_clause 0x3
	buffer_load_dword v1, v4, s[0:3], 0 offen
	buffer_load_dword v2, v4, s[0:3], 0 offen offset:4
	buffer_load_dword v3, v4, s[0:3], 0 offen offset:8
	;; [unrolled: 1-line block ×3, first 2 shown]
	s_waitcnt vmcnt(0)
	ds_write_b128 v132, v[1:4]
	s_waitcnt lgkmcnt(0)
	s_waitcnt_vscnt null, 0x0
	s_barrier
	buffer_gl0_inv
	s_and_saveexec_b32 s6, s5
	s_cbranch_execz .LBB126_201
; %bb.188:
	ds_read_b128 v[1:4], v132
	s_andn2_b32 vcc_lo, exec_lo, s7
	s_cbranch_vccnz .LBB126_190
; %bb.189:
	s_clause 0x3
	buffer_load_dword v133, v131, s[0:3], 0 offen offset:8
	buffer_load_dword v134, v131, s[0:3], 0 offen offset:12
	buffer_load_dword v135, v131, s[0:3], 0 offen
	buffer_load_dword v136, v131, s[0:3], 0 offen offset:4
	s_waitcnt vmcnt(2) lgkmcnt(0)
	v_mul_f64 v[138:139], v[3:4], v[133:134]
	v_mul_f64 v[133:134], v[1:2], v[133:134]
	s_waitcnt vmcnt(0)
	v_fma_f64 v[1:2], v[1:2], v[135:136], -v[138:139]
	v_fma_f64 v[3:4], v[3:4], v[135:136], v[133:134]
.LBB126_190:
	s_and_saveexec_b32 s8, s4
	s_cbranch_execz .LBB126_200
; %bb.191:
	v_subrev_nc_u32_e32 v133, 49, v0
	v_cmp_lt_u32_e32 vcc_lo, 6, v133
	v_mov_b32_e32 v133, 48
	s_and_saveexec_b32 s4, vcc_lo
	s_cbranch_execz .LBB126_195
; %bb.192:
	v_and_b32_e32 v133, 56, v0
	s_mov_b32 s72, 48
	s_movk_i32 s74, 0x6f0
	s_mov_b32 s73, 0
	s_mov_b32 s75, s23
.LBB126_193:                            ; =>This Inner Loop Header: Depth=1
	v_mov_b32_e32 v136, s75
	s_add_i32 s72, s72, 8
	s_addk_i32 s75, 0x80
	v_cmp_eq_u32_e32 vcc_lo, s72, v133
	s_clause 0x1f
	buffer_load_dword v134, v136, s[0:3], 0 offen offset:8
	buffer_load_dword v135, v136, s[0:3], 0 offen offset:12
	buffer_load_dword v146, v136, s[0:3], 0 offen
	buffer_load_dword v147, v136, s[0:3], 0 offen offset:4
	buffer_load_dword v148, v136, s[0:3], 0 offen offset:24
	;; [unrolled: 1-line block ×29, first 2 shown]
	v_mov_b32_e32 v136, s74
	s_addk_i32 s74, 0x80
	s_or_b32 s73, vcc_lo, s73
	ds_read_b128 v[138:141], v136
	ds_read_b128 v[142:145], v136 offset:16
	s_waitcnt vmcnt(30) lgkmcnt(1)
	v_mul_f64 v[176:177], v[140:141], v[134:135]
	v_mul_f64 v[134:135], v[138:139], v[134:135]
	s_waitcnt vmcnt(26) lgkmcnt(0)
	v_mul_f64 v[178:179], v[144:145], v[148:149]
	v_mul_f64 v[180:181], v[142:143], v[148:149]
	v_fma_f64 v[176:177], v[138:139], v[146:147], -v[176:177]
	v_fma_f64 v[134:135], v[140:141], v[146:147], v[134:135]
	ds_read_b128 v[138:141], v136 offset:32
	ds_read_b128 v[146:149], v136 offset:48
	s_waitcnt vmcnt(24)
	v_fma_f64 v[142:143], v[142:143], v[150:151], -v[178:179]
	v_fma_f64 v[144:145], v[144:145], v[150:151], v[180:181]
	s_waitcnt vmcnt(22) lgkmcnt(1)
	v_mul_f64 v[182:183], v[140:141], v[152:153]
	v_mul_f64 v[152:153], v[138:139], v[152:153]
	v_add_f64 v[1:2], v[1:2], v[176:177]
	v_add_f64 v[3:4], v[3:4], v[134:135]
	s_waitcnt vmcnt(18) lgkmcnt(0)
	v_mul_f64 v[134:135], v[148:149], v[156:157]
	v_mul_f64 v[150:151], v[146:147], v[156:157]
	v_fma_f64 v[156:157], v[138:139], v[154:155], -v[182:183]
	v_fma_f64 v[152:153], v[140:141], v[154:155], v[152:153]
	v_add_f64 v[142:143], v[1:2], v[142:143]
	v_add_f64 v[144:145], v[3:4], v[144:145]
	ds_read_b128 v[1:4], v136 offset:64
	ds_read_b128 v[138:141], v136 offset:80
	s_waitcnt vmcnt(16)
	v_fma_f64 v[134:135], v[146:147], v[158:159], -v[134:135]
	v_fma_f64 v[146:147], v[148:149], v[158:159], v[150:151]
	s_waitcnt vmcnt(12) lgkmcnt(1)
	v_mul_f64 v[154:155], v[3:4], v[160:161]
	v_mul_f64 v[160:161], v[1:2], v[160:161]
	v_add_f64 v[142:143], v[142:143], v[156:157]
	v_add_f64 v[144:145], v[144:145], v[152:153]
	s_waitcnt vmcnt(10) lgkmcnt(0)
	v_mul_f64 v[148:149], v[140:141], v[162:163]
	v_mul_f64 v[150:151], v[138:139], v[162:163]
	s_waitcnt vmcnt(8)
	v_fma_f64 v[152:153], v[1:2], v[166:167], -v[154:155]
	v_fma_f64 v[154:155], v[3:4], v[166:167], v[160:161]
	v_add_f64 v[134:135], v[142:143], v[134:135]
	v_add_f64 v[146:147], v[144:145], v[146:147]
	ds_read_b128 v[1:4], v136 offset:96
	ds_read_b128 v[142:145], v136 offset:112
	v_fma_f64 v[138:139], v[138:139], v[164:165], -v[148:149]
	v_fma_f64 v[140:141], v[140:141], v[164:165], v[150:151]
	s_waitcnt vmcnt(4) lgkmcnt(1)
	v_mul_f64 v[156:157], v[3:4], v[168:169]
	v_mul_f64 v[158:159], v[1:2], v[168:169]
	v_add_f64 v[134:135], v[134:135], v[152:153]
	v_add_f64 v[146:147], v[146:147], v[154:155]
	s_waitcnt vmcnt(2) lgkmcnt(0)
	v_mul_f64 v[148:149], v[144:145], v[170:171]
	v_mul_f64 v[150:151], v[142:143], v[170:171]
	s_waitcnt vmcnt(0)
	v_fma_f64 v[1:2], v[1:2], v[174:175], -v[156:157]
	v_fma_f64 v[3:4], v[3:4], v[174:175], v[158:159]
	v_add_f64 v[134:135], v[134:135], v[138:139]
	v_add_f64 v[138:139], v[146:147], v[140:141]
	v_fma_f64 v[140:141], v[142:143], v[172:173], -v[148:149]
	v_fma_f64 v[142:143], v[144:145], v[172:173], v[150:151]
	v_add_f64 v[1:2], v[134:135], v[1:2]
	v_add_f64 v[3:4], v[138:139], v[3:4]
	;; [unrolled: 1-line block ×4, first 2 shown]
	s_andn2_b32 exec_lo, exec_lo, s73
	s_cbranch_execnz .LBB126_193
; %bb.194:
	s_or_b32 exec_lo, exec_lo, s73
.LBB126_195:
	s_or_b32 exec_lo, exec_lo, s4
	v_and_b32_e32 v134, 7, v0
	s_mov_b32 s72, 0
	s_mov_b32 s4, exec_lo
	v_cmpx_ne_u32_e32 0, v134
	s_cbranch_execz .LBB126_199
; %bb.196:
	v_lshlrev_b32_e32 v135, 4, v133
	v_add_nc_u32_e32 v133, 0x3f0, v135
	.p2align	6
.LBB126_197:                            ; =>This Inner Loop Header: Depth=1
	s_clause 0x3
	buffer_load_dword v142, v135, s[0:3], 0 offen offset:8
	buffer_load_dword v143, v135, s[0:3], 0 offen offset:12
	buffer_load_dword v144, v135, s[0:3], 0 offen
	buffer_load_dword v145, v135, s[0:3], 0 offen offset:4
	ds_read_b128 v[138:141], v133
	v_add_nc_u32_e32 v134, -1, v134
	v_add_nc_u32_e32 v133, 16, v133
	v_add_nc_u32_e32 v135, 16, v135
	v_cmp_eq_u32_e32 vcc_lo, 0, v134
	s_or_b32 s72, vcc_lo, s72
	s_waitcnt vmcnt(2) lgkmcnt(0)
	v_mul_f64 v[146:147], v[140:141], v[142:143]
	v_mul_f64 v[142:143], v[138:139], v[142:143]
	s_waitcnt vmcnt(0)
	v_fma_f64 v[138:139], v[138:139], v[144:145], -v[146:147]
	v_fma_f64 v[140:141], v[140:141], v[144:145], v[142:143]
	v_add_f64 v[1:2], v[1:2], v[138:139]
	v_add_f64 v[3:4], v[3:4], v[140:141]
	s_andn2_b32 exec_lo, exec_lo, s72
	s_cbranch_execnz .LBB126_197
; %bb.198:
	s_or_b32 exec_lo, exec_lo, s72
.LBB126_199:
	s_or_b32 exec_lo, exec_lo, s4
.LBB126_200:
	s_or_b32 exec_lo, exec_lo, s8
	v_mov_b32_e32 v133, 0
	ds_read_b128 v[133:136], v133 offset:752
	s_waitcnt lgkmcnt(0)
	v_mul_f64 v[138:139], v[3:4], v[135:136]
	v_mul_f64 v[135:136], v[1:2], v[135:136]
	v_fma_f64 v[1:2], v[1:2], v[133:134], -v[138:139]
	v_fma_f64 v[3:4], v[3:4], v[133:134], v[135:136]
	buffer_store_dword v2, off, s[0:3], 0 offset:756
	buffer_store_dword v1, off, s[0:3], 0 offset:752
	;; [unrolled: 1-line block ×4, first 2 shown]
.LBB126_201:
	s_or_b32 exec_lo, exec_lo, s6
	v_mov_b32_e32 v4, s25
	v_cmp_lt_u32_e64 s4, 46, v0
	s_clause 0x3
	buffer_load_dword v1, v4, s[0:3], 0 offen
	buffer_load_dword v2, v4, s[0:3], 0 offen offset:4
	buffer_load_dword v3, v4, s[0:3], 0 offen offset:8
	;; [unrolled: 1-line block ×3, first 2 shown]
	s_waitcnt vmcnt(0)
	ds_write_b128 v132, v[1:4]
	s_waitcnt lgkmcnt(0)
	s_waitcnt_vscnt null, 0x0
	s_barrier
	buffer_gl0_inv
	s_and_saveexec_b32 s6, s4
	s_cbranch_execz .LBB126_215
; %bb.202:
	ds_read_b128 v[1:4], v132
	s_andn2_b32 vcc_lo, exec_lo, s7
	s_cbranch_vccnz .LBB126_204
; %bb.203:
	s_clause 0x3
	buffer_load_dword v133, v131, s[0:3], 0 offen offset:8
	buffer_load_dword v134, v131, s[0:3], 0 offen offset:12
	buffer_load_dword v135, v131, s[0:3], 0 offen
	buffer_load_dword v136, v131, s[0:3], 0 offen offset:4
	s_waitcnt vmcnt(2) lgkmcnt(0)
	v_mul_f64 v[138:139], v[3:4], v[133:134]
	v_mul_f64 v[133:134], v[1:2], v[133:134]
	s_waitcnt vmcnt(0)
	v_fma_f64 v[1:2], v[1:2], v[135:136], -v[138:139]
	v_fma_f64 v[3:4], v[3:4], v[135:136], v[133:134]
.LBB126_204:
	s_and_saveexec_b32 s8, s5
	s_cbranch_execz .LBB126_214
; %bb.205:
	v_subrev_nc_u32_e32 v134, 48, v0
	v_mov_b32_e32 v135, 47
	v_subrev_nc_u32_e32 v133, 47, v0
	s_mov_b32 s5, exec_lo
	v_cmpx_lt_u32_e32 6, v134
	s_cbranch_execz .LBB126_209
; %bb.206:
	v_and_b32_e32 v134, -8, v133
	s_movk_i32 s73, 0x6e0
	s_mov_b32 s72, 0
	s_mov_b32 s74, s24
	;; [unrolled: 1-line block ×3, first 2 shown]
.LBB126_207:                            ; =>This Inner Loop Header: Depth=1
	v_mov_b32_e32 v138, s74
	v_mov_b32_e32 v184, s73
	s_add_i32 s76, s75, 8
	s_add_i32 s75, s75, 55
	v_cmp_eq_u32_e32 vcc_lo, s76, v134
	s_clause 0x1f
	buffer_load_dword v135, v138, s[0:3], 0 offen offset:8
	buffer_load_dword v136, v138, s[0:3], 0 offen offset:12
	buffer_load_dword v146, v138, s[0:3], 0 offen
	buffer_load_dword v147, v138, s[0:3], 0 offen offset:4
	buffer_load_dword v148, v138, s[0:3], 0 offen offset:24
	;; [unrolled: 1-line block ×29, first 2 shown]
	ds_read_b128 v[138:141], v184
	ds_read_b128 v[142:145], v184 offset:16
	s_addk_i32 s73, 0x80
	s_addk_i32 s74, 0x80
	s_or_b32 s72, vcc_lo, s72
	s_waitcnt vmcnt(30) lgkmcnt(1)
	v_mul_f64 v[176:177], v[140:141], v[135:136]
	v_mul_f64 v[135:136], v[138:139], v[135:136]
	s_waitcnt vmcnt(26) lgkmcnt(0)
	v_mul_f64 v[178:179], v[144:145], v[148:149]
	v_mul_f64 v[180:181], v[142:143], v[148:149]
	v_fma_f64 v[176:177], v[138:139], v[146:147], -v[176:177]
	v_fma_f64 v[135:136], v[140:141], v[146:147], v[135:136]
	ds_read_b128 v[138:141], v184 offset:32
	ds_read_b128 v[146:149], v184 offset:48
	s_waitcnt vmcnt(24)
	v_fma_f64 v[142:143], v[142:143], v[150:151], -v[178:179]
	v_fma_f64 v[144:145], v[144:145], v[150:151], v[180:181]
	s_waitcnt vmcnt(22) lgkmcnt(1)
	v_mul_f64 v[182:183], v[140:141], v[152:153]
	v_mul_f64 v[152:153], v[138:139], v[152:153]
	v_add_f64 v[1:2], v[1:2], v[176:177]
	v_add_f64 v[3:4], v[3:4], v[135:136]
	s_waitcnt vmcnt(18) lgkmcnt(0)
	v_mul_f64 v[135:136], v[148:149], v[156:157]
	v_mul_f64 v[150:151], v[146:147], v[156:157]
	v_fma_f64 v[156:157], v[138:139], v[154:155], -v[182:183]
	v_fma_f64 v[152:153], v[140:141], v[154:155], v[152:153]
	v_add_f64 v[142:143], v[1:2], v[142:143]
	v_add_f64 v[144:145], v[3:4], v[144:145]
	ds_read_b128 v[1:4], v184 offset:64
	ds_read_b128 v[138:141], v184 offset:80
	s_waitcnt vmcnt(16)
	v_fma_f64 v[135:136], v[146:147], v[158:159], -v[135:136]
	v_fma_f64 v[146:147], v[148:149], v[158:159], v[150:151]
	s_waitcnt vmcnt(12) lgkmcnt(1)
	v_mul_f64 v[154:155], v[3:4], v[160:161]
	v_mul_f64 v[160:161], v[1:2], v[160:161]
	v_add_f64 v[142:143], v[142:143], v[156:157]
	v_add_f64 v[144:145], v[144:145], v[152:153]
	s_waitcnt vmcnt(10) lgkmcnt(0)
	v_mul_f64 v[148:149], v[140:141], v[162:163]
	v_mul_f64 v[150:151], v[138:139], v[162:163]
	s_waitcnt vmcnt(8)
	v_fma_f64 v[152:153], v[1:2], v[166:167], -v[154:155]
	v_fma_f64 v[154:155], v[3:4], v[166:167], v[160:161]
	v_add_f64 v[135:136], v[142:143], v[135:136]
	v_add_f64 v[146:147], v[144:145], v[146:147]
	ds_read_b128 v[1:4], v184 offset:96
	ds_read_b128 v[142:145], v184 offset:112
	v_fma_f64 v[138:139], v[138:139], v[164:165], -v[148:149]
	v_fma_f64 v[140:141], v[140:141], v[164:165], v[150:151]
	s_waitcnt vmcnt(4) lgkmcnt(1)
	v_mul_f64 v[156:157], v[3:4], v[168:169]
	v_mul_f64 v[158:159], v[1:2], v[168:169]
	v_add_f64 v[135:136], v[135:136], v[152:153]
	v_add_f64 v[146:147], v[146:147], v[154:155]
	s_waitcnt vmcnt(2) lgkmcnt(0)
	v_mul_f64 v[148:149], v[144:145], v[170:171]
	v_mul_f64 v[150:151], v[142:143], v[170:171]
	s_waitcnt vmcnt(0)
	v_fma_f64 v[1:2], v[1:2], v[174:175], -v[156:157]
	v_fma_f64 v[3:4], v[3:4], v[174:175], v[158:159]
	v_add_f64 v[135:136], v[135:136], v[138:139]
	v_add_f64 v[138:139], v[146:147], v[140:141]
	v_fma_f64 v[140:141], v[142:143], v[172:173], -v[148:149]
	v_fma_f64 v[142:143], v[144:145], v[172:173], v[150:151]
	v_add_f64 v[1:2], v[135:136], v[1:2]
	v_add_f64 v[3:4], v[138:139], v[3:4]
	v_mov_b32_e32 v135, s75
	s_mov_b32 s75, s76
	v_add_f64 v[1:2], v[1:2], v[140:141]
	v_add_f64 v[3:4], v[3:4], v[142:143]
	s_andn2_b32 exec_lo, exec_lo, s72
	s_cbranch_execnz .LBB126_207
; %bb.208:
	s_or_b32 exec_lo, exec_lo, s72
.LBB126_209:
	s_or_b32 exec_lo, exec_lo, s5
	v_and_b32_e32 v133, 7, v133
	s_mov_b32 s72, 0
	s_mov_b32 s5, exec_lo
	v_cmpx_ne_u32_e32 0, v133
	s_cbranch_execz .LBB126_213
; %bb.210:
	v_lshlrev_b32_e32 v135, 4, v135
	v_add_nc_u32_e32 v134, 0x3f0, v135
	.p2align	6
.LBB126_211:                            ; =>This Inner Loop Header: Depth=1
	s_clause 0x3
	buffer_load_dword v142, v135, s[0:3], 0 offen offset:8
	buffer_load_dword v143, v135, s[0:3], 0 offen offset:12
	buffer_load_dword v144, v135, s[0:3], 0 offen
	buffer_load_dword v145, v135, s[0:3], 0 offen offset:4
	ds_read_b128 v[138:141], v134
	v_add_nc_u32_e32 v133, -1, v133
	v_add_nc_u32_e32 v134, 16, v134
	v_add_nc_u32_e32 v135, 16, v135
	v_cmp_eq_u32_e32 vcc_lo, 0, v133
	s_or_b32 s72, vcc_lo, s72
	s_waitcnt vmcnt(2) lgkmcnt(0)
	v_mul_f64 v[146:147], v[140:141], v[142:143]
	v_mul_f64 v[142:143], v[138:139], v[142:143]
	s_waitcnt vmcnt(0)
	v_fma_f64 v[138:139], v[138:139], v[144:145], -v[146:147]
	v_fma_f64 v[140:141], v[140:141], v[144:145], v[142:143]
	v_add_f64 v[1:2], v[1:2], v[138:139]
	v_add_f64 v[3:4], v[3:4], v[140:141]
	s_andn2_b32 exec_lo, exec_lo, s72
	s_cbranch_execnz .LBB126_211
; %bb.212:
	s_or_b32 exec_lo, exec_lo, s72
.LBB126_213:
	s_or_b32 exec_lo, exec_lo, s5
.LBB126_214:
	s_or_b32 exec_lo, exec_lo, s8
	v_mov_b32_e32 v133, 0
	ds_read_b128 v[133:136], v133 offset:736
	s_waitcnt lgkmcnt(0)
	v_mul_f64 v[138:139], v[3:4], v[135:136]
	v_mul_f64 v[135:136], v[1:2], v[135:136]
	v_fma_f64 v[1:2], v[1:2], v[133:134], -v[138:139]
	v_fma_f64 v[3:4], v[3:4], v[133:134], v[135:136]
	buffer_store_dword v2, off, s[0:3], 0 offset:740
	buffer_store_dword v1, off, s[0:3], 0 offset:736
	;; [unrolled: 1-line block ×4, first 2 shown]
.LBB126_215:
	s_or_b32 exec_lo, exec_lo, s6
	v_mov_b32_e32 v4, s26
	v_cmp_lt_u32_e64 s5, 45, v0
	s_clause 0x3
	buffer_load_dword v1, v4, s[0:3], 0 offen
	buffer_load_dword v2, v4, s[0:3], 0 offen offset:4
	buffer_load_dword v3, v4, s[0:3], 0 offen offset:8
	buffer_load_dword v4, v4, s[0:3], 0 offen offset:12
	s_waitcnt vmcnt(0)
	ds_write_b128 v132, v[1:4]
	s_waitcnt lgkmcnt(0)
	s_waitcnt_vscnt null, 0x0
	s_barrier
	buffer_gl0_inv
	s_and_saveexec_b32 s6, s5
	s_cbranch_execz .LBB126_229
; %bb.216:
	ds_read_b128 v[1:4], v132
	s_andn2_b32 vcc_lo, exec_lo, s7
	s_cbranch_vccnz .LBB126_218
; %bb.217:
	s_clause 0x3
	buffer_load_dword v133, v131, s[0:3], 0 offen offset:8
	buffer_load_dword v134, v131, s[0:3], 0 offen offset:12
	buffer_load_dword v135, v131, s[0:3], 0 offen
	buffer_load_dword v136, v131, s[0:3], 0 offen offset:4
	s_waitcnt vmcnt(2) lgkmcnt(0)
	v_mul_f64 v[138:139], v[3:4], v[133:134]
	v_mul_f64 v[133:134], v[1:2], v[133:134]
	s_waitcnt vmcnt(0)
	v_fma_f64 v[1:2], v[1:2], v[135:136], -v[138:139]
	v_fma_f64 v[3:4], v[3:4], v[135:136], v[133:134]
.LBB126_218:
	s_and_saveexec_b32 s8, s4
	s_cbranch_execz .LBB126_228
; %bb.219:
	v_subrev_nc_u32_e32 v134, 47, v0
	v_mov_b32_e32 v135, 46
	v_subrev_nc_u32_e32 v133, 46, v0
	s_mov_b32 s4, exec_lo
	v_cmpx_lt_u32_e32 6, v134
	s_cbranch_execz .LBB126_223
; %bb.220:
	v_and_b32_e32 v134, -8, v133
	s_movk_i32 s73, 0x6d0
	s_mov_b32 s72, 0
	s_mov_b32 s74, s25
	;; [unrolled: 1-line block ×3, first 2 shown]
.LBB126_221:                            ; =>This Inner Loop Header: Depth=1
	v_mov_b32_e32 v138, s74
	v_mov_b32_e32 v184, s73
	s_add_i32 s76, s75, 8
	s_add_i32 s75, s75, 54
	v_cmp_eq_u32_e32 vcc_lo, s76, v134
	s_clause 0x1f
	buffer_load_dword v135, v138, s[0:3], 0 offen offset:8
	buffer_load_dword v136, v138, s[0:3], 0 offen offset:12
	buffer_load_dword v146, v138, s[0:3], 0 offen
	buffer_load_dword v147, v138, s[0:3], 0 offen offset:4
	buffer_load_dword v148, v138, s[0:3], 0 offen offset:24
	;; [unrolled: 1-line block ×29, first 2 shown]
	ds_read_b128 v[138:141], v184
	ds_read_b128 v[142:145], v184 offset:16
	s_addk_i32 s73, 0x80
	s_addk_i32 s74, 0x80
	s_or_b32 s72, vcc_lo, s72
	s_waitcnt vmcnt(30) lgkmcnt(1)
	v_mul_f64 v[176:177], v[140:141], v[135:136]
	v_mul_f64 v[135:136], v[138:139], v[135:136]
	s_waitcnt vmcnt(26) lgkmcnt(0)
	v_mul_f64 v[178:179], v[144:145], v[148:149]
	v_mul_f64 v[180:181], v[142:143], v[148:149]
	v_fma_f64 v[176:177], v[138:139], v[146:147], -v[176:177]
	v_fma_f64 v[135:136], v[140:141], v[146:147], v[135:136]
	ds_read_b128 v[138:141], v184 offset:32
	ds_read_b128 v[146:149], v184 offset:48
	s_waitcnt vmcnt(24)
	v_fma_f64 v[142:143], v[142:143], v[150:151], -v[178:179]
	v_fma_f64 v[144:145], v[144:145], v[150:151], v[180:181]
	s_waitcnt vmcnt(22) lgkmcnt(1)
	v_mul_f64 v[182:183], v[140:141], v[152:153]
	v_mul_f64 v[152:153], v[138:139], v[152:153]
	v_add_f64 v[1:2], v[1:2], v[176:177]
	v_add_f64 v[3:4], v[3:4], v[135:136]
	s_waitcnt vmcnt(18) lgkmcnt(0)
	v_mul_f64 v[135:136], v[148:149], v[156:157]
	v_mul_f64 v[150:151], v[146:147], v[156:157]
	v_fma_f64 v[156:157], v[138:139], v[154:155], -v[182:183]
	v_fma_f64 v[152:153], v[140:141], v[154:155], v[152:153]
	v_add_f64 v[142:143], v[1:2], v[142:143]
	v_add_f64 v[144:145], v[3:4], v[144:145]
	ds_read_b128 v[1:4], v184 offset:64
	ds_read_b128 v[138:141], v184 offset:80
	s_waitcnt vmcnt(16)
	v_fma_f64 v[135:136], v[146:147], v[158:159], -v[135:136]
	v_fma_f64 v[146:147], v[148:149], v[158:159], v[150:151]
	s_waitcnt vmcnt(12) lgkmcnt(1)
	v_mul_f64 v[154:155], v[3:4], v[160:161]
	v_mul_f64 v[160:161], v[1:2], v[160:161]
	v_add_f64 v[142:143], v[142:143], v[156:157]
	v_add_f64 v[144:145], v[144:145], v[152:153]
	s_waitcnt vmcnt(10) lgkmcnt(0)
	v_mul_f64 v[148:149], v[140:141], v[162:163]
	v_mul_f64 v[150:151], v[138:139], v[162:163]
	s_waitcnt vmcnt(8)
	v_fma_f64 v[152:153], v[1:2], v[166:167], -v[154:155]
	v_fma_f64 v[154:155], v[3:4], v[166:167], v[160:161]
	v_add_f64 v[135:136], v[142:143], v[135:136]
	v_add_f64 v[146:147], v[144:145], v[146:147]
	ds_read_b128 v[1:4], v184 offset:96
	ds_read_b128 v[142:145], v184 offset:112
	v_fma_f64 v[138:139], v[138:139], v[164:165], -v[148:149]
	v_fma_f64 v[140:141], v[140:141], v[164:165], v[150:151]
	s_waitcnt vmcnt(4) lgkmcnt(1)
	v_mul_f64 v[156:157], v[3:4], v[168:169]
	v_mul_f64 v[158:159], v[1:2], v[168:169]
	v_add_f64 v[135:136], v[135:136], v[152:153]
	v_add_f64 v[146:147], v[146:147], v[154:155]
	s_waitcnt vmcnt(2) lgkmcnt(0)
	v_mul_f64 v[148:149], v[144:145], v[170:171]
	v_mul_f64 v[150:151], v[142:143], v[170:171]
	s_waitcnt vmcnt(0)
	v_fma_f64 v[1:2], v[1:2], v[174:175], -v[156:157]
	v_fma_f64 v[3:4], v[3:4], v[174:175], v[158:159]
	v_add_f64 v[135:136], v[135:136], v[138:139]
	v_add_f64 v[138:139], v[146:147], v[140:141]
	v_fma_f64 v[140:141], v[142:143], v[172:173], -v[148:149]
	v_fma_f64 v[142:143], v[144:145], v[172:173], v[150:151]
	v_add_f64 v[1:2], v[135:136], v[1:2]
	v_add_f64 v[3:4], v[138:139], v[3:4]
	v_mov_b32_e32 v135, s75
	s_mov_b32 s75, s76
	v_add_f64 v[1:2], v[1:2], v[140:141]
	v_add_f64 v[3:4], v[3:4], v[142:143]
	s_andn2_b32 exec_lo, exec_lo, s72
	s_cbranch_execnz .LBB126_221
; %bb.222:
	s_or_b32 exec_lo, exec_lo, s72
.LBB126_223:
	s_or_b32 exec_lo, exec_lo, s4
	v_and_b32_e32 v133, 7, v133
	s_mov_b32 s72, 0
	s_mov_b32 s4, exec_lo
	v_cmpx_ne_u32_e32 0, v133
	s_cbranch_execz .LBB126_227
; %bb.224:
	v_lshlrev_b32_e32 v135, 4, v135
	v_add_nc_u32_e32 v134, 0x3f0, v135
	.p2align	6
.LBB126_225:                            ; =>This Inner Loop Header: Depth=1
	s_clause 0x3
	buffer_load_dword v142, v135, s[0:3], 0 offen offset:8
	buffer_load_dword v143, v135, s[0:3], 0 offen offset:12
	buffer_load_dword v144, v135, s[0:3], 0 offen
	buffer_load_dword v145, v135, s[0:3], 0 offen offset:4
	ds_read_b128 v[138:141], v134
	v_add_nc_u32_e32 v133, -1, v133
	v_add_nc_u32_e32 v134, 16, v134
	v_add_nc_u32_e32 v135, 16, v135
	v_cmp_eq_u32_e32 vcc_lo, 0, v133
	s_or_b32 s72, vcc_lo, s72
	s_waitcnt vmcnt(2) lgkmcnt(0)
	v_mul_f64 v[146:147], v[140:141], v[142:143]
	v_mul_f64 v[142:143], v[138:139], v[142:143]
	s_waitcnt vmcnt(0)
	v_fma_f64 v[138:139], v[138:139], v[144:145], -v[146:147]
	v_fma_f64 v[140:141], v[140:141], v[144:145], v[142:143]
	v_add_f64 v[1:2], v[1:2], v[138:139]
	v_add_f64 v[3:4], v[3:4], v[140:141]
	s_andn2_b32 exec_lo, exec_lo, s72
	s_cbranch_execnz .LBB126_225
; %bb.226:
	s_or_b32 exec_lo, exec_lo, s72
.LBB126_227:
	s_or_b32 exec_lo, exec_lo, s4
.LBB126_228:
	s_or_b32 exec_lo, exec_lo, s8
	v_mov_b32_e32 v133, 0
	ds_read_b128 v[133:136], v133 offset:720
	s_waitcnt lgkmcnt(0)
	v_mul_f64 v[138:139], v[3:4], v[135:136]
	v_mul_f64 v[135:136], v[1:2], v[135:136]
	v_fma_f64 v[1:2], v[1:2], v[133:134], -v[138:139]
	v_fma_f64 v[3:4], v[3:4], v[133:134], v[135:136]
	buffer_store_dword v2, off, s[0:3], 0 offset:724
	buffer_store_dword v1, off, s[0:3], 0 offset:720
	;; [unrolled: 1-line block ×4, first 2 shown]
.LBB126_229:
	s_or_b32 exec_lo, exec_lo, s6
	v_mov_b32_e32 v4, s27
	v_cmp_lt_u32_e64 s4, 44, v0
	s_clause 0x3
	buffer_load_dword v1, v4, s[0:3], 0 offen
	buffer_load_dword v2, v4, s[0:3], 0 offen offset:4
	buffer_load_dword v3, v4, s[0:3], 0 offen offset:8
	;; [unrolled: 1-line block ×3, first 2 shown]
	s_waitcnt vmcnt(0)
	ds_write_b128 v132, v[1:4]
	s_waitcnt lgkmcnt(0)
	s_waitcnt_vscnt null, 0x0
	s_barrier
	buffer_gl0_inv
	s_and_saveexec_b32 s6, s4
	s_cbranch_execz .LBB126_243
; %bb.230:
	ds_read_b128 v[1:4], v132
	s_andn2_b32 vcc_lo, exec_lo, s7
	s_cbranch_vccnz .LBB126_232
; %bb.231:
	s_clause 0x3
	buffer_load_dword v133, v131, s[0:3], 0 offen offset:8
	buffer_load_dword v134, v131, s[0:3], 0 offen offset:12
	buffer_load_dword v135, v131, s[0:3], 0 offen
	buffer_load_dword v136, v131, s[0:3], 0 offen offset:4
	s_waitcnt vmcnt(2) lgkmcnt(0)
	v_mul_f64 v[138:139], v[3:4], v[133:134]
	v_mul_f64 v[133:134], v[1:2], v[133:134]
	s_waitcnt vmcnt(0)
	v_fma_f64 v[1:2], v[1:2], v[135:136], -v[138:139]
	v_fma_f64 v[3:4], v[3:4], v[135:136], v[133:134]
.LBB126_232:
	s_and_saveexec_b32 s8, s5
	s_cbranch_execz .LBB126_242
; %bb.233:
	v_subrev_nc_u32_e32 v134, 46, v0
	v_mov_b32_e32 v135, 45
	v_subrev_nc_u32_e32 v133, 45, v0
	s_mov_b32 s5, exec_lo
	v_cmpx_lt_u32_e32 6, v134
	s_cbranch_execz .LBB126_237
; %bb.234:
	v_and_b32_e32 v134, -8, v133
	s_movk_i32 s73, 0x6c0
	s_mov_b32 s72, 0
	s_mov_b32 s74, s26
	;; [unrolled: 1-line block ×3, first 2 shown]
.LBB126_235:                            ; =>This Inner Loop Header: Depth=1
	v_mov_b32_e32 v138, s74
	v_mov_b32_e32 v184, s73
	s_add_i32 s76, s75, 8
	s_add_i32 s75, s75, 53
	v_cmp_eq_u32_e32 vcc_lo, s76, v134
	s_clause 0x1f
	buffer_load_dword v135, v138, s[0:3], 0 offen offset:8
	buffer_load_dword v136, v138, s[0:3], 0 offen offset:12
	buffer_load_dword v146, v138, s[0:3], 0 offen
	buffer_load_dword v147, v138, s[0:3], 0 offen offset:4
	buffer_load_dword v148, v138, s[0:3], 0 offen offset:24
	;; [unrolled: 1-line block ×29, first 2 shown]
	ds_read_b128 v[138:141], v184
	ds_read_b128 v[142:145], v184 offset:16
	s_addk_i32 s73, 0x80
	s_addk_i32 s74, 0x80
	s_or_b32 s72, vcc_lo, s72
	s_waitcnt vmcnt(30) lgkmcnt(1)
	v_mul_f64 v[176:177], v[140:141], v[135:136]
	v_mul_f64 v[135:136], v[138:139], v[135:136]
	s_waitcnt vmcnt(26) lgkmcnt(0)
	v_mul_f64 v[178:179], v[144:145], v[148:149]
	v_mul_f64 v[180:181], v[142:143], v[148:149]
	v_fma_f64 v[176:177], v[138:139], v[146:147], -v[176:177]
	v_fma_f64 v[135:136], v[140:141], v[146:147], v[135:136]
	ds_read_b128 v[138:141], v184 offset:32
	ds_read_b128 v[146:149], v184 offset:48
	s_waitcnt vmcnt(24)
	v_fma_f64 v[142:143], v[142:143], v[150:151], -v[178:179]
	v_fma_f64 v[144:145], v[144:145], v[150:151], v[180:181]
	s_waitcnt vmcnt(22) lgkmcnt(1)
	v_mul_f64 v[182:183], v[140:141], v[152:153]
	v_mul_f64 v[152:153], v[138:139], v[152:153]
	v_add_f64 v[1:2], v[1:2], v[176:177]
	v_add_f64 v[3:4], v[3:4], v[135:136]
	s_waitcnt vmcnt(18) lgkmcnt(0)
	v_mul_f64 v[135:136], v[148:149], v[156:157]
	v_mul_f64 v[150:151], v[146:147], v[156:157]
	v_fma_f64 v[156:157], v[138:139], v[154:155], -v[182:183]
	v_fma_f64 v[152:153], v[140:141], v[154:155], v[152:153]
	v_add_f64 v[142:143], v[1:2], v[142:143]
	v_add_f64 v[144:145], v[3:4], v[144:145]
	ds_read_b128 v[1:4], v184 offset:64
	ds_read_b128 v[138:141], v184 offset:80
	s_waitcnt vmcnt(16)
	v_fma_f64 v[135:136], v[146:147], v[158:159], -v[135:136]
	v_fma_f64 v[146:147], v[148:149], v[158:159], v[150:151]
	s_waitcnt vmcnt(12) lgkmcnt(1)
	v_mul_f64 v[154:155], v[3:4], v[160:161]
	v_mul_f64 v[160:161], v[1:2], v[160:161]
	v_add_f64 v[142:143], v[142:143], v[156:157]
	v_add_f64 v[144:145], v[144:145], v[152:153]
	s_waitcnt vmcnt(10) lgkmcnt(0)
	v_mul_f64 v[148:149], v[140:141], v[162:163]
	v_mul_f64 v[150:151], v[138:139], v[162:163]
	s_waitcnt vmcnt(8)
	v_fma_f64 v[152:153], v[1:2], v[166:167], -v[154:155]
	v_fma_f64 v[154:155], v[3:4], v[166:167], v[160:161]
	v_add_f64 v[135:136], v[142:143], v[135:136]
	v_add_f64 v[146:147], v[144:145], v[146:147]
	ds_read_b128 v[1:4], v184 offset:96
	ds_read_b128 v[142:145], v184 offset:112
	v_fma_f64 v[138:139], v[138:139], v[164:165], -v[148:149]
	v_fma_f64 v[140:141], v[140:141], v[164:165], v[150:151]
	s_waitcnt vmcnt(4) lgkmcnt(1)
	v_mul_f64 v[156:157], v[3:4], v[168:169]
	v_mul_f64 v[158:159], v[1:2], v[168:169]
	v_add_f64 v[135:136], v[135:136], v[152:153]
	v_add_f64 v[146:147], v[146:147], v[154:155]
	s_waitcnt vmcnt(2) lgkmcnt(0)
	v_mul_f64 v[148:149], v[144:145], v[170:171]
	v_mul_f64 v[150:151], v[142:143], v[170:171]
	s_waitcnt vmcnt(0)
	v_fma_f64 v[1:2], v[1:2], v[174:175], -v[156:157]
	v_fma_f64 v[3:4], v[3:4], v[174:175], v[158:159]
	v_add_f64 v[135:136], v[135:136], v[138:139]
	v_add_f64 v[138:139], v[146:147], v[140:141]
	v_fma_f64 v[140:141], v[142:143], v[172:173], -v[148:149]
	v_fma_f64 v[142:143], v[144:145], v[172:173], v[150:151]
	v_add_f64 v[1:2], v[135:136], v[1:2]
	v_add_f64 v[3:4], v[138:139], v[3:4]
	v_mov_b32_e32 v135, s75
	s_mov_b32 s75, s76
	v_add_f64 v[1:2], v[1:2], v[140:141]
	v_add_f64 v[3:4], v[3:4], v[142:143]
	s_andn2_b32 exec_lo, exec_lo, s72
	s_cbranch_execnz .LBB126_235
; %bb.236:
	s_or_b32 exec_lo, exec_lo, s72
.LBB126_237:
	s_or_b32 exec_lo, exec_lo, s5
	v_and_b32_e32 v133, 7, v133
	s_mov_b32 s72, 0
	s_mov_b32 s5, exec_lo
	v_cmpx_ne_u32_e32 0, v133
	s_cbranch_execz .LBB126_241
; %bb.238:
	v_lshlrev_b32_e32 v135, 4, v135
	v_add_nc_u32_e32 v134, 0x3f0, v135
	.p2align	6
.LBB126_239:                            ; =>This Inner Loop Header: Depth=1
	s_clause 0x3
	buffer_load_dword v142, v135, s[0:3], 0 offen offset:8
	buffer_load_dword v143, v135, s[0:3], 0 offen offset:12
	buffer_load_dword v144, v135, s[0:3], 0 offen
	buffer_load_dword v145, v135, s[0:3], 0 offen offset:4
	ds_read_b128 v[138:141], v134
	v_add_nc_u32_e32 v133, -1, v133
	v_add_nc_u32_e32 v134, 16, v134
	v_add_nc_u32_e32 v135, 16, v135
	v_cmp_eq_u32_e32 vcc_lo, 0, v133
	s_or_b32 s72, vcc_lo, s72
	s_waitcnt vmcnt(2) lgkmcnt(0)
	v_mul_f64 v[146:147], v[140:141], v[142:143]
	v_mul_f64 v[142:143], v[138:139], v[142:143]
	s_waitcnt vmcnt(0)
	v_fma_f64 v[138:139], v[138:139], v[144:145], -v[146:147]
	v_fma_f64 v[140:141], v[140:141], v[144:145], v[142:143]
	v_add_f64 v[1:2], v[1:2], v[138:139]
	v_add_f64 v[3:4], v[3:4], v[140:141]
	s_andn2_b32 exec_lo, exec_lo, s72
	s_cbranch_execnz .LBB126_239
; %bb.240:
	s_or_b32 exec_lo, exec_lo, s72
.LBB126_241:
	s_or_b32 exec_lo, exec_lo, s5
.LBB126_242:
	s_or_b32 exec_lo, exec_lo, s8
	v_mov_b32_e32 v133, 0
	ds_read_b128 v[133:136], v133 offset:704
	s_waitcnt lgkmcnt(0)
	v_mul_f64 v[138:139], v[3:4], v[135:136]
	v_mul_f64 v[135:136], v[1:2], v[135:136]
	v_fma_f64 v[1:2], v[1:2], v[133:134], -v[138:139]
	v_fma_f64 v[3:4], v[3:4], v[133:134], v[135:136]
	buffer_store_dword v2, off, s[0:3], 0 offset:708
	buffer_store_dword v1, off, s[0:3], 0 offset:704
	;; [unrolled: 1-line block ×4, first 2 shown]
.LBB126_243:
	s_or_b32 exec_lo, exec_lo, s6
	v_mov_b32_e32 v4, s28
	v_cmp_lt_u32_e64 s5, 43, v0
	s_clause 0x3
	buffer_load_dword v1, v4, s[0:3], 0 offen
	buffer_load_dword v2, v4, s[0:3], 0 offen offset:4
	buffer_load_dword v3, v4, s[0:3], 0 offen offset:8
	;; [unrolled: 1-line block ×3, first 2 shown]
	s_waitcnt vmcnt(0)
	ds_write_b128 v132, v[1:4]
	s_waitcnt lgkmcnt(0)
	s_waitcnt_vscnt null, 0x0
	s_barrier
	buffer_gl0_inv
	s_and_saveexec_b32 s6, s5
	s_cbranch_execz .LBB126_257
; %bb.244:
	ds_read_b128 v[1:4], v132
	s_andn2_b32 vcc_lo, exec_lo, s7
	s_cbranch_vccnz .LBB126_246
; %bb.245:
	s_clause 0x3
	buffer_load_dword v133, v131, s[0:3], 0 offen offset:8
	buffer_load_dword v134, v131, s[0:3], 0 offen offset:12
	buffer_load_dword v135, v131, s[0:3], 0 offen
	buffer_load_dword v136, v131, s[0:3], 0 offen offset:4
	s_waitcnt vmcnt(2) lgkmcnt(0)
	v_mul_f64 v[138:139], v[3:4], v[133:134]
	v_mul_f64 v[133:134], v[1:2], v[133:134]
	s_waitcnt vmcnt(0)
	v_fma_f64 v[1:2], v[1:2], v[135:136], -v[138:139]
	v_fma_f64 v[3:4], v[3:4], v[135:136], v[133:134]
.LBB126_246:
	s_and_saveexec_b32 s8, s4
	s_cbranch_execz .LBB126_256
; %bb.247:
	v_subrev_nc_u32_e32 v134, 45, v0
	v_mov_b32_e32 v135, 44
	v_subrev_nc_u32_e32 v133, 44, v0
	s_mov_b32 s4, exec_lo
	v_cmpx_lt_u32_e32 6, v134
	s_cbranch_execz .LBB126_251
; %bb.248:
	v_and_b32_e32 v134, -8, v133
	s_movk_i32 s73, 0x6b0
	s_mov_b32 s72, 0
	s_mov_b32 s74, s27
	;; [unrolled: 1-line block ×3, first 2 shown]
.LBB126_249:                            ; =>This Inner Loop Header: Depth=1
	v_mov_b32_e32 v138, s74
	v_mov_b32_e32 v184, s73
	s_add_i32 s76, s75, 8
	s_add_i32 s75, s75, 52
	v_cmp_eq_u32_e32 vcc_lo, s76, v134
	s_clause 0x1f
	buffer_load_dword v135, v138, s[0:3], 0 offen offset:8
	buffer_load_dword v136, v138, s[0:3], 0 offen offset:12
	buffer_load_dword v146, v138, s[0:3], 0 offen
	buffer_load_dword v147, v138, s[0:3], 0 offen offset:4
	buffer_load_dword v148, v138, s[0:3], 0 offen offset:24
	;; [unrolled: 1-line block ×29, first 2 shown]
	ds_read_b128 v[138:141], v184
	ds_read_b128 v[142:145], v184 offset:16
	s_addk_i32 s73, 0x80
	s_addk_i32 s74, 0x80
	s_or_b32 s72, vcc_lo, s72
	s_waitcnt vmcnt(30) lgkmcnt(1)
	v_mul_f64 v[176:177], v[140:141], v[135:136]
	v_mul_f64 v[135:136], v[138:139], v[135:136]
	s_waitcnt vmcnt(26) lgkmcnt(0)
	v_mul_f64 v[178:179], v[144:145], v[148:149]
	v_mul_f64 v[180:181], v[142:143], v[148:149]
	v_fma_f64 v[176:177], v[138:139], v[146:147], -v[176:177]
	v_fma_f64 v[135:136], v[140:141], v[146:147], v[135:136]
	ds_read_b128 v[138:141], v184 offset:32
	ds_read_b128 v[146:149], v184 offset:48
	s_waitcnt vmcnt(24)
	v_fma_f64 v[142:143], v[142:143], v[150:151], -v[178:179]
	v_fma_f64 v[144:145], v[144:145], v[150:151], v[180:181]
	s_waitcnt vmcnt(22) lgkmcnt(1)
	v_mul_f64 v[182:183], v[140:141], v[152:153]
	v_mul_f64 v[152:153], v[138:139], v[152:153]
	v_add_f64 v[1:2], v[1:2], v[176:177]
	v_add_f64 v[3:4], v[3:4], v[135:136]
	s_waitcnt vmcnt(18) lgkmcnt(0)
	v_mul_f64 v[135:136], v[148:149], v[156:157]
	v_mul_f64 v[150:151], v[146:147], v[156:157]
	v_fma_f64 v[156:157], v[138:139], v[154:155], -v[182:183]
	v_fma_f64 v[152:153], v[140:141], v[154:155], v[152:153]
	v_add_f64 v[142:143], v[1:2], v[142:143]
	v_add_f64 v[144:145], v[3:4], v[144:145]
	ds_read_b128 v[1:4], v184 offset:64
	ds_read_b128 v[138:141], v184 offset:80
	s_waitcnt vmcnt(16)
	v_fma_f64 v[135:136], v[146:147], v[158:159], -v[135:136]
	v_fma_f64 v[146:147], v[148:149], v[158:159], v[150:151]
	s_waitcnt vmcnt(12) lgkmcnt(1)
	v_mul_f64 v[154:155], v[3:4], v[160:161]
	v_mul_f64 v[160:161], v[1:2], v[160:161]
	v_add_f64 v[142:143], v[142:143], v[156:157]
	v_add_f64 v[144:145], v[144:145], v[152:153]
	s_waitcnt vmcnt(10) lgkmcnt(0)
	v_mul_f64 v[148:149], v[140:141], v[162:163]
	v_mul_f64 v[150:151], v[138:139], v[162:163]
	s_waitcnt vmcnt(8)
	v_fma_f64 v[152:153], v[1:2], v[166:167], -v[154:155]
	v_fma_f64 v[154:155], v[3:4], v[166:167], v[160:161]
	v_add_f64 v[135:136], v[142:143], v[135:136]
	v_add_f64 v[146:147], v[144:145], v[146:147]
	ds_read_b128 v[1:4], v184 offset:96
	ds_read_b128 v[142:145], v184 offset:112
	v_fma_f64 v[138:139], v[138:139], v[164:165], -v[148:149]
	v_fma_f64 v[140:141], v[140:141], v[164:165], v[150:151]
	s_waitcnt vmcnt(4) lgkmcnt(1)
	v_mul_f64 v[156:157], v[3:4], v[168:169]
	v_mul_f64 v[158:159], v[1:2], v[168:169]
	v_add_f64 v[135:136], v[135:136], v[152:153]
	v_add_f64 v[146:147], v[146:147], v[154:155]
	s_waitcnt vmcnt(2) lgkmcnt(0)
	v_mul_f64 v[148:149], v[144:145], v[170:171]
	v_mul_f64 v[150:151], v[142:143], v[170:171]
	s_waitcnt vmcnt(0)
	v_fma_f64 v[1:2], v[1:2], v[174:175], -v[156:157]
	v_fma_f64 v[3:4], v[3:4], v[174:175], v[158:159]
	v_add_f64 v[135:136], v[135:136], v[138:139]
	v_add_f64 v[138:139], v[146:147], v[140:141]
	v_fma_f64 v[140:141], v[142:143], v[172:173], -v[148:149]
	v_fma_f64 v[142:143], v[144:145], v[172:173], v[150:151]
	v_add_f64 v[1:2], v[135:136], v[1:2]
	v_add_f64 v[3:4], v[138:139], v[3:4]
	v_mov_b32_e32 v135, s75
	s_mov_b32 s75, s76
	v_add_f64 v[1:2], v[1:2], v[140:141]
	v_add_f64 v[3:4], v[3:4], v[142:143]
	s_andn2_b32 exec_lo, exec_lo, s72
	s_cbranch_execnz .LBB126_249
; %bb.250:
	s_or_b32 exec_lo, exec_lo, s72
.LBB126_251:
	s_or_b32 exec_lo, exec_lo, s4
	v_and_b32_e32 v133, 7, v133
	s_mov_b32 s72, 0
	s_mov_b32 s4, exec_lo
	v_cmpx_ne_u32_e32 0, v133
	s_cbranch_execz .LBB126_255
; %bb.252:
	v_lshlrev_b32_e32 v135, 4, v135
	v_add_nc_u32_e32 v134, 0x3f0, v135
	.p2align	6
.LBB126_253:                            ; =>This Inner Loop Header: Depth=1
	s_clause 0x3
	buffer_load_dword v142, v135, s[0:3], 0 offen offset:8
	buffer_load_dword v143, v135, s[0:3], 0 offen offset:12
	buffer_load_dword v144, v135, s[0:3], 0 offen
	buffer_load_dword v145, v135, s[0:3], 0 offen offset:4
	ds_read_b128 v[138:141], v134
	v_add_nc_u32_e32 v133, -1, v133
	v_add_nc_u32_e32 v134, 16, v134
	v_add_nc_u32_e32 v135, 16, v135
	v_cmp_eq_u32_e32 vcc_lo, 0, v133
	s_or_b32 s72, vcc_lo, s72
	s_waitcnt vmcnt(2) lgkmcnt(0)
	v_mul_f64 v[146:147], v[140:141], v[142:143]
	v_mul_f64 v[142:143], v[138:139], v[142:143]
	s_waitcnt vmcnt(0)
	v_fma_f64 v[138:139], v[138:139], v[144:145], -v[146:147]
	v_fma_f64 v[140:141], v[140:141], v[144:145], v[142:143]
	v_add_f64 v[1:2], v[1:2], v[138:139]
	v_add_f64 v[3:4], v[3:4], v[140:141]
	s_andn2_b32 exec_lo, exec_lo, s72
	s_cbranch_execnz .LBB126_253
; %bb.254:
	s_or_b32 exec_lo, exec_lo, s72
.LBB126_255:
	s_or_b32 exec_lo, exec_lo, s4
.LBB126_256:
	s_or_b32 exec_lo, exec_lo, s8
	v_mov_b32_e32 v133, 0
	ds_read_b128 v[133:136], v133 offset:688
	s_waitcnt lgkmcnt(0)
	v_mul_f64 v[138:139], v[3:4], v[135:136]
	v_mul_f64 v[135:136], v[1:2], v[135:136]
	v_fma_f64 v[1:2], v[1:2], v[133:134], -v[138:139]
	v_fma_f64 v[3:4], v[3:4], v[133:134], v[135:136]
	buffer_store_dword v2, off, s[0:3], 0 offset:692
	buffer_store_dword v1, off, s[0:3], 0 offset:688
	;; [unrolled: 1-line block ×4, first 2 shown]
.LBB126_257:
	s_or_b32 exec_lo, exec_lo, s6
	v_mov_b32_e32 v4, s29
	v_cmp_lt_u32_e64 s4, 42, v0
	s_clause 0x3
	buffer_load_dword v1, v4, s[0:3], 0 offen
	buffer_load_dword v2, v4, s[0:3], 0 offen offset:4
	buffer_load_dword v3, v4, s[0:3], 0 offen offset:8
	;; [unrolled: 1-line block ×3, first 2 shown]
	s_waitcnt vmcnt(0)
	ds_write_b128 v132, v[1:4]
	s_waitcnt lgkmcnt(0)
	s_waitcnt_vscnt null, 0x0
	s_barrier
	buffer_gl0_inv
	s_and_saveexec_b32 s6, s4
	s_cbranch_execz .LBB126_271
; %bb.258:
	ds_read_b128 v[1:4], v132
	s_andn2_b32 vcc_lo, exec_lo, s7
	s_cbranch_vccnz .LBB126_260
; %bb.259:
	s_clause 0x3
	buffer_load_dword v133, v131, s[0:3], 0 offen offset:8
	buffer_load_dword v134, v131, s[0:3], 0 offen offset:12
	buffer_load_dword v135, v131, s[0:3], 0 offen
	buffer_load_dword v136, v131, s[0:3], 0 offen offset:4
	s_waitcnt vmcnt(2) lgkmcnt(0)
	v_mul_f64 v[138:139], v[3:4], v[133:134]
	v_mul_f64 v[133:134], v[1:2], v[133:134]
	s_waitcnt vmcnt(0)
	v_fma_f64 v[1:2], v[1:2], v[135:136], -v[138:139]
	v_fma_f64 v[3:4], v[3:4], v[135:136], v[133:134]
.LBB126_260:
	s_and_saveexec_b32 s8, s5
	s_cbranch_execz .LBB126_270
; %bb.261:
	v_subrev_nc_u32_e32 v134, 44, v0
	v_mov_b32_e32 v135, 43
	v_subrev_nc_u32_e32 v133, 43, v0
	s_mov_b32 s5, exec_lo
	v_cmpx_lt_u32_e32 6, v134
	s_cbranch_execz .LBB126_265
; %bb.262:
	v_and_b32_e32 v134, -8, v133
	s_movk_i32 s73, 0x6a0
	s_mov_b32 s72, 0
	s_mov_b32 s74, s28
	;; [unrolled: 1-line block ×3, first 2 shown]
.LBB126_263:                            ; =>This Inner Loop Header: Depth=1
	v_mov_b32_e32 v138, s74
	v_mov_b32_e32 v184, s73
	s_add_i32 s76, s75, 8
	s_add_i32 s75, s75, 51
	v_cmp_eq_u32_e32 vcc_lo, s76, v134
	s_clause 0x1f
	buffer_load_dword v135, v138, s[0:3], 0 offen offset:8
	buffer_load_dword v136, v138, s[0:3], 0 offen offset:12
	buffer_load_dword v146, v138, s[0:3], 0 offen
	buffer_load_dword v147, v138, s[0:3], 0 offen offset:4
	buffer_load_dword v148, v138, s[0:3], 0 offen offset:24
	;; [unrolled: 1-line block ×29, first 2 shown]
	ds_read_b128 v[138:141], v184
	ds_read_b128 v[142:145], v184 offset:16
	s_addk_i32 s73, 0x80
	s_addk_i32 s74, 0x80
	s_or_b32 s72, vcc_lo, s72
	s_waitcnt vmcnt(30) lgkmcnt(1)
	v_mul_f64 v[176:177], v[140:141], v[135:136]
	v_mul_f64 v[135:136], v[138:139], v[135:136]
	s_waitcnt vmcnt(26) lgkmcnt(0)
	v_mul_f64 v[178:179], v[144:145], v[148:149]
	v_mul_f64 v[180:181], v[142:143], v[148:149]
	v_fma_f64 v[176:177], v[138:139], v[146:147], -v[176:177]
	v_fma_f64 v[135:136], v[140:141], v[146:147], v[135:136]
	ds_read_b128 v[138:141], v184 offset:32
	ds_read_b128 v[146:149], v184 offset:48
	s_waitcnt vmcnt(24)
	v_fma_f64 v[142:143], v[142:143], v[150:151], -v[178:179]
	v_fma_f64 v[144:145], v[144:145], v[150:151], v[180:181]
	s_waitcnt vmcnt(22) lgkmcnt(1)
	v_mul_f64 v[182:183], v[140:141], v[152:153]
	v_mul_f64 v[152:153], v[138:139], v[152:153]
	v_add_f64 v[1:2], v[1:2], v[176:177]
	v_add_f64 v[3:4], v[3:4], v[135:136]
	s_waitcnt vmcnt(18) lgkmcnt(0)
	v_mul_f64 v[135:136], v[148:149], v[156:157]
	v_mul_f64 v[150:151], v[146:147], v[156:157]
	v_fma_f64 v[156:157], v[138:139], v[154:155], -v[182:183]
	v_fma_f64 v[152:153], v[140:141], v[154:155], v[152:153]
	v_add_f64 v[142:143], v[1:2], v[142:143]
	v_add_f64 v[144:145], v[3:4], v[144:145]
	ds_read_b128 v[1:4], v184 offset:64
	ds_read_b128 v[138:141], v184 offset:80
	s_waitcnt vmcnt(16)
	v_fma_f64 v[135:136], v[146:147], v[158:159], -v[135:136]
	v_fma_f64 v[146:147], v[148:149], v[158:159], v[150:151]
	s_waitcnt vmcnt(12) lgkmcnt(1)
	v_mul_f64 v[154:155], v[3:4], v[160:161]
	v_mul_f64 v[160:161], v[1:2], v[160:161]
	v_add_f64 v[142:143], v[142:143], v[156:157]
	v_add_f64 v[144:145], v[144:145], v[152:153]
	s_waitcnt vmcnt(10) lgkmcnt(0)
	v_mul_f64 v[148:149], v[140:141], v[162:163]
	v_mul_f64 v[150:151], v[138:139], v[162:163]
	s_waitcnt vmcnt(8)
	v_fma_f64 v[152:153], v[1:2], v[166:167], -v[154:155]
	v_fma_f64 v[154:155], v[3:4], v[166:167], v[160:161]
	v_add_f64 v[135:136], v[142:143], v[135:136]
	v_add_f64 v[146:147], v[144:145], v[146:147]
	ds_read_b128 v[1:4], v184 offset:96
	ds_read_b128 v[142:145], v184 offset:112
	v_fma_f64 v[138:139], v[138:139], v[164:165], -v[148:149]
	v_fma_f64 v[140:141], v[140:141], v[164:165], v[150:151]
	s_waitcnt vmcnt(4) lgkmcnt(1)
	v_mul_f64 v[156:157], v[3:4], v[168:169]
	v_mul_f64 v[158:159], v[1:2], v[168:169]
	v_add_f64 v[135:136], v[135:136], v[152:153]
	v_add_f64 v[146:147], v[146:147], v[154:155]
	s_waitcnt vmcnt(2) lgkmcnt(0)
	v_mul_f64 v[148:149], v[144:145], v[170:171]
	v_mul_f64 v[150:151], v[142:143], v[170:171]
	s_waitcnt vmcnt(0)
	v_fma_f64 v[1:2], v[1:2], v[174:175], -v[156:157]
	v_fma_f64 v[3:4], v[3:4], v[174:175], v[158:159]
	v_add_f64 v[135:136], v[135:136], v[138:139]
	v_add_f64 v[138:139], v[146:147], v[140:141]
	v_fma_f64 v[140:141], v[142:143], v[172:173], -v[148:149]
	v_fma_f64 v[142:143], v[144:145], v[172:173], v[150:151]
	v_add_f64 v[1:2], v[135:136], v[1:2]
	v_add_f64 v[3:4], v[138:139], v[3:4]
	v_mov_b32_e32 v135, s75
	s_mov_b32 s75, s76
	v_add_f64 v[1:2], v[1:2], v[140:141]
	v_add_f64 v[3:4], v[3:4], v[142:143]
	s_andn2_b32 exec_lo, exec_lo, s72
	s_cbranch_execnz .LBB126_263
; %bb.264:
	s_or_b32 exec_lo, exec_lo, s72
.LBB126_265:
	s_or_b32 exec_lo, exec_lo, s5
	v_and_b32_e32 v133, 7, v133
	s_mov_b32 s72, 0
	s_mov_b32 s5, exec_lo
	v_cmpx_ne_u32_e32 0, v133
	s_cbranch_execz .LBB126_269
; %bb.266:
	v_lshlrev_b32_e32 v135, 4, v135
	v_add_nc_u32_e32 v134, 0x3f0, v135
	.p2align	6
.LBB126_267:                            ; =>This Inner Loop Header: Depth=1
	s_clause 0x3
	buffer_load_dword v142, v135, s[0:3], 0 offen offset:8
	buffer_load_dword v143, v135, s[0:3], 0 offen offset:12
	buffer_load_dword v144, v135, s[0:3], 0 offen
	buffer_load_dword v145, v135, s[0:3], 0 offen offset:4
	ds_read_b128 v[138:141], v134
	v_add_nc_u32_e32 v133, -1, v133
	v_add_nc_u32_e32 v134, 16, v134
	v_add_nc_u32_e32 v135, 16, v135
	v_cmp_eq_u32_e32 vcc_lo, 0, v133
	s_or_b32 s72, vcc_lo, s72
	s_waitcnt vmcnt(2) lgkmcnt(0)
	v_mul_f64 v[146:147], v[140:141], v[142:143]
	v_mul_f64 v[142:143], v[138:139], v[142:143]
	s_waitcnt vmcnt(0)
	v_fma_f64 v[138:139], v[138:139], v[144:145], -v[146:147]
	v_fma_f64 v[140:141], v[140:141], v[144:145], v[142:143]
	v_add_f64 v[1:2], v[1:2], v[138:139]
	v_add_f64 v[3:4], v[3:4], v[140:141]
	s_andn2_b32 exec_lo, exec_lo, s72
	s_cbranch_execnz .LBB126_267
; %bb.268:
	s_or_b32 exec_lo, exec_lo, s72
.LBB126_269:
	s_or_b32 exec_lo, exec_lo, s5
.LBB126_270:
	s_or_b32 exec_lo, exec_lo, s8
	v_mov_b32_e32 v133, 0
	ds_read_b128 v[133:136], v133 offset:672
	s_waitcnt lgkmcnt(0)
	v_mul_f64 v[138:139], v[3:4], v[135:136]
	v_mul_f64 v[135:136], v[1:2], v[135:136]
	v_fma_f64 v[1:2], v[1:2], v[133:134], -v[138:139]
	v_fma_f64 v[3:4], v[3:4], v[133:134], v[135:136]
	buffer_store_dword v2, off, s[0:3], 0 offset:676
	buffer_store_dword v1, off, s[0:3], 0 offset:672
	;; [unrolled: 1-line block ×4, first 2 shown]
.LBB126_271:
	s_or_b32 exec_lo, exec_lo, s6
	v_mov_b32_e32 v4, s30
	v_cmp_lt_u32_e64 s5, 41, v0
	s_clause 0x3
	buffer_load_dword v1, v4, s[0:3], 0 offen
	buffer_load_dword v2, v4, s[0:3], 0 offen offset:4
	buffer_load_dword v3, v4, s[0:3], 0 offen offset:8
	;; [unrolled: 1-line block ×3, first 2 shown]
	s_waitcnt vmcnt(0)
	ds_write_b128 v132, v[1:4]
	s_waitcnt lgkmcnt(0)
	s_waitcnt_vscnt null, 0x0
	s_barrier
	buffer_gl0_inv
	s_and_saveexec_b32 s6, s5
	s_cbranch_execz .LBB126_285
; %bb.272:
	ds_read_b128 v[1:4], v132
	s_andn2_b32 vcc_lo, exec_lo, s7
	s_cbranch_vccnz .LBB126_274
; %bb.273:
	s_clause 0x3
	buffer_load_dword v133, v131, s[0:3], 0 offen offset:8
	buffer_load_dword v134, v131, s[0:3], 0 offen offset:12
	buffer_load_dword v135, v131, s[0:3], 0 offen
	buffer_load_dword v136, v131, s[0:3], 0 offen offset:4
	s_waitcnt vmcnt(2) lgkmcnt(0)
	v_mul_f64 v[138:139], v[3:4], v[133:134]
	v_mul_f64 v[133:134], v[1:2], v[133:134]
	s_waitcnt vmcnt(0)
	v_fma_f64 v[1:2], v[1:2], v[135:136], -v[138:139]
	v_fma_f64 v[3:4], v[3:4], v[135:136], v[133:134]
.LBB126_274:
	s_and_saveexec_b32 s8, s4
	s_cbranch_execz .LBB126_284
; %bb.275:
	v_subrev_nc_u32_e32 v134, 43, v0
	v_mov_b32_e32 v135, 42
	v_subrev_nc_u32_e32 v133, 42, v0
	s_mov_b32 s4, exec_lo
	v_cmpx_lt_u32_e32 6, v134
	s_cbranch_execz .LBB126_279
; %bb.276:
	v_and_b32_e32 v134, -8, v133
	s_movk_i32 s73, 0x690
	s_mov_b32 s72, 0
	s_mov_b32 s74, s29
	;; [unrolled: 1-line block ×3, first 2 shown]
.LBB126_277:                            ; =>This Inner Loop Header: Depth=1
	v_mov_b32_e32 v138, s74
	v_mov_b32_e32 v184, s73
	s_add_i32 s76, s75, 8
	s_add_i32 s75, s75, 50
	v_cmp_eq_u32_e32 vcc_lo, s76, v134
	s_clause 0x1f
	buffer_load_dword v135, v138, s[0:3], 0 offen offset:8
	buffer_load_dword v136, v138, s[0:3], 0 offen offset:12
	buffer_load_dword v146, v138, s[0:3], 0 offen
	buffer_load_dword v147, v138, s[0:3], 0 offen offset:4
	buffer_load_dword v148, v138, s[0:3], 0 offen offset:24
	;; [unrolled: 1-line block ×29, first 2 shown]
	ds_read_b128 v[138:141], v184
	ds_read_b128 v[142:145], v184 offset:16
	s_addk_i32 s73, 0x80
	s_addk_i32 s74, 0x80
	s_or_b32 s72, vcc_lo, s72
	s_waitcnt vmcnt(30) lgkmcnt(1)
	v_mul_f64 v[176:177], v[140:141], v[135:136]
	v_mul_f64 v[135:136], v[138:139], v[135:136]
	s_waitcnt vmcnt(26) lgkmcnt(0)
	v_mul_f64 v[178:179], v[144:145], v[148:149]
	v_mul_f64 v[180:181], v[142:143], v[148:149]
	v_fma_f64 v[176:177], v[138:139], v[146:147], -v[176:177]
	v_fma_f64 v[135:136], v[140:141], v[146:147], v[135:136]
	ds_read_b128 v[138:141], v184 offset:32
	ds_read_b128 v[146:149], v184 offset:48
	s_waitcnt vmcnt(24)
	v_fma_f64 v[142:143], v[142:143], v[150:151], -v[178:179]
	v_fma_f64 v[144:145], v[144:145], v[150:151], v[180:181]
	s_waitcnt vmcnt(22) lgkmcnt(1)
	v_mul_f64 v[182:183], v[140:141], v[152:153]
	v_mul_f64 v[152:153], v[138:139], v[152:153]
	v_add_f64 v[1:2], v[1:2], v[176:177]
	v_add_f64 v[3:4], v[3:4], v[135:136]
	s_waitcnt vmcnt(18) lgkmcnt(0)
	v_mul_f64 v[135:136], v[148:149], v[156:157]
	v_mul_f64 v[150:151], v[146:147], v[156:157]
	v_fma_f64 v[156:157], v[138:139], v[154:155], -v[182:183]
	v_fma_f64 v[152:153], v[140:141], v[154:155], v[152:153]
	v_add_f64 v[142:143], v[1:2], v[142:143]
	v_add_f64 v[144:145], v[3:4], v[144:145]
	ds_read_b128 v[1:4], v184 offset:64
	ds_read_b128 v[138:141], v184 offset:80
	s_waitcnt vmcnt(16)
	v_fma_f64 v[135:136], v[146:147], v[158:159], -v[135:136]
	v_fma_f64 v[146:147], v[148:149], v[158:159], v[150:151]
	s_waitcnt vmcnt(12) lgkmcnt(1)
	v_mul_f64 v[154:155], v[3:4], v[160:161]
	v_mul_f64 v[160:161], v[1:2], v[160:161]
	v_add_f64 v[142:143], v[142:143], v[156:157]
	v_add_f64 v[144:145], v[144:145], v[152:153]
	s_waitcnt vmcnt(10) lgkmcnt(0)
	v_mul_f64 v[148:149], v[140:141], v[162:163]
	v_mul_f64 v[150:151], v[138:139], v[162:163]
	s_waitcnt vmcnt(8)
	v_fma_f64 v[152:153], v[1:2], v[166:167], -v[154:155]
	v_fma_f64 v[154:155], v[3:4], v[166:167], v[160:161]
	v_add_f64 v[135:136], v[142:143], v[135:136]
	v_add_f64 v[146:147], v[144:145], v[146:147]
	ds_read_b128 v[1:4], v184 offset:96
	ds_read_b128 v[142:145], v184 offset:112
	v_fma_f64 v[138:139], v[138:139], v[164:165], -v[148:149]
	v_fma_f64 v[140:141], v[140:141], v[164:165], v[150:151]
	s_waitcnt vmcnt(4) lgkmcnt(1)
	v_mul_f64 v[156:157], v[3:4], v[168:169]
	v_mul_f64 v[158:159], v[1:2], v[168:169]
	v_add_f64 v[135:136], v[135:136], v[152:153]
	v_add_f64 v[146:147], v[146:147], v[154:155]
	s_waitcnt vmcnt(2) lgkmcnt(0)
	v_mul_f64 v[148:149], v[144:145], v[170:171]
	v_mul_f64 v[150:151], v[142:143], v[170:171]
	s_waitcnt vmcnt(0)
	v_fma_f64 v[1:2], v[1:2], v[174:175], -v[156:157]
	v_fma_f64 v[3:4], v[3:4], v[174:175], v[158:159]
	v_add_f64 v[135:136], v[135:136], v[138:139]
	v_add_f64 v[138:139], v[146:147], v[140:141]
	v_fma_f64 v[140:141], v[142:143], v[172:173], -v[148:149]
	v_fma_f64 v[142:143], v[144:145], v[172:173], v[150:151]
	v_add_f64 v[1:2], v[135:136], v[1:2]
	v_add_f64 v[3:4], v[138:139], v[3:4]
	v_mov_b32_e32 v135, s75
	s_mov_b32 s75, s76
	v_add_f64 v[1:2], v[1:2], v[140:141]
	v_add_f64 v[3:4], v[3:4], v[142:143]
	s_andn2_b32 exec_lo, exec_lo, s72
	s_cbranch_execnz .LBB126_277
; %bb.278:
	s_or_b32 exec_lo, exec_lo, s72
.LBB126_279:
	s_or_b32 exec_lo, exec_lo, s4
	v_and_b32_e32 v133, 7, v133
	s_mov_b32 s72, 0
	s_mov_b32 s4, exec_lo
	v_cmpx_ne_u32_e32 0, v133
	s_cbranch_execz .LBB126_283
; %bb.280:
	v_lshlrev_b32_e32 v135, 4, v135
	v_add_nc_u32_e32 v134, 0x3f0, v135
	.p2align	6
.LBB126_281:                            ; =>This Inner Loop Header: Depth=1
	s_clause 0x3
	buffer_load_dword v142, v135, s[0:3], 0 offen offset:8
	buffer_load_dword v143, v135, s[0:3], 0 offen offset:12
	buffer_load_dword v144, v135, s[0:3], 0 offen
	buffer_load_dword v145, v135, s[0:3], 0 offen offset:4
	ds_read_b128 v[138:141], v134
	v_add_nc_u32_e32 v133, -1, v133
	v_add_nc_u32_e32 v134, 16, v134
	v_add_nc_u32_e32 v135, 16, v135
	v_cmp_eq_u32_e32 vcc_lo, 0, v133
	s_or_b32 s72, vcc_lo, s72
	s_waitcnt vmcnt(2) lgkmcnt(0)
	v_mul_f64 v[146:147], v[140:141], v[142:143]
	v_mul_f64 v[142:143], v[138:139], v[142:143]
	s_waitcnt vmcnt(0)
	v_fma_f64 v[138:139], v[138:139], v[144:145], -v[146:147]
	v_fma_f64 v[140:141], v[140:141], v[144:145], v[142:143]
	v_add_f64 v[1:2], v[1:2], v[138:139]
	v_add_f64 v[3:4], v[3:4], v[140:141]
	s_andn2_b32 exec_lo, exec_lo, s72
	s_cbranch_execnz .LBB126_281
; %bb.282:
	s_or_b32 exec_lo, exec_lo, s72
.LBB126_283:
	s_or_b32 exec_lo, exec_lo, s4
.LBB126_284:
	s_or_b32 exec_lo, exec_lo, s8
	v_mov_b32_e32 v133, 0
	ds_read_b128 v[133:136], v133 offset:656
	s_waitcnt lgkmcnt(0)
	v_mul_f64 v[138:139], v[3:4], v[135:136]
	v_mul_f64 v[135:136], v[1:2], v[135:136]
	v_fma_f64 v[1:2], v[1:2], v[133:134], -v[138:139]
	v_fma_f64 v[3:4], v[3:4], v[133:134], v[135:136]
	buffer_store_dword v2, off, s[0:3], 0 offset:660
	buffer_store_dword v1, off, s[0:3], 0 offset:656
	;; [unrolled: 1-line block ×4, first 2 shown]
.LBB126_285:
	s_or_b32 exec_lo, exec_lo, s6
	v_mov_b32_e32 v4, s31
	v_cmp_lt_u32_e64 s4, 40, v0
	s_clause 0x3
	buffer_load_dword v1, v4, s[0:3], 0 offen
	buffer_load_dword v2, v4, s[0:3], 0 offen offset:4
	buffer_load_dword v3, v4, s[0:3], 0 offen offset:8
	buffer_load_dword v4, v4, s[0:3], 0 offen offset:12
	s_waitcnt vmcnt(0)
	ds_write_b128 v132, v[1:4]
	s_waitcnt lgkmcnt(0)
	s_waitcnt_vscnt null, 0x0
	s_barrier
	buffer_gl0_inv
	s_and_saveexec_b32 s6, s4
	s_cbranch_execz .LBB126_299
; %bb.286:
	ds_read_b128 v[1:4], v132
	s_andn2_b32 vcc_lo, exec_lo, s7
	s_cbranch_vccnz .LBB126_288
; %bb.287:
	s_clause 0x3
	buffer_load_dword v133, v131, s[0:3], 0 offen offset:8
	buffer_load_dword v134, v131, s[0:3], 0 offen offset:12
	buffer_load_dword v135, v131, s[0:3], 0 offen
	buffer_load_dword v136, v131, s[0:3], 0 offen offset:4
	s_waitcnt vmcnt(2) lgkmcnt(0)
	v_mul_f64 v[138:139], v[3:4], v[133:134]
	v_mul_f64 v[133:134], v[1:2], v[133:134]
	s_waitcnt vmcnt(0)
	v_fma_f64 v[1:2], v[1:2], v[135:136], -v[138:139]
	v_fma_f64 v[3:4], v[3:4], v[135:136], v[133:134]
.LBB126_288:
	s_and_saveexec_b32 s8, s5
	s_cbranch_execz .LBB126_298
; %bb.289:
	v_subrev_nc_u32_e32 v134, 42, v0
	v_mov_b32_e32 v135, 41
	v_subrev_nc_u32_e32 v133, 41, v0
	s_mov_b32 s5, exec_lo
	v_cmpx_lt_u32_e32 6, v134
	s_cbranch_execz .LBB126_293
; %bb.290:
	v_and_b32_e32 v134, -8, v133
	s_movk_i32 s73, 0x680
	s_mov_b32 s72, 0
	s_mov_b32 s74, s30
	;; [unrolled: 1-line block ×3, first 2 shown]
.LBB126_291:                            ; =>This Inner Loop Header: Depth=1
	v_mov_b32_e32 v138, s74
	v_mov_b32_e32 v184, s73
	s_add_i32 s76, s75, 8
	s_add_i32 s75, s75, 49
	v_cmp_eq_u32_e32 vcc_lo, s76, v134
	s_clause 0x1f
	buffer_load_dword v135, v138, s[0:3], 0 offen offset:8
	buffer_load_dword v136, v138, s[0:3], 0 offen offset:12
	buffer_load_dword v146, v138, s[0:3], 0 offen
	buffer_load_dword v147, v138, s[0:3], 0 offen offset:4
	buffer_load_dword v148, v138, s[0:3], 0 offen offset:24
	;; [unrolled: 1-line block ×29, first 2 shown]
	ds_read_b128 v[138:141], v184
	ds_read_b128 v[142:145], v184 offset:16
	s_addk_i32 s73, 0x80
	s_addk_i32 s74, 0x80
	s_or_b32 s72, vcc_lo, s72
	s_waitcnt vmcnt(30) lgkmcnt(1)
	v_mul_f64 v[176:177], v[140:141], v[135:136]
	v_mul_f64 v[135:136], v[138:139], v[135:136]
	s_waitcnt vmcnt(26) lgkmcnt(0)
	v_mul_f64 v[178:179], v[144:145], v[148:149]
	v_mul_f64 v[180:181], v[142:143], v[148:149]
	v_fma_f64 v[176:177], v[138:139], v[146:147], -v[176:177]
	v_fma_f64 v[135:136], v[140:141], v[146:147], v[135:136]
	ds_read_b128 v[138:141], v184 offset:32
	ds_read_b128 v[146:149], v184 offset:48
	s_waitcnt vmcnt(24)
	v_fma_f64 v[142:143], v[142:143], v[150:151], -v[178:179]
	v_fma_f64 v[144:145], v[144:145], v[150:151], v[180:181]
	s_waitcnt vmcnt(22) lgkmcnt(1)
	v_mul_f64 v[182:183], v[140:141], v[152:153]
	v_mul_f64 v[152:153], v[138:139], v[152:153]
	v_add_f64 v[1:2], v[1:2], v[176:177]
	v_add_f64 v[3:4], v[3:4], v[135:136]
	s_waitcnt vmcnt(18) lgkmcnt(0)
	v_mul_f64 v[135:136], v[148:149], v[156:157]
	v_mul_f64 v[150:151], v[146:147], v[156:157]
	v_fma_f64 v[156:157], v[138:139], v[154:155], -v[182:183]
	v_fma_f64 v[152:153], v[140:141], v[154:155], v[152:153]
	v_add_f64 v[142:143], v[1:2], v[142:143]
	v_add_f64 v[144:145], v[3:4], v[144:145]
	ds_read_b128 v[1:4], v184 offset:64
	ds_read_b128 v[138:141], v184 offset:80
	s_waitcnt vmcnt(16)
	v_fma_f64 v[135:136], v[146:147], v[158:159], -v[135:136]
	v_fma_f64 v[146:147], v[148:149], v[158:159], v[150:151]
	s_waitcnt vmcnt(12) lgkmcnt(1)
	v_mul_f64 v[154:155], v[3:4], v[160:161]
	v_mul_f64 v[160:161], v[1:2], v[160:161]
	v_add_f64 v[142:143], v[142:143], v[156:157]
	v_add_f64 v[144:145], v[144:145], v[152:153]
	s_waitcnt vmcnt(10) lgkmcnt(0)
	v_mul_f64 v[148:149], v[140:141], v[162:163]
	v_mul_f64 v[150:151], v[138:139], v[162:163]
	s_waitcnt vmcnt(8)
	v_fma_f64 v[152:153], v[1:2], v[166:167], -v[154:155]
	v_fma_f64 v[154:155], v[3:4], v[166:167], v[160:161]
	v_add_f64 v[135:136], v[142:143], v[135:136]
	v_add_f64 v[146:147], v[144:145], v[146:147]
	ds_read_b128 v[1:4], v184 offset:96
	ds_read_b128 v[142:145], v184 offset:112
	v_fma_f64 v[138:139], v[138:139], v[164:165], -v[148:149]
	v_fma_f64 v[140:141], v[140:141], v[164:165], v[150:151]
	s_waitcnt vmcnt(4) lgkmcnt(1)
	v_mul_f64 v[156:157], v[3:4], v[168:169]
	v_mul_f64 v[158:159], v[1:2], v[168:169]
	v_add_f64 v[135:136], v[135:136], v[152:153]
	v_add_f64 v[146:147], v[146:147], v[154:155]
	s_waitcnt vmcnt(2) lgkmcnt(0)
	v_mul_f64 v[148:149], v[144:145], v[170:171]
	v_mul_f64 v[150:151], v[142:143], v[170:171]
	s_waitcnt vmcnt(0)
	v_fma_f64 v[1:2], v[1:2], v[174:175], -v[156:157]
	v_fma_f64 v[3:4], v[3:4], v[174:175], v[158:159]
	v_add_f64 v[135:136], v[135:136], v[138:139]
	v_add_f64 v[138:139], v[146:147], v[140:141]
	v_fma_f64 v[140:141], v[142:143], v[172:173], -v[148:149]
	v_fma_f64 v[142:143], v[144:145], v[172:173], v[150:151]
	v_add_f64 v[1:2], v[135:136], v[1:2]
	v_add_f64 v[3:4], v[138:139], v[3:4]
	v_mov_b32_e32 v135, s75
	s_mov_b32 s75, s76
	v_add_f64 v[1:2], v[1:2], v[140:141]
	v_add_f64 v[3:4], v[3:4], v[142:143]
	s_andn2_b32 exec_lo, exec_lo, s72
	s_cbranch_execnz .LBB126_291
; %bb.292:
	s_or_b32 exec_lo, exec_lo, s72
.LBB126_293:
	s_or_b32 exec_lo, exec_lo, s5
	v_and_b32_e32 v133, 7, v133
	s_mov_b32 s72, 0
	s_mov_b32 s5, exec_lo
	v_cmpx_ne_u32_e32 0, v133
	s_cbranch_execz .LBB126_297
; %bb.294:
	v_lshlrev_b32_e32 v135, 4, v135
	v_add_nc_u32_e32 v134, 0x3f0, v135
	.p2align	6
.LBB126_295:                            ; =>This Inner Loop Header: Depth=1
	s_clause 0x3
	buffer_load_dword v142, v135, s[0:3], 0 offen offset:8
	buffer_load_dword v143, v135, s[0:3], 0 offen offset:12
	buffer_load_dword v144, v135, s[0:3], 0 offen
	buffer_load_dword v145, v135, s[0:3], 0 offen offset:4
	ds_read_b128 v[138:141], v134
	v_add_nc_u32_e32 v133, -1, v133
	v_add_nc_u32_e32 v134, 16, v134
	v_add_nc_u32_e32 v135, 16, v135
	v_cmp_eq_u32_e32 vcc_lo, 0, v133
	s_or_b32 s72, vcc_lo, s72
	s_waitcnt vmcnt(2) lgkmcnt(0)
	v_mul_f64 v[146:147], v[140:141], v[142:143]
	v_mul_f64 v[142:143], v[138:139], v[142:143]
	s_waitcnt vmcnt(0)
	v_fma_f64 v[138:139], v[138:139], v[144:145], -v[146:147]
	v_fma_f64 v[140:141], v[140:141], v[144:145], v[142:143]
	v_add_f64 v[1:2], v[1:2], v[138:139]
	v_add_f64 v[3:4], v[3:4], v[140:141]
	s_andn2_b32 exec_lo, exec_lo, s72
	s_cbranch_execnz .LBB126_295
; %bb.296:
	s_or_b32 exec_lo, exec_lo, s72
.LBB126_297:
	s_or_b32 exec_lo, exec_lo, s5
.LBB126_298:
	s_or_b32 exec_lo, exec_lo, s8
	v_mov_b32_e32 v133, 0
	ds_read_b128 v[133:136], v133 offset:640
	s_waitcnt lgkmcnt(0)
	v_mul_f64 v[138:139], v[3:4], v[135:136]
	v_mul_f64 v[135:136], v[1:2], v[135:136]
	v_fma_f64 v[1:2], v[1:2], v[133:134], -v[138:139]
	v_fma_f64 v[3:4], v[3:4], v[133:134], v[135:136]
	buffer_store_dword v2, off, s[0:3], 0 offset:644
	buffer_store_dword v1, off, s[0:3], 0 offset:640
	;; [unrolled: 1-line block ×4, first 2 shown]
.LBB126_299:
	s_or_b32 exec_lo, exec_lo, s6
	v_mov_b32_e32 v4, s33
	v_cmp_lt_u32_e64 s5, 39, v0
	s_clause 0x3
	buffer_load_dword v1, v4, s[0:3], 0 offen
	buffer_load_dword v2, v4, s[0:3], 0 offen offset:4
	buffer_load_dword v3, v4, s[0:3], 0 offen offset:8
	;; [unrolled: 1-line block ×3, first 2 shown]
	s_waitcnt vmcnt(0)
	ds_write_b128 v132, v[1:4]
	s_waitcnt lgkmcnt(0)
	s_waitcnt_vscnt null, 0x0
	s_barrier
	buffer_gl0_inv
	s_and_saveexec_b32 s6, s5
	s_cbranch_execz .LBB126_313
; %bb.300:
	ds_read_b128 v[1:4], v132
	s_andn2_b32 vcc_lo, exec_lo, s7
	s_cbranch_vccnz .LBB126_302
; %bb.301:
	s_clause 0x3
	buffer_load_dword v133, v131, s[0:3], 0 offen offset:8
	buffer_load_dword v134, v131, s[0:3], 0 offen offset:12
	buffer_load_dword v135, v131, s[0:3], 0 offen
	buffer_load_dword v136, v131, s[0:3], 0 offen offset:4
	s_waitcnt vmcnt(2) lgkmcnt(0)
	v_mul_f64 v[138:139], v[3:4], v[133:134]
	v_mul_f64 v[133:134], v[1:2], v[133:134]
	s_waitcnt vmcnt(0)
	v_fma_f64 v[1:2], v[1:2], v[135:136], -v[138:139]
	v_fma_f64 v[3:4], v[3:4], v[135:136], v[133:134]
.LBB126_302:
	s_and_saveexec_b32 s8, s4
	s_cbranch_execz .LBB126_312
; %bb.303:
	v_subrev_nc_u32_e32 v133, 41, v0
	v_cmp_lt_u32_e32 vcc_lo, 6, v133
	v_mov_b32_e32 v133, 40
	s_and_saveexec_b32 s4, vcc_lo
	s_cbranch_execz .LBB126_307
; %bb.304:
	v_and_b32_e32 v133, 56, v0
	s_mov_b32 s72, 40
	s_movk_i32 s74, 0x670
	s_mov_b32 s73, 0
	s_mov_b32 s75, s31
.LBB126_305:                            ; =>This Inner Loop Header: Depth=1
	v_mov_b32_e32 v136, s75
	s_add_i32 s72, s72, 8
	s_addk_i32 s75, 0x80
	v_cmp_eq_u32_e32 vcc_lo, s72, v133
	s_clause 0x1f
	buffer_load_dword v134, v136, s[0:3], 0 offen offset:8
	buffer_load_dword v135, v136, s[0:3], 0 offen offset:12
	buffer_load_dword v146, v136, s[0:3], 0 offen
	buffer_load_dword v147, v136, s[0:3], 0 offen offset:4
	buffer_load_dword v148, v136, s[0:3], 0 offen offset:24
	;; [unrolled: 1-line block ×29, first 2 shown]
	v_mov_b32_e32 v136, s74
	s_addk_i32 s74, 0x80
	s_or_b32 s73, vcc_lo, s73
	ds_read_b128 v[138:141], v136
	ds_read_b128 v[142:145], v136 offset:16
	s_waitcnt vmcnt(30) lgkmcnt(1)
	v_mul_f64 v[176:177], v[140:141], v[134:135]
	v_mul_f64 v[134:135], v[138:139], v[134:135]
	s_waitcnt vmcnt(26) lgkmcnt(0)
	v_mul_f64 v[178:179], v[144:145], v[148:149]
	v_mul_f64 v[180:181], v[142:143], v[148:149]
	v_fma_f64 v[176:177], v[138:139], v[146:147], -v[176:177]
	v_fma_f64 v[134:135], v[140:141], v[146:147], v[134:135]
	ds_read_b128 v[138:141], v136 offset:32
	ds_read_b128 v[146:149], v136 offset:48
	s_waitcnt vmcnt(24)
	v_fma_f64 v[142:143], v[142:143], v[150:151], -v[178:179]
	v_fma_f64 v[144:145], v[144:145], v[150:151], v[180:181]
	s_waitcnt vmcnt(22) lgkmcnt(1)
	v_mul_f64 v[182:183], v[140:141], v[152:153]
	v_mul_f64 v[152:153], v[138:139], v[152:153]
	v_add_f64 v[1:2], v[1:2], v[176:177]
	v_add_f64 v[3:4], v[3:4], v[134:135]
	s_waitcnt vmcnt(18) lgkmcnt(0)
	v_mul_f64 v[134:135], v[148:149], v[156:157]
	v_mul_f64 v[150:151], v[146:147], v[156:157]
	v_fma_f64 v[156:157], v[138:139], v[154:155], -v[182:183]
	v_fma_f64 v[152:153], v[140:141], v[154:155], v[152:153]
	v_add_f64 v[142:143], v[1:2], v[142:143]
	v_add_f64 v[144:145], v[3:4], v[144:145]
	ds_read_b128 v[1:4], v136 offset:64
	ds_read_b128 v[138:141], v136 offset:80
	s_waitcnt vmcnt(16)
	v_fma_f64 v[134:135], v[146:147], v[158:159], -v[134:135]
	v_fma_f64 v[146:147], v[148:149], v[158:159], v[150:151]
	s_waitcnt vmcnt(12) lgkmcnt(1)
	v_mul_f64 v[154:155], v[3:4], v[160:161]
	v_mul_f64 v[160:161], v[1:2], v[160:161]
	v_add_f64 v[142:143], v[142:143], v[156:157]
	v_add_f64 v[144:145], v[144:145], v[152:153]
	s_waitcnt vmcnt(10) lgkmcnt(0)
	v_mul_f64 v[148:149], v[140:141], v[162:163]
	v_mul_f64 v[150:151], v[138:139], v[162:163]
	s_waitcnt vmcnt(8)
	v_fma_f64 v[152:153], v[1:2], v[166:167], -v[154:155]
	v_fma_f64 v[154:155], v[3:4], v[166:167], v[160:161]
	v_add_f64 v[134:135], v[142:143], v[134:135]
	v_add_f64 v[146:147], v[144:145], v[146:147]
	ds_read_b128 v[1:4], v136 offset:96
	ds_read_b128 v[142:145], v136 offset:112
	v_fma_f64 v[138:139], v[138:139], v[164:165], -v[148:149]
	v_fma_f64 v[140:141], v[140:141], v[164:165], v[150:151]
	s_waitcnt vmcnt(4) lgkmcnt(1)
	v_mul_f64 v[156:157], v[3:4], v[168:169]
	v_mul_f64 v[158:159], v[1:2], v[168:169]
	v_add_f64 v[134:135], v[134:135], v[152:153]
	v_add_f64 v[146:147], v[146:147], v[154:155]
	s_waitcnt vmcnt(2) lgkmcnt(0)
	v_mul_f64 v[148:149], v[144:145], v[170:171]
	v_mul_f64 v[150:151], v[142:143], v[170:171]
	s_waitcnt vmcnt(0)
	v_fma_f64 v[1:2], v[1:2], v[174:175], -v[156:157]
	v_fma_f64 v[3:4], v[3:4], v[174:175], v[158:159]
	v_add_f64 v[134:135], v[134:135], v[138:139]
	v_add_f64 v[138:139], v[146:147], v[140:141]
	v_fma_f64 v[140:141], v[142:143], v[172:173], -v[148:149]
	v_fma_f64 v[142:143], v[144:145], v[172:173], v[150:151]
	v_add_f64 v[1:2], v[134:135], v[1:2]
	v_add_f64 v[3:4], v[138:139], v[3:4]
	;; [unrolled: 1-line block ×4, first 2 shown]
	s_andn2_b32 exec_lo, exec_lo, s73
	s_cbranch_execnz .LBB126_305
; %bb.306:
	s_or_b32 exec_lo, exec_lo, s73
.LBB126_307:
	s_or_b32 exec_lo, exec_lo, s4
	v_and_b32_e32 v134, 7, v0
	s_mov_b32 s72, 0
	s_mov_b32 s4, exec_lo
	v_cmpx_ne_u32_e32 0, v134
	s_cbranch_execz .LBB126_311
; %bb.308:
	v_lshlrev_b32_e32 v135, 4, v133
	v_add_nc_u32_e32 v133, 0x3f0, v135
	.p2align	6
.LBB126_309:                            ; =>This Inner Loop Header: Depth=1
	s_clause 0x3
	buffer_load_dword v142, v135, s[0:3], 0 offen offset:8
	buffer_load_dword v143, v135, s[0:3], 0 offen offset:12
	buffer_load_dword v144, v135, s[0:3], 0 offen
	buffer_load_dword v145, v135, s[0:3], 0 offen offset:4
	ds_read_b128 v[138:141], v133
	v_add_nc_u32_e32 v134, -1, v134
	v_add_nc_u32_e32 v133, 16, v133
	v_add_nc_u32_e32 v135, 16, v135
	v_cmp_eq_u32_e32 vcc_lo, 0, v134
	s_or_b32 s72, vcc_lo, s72
	s_waitcnt vmcnt(2) lgkmcnt(0)
	v_mul_f64 v[146:147], v[140:141], v[142:143]
	v_mul_f64 v[142:143], v[138:139], v[142:143]
	s_waitcnt vmcnt(0)
	v_fma_f64 v[138:139], v[138:139], v[144:145], -v[146:147]
	v_fma_f64 v[140:141], v[140:141], v[144:145], v[142:143]
	v_add_f64 v[1:2], v[1:2], v[138:139]
	v_add_f64 v[3:4], v[3:4], v[140:141]
	s_andn2_b32 exec_lo, exec_lo, s72
	s_cbranch_execnz .LBB126_309
; %bb.310:
	s_or_b32 exec_lo, exec_lo, s72
.LBB126_311:
	s_or_b32 exec_lo, exec_lo, s4
.LBB126_312:
	s_or_b32 exec_lo, exec_lo, s8
	v_mov_b32_e32 v133, 0
	ds_read_b128 v[133:136], v133 offset:624
	s_waitcnt lgkmcnt(0)
	v_mul_f64 v[138:139], v[3:4], v[135:136]
	v_mul_f64 v[135:136], v[1:2], v[135:136]
	v_fma_f64 v[1:2], v[1:2], v[133:134], -v[138:139]
	v_fma_f64 v[3:4], v[3:4], v[133:134], v[135:136]
	buffer_store_dword v2, off, s[0:3], 0 offset:628
	buffer_store_dword v1, off, s[0:3], 0 offset:624
	;; [unrolled: 1-line block ×4, first 2 shown]
.LBB126_313:
	s_or_b32 exec_lo, exec_lo, s6
	v_mov_b32_e32 v4, s34
	v_cmp_lt_u32_e64 s4, 38, v0
	s_clause 0x3
	buffer_load_dword v1, v4, s[0:3], 0 offen
	buffer_load_dword v2, v4, s[0:3], 0 offen offset:4
	buffer_load_dword v3, v4, s[0:3], 0 offen offset:8
	;; [unrolled: 1-line block ×3, first 2 shown]
	s_waitcnt vmcnt(0)
	ds_write_b128 v132, v[1:4]
	s_waitcnt lgkmcnt(0)
	s_waitcnt_vscnt null, 0x0
	s_barrier
	buffer_gl0_inv
	s_and_saveexec_b32 s6, s4
	s_cbranch_execz .LBB126_327
; %bb.314:
	ds_read_b128 v[1:4], v132
	s_andn2_b32 vcc_lo, exec_lo, s7
	s_cbranch_vccnz .LBB126_316
; %bb.315:
	s_clause 0x3
	buffer_load_dword v133, v131, s[0:3], 0 offen offset:8
	buffer_load_dword v134, v131, s[0:3], 0 offen offset:12
	buffer_load_dword v135, v131, s[0:3], 0 offen
	buffer_load_dword v136, v131, s[0:3], 0 offen offset:4
	s_waitcnt vmcnt(2) lgkmcnt(0)
	v_mul_f64 v[138:139], v[3:4], v[133:134]
	v_mul_f64 v[133:134], v[1:2], v[133:134]
	s_waitcnt vmcnt(0)
	v_fma_f64 v[1:2], v[1:2], v[135:136], -v[138:139]
	v_fma_f64 v[3:4], v[3:4], v[135:136], v[133:134]
.LBB126_316:
	s_and_saveexec_b32 s8, s5
	s_cbranch_execz .LBB126_326
; %bb.317:
	v_subrev_nc_u32_e32 v134, 40, v0
	v_mov_b32_e32 v135, 39
	v_subrev_nc_u32_e32 v133, 39, v0
	s_mov_b32 s5, exec_lo
	v_cmpx_lt_u32_e32 6, v134
	s_cbranch_execz .LBB126_321
; %bb.318:
	v_and_b32_e32 v134, -8, v133
	s_movk_i32 s73, 0x660
	s_mov_b32 s72, 0
	s_mov_b32 s74, s33
	;; [unrolled: 1-line block ×3, first 2 shown]
.LBB126_319:                            ; =>This Inner Loop Header: Depth=1
	v_mov_b32_e32 v138, s74
	v_mov_b32_e32 v184, s73
	s_add_i32 s76, s75, 8
	s_add_i32 s75, s75, 47
	v_cmp_eq_u32_e32 vcc_lo, s76, v134
	s_clause 0x1f
	buffer_load_dword v135, v138, s[0:3], 0 offen offset:8
	buffer_load_dword v136, v138, s[0:3], 0 offen offset:12
	buffer_load_dword v146, v138, s[0:3], 0 offen
	buffer_load_dword v147, v138, s[0:3], 0 offen offset:4
	buffer_load_dword v148, v138, s[0:3], 0 offen offset:24
	;; [unrolled: 1-line block ×29, first 2 shown]
	ds_read_b128 v[138:141], v184
	ds_read_b128 v[142:145], v184 offset:16
	s_addk_i32 s73, 0x80
	s_addk_i32 s74, 0x80
	s_or_b32 s72, vcc_lo, s72
	s_waitcnt vmcnt(30) lgkmcnt(1)
	v_mul_f64 v[176:177], v[140:141], v[135:136]
	v_mul_f64 v[135:136], v[138:139], v[135:136]
	s_waitcnt vmcnt(26) lgkmcnt(0)
	v_mul_f64 v[178:179], v[144:145], v[148:149]
	v_mul_f64 v[180:181], v[142:143], v[148:149]
	v_fma_f64 v[176:177], v[138:139], v[146:147], -v[176:177]
	v_fma_f64 v[135:136], v[140:141], v[146:147], v[135:136]
	ds_read_b128 v[138:141], v184 offset:32
	ds_read_b128 v[146:149], v184 offset:48
	s_waitcnt vmcnt(24)
	v_fma_f64 v[142:143], v[142:143], v[150:151], -v[178:179]
	v_fma_f64 v[144:145], v[144:145], v[150:151], v[180:181]
	s_waitcnt vmcnt(22) lgkmcnt(1)
	v_mul_f64 v[182:183], v[140:141], v[152:153]
	v_mul_f64 v[152:153], v[138:139], v[152:153]
	v_add_f64 v[1:2], v[1:2], v[176:177]
	v_add_f64 v[3:4], v[3:4], v[135:136]
	s_waitcnt vmcnt(18) lgkmcnt(0)
	v_mul_f64 v[135:136], v[148:149], v[156:157]
	v_mul_f64 v[150:151], v[146:147], v[156:157]
	v_fma_f64 v[156:157], v[138:139], v[154:155], -v[182:183]
	v_fma_f64 v[152:153], v[140:141], v[154:155], v[152:153]
	v_add_f64 v[142:143], v[1:2], v[142:143]
	v_add_f64 v[144:145], v[3:4], v[144:145]
	ds_read_b128 v[1:4], v184 offset:64
	ds_read_b128 v[138:141], v184 offset:80
	s_waitcnt vmcnt(16)
	v_fma_f64 v[135:136], v[146:147], v[158:159], -v[135:136]
	v_fma_f64 v[146:147], v[148:149], v[158:159], v[150:151]
	s_waitcnt vmcnt(12) lgkmcnt(1)
	v_mul_f64 v[154:155], v[3:4], v[160:161]
	v_mul_f64 v[160:161], v[1:2], v[160:161]
	v_add_f64 v[142:143], v[142:143], v[156:157]
	v_add_f64 v[144:145], v[144:145], v[152:153]
	s_waitcnt vmcnt(10) lgkmcnt(0)
	v_mul_f64 v[148:149], v[140:141], v[162:163]
	v_mul_f64 v[150:151], v[138:139], v[162:163]
	s_waitcnt vmcnt(8)
	v_fma_f64 v[152:153], v[1:2], v[166:167], -v[154:155]
	v_fma_f64 v[154:155], v[3:4], v[166:167], v[160:161]
	v_add_f64 v[135:136], v[142:143], v[135:136]
	v_add_f64 v[146:147], v[144:145], v[146:147]
	ds_read_b128 v[1:4], v184 offset:96
	ds_read_b128 v[142:145], v184 offset:112
	v_fma_f64 v[138:139], v[138:139], v[164:165], -v[148:149]
	v_fma_f64 v[140:141], v[140:141], v[164:165], v[150:151]
	s_waitcnt vmcnt(4) lgkmcnt(1)
	v_mul_f64 v[156:157], v[3:4], v[168:169]
	v_mul_f64 v[158:159], v[1:2], v[168:169]
	v_add_f64 v[135:136], v[135:136], v[152:153]
	v_add_f64 v[146:147], v[146:147], v[154:155]
	s_waitcnt vmcnt(2) lgkmcnt(0)
	v_mul_f64 v[148:149], v[144:145], v[170:171]
	v_mul_f64 v[150:151], v[142:143], v[170:171]
	s_waitcnt vmcnt(0)
	v_fma_f64 v[1:2], v[1:2], v[174:175], -v[156:157]
	v_fma_f64 v[3:4], v[3:4], v[174:175], v[158:159]
	v_add_f64 v[135:136], v[135:136], v[138:139]
	v_add_f64 v[138:139], v[146:147], v[140:141]
	v_fma_f64 v[140:141], v[142:143], v[172:173], -v[148:149]
	v_fma_f64 v[142:143], v[144:145], v[172:173], v[150:151]
	v_add_f64 v[1:2], v[135:136], v[1:2]
	v_add_f64 v[3:4], v[138:139], v[3:4]
	v_mov_b32_e32 v135, s75
	s_mov_b32 s75, s76
	v_add_f64 v[1:2], v[1:2], v[140:141]
	v_add_f64 v[3:4], v[3:4], v[142:143]
	s_andn2_b32 exec_lo, exec_lo, s72
	s_cbranch_execnz .LBB126_319
; %bb.320:
	s_or_b32 exec_lo, exec_lo, s72
.LBB126_321:
	s_or_b32 exec_lo, exec_lo, s5
	v_and_b32_e32 v133, 7, v133
	s_mov_b32 s72, 0
	s_mov_b32 s5, exec_lo
	v_cmpx_ne_u32_e32 0, v133
	s_cbranch_execz .LBB126_325
; %bb.322:
	v_lshlrev_b32_e32 v135, 4, v135
	v_add_nc_u32_e32 v134, 0x3f0, v135
	.p2align	6
.LBB126_323:                            ; =>This Inner Loop Header: Depth=1
	s_clause 0x3
	buffer_load_dword v142, v135, s[0:3], 0 offen offset:8
	buffer_load_dword v143, v135, s[0:3], 0 offen offset:12
	buffer_load_dword v144, v135, s[0:3], 0 offen
	buffer_load_dword v145, v135, s[0:3], 0 offen offset:4
	ds_read_b128 v[138:141], v134
	v_add_nc_u32_e32 v133, -1, v133
	v_add_nc_u32_e32 v134, 16, v134
	v_add_nc_u32_e32 v135, 16, v135
	v_cmp_eq_u32_e32 vcc_lo, 0, v133
	s_or_b32 s72, vcc_lo, s72
	s_waitcnt vmcnt(2) lgkmcnt(0)
	v_mul_f64 v[146:147], v[140:141], v[142:143]
	v_mul_f64 v[142:143], v[138:139], v[142:143]
	s_waitcnt vmcnt(0)
	v_fma_f64 v[138:139], v[138:139], v[144:145], -v[146:147]
	v_fma_f64 v[140:141], v[140:141], v[144:145], v[142:143]
	v_add_f64 v[1:2], v[1:2], v[138:139]
	v_add_f64 v[3:4], v[3:4], v[140:141]
	s_andn2_b32 exec_lo, exec_lo, s72
	s_cbranch_execnz .LBB126_323
; %bb.324:
	s_or_b32 exec_lo, exec_lo, s72
.LBB126_325:
	s_or_b32 exec_lo, exec_lo, s5
.LBB126_326:
	s_or_b32 exec_lo, exec_lo, s8
	v_mov_b32_e32 v133, 0
	ds_read_b128 v[133:136], v133 offset:608
	s_waitcnt lgkmcnt(0)
	v_mul_f64 v[138:139], v[3:4], v[135:136]
	v_mul_f64 v[135:136], v[1:2], v[135:136]
	v_fma_f64 v[1:2], v[1:2], v[133:134], -v[138:139]
	v_fma_f64 v[3:4], v[3:4], v[133:134], v[135:136]
	buffer_store_dword v2, off, s[0:3], 0 offset:612
	buffer_store_dword v1, off, s[0:3], 0 offset:608
	;; [unrolled: 1-line block ×4, first 2 shown]
.LBB126_327:
	s_or_b32 exec_lo, exec_lo, s6
	v_mov_b32_e32 v4, s35
	v_cmp_lt_u32_e64 s5, 37, v0
	s_clause 0x3
	buffer_load_dword v1, v4, s[0:3], 0 offen
	buffer_load_dword v2, v4, s[0:3], 0 offen offset:4
	buffer_load_dword v3, v4, s[0:3], 0 offen offset:8
	;; [unrolled: 1-line block ×3, first 2 shown]
	s_waitcnt vmcnt(0)
	ds_write_b128 v132, v[1:4]
	s_waitcnt lgkmcnt(0)
	s_waitcnt_vscnt null, 0x0
	s_barrier
	buffer_gl0_inv
	s_and_saveexec_b32 s6, s5
	s_cbranch_execz .LBB126_341
; %bb.328:
	ds_read_b128 v[1:4], v132
	s_andn2_b32 vcc_lo, exec_lo, s7
	s_cbranch_vccnz .LBB126_330
; %bb.329:
	s_clause 0x3
	buffer_load_dword v133, v131, s[0:3], 0 offen offset:8
	buffer_load_dword v134, v131, s[0:3], 0 offen offset:12
	buffer_load_dword v135, v131, s[0:3], 0 offen
	buffer_load_dword v136, v131, s[0:3], 0 offen offset:4
	s_waitcnt vmcnt(2) lgkmcnt(0)
	v_mul_f64 v[138:139], v[3:4], v[133:134]
	v_mul_f64 v[133:134], v[1:2], v[133:134]
	s_waitcnt vmcnt(0)
	v_fma_f64 v[1:2], v[1:2], v[135:136], -v[138:139]
	v_fma_f64 v[3:4], v[3:4], v[135:136], v[133:134]
.LBB126_330:
	s_and_saveexec_b32 s8, s4
	s_cbranch_execz .LBB126_340
; %bb.331:
	v_subrev_nc_u32_e32 v134, 39, v0
	v_mov_b32_e32 v135, 38
	v_subrev_nc_u32_e32 v133, 38, v0
	s_mov_b32 s4, exec_lo
	v_cmpx_lt_u32_e32 6, v134
	s_cbranch_execz .LBB126_335
; %bb.332:
	v_and_b32_e32 v134, -8, v133
	s_movk_i32 s73, 0x650
	s_mov_b32 s72, 0
	s_mov_b32 s74, s34
	s_mov_b32 s75, 0
.LBB126_333:                            ; =>This Inner Loop Header: Depth=1
	v_mov_b32_e32 v138, s74
	v_mov_b32_e32 v184, s73
	s_add_i32 s76, s75, 8
	s_add_i32 s75, s75, 46
	v_cmp_eq_u32_e32 vcc_lo, s76, v134
	s_clause 0x1f
	buffer_load_dword v135, v138, s[0:3], 0 offen offset:8
	buffer_load_dword v136, v138, s[0:3], 0 offen offset:12
	buffer_load_dword v146, v138, s[0:3], 0 offen
	buffer_load_dword v147, v138, s[0:3], 0 offen offset:4
	buffer_load_dword v148, v138, s[0:3], 0 offen offset:24
	;; [unrolled: 1-line block ×29, first 2 shown]
	ds_read_b128 v[138:141], v184
	ds_read_b128 v[142:145], v184 offset:16
	s_addk_i32 s73, 0x80
	s_addk_i32 s74, 0x80
	s_or_b32 s72, vcc_lo, s72
	s_waitcnt vmcnt(30) lgkmcnt(1)
	v_mul_f64 v[176:177], v[140:141], v[135:136]
	v_mul_f64 v[135:136], v[138:139], v[135:136]
	s_waitcnt vmcnt(26) lgkmcnt(0)
	v_mul_f64 v[178:179], v[144:145], v[148:149]
	v_mul_f64 v[180:181], v[142:143], v[148:149]
	v_fma_f64 v[176:177], v[138:139], v[146:147], -v[176:177]
	v_fma_f64 v[135:136], v[140:141], v[146:147], v[135:136]
	ds_read_b128 v[138:141], v184 offset:32
	ds_read_b128 v[146:149], v184 offset:48
	s_waitcnt vmcnt(24)
	v_fma_f64 v[142:143], v[142:143], v[150:151], -v[178:179]
	v_fma_f64 v[144:145], v[144:145], v[150:151], v[180:181]
	s_waitcnt vmcnt(22) lgkmcnt(1)
	v_mul_f64 v[182:183], v[140:141], v[152:153]
	v_mul_f64 v[152:153], v[138:139], v[152:153]
	v_add_f64 v[1:2], v[1:2], v[176:177]
	v_add_f64 v[3:4], v[3:4], v[135:136]
	s_waitcnt vmcnt(18) lgkmcnt(0)
	v_mul_f64 v[135:136], v[148:149], v[156:157]
	v_mul_f64 v[150:151], v[146:147], v[156:157]
	v_fma_f64 v[156:157], v[138:139], v[154:155], -v[182:183]
	v_fma_f64 v[152:153], v[140:141], v[154:155], v[152:153]
	v_add_f64 v[142:143], v[1:2], v[142:143]
	v_add_f64 v[144:145], v[3:4], v[144:145]
	ds_read_b128 v[1:4], v184 offset:64
	ds_read_b128 v[138:141], v184 offset:80
	s_waitcnt vmcnt(16)
	v_fma_f64 v[135:136], v[146:147], v[158:159], -v[135:136]
	v_fma_f64 v[146:147], v[148:149], v[158:159], v[150:151]
	s_waitcnt vmcnt(12) lgkmcnt(1)
	v_mul_f64 v[154:155], v[3:4], v[160:161]
	v_mul_f64 v[160:161], v[1:2], v[160:161]
	v_add_f64 v[142:143], v[142:143], v[156:157]
	v_add_f64 v[144:145], v[144:145], v[152:153]
	s_waitcnt vmcnt(10) lgkmcnt(0)
	v_mul_f64 v[148:149], v[140:141], v[162:163]
	v_mul_f64 v[150:151], v[138:139], v[162:163]
	s_waitcnt vmcnt(8)
	v_fma_f64 v[152:153], v[1:2], v[166:167], -v[154:155]
	v_fma_f64 v[154:155], v[3:4], v[166:167], v[160:161]
	v_add_f64 v[135:136], v[142:143], v[135:136]
	v_add_f64 v[146:147], v[144:145], v[146:147]
	ds_read_b128 v[1:4], v184 offset:96
	ds_read_b128 v[142:145], v184 offset:112
	v_fma_f64 v[138:139], v[138:139], v[164:165], -v[148:149]
	v_fma_f64 v[140:141], v[140:141], v[164:165], v[150:151]
	s_waitcnt vmcnt(4) lgkmcnt(1)
	v_mul_f64 v[156:157], v[3:4], v[168:169]
	v_mul_f64 v[158:159], v[1:2], v[168:169]
	v_add_f64 v[135:136], v[135:136], v[152:153]
	v_add_f64 v[146:147], v[146:147], v[154:155]
	s_waitcnt vmcnt(2) lgkmcnt(0)
	v_mul_f64 v[148:149], v[144:145], v[170:171]
	v_mul_f64 v[150:151], v[142:143], v[170:171]
	s_waitcnt vmcnt(0)
	v_fma_f64 v[1:2], v[1:2], v[174:175], -v[156:157]
	v_fma_f64 v[3:4], v[3:4], v[174:175], v[158:159]
	v_add_f64 v[135:136], v[135:136], v[138:139]
	v_add_f64 v[138:139], v[146:147], v[140:141]
	v_fma_f64 v[140:141], v[142:143], v[172:173], -v[148:149]
	v_fma_f64 v[142:143], v[144:145], v[172:173], v[150:151]
	v_add_f64 v[1:2], v[135:136], v[1:2]
	v_add_f64 v[3:4], v[138:139], v[3:4]
	v_mov_b32_e32 v135, s75
	s_mov_b32 s75, s76
	v_add_f64 v[1:2], v[1:2], v[140:141]
	v_add_f64 v[3:4], v[3:4], v[142:143]
	s_andn2_b32 exec_lo, exec_lo, s72
	s_cbranch_execnz .LBB126_333
; %bb.334:
	s_or_b32 exec_lo, exec_lo, s72
.LBB126_335:
	s_or_b32 exec_lo, exec_lo, s4
	v_and_b32_e32 v133, 7, v133
	s_mov_b32 s72, 0
	s_mov_b32 s4, exec_lo
	v_cmpx_ne_u32_e32 0, v133
	s_cbranch_execz .LBB126_339
; %bb.336:
	v_lshlrev_b32_e32 v135, 4, v135
	v_add_nc_u32_e32 v134, 0x3f0, v135
	.p2align	6
.LBB126_337:                            ; =>This Inner Loop Header: Depth=1
	s_clause 0x3
	buffer_load_dword v142, v135, s[0:3], 0 offen offset:8
	buffer_load_dword v143, v135, s[0:3], 0 offen offset:12
	buffer_load_dword v144, v135, s[0:3], 0 offen
	buffer_load_dword v145, v135, s[0:3], 0 offen offset:4
	ds_read_b128 v[138:141], v134
	v_add_nc_u32_e32 v133, -1, v133
	v_add_nc_u32_e32 v134, 16, v134
	v_add_nc_u32_e32 v135, 16, v135
	v_cmp_eq_u32_e32 vcc_lo, 0, v133
	s_or_b32 s72, vcc_lo, s72
	s_waitcnt vmcnt(2) lgkmcnt(0)
	v_mul_f64 v[146:147], v[140:141], v[142:143]
	v_mul_f64 v[142:143], v[138:139], v[142:143]
	s_waitcnt vmcnt(0)
	v_fma_f64 v[138:139], v[138:139], v[144:145], -v[146:147]
	v_fma_f64 v[140:141], v[140:141], v[144:145], v[142:143]
	v_add_f64 v[1:2], v[1:2], v[138:139]
	v_add_f64 v[3:4], v[3:4], v[140:141]
	s_andn2_b32 exec_lo, exec_lo, s72
	s_cbranch_execnz .LBB126_337
; %bb.338:
	s_or_b32 exec_lo, exec_lo, s72
.LBB126_339:
	s_or_b32 exec_lo, exec_lo, s4
.LBB126_340:
	s_or_b32 exec_lo, exec_lo, s8
	v_mov_b32_e32 v133, 0
	ds_read_b128 v[133:136], v133 offset:592
	s_waitcnt lgkmcnt(0)
	v_mul_f64 v[138:139], v[3:4], v[135:136]
	v_mul_f64 v[135:136], v[1:2], v[135:136]
	v_fma_f64 v[1:2], v[1:2], v[133:134], -v[138:139]
	v_fma_f64 v[3:4], v[3:4], v[133:134], v[135:136]
	buffer_store_dword v2, off, s[0:3], 0 offset:596
	buffer_store_dword v1, off, s[0:3], 0 offset:592
	;; [unrolled: 1-line block ×4, first 2 shown]
.LBB126_341:
	s_or_b32 exec_lo, exec_lo, s6
	v_mov_b32_e32 v4, s36
	v_cmp_lt_u32_e64 s4, 36, v0
	s_clause 0x3
	buffer_load_dword v1, v4, s[0:3], 0 offen
	buffer_load_dword v2, v4, s[0:3], 0 offen offset:4
	buffer_load_dword v3, v4, s[0:3], 0 offen offset:8
	;; [unrolled: 1-line block ×3, first 2 shown]
	s_waitcnt vmcnt(0)
	ds_write_b128 v132, v[1:4]
	s_waitcnt lgkmcnt(0)
	s_waitcnt_vscnt null, 0x0
	s_barrier
	buffer_gl0_inv
	s_and_saveexec_b32 s6, s4
	s_cbranch_execz .LBB126_355
; %bb.342:
	ds_read_b128 v[1:4], v132
	s_andn2_b32 vcc_lo, exec_lo, s7
	s_cbranch_vccnz .LBB126_344
; %bb.343:
	s_clause 0x3
	buffer_load_dword v133, v131, s[0:3], 0 offen offset:8
	buffer_load_dword v134, v131, s[0:3], 0 offen offset:12
	buffer_load_dword v135, v131, s[0:3], 0 offen
	buffer_load_dword v136, v131, s[0:3], 0 offen offset:4
	s_waitcnt vmcnt(2) lgkmcnt(0)
	v_mul_f64 v[138:139], v[3:4], v[133:134]
	v_mul_f64 v[133:134], v[1:2], v[133:134]
	s_waitcnt vmcnt(0)
	v_fma_f64 v[1:2], v[1:2], v[135:136], -v[138:139]
	v_fma_f64 v[3:4], v[3:4], v[135:136], v[133:134]
.LBB126_344:
	s_and_saveexec_b32 s8, s5
	s_cbranch_execz .LBB126_354
; %bb.345:
	v_subrev_nc_u32_e32 v134, 38, v0
	v_mov_b32_e32 v135, 37
	v_subrev_nc_u32_e32 v133, 37, v0
	s_mov_b32 s5, exec_lo
	v_cmpx_lt_u32_e32 6, v134
	s_cbranch_execz .LBB126_349
; %bb.346:
	v_and_b32_e32 v134, -8, v133
	s_movk_i32 s73, 0x640
	s_mov_b32 s72, 0
	s_mov_b32 s74, s35
	;; [unrolled: 1-line block ×3, first 2 shown]
.LBB126_347:                            ; =>This Inner Loop Header: Depth=1
	v_mov_b32_e32 v138, s74
	v_mov_b32_e32 v184, s73
	s_add_i32 s76, s75, 8
	s_add_i32 s75, s75, 45
	v_cmp_eq_u32_e32 vcc_lo, s76, v134
	s_clause 0x1f
	buffer_load_dword v135, v138, s[0:3], 0 offen offset:8
	buffer_load_dword v136, v138, s[0:3], 0 offen offset:12
	buffer_load_dword v146, v138, s[0:3], 0 offen
	buffer_load_dword v147, v138, s[0:3], 0 offen offset:4
	buffer_load_dword v148, v138, s[0:3], 0 offen offset:24
	;; [unrolled: 1-line block ×29, first 2 shown]
	ds_read_b128 v[138:141], v184
	ds_read_b128 v[142:145], v184 offset:16
	s_addk_i32 s73, 0x80
	s_addk_i32 s74, 0x80
	s_or_b32 s72, vcc_lo, s72
	s_waitcnt vmcnt(30) lgkmcnt(1)
	v_mul_f64 v[176:177], v[140:141], v[135:136]
	v_mul_f64 v[135:136], v[138:139], v[135:136]
	s_waitcnt vmcnt(26) lgkmcnt(0)
	v_mul_f64 v[178:179], v[144:145], v[148:149]
	v_mul_f64 v[180:181], v[142:143], v[148:149]
	v_fma_f64 v[176:177], v[138:139], v[146:147], -v[176:177]
	v_fma_f64 v[135:136], v[140:141], v[146:147], v[135:136]
	ds_read_b128 v[138:141], v184 offset:32
	ds_read_b128 v[146:149], v184 offset:48
	s_waitcnt vmcnt(24)
	v_fma_f64 v[142:143], v[142:143], v[150:151], -v[178:179]
	v_fma_f64 v[144:145], v[144:145], v[150:151], v[180:181]
	s_waitcnt vmcnt(22) lgkmcnt(1)
	v_mul_f64 v[182:183], v[140:141], v[152:153]
	v_mul_f64 v[152:153], v[138:139], v[152:153]
	v_add_f64 v[1:2], v[1:2], v[176:177]
	v_add_f64 v[3:4], v[3:4], v[135:136]
	s_waitcnt vmcnt(18) lgkmcnt(0)
	v_mul_f64 v[135:136], v[148:149], v[156:157]
	v_mul_f64 v[150:151], v[146:147], v[156:157]
	v_fma_f64 v[156:157], v[138:139], v[154:155], -v[182:183]
	v_fma_f64 v[152:153], v[140:141], v[154:155], v[152:153]
	v_add_f64 v[142:143], v[1:2], v[142:143]
	v_add_f64 v[144:145], v[3:4], v[144:145]
	ds_read_b128 v[1:4], v184 offset:64
	ds_read_b128 v[138:141], v184 offset:80
	s_waitcnt vmcnt(16)
	v_fma_f64 v[135:136], v[146:147], v[158:159], -v[135:136]
	v_fma_f64 v[146:147], v[148:149], v[158:159], v[150:151]
	s_waitcnt vmcnt(12) lgkmcnt(1)
	v_mul_f64 v[154:155], v[3:4], v[160:161]
	v_mul_f64 v[160:161], v[1:2], v[160:161]
	v_add_f64 v[142:143], v[142:143], v[156:157]
	v_add_f64 v[144:145], v[144:145], v[152:153]
	s_waitcnt vmcnt(10) lgkmcnt(0)
	v_mul_f64 v[148:149], v[140:141], v[162:163]
	v_mul_f64 v[150:151], v[138:139], v[162:163]
	s_waitcnt vmcnt(8)
	v_fma_f64 v[152:153], v[1:2], v[166:167], -v[154:155]
	v_fma_f64 v[154:155], v[3:4], v[166:167], v[160:161]
	v_add_f64 v[135:136], v[142:143], v[135:136]
	v_add_f64 v[146:147], v[144:145], v[146:147]
	ds_read_b128 v[1:4], v184 offset:96
	ds_read_b128 v[142:145], v184 offset:112
	v_fma_f64 v[138:139], v[138:139], v[164:165], -v[148:149]
	v_fma_f64 v[140:141], v[140:141], v[164:165], v[150:151]
	s_waitcnt vmcnt(4) lgkmcnt(1)
	v_mul_f64 v[156:157], v[3:4], v[168:169]
	v_mul_f64 v[158:159], v[1:2], v[168:169]
	v_add_f64 v[135:136], v[135:136], v[152:153]
	v_add_f64 v[146:147], v[146:147], v[154:155]
	s_waitcnt vmcnt(2) lgkmcnt(0)
	v_mul_f64 v[148:149], v[144:145], v[170:171]
	v_mul_f64 v[150:151], v[142:143], v[170:171]
	s_waitcnt vmcnt(0)
	v_fma_f64 v[1:2], v[1:2], v[174:175], -v[156:157]
	v_fma_f64 v[3:4], v[3:4], v[174:175], v[158:159]
	v_add_f64 v[135:136], v[135:136], v[138:139]
	v_add_f64 v[138:139], v[146:147], v[140:141]
	v_fma_f64 v[140:141], v[142:143], v[172:173], -v[148:149]
	v_fma_f64 v[142:143], v[144:145], v[172:173], v[150:151]
	v_add_f64 v[1:2], v[135:136], v[1:2]
	v_add_f64 v[3:4], v[138:139], v[3:4]
	v_mov_b32_e32 v135, s75
	s_mov_b32 s75, s76
	v_add_f64 v[1:2], v[1:2], v[140:141]
	v_add_f64 v[3:4], v[3:4], v[142:143]
	s_andn2_b32 exec_lo, exec_lo, s72
	s_cbranch_execnz .LBB126_347
; %bb.348:
	s_or_b32 exec_lo, exec_lo, s72
.LBB126_349:
	s_or_b32 exec_lo, exec_lo, s5
	v_and_b32_e32 v133, 7, v133
	s_mov_b32 s72, 0
	s_mov_b32 s5, exec_lo
	v_cmpx_ne_u32_e32 0, v133
	s_cbranch_execz .LBB126_353
; %bb.350:
	v_lshlrev_b32_e32 v135, 4, v135
	v_add_nc_u32_e32 v134, 0x3f0, v135
	.p2align	6
.LBB126_351:                            ; =>This Inner Loop Header: Depth=1
	s_clause 0x3
	buffer_load_dword v142, v135, s[0:3], 0 offen offset:8
	buffer_load_dword v143, v135, s[0:3], 0 offen offset:12
	buffer_load_dword v144, v135, s[0:3], 0 offen
	buffer_load_dword v145, v135, s[0:3], 0 offen offset:4
	ds_read_b128 v[138:141], v134
	v_add_nc_u32_e32 v133, -1, v133
	v_add_nc_u32_e32 v134, 16, v134
	v_add_nc_u32_e32 v135, 16, v135
	v_cmp_eq_u32_e32 vcc_lo, 0, v133
	s_or_b32 s72, vcc_lo, s72
	s_waitcnt vmcnt(2) lgkmcnt(0)
	v_mul_f64 v[146:147], v[140:141], v[142:143]
	v_mul_f64 v[142:143], v[138:139], v[142:143]
	s_waitcnt vmcnt(0)
	v_fma_f64 v[138:139], v[138:139], v[144:145], -v[146:147]
	v_fma_f64 v[140:141], v[140:141], v[144:145], v[142:143]
	v_add_f64 v[1:2], v[1:2], v[138:139]
	v_add_f64 v[3:4], v[3:4], v[140:141]
	s_andn2_b32 exec_lo, exec_lo, s72
	s_cbranch_execnz .LBB126_351
; %bb.352:
	s_or_b32 exec_lo, exec_lo, s72
.LBB126_353:
	s_or_b32 exec_lo, exec_lo, s5
.LBB126_354:
	s_or_b32 exec_lo, exec_lo, s8
	v_mov_b32_e32 v133, 0
	ds_read_b128 v[133:136], v133 offset:576
	s_waitcnt lgkmcnt(0)
	v_mul_f64 v[138:139], v[3:4], v[135:136]
	v_mul_f64 v[135:136], v[1:2], v[135:136]
	v_fma_f64 v[1:2], v[1:2], v[133:134], -v[138:139]
	v_fma_f64 v[3:4], v[3:4], v[133:134], v[135:136]
	buffer_store_dword v2, off, s[0:3], 0 offset:580
	buffer_store_dword v1, off, s[0:3], 0 offset:576
	buffer_store_dword v4, off, s[0:3], 0 offset:588
	buffer_store_dword v3, off, s[0:3], 0 offset:584
.LBB126_355:
	s_or_b32 exec_lo, exec_lo, s6
	v_mov_b32_e32 v4, s37
	v_cmp_lt_u32_e64 s5, 35, v0
	s_clause 0x3
	buffer_load_dword v1, v4, s[0:3], 0 offen
	buffer_load_dword v2, v4, s[0:3], 0 offen offset:4
	buffer_load_dword v3, v4, s[0:3], 0 offen offset:8
	;; [unrolled: 1-line block ×3, first 2 shown]
	s_waitcnt vmcnt(0)
	ds_write_b128 v132, v[1:4]
	s_waitcnt lgkmcnt(0)
	s_waitcnt_vscnt null, 0x0
	s_barrier
	buffer_gl0_inv
	s_and_saveexec_b32 s6, s5
	s_cbranch_execz .LBB126_369
; %bb.356:
	ds_read_b128 v[1:4], v132
	s_andn2_b32 vcc_lo, exec_lo, s7
	s_cbranch_vccnz .LBB126_358
; %bb.357:
	s_clause 0x3
	buffer_load_dword v133, v131, s[0:3], 0 offen offset:8
	buffer_load_dword v134, v131, s[0:3], 0 offen offset:12
	buffer_load_dword v135, v131, s[0:3], 0 offen
	buffer_load_dword v136, v131, s[0:3], 0 offen offset:4
	s_waitcnt vmcnt(2) lgkmcnt(0)
	v_mul_f64 v[138:139], v[3:4], v[133:134]
	v_mul_f64 v[133:134], v[1:2], v[133:134]
	s_waitcnt vmcnt(0)
	v_fma_f64 v[1:2], v[1:2], v[135:136], -v[138:139]
	v_fma_f64 v[3:4], v[3:4], v[135:136], v[133:134]
.LBB126_358:
	s_and_saveexec_b32 s8, s4
	s_cbranch_execz .LBB126_368
; %bb.359:
	v_subrev_nc_u32_e32 v134, 37, v0
	v_mov_b32_e32 v135, 36
	v_subrev_nc_u32_e32 v133, 36, v0
	s_mov_b32 s4, exec_lo
	v_cmpx_lt_u32_e32 6, v134
	s_cbranch_execz .LBB126_363
; %bb.360:
	v_and_b32_e32 v134, -8, v133
	s_movk_i32 s73, 0x630
	s_mov_b32 s72, 0
	s_mov_b32 s74, s36
	;; [unrolled: 1-line block ×3, first 2 shown]
.LBB126_361:                            ; =>This Inner Loop Header: Depth=1
	v_mov_b32_e32 v138, s74
	v_mov_b32_e32 v184, s73
	s_add_i32 s76, s75, 8
	s_add_i32 s75, s75, 44
	v_cmp_eq_u32_e32 vcc_lo, s76, v134
	s_clause 0x1f
	buffer_load_dword v135, v138, s[0:3], 0 offen offset:8
	buffer_load_dword v136, v138, s[0:3], 0 offen offset:12
	buffer_load_dword v146, v138, s[0:3], 0 offen
	buffer_load_dword v147, v138, s[0:3], 0 offen offset:4
	buffer_load_dword v148, v138, s[0:3], 0 offen offset:24
	;; [unrolled: 1-line block ×29, first 2 shown]
	ds_read_b128 v[138:141], v184
	ds_read_b128 v[142:145], v184 offset:16
	s_addk_i32 s73, 0x80
	s_addk_i32 s74, 0x80
	s_or_b32 s72, vcc_lo, s72
	s_waitcnt vmcnt(30) lgkmcnt(1)
	v_mul_f64 v[176:177], v[140:141], v[135:136]
	v_mul_f64 v[135:136], v[138:139], v[135:136]
	s_waitcnt vmcnt(26) lgkmcnt(0)
	v_mul_f64 v[178:179], v[144:145], v[148:149]
	v_mul_f64 v[180:181], v[142:143], v[148:149]
	v_fma_f64 v[176:177], v[138:139], v[146:147], -v[176:177]
	v_fma_f64 v[135:136], v[140:141], v[146:147], v[135:136]
	ds_read_b128 v[138:141], v184 offset:32
	ds_read_b128 v[146:149], v184 offset:48
	s_waitcnt vmcnt(24)
	v_fma_f64 v[142:143], v[142:143], v[150:151], -v[178:179]
	v_fma_f64 v[144:145], v[144:145], v[150:151], v[180:181]
	s_waitcnt vmcnt(22) lgkmcnt(1)
	v_mul_f64 v[182:183], v[140:141], v[152:153]
	v_mul_f64 v[152:153], v[138:139], v[152:153]
	v_add_f64 v[1:2], v[1:2], v[176:177]
	v_add_f64 v[3:4], v[3:4], v[135:136]
	s_waitcnt vmcnt(18) lgkmcnt(0)
	v_mul_f64 v[135:136], v[148:149], v[156:157]
	v_mul_f64 v[150:151], v[146:147], v[156:157]
	v_fma_f64 v[156:157], v[138:139], v[154:155], -v[182:183]
	v_fma_f64 v[152:153], v[140:141], v[154:155], v[152:153]
	v_add_f64 v[142:143], v[1:2], v[142:143]
	v_add_f64 v[144:145], v[3:4], v[144:145]
	ds_read_b128 v[1:4], v184 offset:64
	ds_read_b128 v[138:141], v184 offset:80
	s_waitcnt vmcnt(16)
	v_fma_f64 v[135:136], v[146:147], v[158:159], -v[135:136]
	v_fma_f64 v[146:147], v[148:149], v[158:159], v[150:151]
	s_waitcnt vmcnt(12) lgkmcnt(1)
	v_mul_f64 v[154:155], v[3:4], v[160:161]
	v_mul_f64 v[160:161], v[1:2], v[160:161]
	v_add_f64 v[142:143], v[142:143], v[156:157]
	v_add_f64 v[144:145], v[144:145], v[152:153]
	s_waitcnt vmcnt(10) lgkmcnt(0)
	v_mul_f64 v[148:149], v[140:141], v[162:163]
	v_mul_f64 v[150:151], v[138:139], v[162:163]
	s_waitcnt vmcnt(8)
	v_fma_f64 v[152:153], v[1:2], v[166:167], -v[154:155]
	v_fma_f64 v[154:155], v[3:4], v[166:167], v[160:161]
	v_add_f64 v[135:136], v[142:143], v[135:136]
	v_add_f64 v[146:147], v[144:145], v[146:147]
	ds_read_b128 v[1:4], v184 offset:96
	ds_read_b128 v[142:145], v184 offset:112
	v_fma_f64 v[138:139], v[138:139], v[164:165], -v[148:149]
	v_fma_f64 v[140:141], v[140:141], v[164:165], v[150:151]
	s_waitcnt vmcnt(4) lgkmcnt(1)
	v_mul_f64 v[156:157], v[3:4], v[168:169]
	v_mul_f64 v[158:159], v[1:2], v[168:169]
	v_add_f64 v[135:136], v[135:136], v[152:153]
	v_add_f64 v[146:147], v[146:147], v[154:155]
	s_waitcnt vmcnt(2) lgkmcnt(0)
	v_mul_f64 v[148:149], v[144:145], v[170:171]
	v_mul_f64 v[150:151], v[142:143], v[170:171]
	s_waitcnt vmcnt(0)
	v_fma_f64 v[1:2], v[1:2], v[174:175], -v[156:157]
	v_fma_f64 v[3:4], v[3:4], v[174:175], v[158:159]
	v_add_f64 v[135:136], v[135:136], v[138:139]
	v_add_f64 v[138:139], v[146:147], v[140:141]
	v_fma_f64 v[140:141], v[142:143], v[172:173], -v[148:149]
	v_fma_f64 v[142:143], v[144:145], v[172:173], v[150:151]
	v_add_f64 v[1:2], v[135:136], v[1:2]
	v_add_f64 v[3:4], v[138:139], v[3:4]
	v_mov_b32_e32 v135, s75
	s_mov_b32 s75, s76
	v_add_f64 v[1:2], v[1:2], v[140:141]
	v_add_f64 v[3:4], v[3:4], v[142:143]
	s_andn2_b32 exec_lo, exec_lo, s72
	s_cbranch_execnz .LBB126_361
; %bb.362:
	s_or_b32 exec_lo, exec_lo, s72
.LBB126_363:
	s_or_b32 exec_lo, exec_lo, s4
	v_and_b32_e32 v133, 7, v133
	s_mov_b32 s72, 0
	s_mov_b32 s4, exec_lo
	v_cmpx_ne_u32_e32 0, v133
	s_cbranch_execz .LBB126_367
; %bb.364:
	v_lshlrev_b32_e32 v135, 4, v135
	v_add_nc_u32_e32 v134, 0x3f0, v135
	.p2align	6
.LBB126_365:                            ; =>This Inner Loop Header: Depth=1
	s_clause 0x3
	buffer_load_dword v142, v135, s[0:3], 0 offen offset:8
	buffer_load_dword v143, v135, s[0:3], 0 offen offset:12
	buffer_load_dword v144, v135, s[0:3], 0 offen
	buffer_load_dword v145, v135, s[0:3], 0 offen offset:4
	ds_read_b128 v[138:141], v134
	v_add_nc_u32_e32 v133, -1, v133
	v_add_nc_u32_e32 v134, 16, v134
	v_add_nc_u32_e32 v135, 16, v135
	v_cmp_eq_u32_e32 vcc_lo, 0, v133
	s_or_b32 s72, vcc_lo, s72
	s_waitcnt vmcnt(2) lgkmcnt(0)
	v_mul_f64 v[146:147], v[140:141], v[142:143]
	v_mul_f64 v[142:143], v[138:139], v[142:143]
	s_waitcnt vmcnt(0)
	v_fma_f64 v[138:139], v[138:139], v[144:145], -v[146:147]
	v_fma_f64 v[140:141], v[140:141], v[144:145], v[142:143]
	v_add_f64 v[1:2], v[1:2], v[138:139]
	v_add_f64 v[3:4], v[3:4], v[140:141]
	s_andn2_b32 exec_lo, exec_lo, s72
	s_cbranch_execnz .LBB126_365
; %bb.366:
	s_or_b32 exec_lo, exec_lo, s72
.LBB126_367:
	s_or_b32 exec_lo, exec_lo, s4
.LBB126_368:
	s_or_b32 exec_lo, exec_lo, s8
	v_mov_b32_e32 v133, 0
	ds_read_b128 v[133:136], v133 offset:560
	s_waitcnt lgkmcnt(0)
	v_mul_f64 v[138:139], v[3:4], v[135:136]
	v_mul_f64 v[135:136], v[1:2], v[135:136]
	v_fma_f64 v[1:2], v[1:2], v[133:134], -v[138:139]
	v_fma_f64 v[3:4], v[3:4], v[133:134], v[135:136]
	buffer_store_dword v2, off, s[0:3], 0 offset:564
	buffer_store_dword v1, off, s[0:3], 0 offset:560
	;; [unrolled: 1-line block ×4, first 2 shown]
.LBB126_369:
	s_or_b32 exec_lo, exec_lo, s6
	v_mov_b32_e32 v4, s38
	v_cmp_lt_u32_e64 s4, 34, v0
	s_clause 0x3
	buffer_load_dword v1, v4, s[0:3], 0 offen
	buffer_load_dword v2, v4, s[0:3], 0 offen offset:4
	buffer_load_dword v3, v4, s[0:3], 0 offen offset:8
	;; [unrolled: 1-line block ×3, first 2 shown]
	s_waitcnt vmcnt(0)
	ds_write_b128 v132, v[1:4]
	s_waitcnt lgkmcnt(0)
	s_waitcnt_vscnt null, 0x0
	s_barrier
	buffer_gl0_inv
	s_and_saveexec_b32 s6, s4
	s_cbranch_execz .LBB126_383
; %bb.370:
	ds_read_b128 v[1:4], v132
	s_andn2_b32 vcc_lo, exec_lo, s7
	s_cbranch_vccnz .LBB126_372
; %bb.371:
	s_clause 0x3
	buffer_load_dword v133, v131, s[0:3], 0 offen offset:8
	buffer_load_dword v134, v131, s[0:3], 0 offen offset:12
	buffer_load_dword v135, v131, s[0:3], 0 offen
	buffer_load_dword v136, v131, s[0:3], 0 offen offset:4
	s_waitcnt vmcnt(2) lgkmcnt(0)
	v_mul_f64 v[138:139], v[3:4], v[133:134]
	v_mul_f64 v[133:134], v[1:2], v[133:134]
	s_waitcnt vmcnt(0)
	v_fma_f64 v[1:2], v[1:2], v[135:136], -v[138:139]
	v_fma_f64 v[3:4], v[3:4], v[135:136], v[133:134]
.LBB126_372:
	s_and_saveexec_b32 s8, s5
	s_cbranch_execz .LBB126_382
; %bb.373:
	v_subrev_nc_u32_e32 v134, 36, v0
	v_mov_b32_e32 v135, 35
	v_subrev_nc_u32_e32 v133, 35, v0
	s_mov_b32 s5, exec_lo
	v_cmpx_lt_u32_e32 6, v134
	s_cbranch_execz .LBB126_377
; %bb.374:
	v_and_b32_e32 v134, -8, v133
	s_movk_i32 s73, 0x620
	s_mov_b32 s72, 0
	s_mov_b32 s74, s37
	;; [unrolled: 1-line block ×3, first 2 shown]
.LBB126_375:                            ; =>This Inner Loop Header: Depth=1
	v_mov_b32_e32 v138, s74
	v_mov_b32_e32 v184, s73
	s_add_i32 s76, s75, 8
	s_add_i32 s75, s75, 43
	v_cmp_eq_u32_e32 vcc_lo, s76, v134
	s_clause 0x1f
	buffer_load_dword v135, v138, s[0:3], 0 offen offset:8
	buffer_load_dword v136, v138, s[0:3], 0 offen offset:12
	buffer_load_dword v146, v138, s[0:3], 0 offen
	buffer_load_dword v147, v138, s[0:3], 0 offen offset:4
	buffer_load_dword v148, v138, s[0:3], 0 offen offset:24
	;; [unrolled: 1-line block ×29, first 2 shown]
	ds_read_b128 v[138:141], v184
	ds_read_b128 v[142:145], v184 offset:16
	s_addk_i32 s73, 0x80
	s_addk_i32 s74, 0x80
	s_or_b32 s72, vcc_lo, s72
	s_waitcnt vmcnt(30) lgkmcnt(1)
	v_mul_f64 v[176:177], v[140:141], v[135:136]
	v_mul_f64 v[135:136], v[138:139], v[135:136]
	s_waitcnt vmcnt(26) lgkmcnt(0)
	v_mul_f64 v[178:179], v[144:145], v[148:149]
	v_mul_f64 v[180:181], v[142:143], v[148:149]
	v_fma_f64 v[176:177], v[138:139], v[146:147], -v[176:177]
	v_fma_f64 v[135:136], v[140:141], v[146:147], v[135:136]
	ds_read_b128 v[138:141], v184 offset:32
	ds_read_b128 v[146:149], v184 offset:48
	s_waitcnt vmcnt(24)
	v_fma_f64 v[142:143], v[142:143], v[150:151], -v[178:179]
	v_fma_f64 v[144:145], v[144:145], v[150:151], v[180:181]
	s_waitcnt vmcnt(22) lgkmcnt(1)
	v_mul_f64 v[182:183], v[140:141], v[152:153]
	v_mul_f64 v[152:153], v[138:139], v[152:153]
	v_add_f64 v[1:2], v[1:2], v[176:177]
	v_add_f64 v[3:4], v[3:4], v[135:136]
	s_waitcnt vmcnt(18) lgkmcnt(0)
	v_mul_f64 v[135:136], v[148:149], v[156:157]
	v_mul_f64 v[150:151], v[146:147], v[156:157]
	v_fma_f64 v[156:157], v[138:139], v[154:155], -v[182:183]
	v_fma_f64 v[152:153], v[140:141], v[154:155], v[152:153]
	v_add_f64 v[142:143], v[1:2], v[142:143]
	v_add_f64 v[144:145], v[3:4], v[144:145]
	ds_read_b128 v[1:4], v184 offset:64
	ds_read_b128 v[138:141], v184 offset:80
	s_waitcnt vmcnt(16)
	v_fma_f64 v[135:136], v[146:147], v[158:159], -v[135:136]
	v_fma_f64 v[146:147], v[148:149], v[158:159], v[150:151]
	s_waitcnt vmcnt(12) lgkmcnt(1)
	v_mul_f64 v[154:155], v[3:4], v[160:161]
	v_mul_f64 v[160:161], v[1:2], v[160:161]
	v_add_f64 v[142:143], v[142:143], v[156:157]
	v_add_f64 v[144:145], v[144:145], v[152:153]
	s_waitcnt vmcnt(10) lgkmcnt(0)
	v_mul_f64 v[148:149], v[140:141], v[162:163]
	v_mul_f64 v[150:151], v[138:139], v[162:163]
	s_waitcnt vmcnt(8)
	v_fma_f64 v[152:153], v[1:2], v[166:167], -v[154:155]
	v_fma_f64 v[154:155], v[3:4], v[166:167], v[160:161]
	v_add_f64 v[135:136], v[142:143], v[135:136]
	v_add_f64 v[146:147], v[144:145], v[146:147]
	ds_read_b128 v[1:4], v184 offset:96
	ds_read_b128 v[142:145], v184 offset:112
	v_fma_f64 v[138:139], v[138:139], v[164:165], -v[148:149]
	v_fma_f64 v[140:141], v[140:141], v[164:165], v[150:151]
	s_waitcnt vmcnt(4) lgkmcnt(1)
	v_mul_f64 v[156:157], v[3:4], v[168:169]
	v_mul_f64 v[158:159], v[1:2], v[168:169]
	v_add_f64 v[135:136], v[135:136], v[152:153]
	v_add_f64 v[146:147], v[146:147], v[154:155]
	s_waitcnt vmcnt(2) lgkmcnt(0)
	v_mul_f64 v[148:149], v[144:145], v[170:171]
	v_mul_f64 v[150:151], v[142:143], v[170:171]
	s_waitcnt vmcnt(0)
	v_fma_f64 v[1:2], v[1:2], v[174:175], -v[156:157]
	v_fma_f64 v[3:4], v[3:4], v[174:175], v[158:159]
	v_add_f64 v[135:136], v[135:136], v[138:139]
	v_add_f64 v[138:139], v[146:147], v[140:141]
	v_fma_f64 v[140:141], v[142:143], v[172:173], -v[148:149]
	v_fma_f64 v[142:143], v[144:145], v[172:173], v[150:151]
	v_add_f64 v[1:2], v[135:136], v[1:2]
	v_add_f64 v[3:4], v[138:139], v[3:4]
	v_mov_b32_e32 v135, s75
	s_mov_b32 s75, s76
	v_add_f64 v[1:2], v[1:2], v[140:141]
	v_add_f64 v[3:4], v[3:4], v[142:143]
	s_andn2_b32 exec_lo, exec_lo, s72
	s_cbranch_execnz .LBB126_375
; %bb.376:
	s_or_b32 exec_lo, exec_lo, s72
.LBB126_377:
	s_or_b32 exec_lo, exec_lo, s5
	v_and_b32_e32 v133, 7, v133
	s_mov_b32 s72, 0
	s_mov_b32 s5, exec_lo
	v_cmpx_ne_u32_e32 0, v133
	s_cbranch_execz .LBB126_381
; %bb.378:
	v_lshlrev_b32_e32 v135, 4, v135
	v_add_nc_u32_e32 v134, 0x3f0, v135
	.p2align	6
.LBB126_379:                            ; =>This Inner Loop Header: Depth=1
	s_clause 0x3
	buffer_load_dword v142, v135, s[0:3], 0 offen offset:8
	buffer_load_dword v143, v135, s[0:3], 0 offen offset:12
	buffer_load_dword v144, v135, s[0:3], 0 offen
	buffer_load_dword v145, v135, s[0:3], 0 offen offset:4
	ds_read_b128 v[138:141], v134
	v_add_nc_u32_e32 v133, -1, v133
	v_add_nc_u32_e32 v134, 16, v134
	v_add_nc_u32_e32 v135, 16, v135
	v_cmp_eq_u32_e32 vcc_lo, 0, v133
	s_or_b32 s72, vcc_lo, s72
	s_waitcnt vmcnt(2) lgkmcnt(0)
	v_mul_f64 v[146:147], v[140:141], v[142:143]
	v_mul_f64 v[142:143], v[138:139], v[142:143]
	s_waitcnt vmcnt(0)
	v_fma_f64 v[138:139], v[138:139], v[144:145], -v[146:147]
	v_fma_f64 v[140:141], v[140:141], v[144:145], v[142:143]
	v_add_f64 v[1:2], v[1:2], v[138:139]
	v_add_f64 v[3:4], v[3:4], v[140:141]
	s_andn2_b32 exec_lo, exec_lo, s72
	s_cbranch_execnz .LBB126_379
; %bb.380:
	s_or_b32 exec_lo, exec_lo, s72
.LBB126_381:
	s_or_b32 exec_lo, exec_lo, s5
.LBB126_382:
	s_or_b32 exec_lo, exec_lo, s8
	v_mov_b32_e32 v133, 0
	ds_read_b128 v[133:136], v133 offset:544
	s_waitcnt lgkmcnt(0)
	v_mul_f64 v[138:139], v[3:4], v[135:136]
	v_mul_f64 v[135:136], v[1:2], v[135:136]
	v_fma_f64 v[1:2], v[1:2], v[133:134], -v[138:139]
	v_fma_f64 v[3:4], v[3:4], v[133:134], v[135:136]
	buffer_store_dword v2, off, s[0:3], 0 offset:548
	buffer_store_dword v1, off, s[0:3], 0 offset:544
	;; [unrolled: 1-line block ×4, first 2 shown]
.LBB126_383:
	s_or_b32 exec_lo, exec_lo, s6
	v_mov_b32_e32 v4, s39
	v_cmp_lt_u32_e64 s5, 33, v0
	s_clause 0x3
	buffer_load_dword v1, v4, s[0:3], 0 offen
	buffer_load_dword v2, v4, s[0:3], 0 offen offset:4
	buffer_load_dword v3, v4, s[0:3], 0 offen offset:8
	;; [unrolled: 1-line block ×3, first 2 shown]
	s_waitcnt vmcnt(0)
	ds_write_b128 v132, v[1:4]
	s_waitcnt lgkmcnt(0)
	s_waitcnt_vscnt null, 0x0
	s_barrier
	buffer_gl0_inv
	s_and_saveexec_b32 s6, s5
	s_cbranch_execz .LBB126_397
; %bb.384:
	ds_read_b128 v[1:4], v132
	s_andn2_b32 vcc_lo, exec_lo, s7
	s_cbranch_vccnz .LBB126_386
; %bb.385:
	s_clause 0x3
	buffer_load_dword v133, v131, s[0:3], 0 offen offset:8
	buffer_load_dword v134, v131, s[0:3], 0 offen offset:12
	buffer_load_dword v135, v131, s[0:3], 0 offen
	buffer_load_dword v136, v131, s[0:3], 0 offen offset:4
	s_waitcnt vmcnt(2) lgkmcnt(0)
	v_mul_f64 v[138:139], v[3:4], v[133:134]
	v_mul_f64 v[133:134], v[1:2], v[133:134]
	s_waitcnt vmcnt(0)
	v_fma_f64 v[1:2], v[1:2], v[135:136], -v[138:139]
	v_fma_f64 v[3:4], v[3:4], v[135:136], v[133:134]
.LBB126_386:
	s_and_saveexec_b32 s8, s4
	s_cbranch_execz .LBB126_396
; %bb.387:
	v_subrev_nc_u32_e32 v134, 35, v0
	v_mov_b32_e32 v135, 34
	v_subrev_nc_u32_e32 v133, 34, v0
	s_mov_b32 s4, exec_lo
	v_cmpx_lt_u32_e32 6, v134
	s_cbranch_execz .LBB126_391
; %bb.388:
	v_and_b32_e32 v134, -8, v133
	s_movk_i32 s73, 0x610
	s_mov_b32 s72, 0
	s_mov_b32 s74, s38
	;; [unrolled: 1-line block ×3, first 2 shown]
.LBB126_389:                            ; =>This Inner Loop Header: Depth=1
	v_mov_b32_e32 v138, s74
	v_mov_b32_e32 v184, s73
	s_add_i32 s76, s75, 8
	s_add_i32 s75, s75, 42
	v_cmp_eq_u32_e32 vcc_lo, s76, v134
	s_clause 0x1f
	buffer_load_dword v135, v138, s[0:3], 0 offen offset:8
	buffer_load_dword v136, v138, s[0:3], 0 offen offset:12
	buffer_load_dword v146, v138, s[0:3], 0 offen
	buffer_load_dword v147, v138, s[0:3], 0 offen offset:4
	buffer_load_dword v148, v138, s[0:3], 0 offen offset:24
	;; [unrolled: 1-line block ×29, first 2 shown]
	ds_read_b128 v[138:141], v184
	ds_read_b128 v[142:145], v184 offset:16
	s_addk_i32 s73, 0x80
	s_addk_i32 s74, 0x80
	s_or_b32 s72, vcc_lo, s72
	s_waitcnt vmcnt(30) lgkmcnt(1)
	v_mul_f64 v[176:177], v[140:141], v[135:136]
	v_mul_f64 v[135:136], v[138:139], v[135:136]
	s_waitcnt vmcnt(26) lgkmcnt(0)
	v_mul_f64 v[178:179], v[144:145], v[148:149]
	v_mul_f64 v[180:181], v[142:143], v[148:149]
	v_fma_f64 v[176:177], v[138:139], v[146:147], -v[176:177]
	v_fma_f64 v[135:136], v[140:141], v[146:147], v[135:136]
	ds_read_b128 v[138:141], v184 offset:32
	ds_read_b128 v[146:149], v184 offset:48
	s_waitcnt vmcnt(24)
	v_fma_f64 v[142:143], v[142:143], v[150:151], -v[178:179]
	v_fma_f64 v[144:145], v[144:145], v[150:151], v[180:181]
	s_waitcnt vmcnt(22) lgkmcnt(1)
	v_mul_f64 v[182:183], v[140:141], v[152:153]
	v_mul_f64 v[152:153], v[138:139], v[152:153]
	v_add_f64 v[1:2], v[1:2], v[176:177]
	v_add_f64 v[3:4], v[3:4], v[135:136]
	s_waitcnt vmcnt(18) lgkmcnt(0)
	v_mul_f64 v[135:136], v[148:149], v[156:157]
	v_mul_f64 v[150:151], v[146:147], v[156:157]
	v_fma_f64 v[156:157], v[138:139], v[154:155], -v[182:183]
	v_fma_f64 v[152:153], v[140:141], v[154:155], v[152:153]
	v_add_f64 v[142:143], v[1:2], v[142:143]
	v_add_f64 v[144:145], v[3:4], v[144:145]
	ds_read_b128 v[1:4], v184 offset:64
	ds_read_b128 v[138:141], v184 offset:80
	s_waitcnt vmcnt(16)
	v_fma_f64 v[135:136], v[146:147], v[158:159], -v[135:136]
	v_fma_f64 v[146:147], v[148:149], v[158:159], v[150:151]
	s_waitcnt vmcnt(12) lgkmcnt(1)
	v_mul_f64 v[154:155], v[3:4], v[160:161]
	v_mul_f64 v[160:161], v[1:2], v[160:161]
	v_add_f64 v[142:143], v[142:143], v[156:157]
	v_add_f64 v[144:145], v[144:145], v[152:153]
	s_waitcnt vmcnt(10) lgkmcnt(0)
	v_mul_f64 v[148:149], v[140:141], v[162:163]
	v_mul_f64 v[150:151], v[138:139], v[162:163]
	s_waitcnt vmcnt(8)
	v_fma_f64 v[152:153], v[1:2], v[166:167], -v[154:155]
	v_fma_f64 v[154:155], v[3:4], v[166:167], v[160:161]
	v_add_f64 v[135:136], v[142:143], v[135:136]
	v_add_f64 v[146:147], v[144:145], v[146:147]
	ds_read_b128 v[1:4], v184 offset:96
	ds_read_b128 v[142:145], v184 offset:112
	v_fma_f64 v[138:139], v[138:139], v[164:165], -v[148:149]
	v_fma_f64 v[140:141], v[140:141], v[164:165], v[150:151]
	s_waitcnt vmcnt(4) lgkmcnt(1)
	v_mul_f64 v[156:157], v[3:4], v[168:169]
	v_mul_f64 v[158:159], v[1:2], v[168:169]
	v_add_f64 v[135:136], v[135:136], v[152:153]
	v_add_f64 v[146:147], v[146:147], v[154:155]
	s_waitcnt vmcnt(2) lgkmcnt(0)
	v_mul_f64 v[148:149], v[144:145], v[170:171]
	v_mul_f64 v[150:151], v[142:143], v[170:171]
	s_waitcnt vmcnt(0)
	v_fma_f64 v[1:2], v[1:2], v[174:175], -v[156:157]
	v_fma_f64 v[3:4], v[3:4], v[174:175], v[158:159]
	v_add_f64 v[135:136], v[135:136], v[138:139]
	v_add_f64 v[138:139], v[146:147], v[140:141]
	v_fma_f64 v[140:141], v[142:143], v[172:173], -v[148:149]
	v_fma_f64 v[142:143], v[144:145], v[172:173], v[150:151]
	v_add_f64 v[1:2], v[135:136], v[1:2]
	v_add_f64 v[3:4], v[138:139], v[3:4]
	v_mov_b32_e32 v135, s75
	s_mov_b32 s75, s76
	v_add_f64 v[1:2], v[1:2], v[140:141]
	v_add_f64 v[3:4], v[3:4], v[142:143]
	s_andn2_b32 exec_lo, exec_lo, s72
	s_cbranch_execnz .LBB126_389
; %bb.390:
	s_or_b32 exec_lo, exec_lo, s72
.LBB126_391:
	s_or_b32 exec_lo, exec_lo, s4
	v_and_b32_e32 v133, 7, v133
	s_mov_b32 s72, 0
	s_mov_b32 s4, exec_lo
	v_cmpx_ne_u32_e32 0, v133
	s_cbranch_execz .LBB126_395
; %bb.392:
	v_lshlrev_b32_e32 v135, 4, v135
	v_add_nc_u32_e32 v134, 0x3f0, v135
	.p2align	6
.LBB126_393:                            ; =>This Inner Loop Header: Depth=1
	s_clause 0x3
	buffer_load_dword v142, v135, s[0:3], 0 offen offset:8
	buffer_load_dword v143, v135, s[0:3], 0 offen offset:12
	buffer_load_dword v144, v135, s[0:3], 0 offen
	buffer_load_dword v145, v135, s[0:3], 0 offen offset:4
	ds_read_b128 v[138:141], v134
	v_add_nc_u32_e32 v133, -1, v133
	v_add_nc_u32_e32 v134, 16, v134
	v_add_nc_u32_e32 v135, 16, v135
	v_cmp_eq_u32_e32 vcc_lo, 0, v133
	s_or_b32 s72, vcc_lo, s72
	s_waitcnt vmcnt(2) lgkmcnt(0)
	v_mul_f64 v[146:147], v[140:141], v[142:143]
	v_mul_f64 v[142:143], v[138:139], v[142:143]
	s_waitcnt vmcnt(0)
	v_fma_f64 v[138:139], v[138:139], v[144:145], -v[146:147]
	v_fma_f64 v[140:141], v[140:141], v[144:145], v[142:143]
	v_add_f64 v[1:2], v[1:2], v[138:139]
	v_add_f64 v[3:4], v[3:4], v[140:141]
	s_andn2_b32 exec_lo, exec_lo, s72
	s_cbranch_execnz .LBB126_393
; %bb.394:
	s_or_b32 exec_lo, exec_lo, s72
.LBB126_395:
	s_or_b32 exec_lo, exec_lo, s4
.LBB126_396:
	s_or_b32 exec_lo, exec_lo, s8
	v_mov_b32_e32 v133, 0
	ds_read_b128 v[133:136], v133 offset:528
	s_waitcnt lgkmcnt(0)
	v_mul_f64 v[138:139], v[3:4], v[135:136]
	v_mul_f64 v[135:136], v[1:2], v[135:136]
	v_fma_f64 v[1:2], v[1:2], v[133:134], -v[138:139]
	v_fma_f64 v[3:4], v[3:4], v[133:134], v[135:136]
	buffer_store_dword v2, off, s[0:3], 0 offset:532
	buffer_store_dword v1, off, s[0:3], 0 offset:528
	;; [unrolled: 1-line block ×4, first 2 shown]
.LBB126_397:
	s_or_b32 exec_lo, exec_lo, s6
	v_mov_b32_e32 v4, s40
	v_cmp_lt_u32_e64 s4, 32, v0
	s_clause 0x3
	buffer_load_dword v1, v4, s[0:3], 0 offen
	buffer_load_dword v2, v4, s[0:3], 0 offen offset:4
	buffer_load_dword v3, v4, s[0:3], 0 offen offset:8
	;; [unrolled: 1-line block ×3, first 2 shown]
	s_waitcnt vmcnt(0)
	ds_write_b128 v132, v[1:4]
	s_waitcnt lgkmcnt(0)
	s_waitcnt_vscnt null, 0x0
	s_barrier
	buffer_gl0_inv
	s_and_saveexec_b32 s6, s4
	s_cbranch_execz .LBB126_411
; %bb.398:
	ds_read_b128 v[1:4], v132
	s_andn2_b32 vcc_lo, exec_lo, s7
	s_cbranch_vccnz .LBB126_400
; %bb.399:
	s_clause 0x3
	buffer_load_dword v133, v131, s[0:3], 0 offen offset:8
	buffer_load_dword v134, v131, s[0:3], 0 offen offset:12
	buffer_load_dword v135, v131, s[0:3], 0 offen
	buffer_load_dword v136, v131, s[0:3], 0 offen offset:4
	s_waitcnt vmcnt(2) lgkmcnt(0)
	v_mul_f64 v[138:139], v[3:4], v[133:134]
	v_mul_f64 v[133:134], v[1:2], v[133:134]
	s_waitcnt vmcnt(0)
	v_fma_f64 v[1:2], v[1:2], v[135:136], -v[138:139]
	v_fma_f64 v[3:4], v[3:4], v[135:136], v[133:134]
.LBB126_400:
	s_and_saveexec_b32 s8, s5
	s_cbranch_execz .LBB126_410
; %bb.401:
	v_subrev_nc_u32_e32 v134, 34, v0
	v_mov_b32_e32 v135, 33
	v_subrev_nc_u32_e32 v133, 33, v0
	s_mov_b32 s5, exec_lo
	v_cmpx_lt_u32_e32 6, v134
	s_cbranch_execz .LBB126_405
; %bb.402:
	v_and_b32_e32 v134, -8, v133
	s_movk_i32 s73, 0x600
	s_mov_b32 s72, 0
	s_mov_b32 s74, s39
	;; [unrolled: 1-line block ×3, first 2 shown]
.LBB126_403:                            ; =>This Inner Loop Header: Depth=1
	v_mov_b32_e32 v138, s74
	v_mov_b32_e32 v184, s73
	s_add_i32 s76, s75, 8
	s_add_i32 s75, s75, 41
	v_cmp_eq_u32_e32 vcc_lo, s76, v134
	s_clause 0x1f
	buffer_load_dword v135, v138, s[0:3], 0 offen offset:8
	buffer_load_dword v136, v138, s[0:3], 0 offen offset:12
	buffer_load_dword v146, v138, s[0:3], 0 offen
	buffer_load_dword v147, v138, s[0:3], 0 offen offset:4
	buffer_load_dword v148, v138, s[0:3], 0 offen offset:24
	buffer_load_dword v149, v138, s[0:3], 0 offen offset:28
	buffer_load_dword v150, v138, s[0:3], 0 offen offset:16
	buffer_load_dword v151, v138, s[0:3], 0 offen offset:20
	buffer_load_dword v152, v138, s[0:3], 0 offen offset:40
	buffer_load_dword v153, v138, s[0:3], 0 offen offset:44
	buffer_load_dword v154, v138, s[0:3], 0 offen offset:32
	buffer_load_dword v155, v138, s[0:3], 0 offen offset:36
	buffer_load_dword v156, v138, s[0:3], 0 offen offset:56
	buffer_load_dword v157, v138, s[0:3], 0 offen offset:60
	buffer_load_dword v158, v138, s[0:3], 0 offen offset:48
	buffer_load_dword v159, v138, s[0:3], 0 offen offset:52
	buffer_load_dword v161, v138, s[0:3], 0 offen offset:76
	buffer_load_dword v162, v138, s[0:3], 0 offen offset:88
	buffer_load_dword v164, v138, s[0:3], 0 offen offset:80
	buffer_load_dword v160, v138, s[0:3], 0 offen offset:72
	buffer_load_dword v165, v138, s[0:3], 0 offen offset:84
	buffer_load_dword v163, v138, s[0:3], 0 offen offset:92
	buffer_load_dword v167, v138, s[0:3], 0 offen offset:68
	buffer_load_dword v166, v138, s[0:3], 0 offen offset:64
	buffer_load_dword v169, v138, s[0:3], 0 offen offset:108
	buffer_load_dword v170, v138, s[0:3], 0 offen offset:120
	buffer_load_dword v172, v138, s[0:3], 0 offen offset:112
	buffer_load_dword v168, v138, s[0:3], 0 offen offset:104
	buffer_load_dword v173, v138, s[0:3], 0 offen offset:116
	buffer_load_dword v171, v138, s[0:3], 0 offen offset:124
	buffer_load_dword v175, v138, s[0:3], 0 offen offset:100
	buffer_load_dword v174, v138, s[0:3], 0 offen offset:96
	ds_read_b128 v[138:141], v184
	ds_read_b128 v[142:145], v184 offset:16
	s_addk_i32 s73, 0x80
	s_addk_i32 s74, 0x80
	s_or_b32 s72, vcc_lo, s72
	s_waitcnt vmcnt(30) lgkmcnt(1)
	v_mul_f64 v[176:177], v[140:141], v[135:136]
	v_mul_f64 v[135:136], v[138:139], v[135:136]
	s_waitcnt vmcnt(26) lgkmcnt(0)
	v_mul_f64 v[178:179], v[144:145], v[148:149]
	v_mul_f64 v[180:181], v[142:143], v[148:149]
	v_fma_f64 v[176:177], v[138:139], v[146:147], -v[176:177]
	v_fma_f64 v[135:136], v[140:141], v[146:147], v[135:136]
	ds_read_b128 v[138:141], v184 offset:32
	ds_read_b128 v[146:149], v184 offset:48
	s_waitcnt vmcnt(24)
	v_fma_f64 v[142:143], v[142:143], v[150:151], -v[178:179]
	v_fma_f64 v[144:145], v[144:145], v[150:151], v[180:181]
	s_waitcnt vmcnt(22) lgkmcnt(1)
	v_mul_f64 v[182:183], v[140:141], v[152:153]
	v_mul_f64 v[152:153], v[138:139], v[152:153]
	v_add_f64 v[1:2], v[1:2], v[176:177]
	v_add_f64 v[3:4], v[3:4], v[135:136]
	s_waitcnt vmcnt(18) lgkmcnt(0)
	v_mul_f64 v[135:136], v[148:149], v[156:157]
	v_mul_f64 v[150:151], v[146:147], v[156:157]
	v_fma_f64 v[156:157], v[138:139], v[154:155], -v[182:183]
	v_fma_f64 v[152:153], v[140:141], v[154:155], v[152:153]
	v_add_f64 v[142:143], v[1:2], v[142:143]
	v_add_f64 v[144:145], v[3:4], v[144:145]
	ds_read_b128 v[1:4], v184 offset:64
	ds_read_b128 v[138:141], v184 offset:80
	s_waitcnt vmcnt(16)
	v_fma_f64 v[135:136], v[146:147], v[158:159], -v[135:136]
	v_fma_f64 v[146:147], v[148:149], v[158:159], v[150:151]
	s_waitcnt vmcnt(12) lgkmcnt(1)
	v_mul_f64 v[154:155], v[3:4], v[160:161]
	v_mul_f64 v[160:161], v[1:2], v[160:161]
	v_add_f64 v[142:143], v[142:143], v[156:157]
	v_add_f64 v[144:145], v[144:145], v[152:153]
	s_waitcnt vmcnt(10) lgkmcnt(0)
	v_mul_f64 v[148:149], v[140:141], v[162:163]
	v_mul_f64 v[150:151], v[138:139], v[162:163]
	s_waitcnt vmcnt(8)
	v_fma_f64 v[152:153], v[1:2], v[166:167], -v[154:155]
	v_fma_f64 v[154:155], v[3:4], v[166:167], v[160:161]
	v_add_f64 v[135:136], v[142:143], v[135:136]
	v_add_f64 v[146:147], v[144:145], v[146:147]
	ds_read_b128 v[1:4], v184 offset:96
	ds_read_b128 v[142:145], v184 offset:112
	v_fma_f64 v[138:139], v[138:139], v[164:165], -v[148:149]
	v_fma_f64 v[140:141], v[140:141], v[164:165], v[150:151]
	s_waitcnt vmcnt(4) lgkmcnt(1)
	v_mul_f64 v[156:157], v[3:4], v[168:169]
	v_mul_f64 v[158:159], v[1:2], v[168:169]
	v_add_f64 v[135:136], v[135:136], v[152:153]
	v_add_f64 v[146:147], v[146:147], v[154:155]
	s_waitcnt vmcnt(2) lgkmcnt(0)
	v_mul_f64 v[148:149], v[144:145], v[170:171]
	v_mul_f64 v[150:151], v[142:143], v[170:171]
	s_waitcnt vmcnt(0)
	v_fma_f64 v[1:2], v[1:2], v[174:175], -v[156:157]
	v_fma_f64 v[3:4], v[3:4], v[174:175], v[158:159]
	v_add_f64 v[135:136], v[135:136], v[138:139]
	v_add_f64 v[138:139], v[146:147], v[140:141]
	v_fma_f64 v[140:141], v[142:143], v[172:173], -v[148:149]
	v_fma_f64 v[142:143], v[144:145], v[172:173], v[150:151]
	v_add_f64 v[1:2], v[135:136], v[1:2]
	v_add_f64 v[3:4], v[138:139], v[3:4]
	v_mov_b32_e32 v135, s75
	s_mov_b32 s75, s76
	v_add_f64 v[1:2], v[1:2], v[140:141]
	v_add_f64 v[3:4], v[3:4], v[142:143]
	s_andn2_b32 exec_lo, exec_lo, s72
	s_cbranch_execnz .LBB126_403
; %bb.404:
	s_or_b32 exec_lo, exec_lo, s72
.LBB126_405:
	s_or_b32 exec_lo, exec_lo, s5
	v_and_b32_e32 v133, 7, v133
	s_mov_b32 s72, 0
	s_mov_b32 s5, exec_lo
	v_cmpx_ne_u32_e32 0, v133
	s_cbranch_execz .LBB126_409
; %bb.406:
	v_lshlrev_b32_e32 v135, 4, v135
	v_add_nc_u32_e32 v134, 0x3f0, v135
	.p2align	6
.LBB126_407:                            ; =>This Inner Loop Header: Depth=1
	s_clause 0x3
	buffer_load_dword v142, v135, s[0:3], 0 offen offset:8
	buffer_load_dword v143, v135, s[0:3], 0 offen offset:12
	buffer_load_dword v144, v135, s[0:3], 0 offen
	buffer_load_dword v145, v135, s[0:3], 0 offen offset:4
	ds_read_b128 v[138:141], v134
	v_add_nc_u32_e32 v133, -1, v133
	v_add_nc_u32_e32 v134, 16, v134
	v_add_nc_u32_e32 v135, 16, v135
	v_cmp_eq_u32_e32 vcc_lo, 0, v133
	s_or_b32 s72, vcc_lo, s72
	s_waitcnt vmcnt(2) lgkmcnt(0)
	v_mul_f64 v[146:147], v[140:141], v[142:143]
	v_mul_f64 v[142:143], v[138:139], v[142:143]
	s_waitcnt vmcnt(0)
	v_fma_f64 v[138:139], v[138:139], v[144:145], -v[146:147]
	v_fma_f64 v[140:141], v[140:141], v[144:145], v[142:143]
	v_add_f64 v[1:2], v[1:2], v[138:139]
	v_add_f64 v[3:4], v[3:4], v[140:141]
	s_andn2_b32 exec_lo, exec_lo, s72
	s_cbranch_execnz .LBB126_407
; %bb.408:
	s_or_b32 exec_lo, exec_lo, s72
.LBB126_409:
	s_or_b32 exec_lo, exec_lo, s5
.LBB126_410:
	s_or_b32 exec_lo, exec_lo, s8
	v_mov_b32_e32 v133, 0
	ds_read_b128 v[133:136], v133 offset:512
	s_waitcnt lgkmcnt(0)
	v_mul_f64 v[138:139], v[3:4], v[135:136]
	v_mul_f64 v[135:136], v[1:2], v[135:136]
	v_fma_f64 v[1:2], v[1:2], v[133:134], -v[138:139]
	v_fma_f64 v[3:4], v[3:4], v[133:134], v[135:136]
	buffer_store_dword v2, off, s[0:3], 0 offset:516
	buffer_store_dword v1, off, s[0:3], 0 offset:512
	;; [unrolled: 1-line block ×4, first 2 shown]
.LBB126_411:
	s_or_b32 exec_lo, exec_lo, s6
	v_mov_b32_e32 v4, s41
	v_cmp_lt_u32_e64 s5, 31, v0
	s_clause 0x3
	buffer_load_dword v1, v4, s[0:3], 0 offen
	buffer_load_dword v2, v4, s[0:3], 0 offen offset:4
	buffer_load_dword v3, v4, s[0:3], 0 offen offset:8
	;; [unrolled: 1-line block ×3, first 2 shown]
	s_waitcnt vmcnt(0)
	ds_write_b128 v132, v[1:4]
	s_waitcnt lgkmcnt(0)
	s_waitcnt_vscnt null, 0x0
	s_barrier
	buffer_gl0_inv
	s_and_saveexec_b32 s6, s5
	s_cbranch_execz .LBB126_425
; %bb.412:
	ds_read_b128 v[1:4], v132
	s_andn2_b32 vcc_lo, exec_lo, s7
	s_cbranch_vccnz .LBB126_414
; %bb.413:
	s_clause 0x3
	buffer_load_dword v133, v131, s[0:3], 0 offen offset:8
	buffer_load_dword v134, v131, s[0:3], 0 offen offset:12
	buffer_load_dword v135, v131, s[0:3], 0 offen
	buffer_load_dword v136, v131, s[0:3], 0 offen offset:4
	s_waitcnt vmcnt(2) lgkmcnt(0)
	v_mul_f64 v[138:139], v[3:4], v[133:134]
	v_mul_f64 v[133:134], v[1:2], v[133:134]
	s_waitcnt vmcnt(0)
	v_fma_f64 v[1:2], v[1:2], v[135:136], -v[138:139]
	v_fma_f64 v[3:4], v[3:4], v[135:136], v[133:134]
.LBB126_414:
	s_and_saveexec_b32 s8, s4
	s_cbranch_execz .LBB126_424
; %bb.415:
	v_subrev_nc_u32_e32 v133, 33, v0
	v_cmp_lt_u32_e32 vcc_lo, 6, v133
	v_mov_b32_e32 v133, 32
	s_and_saveexec_b32 s4, vcc_lo
	s_cbranch_execz .LBB126_419
; %bb.416:
	v_and_b32_e32 v133, 56, v0
	s_mov_b32 s72, 32
	s_movk_i32 s74, 0x5f0
	s_mov_b32 s73, 0
	s_mov_b32 s75, s40
.LBB126_417:                            ; =>This Inner Loop Header: Depth=1
	v_mov_b32_e32 v136, s75
	s_add_i32 s72, s72, 8
	s_addk_i32 s75, 0x80
	v_cmp_eq_u32_e32 vcc_lo, s72, v133
	s_clause 0x1f
	buffer_load_dword v134, v136, s[0:3], 0 offen offset:8
	buffer_load_dword v135, v136, s[0:3], 0 offen offset:12
	buffer_load_dword v146, v136, s[0:3], 0 offen
	buffer_load_dword v147, v136, s[0:3], 0 offen offset:4
	buffer_load_dword v148, v136, s[0:3], 0 offen offset:24
	;; [unrolled: 1-line block ×29, first 2 shown]
	v_mov_b32_e32 v136, s74
	s_addk_i32 s74, 0x80
	s_or_b32 s73, vcc_lo, s73
	ds_read_b128 v[138:141], v136
	ds_read_b128 v[142:145], v136 offset:16
	s_waitcnt vmcnt(30) lgkmcnt(1)
	v_mul_f64 v[176:177], v[140:141], v[134:135]
	v_mul_f64 v[134:135], v[138:139], v[134:135]
	s_waitcnt vmcnt(26) lgkmcnt(0)
	v_mul_f64 v[178:179], v[144:145], v[148:149]
	v_mul_f64 v[180:181], v[142:143], v[148:149]
	v_fma_f64 v[176:177], v[138:139], v[146:147], -v[176:177]
	v_fma_f64 v[134:135], v[140:141], v[146:147], v[134:135]
	ds_read_b128 v[138:141], v136 offset:32
	ds_read_b128 v[146:149], v136 offset:48
	s_waitcnt vmcnt(24)
	v_fma_f64 v[142:143], v[142:143], v[150:151], -v[178:179]
	v_fma_f64 v[144:145], v[144:145], v[150:151], v[180:181]
	s_waitcnt vmcnt(22) lgkmcnt(1)
	v_mul_f64 v[182:183], v[140:141], v[152:153]
	v_mul_f64 v[152:153], v[138:139], v[152:153]
	v_add_f64 v[1:2], v[1:2], v[176:177]
	v_add_f64 v[3:4], v[3:4], v[134:135]
	s_waitcnt vmcnt(18) lgkmcnt(0)
	v_mul_f64 v[134:135], v[148:149], v[156:157]
	v_mul_f64 v[150:151], v[146:147], v[156:157]
	v_fma_f64 v[156:157], v[138:139], v[154:155], -v[182:183]
	v_fma_f64 v[152:153], v[140:141], v[154:155], v[152:153]
	v_add_f64 v[142:143], v[1:2], v[142:143]
	v_add_f64 v[144:145], v[3:4], v[144:145]
	ds_read_b128 v[1:4], v136 offset:64
	ds_read_b128 v[138:141], v136 offset:80
	s_waitcnt vmcnt(16)
	v_fma_f64 v[134:135], v[146:147], v[158:159], -v[134:135]
	v_fma_f64 v[146:147], v[148:149], v[158:159], v[150:151]
	s_waitcnt vmcnt(12) lgkmcnt(1)
	v_mul_f64 v[154:155], v[3:4], v[160:161]
	v_mul_f64 v[160:161], v[1:2], v[160:161]
	v_add_f64 v[142:143], v[142:143], v[156:157]
	v_add_f64 v[144:145], v[144:145], v[152:153]
	s_waitcnt vmcnt(10) lgkmcnt(0)
	v_mul_f64 v[148:149], v[140:141], v[162:163]
	v_mul_f64 v[150:151], v[138:139], v[162:163]
	s_waitcnt vmcnt(8)
	v_fma_f64 v[152:153], v[1:2], v[166:167], -v[154:155]
	v_fma_f64 v[154:155], v[3:4], v[166:167], v[160:161]
	v_add_f64 v[134:135], v[142:143], v[134:135]
	v_add_f64 v[146:147], v[144:145], v[146:147]
	ds_read_b128 v[1:4], v136 offset:96
	ds_read_b128 v[142:145], v136 offset:112
	v_fma_f64 v[138:139], v[138:139], v[164:165], -v[148:149]
	v_fma_f64 v[140:141], v[140:141], v[164:165], v[150:151]
	s_waitcnt vmcnt(4) lgkmcnt(1)
	v_mul_f64 v[156:157], v[3:4], v[168:169]
	v_mul_f64 v[158:159], v[1:2], v[168:169]
	v_add_f64 v[134:135], v[134:135], v[152:153]
	v_add_f64 v[146:147], v[146:147], v[154:155]
	s_waitcnt vmcnt(2) lgkmcnt(0)
	v_mul_f64 v[148:149], v[144:145], v[170:171]
	v_mul_f64 v[150:151], v[142:143], v[170:171]
	s_waitcnt vmcnt(0)
	v_fma_f64 v[1:2], v[1:2], v[174:175], -v[156:157]
	v_fma_f64 v[3:4], v[3:4], v[174:175], v[158:159]
	v_add_f64 v[134:135], v[134:135], v[138:139]
	v_add_f64 v[138:139], v[146:147], v[140:141]
	v_fma_f64 v[140:141], v[142:143], v[172:173], -v[148:149]
	v_fma_f64 v[142:143], v[144:145], v[172:173], v[150:151]
	v_add_f64 v[1:2], v[134:135], v[1:2]
	v_add_f64 v[3:4], v[138:139], v[3:4]
	;; [unrolled: 1-line block ×4, first 2 shown]
	s_andn2_b32 exec_lo, exec_lo, s73
	s_cbranch_execnz .LBB126_417
; %bb.418:
	s_or_b32 exec_lo, exec_lo, s73
.LBB126_419:
	s_or_b32 exec_lo, exec_lo, s4
	v_and_b32_e32 v134, 7, v0
	s_mov_b32 s72, 0
	s_mov_b32 s4, exec_lo
	v_cmpx_ne_u32_e32 0, v134
	s_cbranch_execz .LBB126_423
; %bb.420:
	v_lshlrev_b32_e32 v135, 4, v133
	v_add_nc_u32_e32 v133, 0x3f0, v135
	.p2align	6
.LBB126_421:                            ; =>This Inner Loop Header: Depth=1
	s_clause 0x3
	buffer_load_dword v142, v135, s[0:3], 0 offen offset:8
	buffer_load_dword v143, v135, s[0:3], 0 offen offset:12
	buffer_load_dword v144, v135, s[0:3], 0 offen
	buffer_load_dword v145, v135, s[0:3], 0 offen offset:4
	ds_read_b128 v[138:141], v133
	v_add_nc_u32_e32 v134, -1, v134
	v_add_nc_u32_e32 v133, 16, v133
	v_add_nc_u32_e32 v135, 16, v135
	v_cmp_eq_u32_e32 vcc_lo, 0, v134
	s_or_b32 s72, vcc_lo, s72
	s_waitcnt vmcnt(2) lgkmcnt(0)
	v_mul_f64 v[146:147], v[140:141], v[142:143]
	v_mul_f64 v[142:143], v[138:139], v[142:143]
	s_waitcnt vmcnt(0)
	v_fma_f64 v[138:139], v[138:139], v[144:145], -v[146:147]
	v_fma_f64 v[140:141], v[140:141], v[144:145], v[142:143]
	v_add_f64 v[1:2], v[1:2], v[138:139]
	v_add_f64 v[3:4], v[3:4], v[140:141]
	s_andn2_b32 exec_lo, exec_lo, s72
	s_cbranch_execnz .LBB126_421
; %bb.422:
	s_or_b32 exec_lo, exec_lo, s72
.LBB126_423:
	s_or_b32 exec_lo, exec_lo, s4
.LBB126_424:
	s_or_b32 exec_lo, exec_lo, s8
	v_mov_b32_e32 v133, 0
	ds_read_b128 v[133:136], v133 offset:496
	s_waitcnt lgkmcnt(0)
	v_mul_f64 v[138:139], v[3:4], v[135:136]
	v_mul_f64 v[135:136], v[1:2], v[135:136]
	v_fma_f64 v[1:2], v[1:2], v[133:134], -v[138:139]
	v_fma_f64 v[3:4], v[3:4], v[133:134], v[135:136]
	buffer_store_dword v2, off, s[0:3], 0 offset:500
	buffer_store_dword v1, off, s[0:3], 0 offset:496
	;; [unrolled: 1-line block ×4, first 2 shown]
.LBB126_425:
	s_or_b32 exec_lo, exec_lo, s6
	v_mov_b32_e32 v4, s42
	v_cmp_lt_u32_e64 s4, 30, v0
	s_clause 0x3
	buffer_load_dword v1, v4, s[0:3], 0 offen
	buffer_load_dword v2, v4, s[0:3], 0 offen offset:4
	buffer_load_dword v3, v4, s[0:3], 0 offen offset:8
	;; [unrolled: 1-line block ×3, first 2 shown]
	s_waitcnt vmcnt(0)
	ds_write_b128 v132, v[1:4]
	s_waitcnt lgkmcnt(0)
	s_waitcnt_vscnt null, 0x0
	s_barrier
	buffer_gl0_inv
	s_and_saveexec_b32 s6, s4
	s_cbranch_execz .LBB126_439
; %bb.426:
	ds_read_b128 v[1:4], v132
	s_andn2_b32 vcc_lo, exec_lo, s7
	s_cbranch_vccnz .LBB126_428
; %bb.427:
	s_clause 0x3
	buffer_load_dword v133, v131, s[0:3], 0 offen offset:8
	buffer_load_dword v134, v131, s[0:3], 0 offen offset:12
	buffer_load_dword v135, v131, s[0:3], 0 offen
	buffer_load_dword v136, v131, s[0:3], 0 offen offset:4
	s_waitcnt vmcnt(2) lgkmcnt(0)
	v_mul_f64 v[138:139], v[3:4], v[133:134]
	v_mul_f64 v[133:134], v[1:2], v[133:134]
	s_waitcnt vmcnt(0)
	v_fma_f64 v[1:2], v[1:2], v[135:136], -v[138:139]
	v_fma_f64 v[3:4], v[3:4], v[135:136], v[133:134]
.LBB126_428:
	s_and_saveexec_b32 s8, s5
	s_cbranch_execz .LBB126_438
; %bb.429:
	v_subrev_nc_u32_e32 v134, 32, v0
	v_mov_b32_e32 v135, 31
	v_subrev_nc_u32_e32 v133, 31, v0
	s_mov_b32 s5, exec_lo
	v_cmpx_lt_u32_e32 6, v134
	s_cbranch_execz .LBB126_433
; %bb.430:
	v_and_b32_e32 v134, -8, v133
	s_movk_i32 s73, 0x5e0
	s_mov_b32 s72, 0
	s_mov_b32 s74, s41
	;; [unrolled: 1-line block ×3, first 2 shown]
.LBB126_431:                            ; =>This Inner Loop Header: Depth=1
	v_mov_b32_e32 v138, s74
	v_mov_b32_e32 v184, s73
	s_add_i32 s76, s75, 8
	s_add_i32 s75, s75, 39
	v_cmp_eq_u32_e32 vcc_lo, s76, v134
	s_clause 0x1f
	buffer_load_dword v135, v138, s[0:3], 0 offen offset:8
	buffer_load_dword v136, v138, s[0:3], 0 offen offset:12
	buffer_load_dword v146, v138, s[0:3], 0 offen
	buffer_load_dword v147, v138, s[0:3], 0 offen offset:4
	buffer_load_dword v148, v138, s[0:3], 0 offen offset:24
	;; [unrolled: 1-line block ×29, first 2 shown]
	ds_read_b128 v[138:141], v184
	ds_read_b128 v[142:145], v184 offset:16
	s_addk_i32 s73, 0x80
	s_addk_i32 s74, 0x80
	s_or_b32 s72, vcc_lo, s72
	s_waitcnt vmcnt(30) lgkmcnt(1)
	v_mul_f64 v[176:177], v[140:141], v[135:136]
	v_mul_f64 v[135:136], v[138:139], v[135:136]
	s_waitcnt vmcnt(26) lgkmcnt(0)
	v_mul_f64 v[178:179], v[144:145], v[148:149]
	v_mul_f64 v[180:181], v[142:143], v[148:149]
	v_fma_f64 v[176:177], v[138:139], v[146:147], -v[176:177]
	v_fma_f64 v[135:136], v[140:141], v[146:147], v[135:136]
	ds_read_b128 v[138:141], v184 offset:32
	ds_read_b128 v[146:149], v184 offset:48
	s_waitcnt vmcnt(24)
	v_fma_f64 v[142:143], v[142:143], v[150:151], -v[178:179]
	v_fma_f64 v[144:145], v[144:145], v[150:151], v[180:181]
	s_waitcnt vmcnt(22) lgkmcnt(1)
	v_mul_f64 v[182:183], v[140:141], v[152:153]
	v_mul_f64 v[152:153], v[138:139], v[152:153]
	v_add_f64 v[1:2], v[1:2], v[176:177]
	v_add_f64 v[3:4], v[3:4], v[135:136]
	s_waitcnt vmcnt(18) lgkmcnt(0)
	v_mul_f64 v[135:136], v[148:149], v[156:157]
	v_mul_f64 v[150:151], v[146:147], v[156:157]
	v_fma_f64 v[156:157], v[138:139], v[154:155], -v[182:183]
	v_fma_f64 v[152:153], v[140:141], v[154:155], v[152:153]
	v_add_f64 v[142:143], v[1:2], v[142:143]
	v_add_f64 v[144:145], v[3:4], v[144:145]
	ds_read_b128 v[1:4], v184 offset:64
	ds_read_b128 v[138:141], v184 offset:80
	s_waitcnt vmcnt(16)
	v_fma_f64 v[135:136], v[146:147], v[158:159], -v[135:136]
	v_fma_f64 v[146:147], v[148:149], v[158:159], v[150:151]
	s_waitcnt vmcnt(12) lgkmcnt(1)
	v_mul_f64 v[154:155], v[3:4], v[160:161]
	v_mul_f64 v[160:161], v[1:2], v[160:161]
	v_add_f64 v[142:143], v[142:143], v[156:157]
	v_add_f64 v[144:145], v[144:145], v[152:153]
	s_waitcnt vmcnt(10) lgkmcnt(0)
	v_mul_f64 v[148:149], v[140:141], v[162:163]
	v_mul_f64 v[150:151], v[138:139], v[162:163]
	s_waitcnt vmcnt(8)
	v_fma_f64 v[152:153], v[1:2], v[166:167], -v[154:155]
	v_fma_f64 v[154:155], v[3:4], v[166:167], v[160:161]
	v_add_f64 v[135:136], v[142:143], v[135:136]
	v_add_f64 v[146:147], v[144:145], v[146:147]
	ds_read_b128 v[1:4], v184 offset:96
	ds_read_b128 v[142:145], v184 offset:112
	v_fma_f64 v[138:139], v[138:139], v[164:165], -v[148:149]
	v_fma_f64 v[140:141], v[140:141], v[164:165], v[150:151]
	s_waitcnt vmcnt(4) lgkmcnt(1)
	v_mul_f64 v[156:157], v[3:4], v[168:169]
	v_mul_f64 v[158:159], v[1:2], v[168:169]
	v_add_f64 v[135:136], v[135:136], v[152:153]
	v_add_f64 v[146:147], v[146:147], v[154:155]
	s_waitcnt vmcnt(2) lgkmcnt(0)
	v_mul_f64 v[148:149], v[144:145], v[170:171]
	v_mul_f64 v[150:151], v[142:143], v[170:171]
	s_waitcnt vmcnt(0)
	v_fma_f64 v[1:2], v[1:2], v[174:175], -v[156:157]
	v_fma_f64 v[3:4], v[3:4], v[174:175], v[158:159]
	v_add_f64 v[135:136], v[135:136], v[138:139]
	v_add_f64 v[138:139], v[146:147], v[140:141]
	v_fma_f64 v[140:141], v[142:143], v[172:173], -v[148:149]
	v_fma_f64 v[142:143], v[144:145], v[172:173], v[150:151]
	v_add_f64 v[1:2], v[135:136], v[1:2]
	v_add_f64 v[3:4], v[138:139], v[3:4]
	v_mov_b32_e32 v135, s75
	s_mov_b32 s75, s76
	v_add_f64 v[1:2], v[1:2], v[140:141]
	v_add_f64 v[3:4], v[3:4], v[142:143]
	s_andn2_b32 exec_lo, exec_lo, s72
	s_cbranch_execnz .LBB126_431
; %bb.432:
	s_or_b32 exec_lo, exec_lo, s72
.LBB126_433:
	s_or_b32 exec_lo, exec_lo, s5
	v_and_b32_e32 v133, 7, v133
	s_mov_b32 s72, 0
	s_mov_b32 s5, exec_lo
	v_cmpx_ne_u32_e32 0, v133
	s_cbranch_execz .LBB126_437
; %bb.434:
	v_lshlrev_b32_e32 v135, 4, v135
	v_add_nc_u32_e32 v134, 0x3f0, v135
	.p2align	6
.LBB126_435:                            ; =>This Inner Loop Header: Depth=1
	s_clause 0x3
	buffer_load_dword v142, v135, s[0:3], 0 offen offset:8
	buffer_load_dword v143, v135, s[0:3], 0 offen offset:12
	buffer_load_dword v144, v135, s[0:3], 0 offen
	buffer_load_dword v145, v135, s[0:3], 0 offen offset:4
	ds_read_b128 v[138:141], v134
	v_add_nc_u32_e32 v133, -1, v133
	v_add_nc_u32_e32 v134, 16, v134
	v_add_nc_u32_e32 v135, 16, v135
	v_cmp_eq_u32_e32 vcc_lo, 0, v133
	s_or_b32 s72, vcc_lo, s72
	s_waitcnt vmcnt(2) lgkmcnt(0)
	v_mul_f64 v[146:147], v[140:141], v[142:143]
	v_mul_f64 v[142:143], v[138:139], v[142:143]
	s_waitcnt vmcnt(0)
	v_fma_f64 v[138:139], v[138:139], v[144:145], -v[146:147]
	v_fma_f64 v[140:141], v[140:141], v[144:145], v[142:143]
	v_add_f64 v[1:2], v[1:2], v[138:139]
	v_add_f64 v[3:4], v[3:4], v[140:141]
	s_andn2_b32 exec_lo, exec_lo, s72
	s_cbranch_execnz .LBB126_435
; %bb.436:
	s_or_b32 exec_lo, exec_lo, s72
.LBB126_437:
	s_or_b32 exec_lo, exec_lo, s5
.LBB126_438:
	s_or_b32 exec_lo, exec_lo, s8
	v_mov_b32_e32 v133, 0
	ds_read_b128 v[133:136], v133 offset:480
	s_waitcnt lgkmcnt(0)
	v_mul_f64 v[138:139], v[3:4], v[135:136]
	v_mul_f64 v[135:136], v[1:2], v[135:136]
	v_fma_f64 v[1:2], v[1:2], v[133:134], -v[138:139]
	v_fma_f64 v[3:4], v[3:4], v[133:134], v[135:136]
	buffer_store_dword v2, off, s[0:3], 0 offset:484
	buffer_store_dword v1, off, s[0:3], 0 offset:480
	;; [unrolled: 1-line block ×4, first 2 shown]
.LBB126_439:
	s_or_b32 exec_lo, exec_lo, s6
	v_mov_b32_e32 v4, s43
	v_cmp_lt_u32_e64 s5, 29, v0
	s_clause 0x3
	buffer_load_dword v1, v4, s[0:3], 0 offen
	buffer_load_dword v2, v4, s[0:3], 0 offen offset:4
	buffer_load_dword v3, v4, s[0:3], 0 offen offset:8
	;; [unrolled: 1-line block ×3, first 2 shown]
	s_waitcnt vmcnt(0)
	ds_write_b128 v132, v[1:4]
	s_waitcnt lgkmcnt(0)
	s_waitcnt_vscnt null, 0x0
	s_barrier
	buffer_gl0_inv
	s_and_saveexec_b32 s6, s5
	s_cbranch_execz .LBB126_453
; %bb.440:
	ds_read_b128 v[1:4], v132
	s_andn2_b32 vcc_lo, exec_lo, s7
	s_cbranch_vccnz .LBB126_442
; %bb.441:
	s_clause 0x3
	buffer_load_dword v133, v131, s[0:3], 0 offen offset:8
	buffer_load_dword v134, v131, s[0:3], 0 offen offset:12
	buffer_load_dword v135, v131, s[0:3], 0 offen
	buffer_load_dword v136, v131, s[0:3], 0 offen offset:4
	s_waitcnt vmcnt(2) lgkmcnt(0)
	v_mul_f64 v[138:139], v[3:4], v[133:134]
	v_mul_f64 v[133:134], v[1:2], v[133:134]
	s_waitcnt vmcnt(0)
	v_fma_f64 v[1:2], v[1:2], v[135:136], -v[138:139]
	v_fma_f64 v[3:4], v[3:4], v[135:136], v[133:134]
.LBB126_442:
	s_and_saveexec_b32 s8, s4
	s_cbranch_execz .LBB126_452
; %bb.443:
	v_subrev_nc_u32_e32 v134, 31, v0
	v_mov_b32_e32 v135, 30
	v_subrev_nc_u32_e32 v133, 30, v0
	s_mov_b32 s4, exec_lo
	v_cmpx_lt_u32_e32 6, v134
	s_cbranch_execz .LBB126_447
; %bb.444:
	v_and_b32_e32 v134, -8, v133
	s_movk_i32 s73, 0x5d0
	s_mov_b32 s72, 0
	s_mov_b32 s74, s42
	s_mov_b32 s75, 0
.LBB126_445:                            ; =>This Inner Loop Header: Depth=1
	v_mov_b32_e32 v138, s74
	v_mov_b32_e32 v184, s73
	s_add_i32 s76, s75, 8
	s_add_i32 s75, s75, 38
	v_cmp_eq_u32_e32 vcc_lo, s76, v134
	s_clause 0x1f
	buffer_load_dword v135, v138, s[0:3], 0 offen offset:8
	buffer_load_dword v136, v138, s[0:3], 0 offen offset:12
	buffer_load_dword v146, v138, s[0:3], 0 offen
	buffer_load_dword v147, v138, s[0:3], 0 offen offset:4
	buffer_load_dword v148, v138, s[0:3], 0 offen offset:24
	;; [unrolled: 1-line block ×29, first 2 shown]
	ds_read_b128 v[138:141], v184
	ds_read_b128 v[142:145], v184 offset:16
	s_addk_i32 s73, 0x80
	s_addk_i32 s74, 0x80
	s_or_b32 s72, vcc_lo, s72
	s_waitcnt vmcnt(30) lgkmcnt(1)
	v_mul_f64 v[176:177], v[140:141], v[135:136]
	v_mul_f64 v[135:136], v[138:139], v[135:136]
	s_waitcnt vmcnt(26) lgkmcnt(0)
	v_mul_f64 v[178:179], v[144:145], v[148:149]
	v_mul_f64 v[180:181], v[142:143], v[148:149]
	v_fma_f64 v[176:177], v[138:139], v[146:147], -v[176:177]
	v_fma_f64 v[135:136], v[140:141], v[146:147], v[135:136]
	ds_read_b128 v[138:141], v184 offset:32
	ds_read_b128 v[146:149], v184 offset:48
	s_waitcnt vmcnt(24)
	v_fma_f64 v[142:143], v[142:143], v[150:151], -v[178:179]
	v_fma_f64 v[144:145], v[144:145], v[150:151], v[180:181]
	s_waitcnt vmcnt(22) lgkmcnt(1)
	v_mul_f64 v[182:183], v[140:141], v[152:153]
	v_mul_f64 v[152:153], v[138:139], v[152:153]
	v_add_f64 v[1:2], v[1:2], v[176:177]
	v_add_f64 v[3:4], v[3:4], v[135:136]
	s_waitcnt vmcnt(18) lgkmcnt(0)
	v_mul_f64 v[135:136], v[148:149], v[156:157]
	v_mul_f64 v[150:151], v[146:147], v[156:157]
	v_fma_f64 v[156:157], v[138:139], v[154:155], -v[182:183]
	v_fma_f64 v[152:153], v[140:141], v[154:155], v[152:153]
	v_add_f64 v[142:143], v[1:2], v[142:143]
	v_add_f64 v[144:145], v[3:4], v[144:145]
	ds_read_b128 v[1:4], v184 offset:64
	ds_read_b128 v[138:141], v184 offset:80
	s_waitcnt vmcnt(16)
	v_fma_f64 v[135:136], v[146:147], v[158:159], -v[135:136]
	v_fma_f64 v[146:147], v[148:149], v[158:159], v[150:151]
	s_waitcnt vmcnt(12) lgkmcnt(1)
	v_mul_f64 v[154:155], v[3:4], v[160:161]
	v_mul_f64 v[160:161], v[1:2], v[160:161]
	v_add_f64 v[142:143], v[142:143], v[156:157]
	v_add_f64 v[144:145], v[144:145], v[152:153]
	s_waitcnt vmcnt(10) lgkmcnt(0)
	v_mul_f64 v[148:149], v[140:141], v[162:163]
	v_mul_f64 v[150:151], v[138:139], v[162:163]
	s_waitcnt vmcnt(8)
	v_fma_f64 v[152:153], v[1:2], v[166:167], -v[154:155]
	v_fma_f64 v[154:155], v[3:4], v[166:167], v[160:161]
	v_add_f64 v[135:136], v[142:143], v[135:136]
	v_add_f64 v[146:147], v[144:145], v[146:147]
	ds_read_b128 v[1:4], v184 offset:96
	ds_read_b128 v[142:145], v184 offset:112
	v_fma_f64 v[138:139], v[138:139], v[164:165], -v[148:149]
	v_fma_f64 v[140:141], v[140:141], v[164:165], v[150:151]
	s_waitcnt vmcnt(4) lgkmcnt(1)
	v_mul_f64 v[156:157], v[3:4], v[168:169]
	v_mul_f64 v[158:159], v[1:2], v[168:169]
	v_add_f64 v[135:136], v[135:136], v[152:153]
	v_add_f64 v[146:147], v[146:147], v[154:155]
	s_waitcnt vmcnt(2) lgkmcnt(0)
	v_mul_f64 v[148:149], v[144:145], v[170:171]
	v_mul_f64 v[150:151], v[142:143], v[170:171]
	s_waitcnt vmcnt(0)
	v_fma_f64 v[1:2], v[1:2], v[174:175], -v[156:157]
	v_fma_f64 v[3:4], v[3:4], v[174:175], v[158:159]
	v_add_f64 v[135:136], v[135:136], v[138:139]
	v_add_f64 v[138:139], v[146:147], v[140:141]
	v_fma_f64 v[140:141], v[142:143], v[172:173], -v[148:149]
	v_fma_f64 v[142:143], v[144:145], v[172:173], v[150:151]
	v_add_f64 v[1:2], v[135:136], v[1:2]
	v_add_f64 v[3:4], v[138:139], v[3:4]
	v_mov_b32_e32 v135, s75
	s_mov_b32 s75, s76
	v_add_f64 v[1:2], v[1:2], v[140:141]
	v_add_f64 v[3:4], v[3:4], v[142:143]
	s_andn2_b32 exec_lo, exec_lo, s72
	s_cbranch_execnz .LBB126_445
; %bb.446:
	s_or_b32 exec_lo, exec_lo, s72
.LBB126_447:
	s_or_b32 exec_lo, exec_lo, s4
	v_and_b32_e32 v133, 7, v133
	s_mov_b32 s72, 0
	s_mov_b32 s4, exec_lo
	v_cmpx_ne_u32_e32 0, v133
	s_cbranch_execz .LBB126_451
; %bb.448:
	v_lshlrev_b32_e32 v135, 4, v135
	v_add_nc_u32_e32 v134, 0x3f0, v135
	.p2align	6
.LBB126_449:                            ; =>This Inner Loop Header: Depth=1
	s_clause 0x3
	buffer_load_dword v142, v135, s[0:3], 0 offen offset:8
	buffer_load_dword v143, v135, s[0:3], 0 offen offset:12
	buffer_load_dword v144, v135, s[0:3], 0 offen
	buffer_load_dword v145, v135, s[0:3], 0 offen offset:4
	ds_read_b128 v[138:141], v134
	v_add_nc_u32_e32 v133, -1, v133
	v_add_nc_u32_e32 v134, 16, v134
	v_add_nc_u32_e32 v135, 16, v135
	v_cmp_eq_u32_e32 vcc_lo, 0, v133
	s_or_b32 s72, vcc_lo, s72
	s_waitcnt vmcnt(2) lgkmcnt(0)
	v_mul_f64 v[146:147], v[140:141], v[142:143]
	v_mul_f64 v[142:143], v[138:139], v[142:143]
	s_waitcnt vmcnt(0)
	v_fma_f64 v[138:139], v[138:139], v[144:145], -v[146:147]
	v_fma_f64 v[140:141], v[140:141], v[144:145], v[142:143]
	v_add_f64 v[1:2], v[1:2], v[138:139]
	v_add_f64 v[3:4], v[3:4], v[140:141]
	s_andn2_b32 exec_lo, exec_lo, s72
	s_cbranch_execnz .LBB126_449
; %bb.450:
	s_or_b32 exec_lo, exec_lo, s72
.LBB126_451:
	s_or_b32 exec_lo, exec_lo, s4
.LBB126_452:
	s_or_b32 exec_lo, exec_lo, s8
	v_mov_b32_e32 v133, 0
	ds_read_b128 v[133:136], v133 offset:464
	s_waitcnt lgkmcnt(0)
	v_mul_f64 v[138:139], v[3:4], v[135:136]
	v_mul_f64 v[135:136], v[1:2], v[135:136]
	v_fma_f64 v[1:2], v[1:2], v[133:134], -v[138:139]
	v_fma_f64 v[3:4], v[3:4], v[133:134], v[135:136]
	buffer_store_dword v2, off, s[0:3], 0 offset:468
	buffer_store_dword v1, off, s[0:3], 0 offset:464
	;; [unrolled: 1-line block ×4, first 2 shown]
.LBB126_453:
	s_or_b32 exec_lo, exec_lo, s6
	v_mov_b32_e32 v4, s44
	v_cmp_lt_u32_e64 s4, 28, v0
	s_clause 0x3
	buffer_load_dword v1, v4, s[0:3], 0 offen
	buffer_load_dword v2, v4, s[0:3], 0 offen offset:4
	buffer_load_dword v3, v4, s[0:3], 0 offen offset:8
	;; [unrolled: 1-line block ×3, first 2 shown]
	s_waitcnt vmcnt(0)
	ds_write_b128 v132, v[1:4]
	s_waitcnt lgkmcnt(0)
	s_waitcnt_vscnt null, 0x0
	s_barrier
	buffer_gl0_inv
	s_and_saveexec_b32 s6, s4
	s_cbranch_execz .LBB126_467
; %bb.454:
	ds_read_b128 v[1:4], v132
	s_andn2_b32 vcc_lo, exec_lo, s7
	s_cbranch_vccnz .LBB126_456
; %bb.455:
	s_clause 0x3
	buffer_load_dword v133, v131, s[0:3], 0 offen offset:8
	buffer_load_dword v134, v131, s[0:3], 0 offen offset:12
	buffer_load_dword v135, v131, s[0:3], 0 offen
	buffer_load_dword v136, v131, s[0:3], 0 offen offset:4
	s_waitcnt vmcnt(2) lgkmcnt(0)
	v_mul_f64 v[138:139], v[3:4], v[133:134]
	v_mul_f64 v[133:134], v[1:2], v[133:134]
	s_waitcnt vmcnt(0)
	v_fma_f64 v[1:2], v[1:2], v[135:136], -v[138:139]
	v_fma_f64 v[3:4], v[3:4], v[135:136], v[133:134]
.LBB126_456:
	s_and_saveexec_b32 s8, s5
	s_cbranch_execz .LBB126_466
; %bb.457:
	v_subrev_nc_u32_e32 v134, 30, v0
	v_mov_b32_e32 v135, 29
	v_subrev_nc_u32_e32 v133, 29, v0
	s_mov_b32 s5, exec_lo
	v_cmpx_lt_u32_e32 6, v134
	s_cbranch_execz .LBB126_461
; %bb.458:
	v_and_b32_e32 v134, -8, v133
	s_movk_i32 s73, 0x5c0
	s_mov_b32 s72, 0
	s_mov_b32 s74, s43
	;; [unrolled: 1-line block ×3, first 2 shown]
.LBB126_459:                            ; =>This Inner Loop Header: Depth=1
	v_mov_b32_e32 v138, s74
	v_mov_b32_e32 v184, s73
	s_add_i32 s76, s75, 8
	s_add_i32 s75, s75, 37
	v_cmp_eq_u32_e32 vcc_lo, s76, v134
	s_clause 0x1f
	buffer_load_dword v135, v138, s[0:3], 0 offen offset:8
	buffer_load_dword v136, v138, s[0:3], 0 offen offset:12
	buffer_load_dword v146, v138, s[0:3], 0 offen
	buffer_load_dword v147, v138, s[0:3], 0 offen offset:4
	buffer_load_dword v148, v138, s[0:3], 0 offen offset:24
	;; [unrolled: 1-line block ×29, first 2 shown]
	ds_read_b128 v[138:141], v184
	ds_read_b128 v[142:145], v184 offset:16
	s_addk_i32 s73, 0x80
	s_addk_i32 s74, 0x80
	s_or_b32 s72, vcc_lo, s72
	s_waitcnt vmcnt(30) lgkmcnt(1)
	v_mul_f64 v[176:177], v[140:141], v[135:136]
	v_mul_f64 v[135:136], v[138:139], v[135:136]
	s_waitcnt vmcnt(26) lgkmcnt(0)
	v_mul_f64 v[178:179], v[144:145], v[148:149]
	v_mul_f64 v[180:181], v[142:143], v[148:149]
	v_fma_f64 v[176:177], v[138:139], v[146:147], -v[176:177]
	v_fma_f64 v[135:136], v[140:141], v[146:147], v[135:136]
	ds_read_b128 v[138:141], v184 offset:32
	ds_read_b128 v[146:149], v184 offset:48
	s_waitcnt vmcnt(24)
	v_fma_f64 v[142:143], v[142:143], v[150:151], -v[178:179]
	v_fma_f64 v[144:145], v[144:145], v[150:151], v[180:181]
	s_waitcnt vmcnt(22) lgkmcnt(1)
	v_mul_f64 v[182:183], v[140:141], v[152:153]
	v_mul_f64 v[152:153], v[138:139], v[152:153]
	v_add_f64 v[1:2], v[1:2], v[176:177]
	v_add_f64 v[3:4], v[3:4], v[135:136]
	s_waitcnt vmcnt(18) lgkmcnt(0)
	v_mul_f64 v[135:136], v[148:149], v[156:157]
	v_mul_f64 v[150:151], v[146:147], v[156:157]
	v_fma_f64 v[156:157], v[138:139], v[154:155], -v[182:183]
	v_fma_f64 v[152:153], v[140:141], v[154:155], v[152:153]
	v_add_f64 v[142:143], v[1:2], v[142:143]
	v_add_f64 v[144:145], v[3:4], v[144:145]
	ds_read_b128 v[1:4], v184 offset:64
	ds_read_b128 v[138:141], v184 offset:80
	s_waitcnt vmcnt(16)
	v_fma_f64 v[135:136], v[146:147], v[158:159], -v[135:136]
	v_fma_f64 v[146:147], v[148:149], v[158:159], v[150:151]
	s_waitcnt vmcnt(12) lgkmcnt(1)
	v_mul_f64 v[154:155], v[3:4], v[160:161]
	v_mul_f64 v[160:161], v[1:2], v[160:161]
	v_add_f64 v[142:143], v[142:143], v[156:157]
	v_add_f64 v[144:145], v[144:145], v[152:153]
	s_waitcnt vmcnt(10) lgkmcnt(0)
	v_mul_f64 v[148:149], v[140:141], v[162:163]
	v_mul_f64 v[150:151], v[138:139], v[162:163]
	s_waitcnt vmcnt(8)
	v_fma_f64 v[152:153], v[1:2], v[166:167], -v[154:155]
	v_fma_f64 v[154:155], v[3:4], v[166:167], v[160:161]
	v_add_f64 v[135:136], v[142:143], v[135:136]
	v_add_f64 v[146:147], v[144:145], v[146:147]
	ds_read_b128 v[1:4], v184 offset:96
	ds_read_b128 v[142:145], v184 offset:112
	v_fma_f64 v[138:139], v[138:139], v[164:165], -v[148:149]
	v_fma_f64 v[140:141], v[140:141], v[164:165], v[150:151]
	s_waitcnt vmcnt(4) lgkmcnt(1)
	v_mul_f64 v[156:157], v[3:4], v[168:169]
	v_mul_f64 v[158:159], v[1:2], v[168:169]
	v_add_f64 v[135:136], v[135:136], v[152:153]
	v_add_f64 v[146:147], v[146:147], v[154:155]
	s_waitcnt vmcnt(2) lgkmcnt(0)
	v_mul_f64 v[148:149], v[144:145], v[170:171]
	v_mul_f64 v[150:151], v[142:143], v[170:171]
	s_waitcnt vmcnt(0)
	v_fma_f64 v[1:2], v[1:2], v[174:175], -v[156:157]
	v_fma_f64 v[3:4], v[3:4], v[174:175], v[158:159]
	v_add_f64 v[135:136], v[135:136], v[138:139]
	v_add_f64 v[138:139], v[146:147], v[140:141]
	v_fma_f64 v[140:141], v[142:143], v[172:173], -v[148:149]
	v_fma_f64 v[142:143], v[144:145], v[172:173], v[150:151]
	v_add_f64 v[1:2], v[135:136], v[1:2]
	v_add_f64 v[3:4], v[138:139], v[3:4]
	v_mov_b32_e32 v135, s75
	s_mov_b32 s75, s76
	v_add_f64 v[1:2], v[1:2], v[140:141]
	v_add_f64 v[3:4], v[3:4], v[142:143]
	s_andn2_b32 exec_lo, exec_lo, s72
	s_cbranch_execnz .LBB126_459
; %bb.460:
	s_or_b32 exec_lo, exec_lo, s72
.LBB126_461:
	s_or_b32 exec_lo, exec_lo, s5
	v_and_b32_e32 v133, 7, v133
	s_mov_b32 s72, 0
	s_mov_b32 s5, exec_lo
	v_cmpx_ne_u32_e32 0, v133
	s_cbranch_execz .LBB126_465
; %bb.462:
	v_lshlrev_b32_e32 v135, 4, v135
	v_add_nc_u32_e32 v134, 0x3f0, v135
	.p2align	6
.LBB126_463:                            ; =>This Inner Loop Header: Depth=1
	s_clause 0x3
	buffer_load_dword v142, v135, s[0:3], 0 offen offset:8
	buffer_load_dword v143, v135, s[0:3], 0 offen offset:12
	buffer_load_dword v144, v135, s[0:3], 0 offen
	buffer_load_dword v145, v135, s[0:3], 0 offen offset:4
	ds_read_b128 v[138:141], v134
	v_add_nc_u32_e32 v133, -1, v133
	v_add_nc_u32_e32 v134, 16, v134
	v_add_nc_u32_e32 v135, 16, v135
	v_cmp_eq_u32_e32 vcc_lo, 0, v133
	s_or_b32 s72, vcc_lo, s72
	s_waitcnt vmcnt(2) lgkmcnt(0)
	v_mul_f64 v[146:147], v[140:141], v[142:143]
	v_mul_f64 v[142:143], v[138:139], v[142:143]
	s_waitcnt vmcnt(0)
	v_fma_f64 v[138:139], v[138:139], v[144:145], -v[146:147]
	v_fma_f64 v[140:141], v[140:141], v[144:145], v[142:143]
	v_add_f64 v[1:2], v[1:2], v[138:139]
	v_add_f64 v[3:4], v[3:4], v[140:141]
	s_andn2_b32 exec_lo, exec_lo, s72
	s_cbranch_execnz .LBB126_463
; %bb.464:
	s_or_b32 exec_lo, exec_lo, s72
.LBB126_465:
	s_or_b32 exec_lo, exec_lo, s5
.LBB126_466:
	s_or_b32 exec_lo, exec_lo, s8
	v_mov_b32_e32 v133, 0
	ds_read_b128 v[133:136], v133 offset:448
	s_waitcnt lgkmcnt(0)
	v_mul_f64 v[138:139], v[3:4], v[135:136]
	v_mul_f64 v[135:136], v[1:2], v[135:136]
	v_fma_f64 v[1:2], v[1:2], v[133:134], -v[138:139]
	v_fma_f64 v[3:4], v[3:4], v[133:134], v[135:136]
	buffer_store_dword v2, off, s[0:3], 0 offset:452
	buffer_store_dword v1, off, s[0:3], 0 offset:448
	;; [unrolled: 1-line block ×4, first 2 shown]
.LBB126_467:
	s_or_b32 exec_lo, exec_lo, s6
	v_mov_b32_e32 v4, s45
	v_cmp_lt_u32_e64 s5, 27, v0
	s_clause 0x3
	buffer_load_dword v1, v4, s[0:3], 0 offen
	buffer_load_dword v2, v4, s[0:3], 0 offen offset:4
	buffer_load_dword v3, v4, s[0:3], 0 offen offset:8
	;; [unrolled: 1-line block ×3, first 2 shown]
	s_waitcnt vmcnt(0)
	ds_write_b128 v132, v[1:4]
	s_waitcnt lgkmcnt(0)
	s_waitcnt_vscnt null, 0x0
	s_barrier
	buffer_gl0_inv
	s_and_saveexec_b32 s6, s5
	s_cbranch_execz .LBB126_481
; %bb.468:
	ds_read_b128 v[1:4], v132
	s_andn2_b32 vcc_lo, exec_lo, s7
	s_cbranch_vccnz .LBB126_470
; %bb.469:
	s_clause 0x3
	buffer_load_dword v133, v131, s[0:3], 0 offen offset:8
	buffer_load_dword v134, v131, s[0:3], 0 offen offset:12
	buffer_load_dword v135, v131, s[0:3], 0 offen
	buffer_load_dword v136, v131, s[0:3], 0 offen offset:4
	s_waitcnt vmcnt(2) lgkmcnt(0)
	v_mul_f64 v[138:139], v[3:4], v[133:134]
	v_mul_f64 v[133:134], v[1:2], v[133:134]
	s_waitcnt vmcnt(0)
	v_fma_f64 v[1:2], v[1:2], v[135:136], -v[138:139]
	v_fma_f64 v[3:4], v[3:4], v[135:136], v[133:134]
.LBB126_470:
	s_and_saveexec_b32 s8, s4
	s_cbranch_execz .LBB126_480
; %bb.471:
	v_subrev_nc_u32_e32 v134, 29, v0
	v_mov_b32_e32 v135, 28
	v_subrev_nc_u32_e32 v133, 28, v0
	s_mov_b32 s4, exec_lo
	v_cmpx_lt_u32_e32 6, v134
	s_cbranch_execz .LBB126_475
; %bb.472:
	v_and_b32_e32 v134, -8, v133
	s_movk_i32 s73, 0x5b0
	s_mov_b32 s72, 0
	s_mov_b32 s74, s44
	;; [unrolled: 1-line block ×3, first 2 shown]
.LBB126_473:                            ; =>This Inner Loop Header: Depth=1
	v_mov_b32_e32 v138, s74
	v_mov_b32_e32 v184, s73
	s_add_i32 s76, s75, 8
	s_add_i32 s75, s75, 36
	v_cmp_eq_u32_e32 vcc_lo, s76, v134
	s_clause 0x1f
	buffer_load_dword v135, v138, s[0:3], 0 offen offset:8
	buffer_load_dword v136, v138, s[0:3], 0 offen offset:12
	buffer_load_dword v146, v138, s[0:3], 0 offen
	buffer_load_dword v147, v138, s[0:3], 0 offen offset:4
	buffer_load_dword v148, v138, s[0:3], 0 offen offset:24
	;; [unrolled: 1-line block ×29, first 2 shown]
	ds_read_b128 v[138:141], v184
	ds_read_b128 v[142:145], v184 offset:16
	s_addk_i32 s73, 0x80
	s_addk_i32 s74, 0x80
	s_or_b32 s72, vcc_lo, s72
	s_waitcnt vmcnt(30) lgkmcnt(1)
	v_mul_f64 v[176:177], v[140:141], v[135:136]
	v_mul_f64 v[135:136], v[138:139], v[135:136]
	s_waitcnt vmcnt(26) lgkmcnt(0)
	v_mul_f64 v[178:179], v[144:145], v[148:149]
	v_mul_f64 v[180:181], v[142:143], v[148:149]
	v_fma_f64 v[176:177], v[138:139], v[146:147], -v[176:177]
	v_fma_f64 v[135:136], v[140:141], v[146:147], v[135:136]
	ds_read_b128 v[138:141], v184 offset:32
	ds_read_b128 v[146:149], v184 offset:48
	s_waitcnt vmcnt(24)
	v_fma_f64 v[142:143], v[142:143], v[150:151], -v[178:179]
	v_fma_f64 v[144:145], v[144:145], v[150:151], v[180:181]
	s_waitcnt vmcnt(22) lgkmcnt(1)
	v_mul_f64 v[182:183], v[140:141], v[152:153]
	v_mul_f64 v[152:153], v[138:139], v[152:153]
	v_add_f64 v[1:2], v[1:2], v[176:177]
	v_add_f64 v[3:4], v[3:4], v[135:136]
	s_waitcnt vmcnt(18) lgkmcnt(0)
	v_mul_f64 v[135:136], v[148:149], v[156:157]
	v_mul_f64 v[150:151], v[146:147], v[156:157]
	v_fma_f64 v[156:157], v[138:139], v[154:155], -v[182:183]
	v_fma_f64 v[152:153], v[140:141], v[154:155], v[152:153]
	v_add_f64 v[142:143], v[1:2], v[142:143]
	v_add_f64 v[144:145], v[3:4], v[144:145]
	ds_read_b128 v[1:4], v184 offset:64
	ds_read_b128 v[138:141], v184 offset:80
	s_waitcnt vmcnt(16)
	v_fma_f64 v[135:136], v[146:147], v[158:159], -v[135:136]
	v_fma_f64 v[146:147], v[148:149], v[158:159], v[150:151]
	s_waitcnt vmcnt(12) lgkmcnt(1)
	v_mul_f64 v[154:155], v[3:4], v[160:161]
	v_mul_f64 v[160:161], v[1:2], v[160:161]
	v_add_f64 v[142:143], v[142:143], v[156:157]
	v_add_f64 v[144:145], v[144:145], v[152:153]
	s_waitcnt vmcnt(10) lgkmcnt(0)
	v_mul_f64 v[148:149], v[140:141], v[162:163]
	v_mul_f64 v[150:151], v[138:139], v[162:163]
	s_waitcnt vmcnt(8)
	v_fma_f64 v[152:153], v[1:2], v[166:167], -v[154:155]
	v_fma_f64 v[154:155], v[3:4], v[166:167], v[160:161]
	v_add_f64 v[135:136], v[142:143], v[135:136]
	v_add_f64 v[146:147], v[144:145], v[146:147]
	ds_read_b128 v[1:4], v184 offset:96
	ds_read_b128 v[142:145], v184 offset:112
	v_fma_f64 v[138:139], v[138:139], v[164:165], -v[148:149]
	v_fma_f64 v[140:141], v[140:141], v[164:165], v[150:151]
	s_waitcnt vmcnt(4) lgkmcnt(1)
	v_mul_f64 v[156:157], v[3:4], v[168:169]
	v_mul_f64 v[158:159], v[1:2], v[168:169]
	v_add_f64 v[135:136], v[135:136], v[152:153]
	v_add_f64 v[146:147], v[146:147], v[154:155]
	s_waitcnt vmcnt(2) lgkmcnt(0)
	v_mul_f64 v[148:149], v[144:145], v[170:171]
	v_mul_f64 v[150:151], v[142:143], v[170:171]
	s_waitcnt vmcnt(0)
	v_fma_f64 v[1:2], v[1:2], v[174:175], -v[156:157]
	v_fma_f64 v[3:4], v[3:4], v[174:175], v[158:159]
	v_add_f64 v[135:136], v[135:136], v[138:139]
	v_add_f64 v[138:139], v[146:147], v[140:141]
	v_fma_f64 v[140:141], v[142:143], v[172:173], -v[148:149]
	v_fma_f64 v[142:143], v[144:145], v[172:173], v[150:151]
	v_add_f64 v[1:2], v[135:136], v[1:2]
	v_add_f64 v[3:4], v[138:139], v[3:4]
	v_mov_b32_e32 v135, s75
	s_mov_b32 s75, s76
	v_add_f64 v[1:2], v[1:2], v[140:141]
	v_add_f64 v[3:4], v[3:4], v[142:143]
	s_andn2_b32 exec_lo, exec_lo, s72
	s_cbranch_execnz .LBB126_473
; %bb.474:
	s_or_b32 exec_lo, exec_lo, s72
.LBB126_475:
	s_or_b32 exec_lo, exec_lo, s4
	v_and_b32_e32 v133, 7, v133
	s_mov_b32 s72, 0
	s_mov_b32 s4, exec_lo
	v_cmpx_ne_u32_e32 0, v133
	s_cbranch_execz .LBB126_479
; %bb.476:
	v_lshlrev_b32_e32 v135, 4, v135
	v_add_nc_u32_e32 v134, 0x3f0, v135
	.p2align	6
.LBB126_477:                            ; =>This Inner Loop Header: Depth=1
	s_clause 0x3
	buffer_load_dword v142, v135, s[0:3], 0 offen offset:8
	buffer_load_dword v143, v135, s[0:3], 0 offen offset:12
	buffer_load_dword v144, v135, s[0:3], 0 offen
	buffer_load_dword v145, v135, s[0:3], 0 offen offset:4
	ds_read_b128 v[138:141], v134
	v_add_nc_u32_e32 v133, -1, v133
	v_add_nc_u32_e32 v134, 16, v134
	v_add_nc_u32_e32 v135, 16, v135
	v_cmp_eq_u32_e32 vcc_lo, 0, v133
	s_or_b32 s72, vcc_lo, s72
	s_waitcnt vmcnt(2) lgkmcnt(0)
	v_mul_f64 v[146:147], v[140:141], v[142:143]
	v_mul_f64 v[142:143], v[138:139], v[142:143]
	s_waitcnt vmcnt(0)
	v_fma_f64 v[138:139], v[138:139], v[144:145], -v[146:147]
	v_fma_f64 v[140:141], v[140:141], v[144:145], v[142:143]
	v_add_f64 v[1:2], v[1:2], v[138:139]
	v_add_f64 v[3:4], v[3:4], v[140:141]
	s_andn2_b32 exec_lo, exec_lo, s72
	s_cbranch_execnz .LBB126_477
; %bb.478:
	s_or_b32 exec_lo, exec_lo, s72
.LBB126_479:
	s_or_b32 exec_lo, exec_lo, s4
.LBB126_480:
	s_or_b32 exec_lo, exec_lo, s8
	v_mov_b32_e32 v133, 0
	ds_read_b128 v[133:136], v133 offset:432
	s_waitcnt lgkmcnt(0)
	v_mul_f64 v[138:139], v[3:4], v[135:136]
	v_mul_f64 v[135:136], v[1:2], v[135:136]
	v_fma_f64 v[1:2], v[1:2], v[133:134], -v[138:139]
	v_fma_f64 v[3:4], v[3:4], v[133:134], v[135:136]
	buffer_store_dword v2, off, s[0:3], 0 offset:436
	buffer_store_dword v1, off, s[0:3], 0 offset:432
	;; [unrolled: 1-line block ×4, first 2 shown]
.LBB126_481:
	s_or_b32 exec_lo, exec_lo, s6
	v_mov_b32_e32 v4, s46
	v_cmp_lt_u32_e64 s4, 26, v0
	s_clause 0x3
	buffer_load_dword v1, v4, s[0:3], 0 offen
	buffer_load_dword v2, v4, s[0:3], 0 offen offset:4
	buffer_load_dword v3, v4, s[0:3], 0 offen offset:8
	;; [unrolled: 1-line block ×3, first 2 shown]
	s_waitcnt vmcnt(0)
	ds_write_b128 v132, v[1:4]
	s_waitcnt lgkmcnt(0)
	s_waitcnt_vscnt null, 0x0
	s_barrier
	buffer_gl0_inv
	s_and_saveexec_b32 s6, s4
	s_cbranch_execz .LBB126_495
; %bb.482:
	ds_read_b128 v[1:4], v132
	s_andn2_b32 vcc_lo, exec_lo, s7
	s_cbranch_vccnz .LBB126_484
; %bb.483:
	s_clause 0x3
	buffer_load_dword v133, v131, s[0:3], 0 offen offset:8
	buffer_load_dword v134, v131, s[0:3], 0 offen offset:12
	buffer_load_dword v135, v131, s[0:3], 0 offen
	buffer_load_dword v136, v131, s[0:3], 0 offen offset:4
	s_waitcnt vmcnt(2) lgkmcnt(0)
	v_mul_f64 v[138:139], v[3:4], v[133:134]
	v_mul_f64 v[133:134], v[1:2], v[133:134]
	s_waitcnt vmcnt(0)
	v_fma_f64 v[1:2], v[1:2], v[135:136], -v[138:139]
	v_fma_f64 v[3:4], v[3:4], v[135:136], v[133:134]
.LBB126_484:
	s_and_saveexec_b32 s8, s5
	s_cbranch_execz .LBB126_494
; %bb.485:
	v_subrev_nc_u32_e32 v134, 28, v0
	v_mov_b32_e32 v135, 27
	v_subrev_nc_u32_e32 v133, 27, v0
	s_mov_b32 s5, exec_lo
	v_cmpx_lt_u32_e32 6, v134
	s_cbranch_execz .LBB126_489
; %bb.486:
	v_and_b32_e32 v134, -8, v133
	s_movk_i32 s73, 0x5a0
	s_mov_b32 s72, 0
	s_mov_b32 s74, s45
	;; [unrolled: 1-line block ×3, first 2 shown]
.LBB126_487:                            ; =>This Inner Loop Header: Depth=1
	v_mov_b32_e32 v138, s74
	v_mov_b32_e32 v184, s73
	s_add_i32 s76, s75, 8
	s_add_i32 s75, s75, 35
	v_cmp_eq_u32_e32 vcc_lo, s76, v134
	s_clause 0x1f
	buffer_load_dword v135, v138, s[0:3], 0 offen offset:8
	buffer_load_dword v136, v138, s[0:3], 0 offen offset:12
	buffer_load_dword v146, v138, s[0:3], 0 offen
	buffer_load_dword v147, v138, s[0:3], 0 offen offset:4
	buffer_load_dword v148, v138, s[0:3], 0 offen offset:24
	;; [unrolled: 1-line block ×29, first 2 shown]
	ds_read_b128 v[138:141], v184
	ds_read_b128 v[142:145], v184 offset:16
	s_addk_i32 s73, 0x80
	s_addk_i32 s74, 0x80
	s_or_b32 s72, vcc_lo, s72
	s_waitcnt vmcnt(30) lgkmcnt(1)
	v_mul_f64 v[176:177], v[140:141], v[135:136]
	v_mul_f64 v[135:136], v[138:139], v[135:136]
	s_waitcnt vmcnt(26) lgkmcnt(0)
	v_mul_f64 v[178:179], v[144:145], v[148:149]
	v_mul_f64 v[180:181], v[142:143], v[148:149]
	v_fma_f64 v[176:177], v[138:139], v[146:147], -v[176:177]
	v_fma_f64 v[135:136], v[140:141], v[146:147], v[135:136]
	ds_read_b128 v[138:141], v184 offset:32
	ds_read_b128 v[146:149], v184 offset:48
	s_waitcnt vmcnt(24)
	v_fma_f64 v[142:143], v[142:143], v[150:151], -v[178:179]
	v_fma_f64 v[144:145], v[144:145], v[150:151], v[180:181]
	s_waitcnt vmcnt(22) lgkmcnt(1)
	v_mul_f64 v[182:183], v[140:141], v[152:153]
	v_mul_f64 v[152:153], v[138:139], v[152:153]
	v_add_f64 v[1:2], v[1:2], v[176:177]
	v_add_f64 v[3:4], v[3:4], v[135:136]
	s_waitcnt vmcnt(18) lgkmcnt(0)
	v_mul_f64 v[135:136], v[148:149], v[156:157]
	v_mul_f64 v[150:151], v[146:147], v[156:157]
	v_fma_f64 v[156:157], v[138:139], v[154:155], -v[182:183]
	v_fma_f64 v[152:153], v[140:141], v[154:155], v[152:153]
	v_add_f64 v[142:143], v[1:2], v[142:143]
	v_add_f64 v[144:145], v[3:4], v[144:145]
	ds_read_b128 v[1:4], v184 offset:64
	ds_read_b128 v[138:141], v184 offset:80
	s_waitcnt vmcnt(16)
	v_fma_f64 v[135:136], v[146:147], v[158:159], -v[135:136]
	v_fma_f64 v[146:147], v[148:149], v[158:159], v[150:151]
	s_waitcnt vmcnt(12) lgkmcnt(1)
	v_mul_f64 v[154:155], v[3:4], v[160:161]
	v_mul_f64 v[160:161], v[1:2], v[160:161]
	v_add_f64 v[142:143], v[142:143], v[156:157]
	v_add_f64 v[144:145], v[144:145], v[152:153]
	s_waitcnt vmcnt(10) lgkmcnt(0)
	v_mul_f64 v[148:149], v[140:141], v[162:163]
	v_mul_f64 v[150:151], v[138:139], v[162:163]
	s_waitcnt vmcnt(8)
	v_fma_f64 v[152:153], v[1:2], v[166:167], -v[154:155]
	v_fma_f64 v[154:155], v[3:4], v[166:167], v[160:161]
	v_add_f64 v[135:136], v[142:143], v[135:136]
	v_add_f64 v[146:147], v[144:145], v[146:147]
	ds_read_b128 v[1:4], v184 offset:96
	ds_read_b128 v[142:145], v184 offset:112
	v_fma_f64 v[138:139], v[138:139], v[164:165], -v[148:149]
	v_fma_f64 v[140:141], v[140:141], v[164:165], v[150:151]
	s_waitcnt vmcnt(4) lgkmcnt(1)
	v_mul_f64 v[156:157], v[3:4], v[168:169]
	v_mul_f64 v[158:159], v[1:2], v[168:169]
	v_add_f64 v[135:136], v[135:136], v[152:153]
	v_add_f64 v[146:147], v[146:147], v[154:155]
	s_waitcnt vmcnt(2) lgkmcnt(0)
	v_mul_f64 v[148:149], v[144:145], v[170:171]
	v_mul_f64 v[150:151], v[142:143], v[170:171]
	s_waitcnt vmcnt(0)
	v_fma_f64 v[1:2], v[1:2], v[174:175], -v[156:157]
	v_fma_f64 v[3:4], v[3:4], v[174:175], v[158:159]
	v_add_f64 v[135:136], v[135:136], v[138:139]
	v_add_f64 v[138:139], v[146:147], v[140:141]
	v_fma_f64 v[140:141], v[142:143], v[172:173], -v[148:149]
	v_fma_f64 v[142:143], v[144:145], v[172:173], v[150:151]
	v_add_f64 v[1:2], v[135:136], v[1:2]
	v_add_f64 v[3:4], v[138:139], v[3:4]
	v_mov_b32_e32 v135, s75
	s_mov_b32 s75, s76
	v_add_f64 v[1:2], v[1:2], v[140:141]
	v_add_f64 v[3:4], v[3:4], v[142:143]
	s_andn2_b32 exec_lo, exec_lo, s72
	s_cbranch_execnz .LBB126_487
; %bb.488:
	s_or_b32 exec_lo, exec_lo, s72
.LBB126_489:
	s_or_b32 exec_lo, exec_lo, s5
	v_and_b32_e32 v133, 7, v133
	s_mov_b32 s72, 0
	s_mov_b32 s5, exec_lo
	v_cmpx_ne_u32_e32 0, v133
	s_cbranch_execz .LBB126_493
; %bb.490:
	v_lshlrev_b32_e32 v135, 4, v135
	v_add_nc_u32_e32 v134, 0x3f0, v135
	.p2align	6
.LBB126_491:                            ; =>This Inner Loop Header: Depth=1
	s_clause 0x3
	buffer_load_dword v142, v135, s[0:3], 0 offen offset:8
	buffer_load_dword v143, v135, s[0:3], 0 offen offset:12
	buffer_load_dword v144, v135, s[0:3], 0 offen
	buffer_load_dword v145, v135, s[0:3], 0 offen offset:4
	ds_read_b128 v[138:141], v134
	v_add_nc_u32_e32 v133, -1, v133
	v_add_nc_u32_e32 v134, 16, v134
	v_add_nc_u32_e32 v135, 16, v135
	v_cmp_eq_u32_e32 vcc_lo, 0, v133
	s_or_b32 s72, vcc_lo, s72
	s_waitcnt vmcnt(2) lgkmcnt(0)
	v_mul_f64 v[146:147], v[140:141], v[142:143]
	v_mul_f64 v[142:143], v[138:139], v[142:143]
	s_waitcnt vmcnt(0)
	v_fma_f64 v[138:139], v[138:139], v[144:145], -v[146:147]
	v_fma_f64 v[140:141], v[140:141], v[144:145], v[142:143]
	v_add_f64 v[1:2], v[1:2], v[138:139]
	v_add_f64 v[3:4], v[3:4], v[140:141]
	s_andn2_b32 exec_lo, exec_lo, s72
	s_cbranch_execnz .LBB126_491
; %bb.492:
	s_or_b32 exec_lo, exec_lo, s72
.LBB126_493:
	s_or_b32 exec_lo, exec_lo, s5
.LBB126_494:
	s_or_b32 exec_lo, exec_lo, s8
	v_mov_b32_e32 v133, 0
	ds_read_b128 v[133:136], v133 offset:416
	s_waitcnt lgkmcnt(0)
	v_mul_f64 v[138:139], v[3:4], v[135:136]
	v_mul_f64 v[135:136], v[1:2], v[135:136]
	v_fma_f64 v[1:2], v[1:2], v[133:134], -v[138:139]
	v_fma_f64 v[3:4], v[3:4], v[133:134], v[135:136]
	buffer_store_dword v2, off, s[0:3], 0 offset:420
	buffer_store_dword v1, off, s[0:3], 0 offset:416
	;; [unrolled: 1-line block ×4, first 2 shown]
.LBB126_495:
	s_or_b32 exec_lo, exec_lo, s6
	v_mov_b32_e32 v4, s47
	v_cmp_lt_u32_e64 s5, 25, v0
	s_clause 0x3
	buffer_load_dword v1, v4, s[0:3], 0 offen
	buffer_load_dword v2, v4, s[0:3], 0 offen offset:4
	buffer_load_dword v3, v4, s[0:3], 0 offen offset:8
	;; [unrolled: 1-line block ×3, first 2 shown]
	s_waitcnt vmcnt(0)
	ds_write_b128 v132, v[1:4]
	s_waitcnt lgkmcnt(0)
	s_waitcnt_vscnt null, 0x0
	s_barrier
	buffer_gl0_inv
	s_and_saveexec_b32 s6, s5
	s_cbranch_execz .LBB126_509
; %bb.496:
	ds_read_b128 v[1:4], v132
	s_andn2_b32 vcc_lo, exec_lo, s7
	s_cbranch_vccnz .LBB126_498
; %bb.497:
	s_clause 0x3
	buffer_load_dword v133, v131, s[0:3], 0 offen offset:8
	buffer_load_dword v134, v131, s[0:3], 0 offen offset:12
	buffer_load_dword v135, v131, s[0:3], 0 offen
	buffer_load_dword v136, v131, s[0:3], 0 offen offset:4
	s_waitcnt vmcnt(2) lgkmcnt(0)
	v_mul_f64 v[138:139], v[3:4], v[133:134]
	v_mul_f64 v[133:134], v[1:2], v[133:134]
	s_waitcnt vmcnt(0)
	v_fma_f64 v[1:2], v[1:2], v[135:136], -v[138:139]
	v_fma_f64 v[3:4], v[3:4], v[135:136], v[133:134]
.LBB126_498:
	s_and_saveexec_b32 s8, s4
	s_cbranch_execz .LBB126_508
; %bb.499:
	v_subrev_nc_u32_e32 v134, 27, v0
	v_mov_b32_e32 v135, 26
	v_subrev_nc_u32_e32 v133, 26, v0
	s_mov_b32 s4, exec_lo
	v_cmpx_lt_u32_e32 6, v134
	s_cbranch_execz .LBB126_503
; %bb.500:
	v_and_b32_e32 v134, -8, v133
	s_movk_i32 s73, 0x590
	s_mov_b32 s72, 0
	s_mov_b32 s74, s46
	;; [unrolled: 1-line block ×3, first 2 shown]
.LBB126_501:                            ; =>This Inner Loop Header: Depth=1
	v_mov_b32_e32 v138, s74
	v_mov_b32_e32 v184, s73
	s_add_i32 s76, s75, 8
	s_add_i32 s75, s75, 34
	v_cmp_eq_u32_e32 vcc_lo, s76, v134
	s_clause 0x1f
	buffer_load_dword v135, v138, s[0:3], 0 offen offset:8
	buffer_load_dword v136, v138, s[0:3], 0 offen offset:12
	buffer_load_dword v146, v138, s[0:3], 0 offen
	buffer_load_dword v147, v138, s[0:3], 0 offen offset:4
	buffer_load_dword v148, v138, s[0:3], 0 offen offset:24
	;; [unrolled: 1-line block ×29, first 2 shown]
	ds_read_b128 v[138:141], v184
	ds_read_b128 v[142:145], v184 offset:16
	s_addk_i32 s73, 0x80
	s_addk_i32 s74, 0x80
	s_or_b32 s72, vcc_lo, s72
	s_waitcnt vmcnt(30) lgkmcnt(1)
	v_mul_f64 v[176:177], v[140:141], v[135:136]
	v_mul_f64 v[135:136], v[138:139], v[135:136]
	s_waitcnt vmcnt(26) lgkmcnt(0)
	v_mul_f64 v[178:179], v[144:145], v[148:149]
	v_mul_f64 v[180:181], v[142:143], v[148:149]
	v_fma_f64 v[176:177], v[138:139], v[146:147], -v[176:177]
	v_fma_f64 v[135:136], v[140:141], v[146:147], v[135:136]
	ds_read_b128 v[138:141], v184 offset:32
	ds_read_b128 v[146:149], v184 offset:48
	s_waitcnt vmcnt(24)
	v_fma_f64 v[142:143], v[142:143], v[150:151], -v[178:179]
	v_fma_f64 v[144:145], v[144:145], v[150:151], v[180:181]
	s_waitcnt vmcnt(22) lgkmcnt(1)
	v_mul_f64 v[182:183], v[140:141], v[152:153]
	v_mul_f64 v[152:153], v[138:139], v[152:153]
	v_add_f64 v[1:2], v[1:2], v[176:177]
	v_add_f64 v[3:4], v[3:4], v[135:136]
	s_waitcnt vmcnt(18) lgkmcnt(0)
	v_mul_f64 v[135:136], v[148:149], v[156:157]
	v_mul_f64 v[150:151], v[146:147], v[156:157]
	v_fma_f64 v[156:157], v[138:139], v[154:155], -v[182:183]
	v_fma_f64 v[152:153], v[140:141], v[154:155], v[152:153]
	v_add_f64 v[142:143], v[1:2], v[142:143]
	v_add_f64 v[144:145], v[3:4], v[144:145]
	ds_read_b128 v[1:4], v184 offset:64
	ds_read_b128 v[138:141], v184 offset:80
	s_waitcnt vmcnt(16)
	v_fma_f64 v[135:136], v[146:147], v[158:159], -v[135:136]
	v_fma_f64 v[146:147], v[148:149], v[158:159], v[150:151]
	s_waitcnt vmcnt(12) lgkmcnt(1)
	v_mul_f64 v[154:155], v[3:4], v[160:161]
	v_mul_f64 v[160:161], v[1:2], v[160:161]
	v_add_f64 v[142:143], v[142:143], v[156:157]
	v_add_f64 v[144:145], v[144:145], v[152:153]
	s_waitcnt vmcnt(10) lgkmcnt(0)
	v_mul_f64 v[148:149], v[140:141], v[162:163]
	v_mul_f64 v[150:151], v[138:139], v[162:163]
	s_waitcnt vmcnt(8)
	v_fma_f64 v[152:153], v[1:2], v[166:167], -v[154:155]
	v_fma_f64 v[154:155], v[3:4], v[166:167], v[160:161]
	v_add_f64 v[135:136], v[142:143], v[135:136]
	v_add_f64 v[146:147], v[144:145], v[146:147]
	ds_read_b128 v[1:4], v184 offset:96
	ds_read_b128 v[142:145], v184 offset:112
	v_fma_f64 v[138:139], v[138:139], v[164:165], -v[148:149]
	v_fma_f64 v[140:141], v[140:141], v[164:165], v[150:151]
	s_waitcnt vmcnt(4) lgkmcnt(1)
	v_mul_f64 v[156:157], v[3:4], v[168:169]
	v_mul_f64 v[158:159], v[1:2], v[168:169]
	v_add_f64 v[135:136], v[135:136], v[152:153]
	v_add_f64 v[146:147], v[146:147], v[154:155]
	s_waitcnt vmcnt(2) lgkmcnt(0)
	v_mul_f64 v[148:149], v[144:145], v[170:171]
	v_mul_f64 v[150:151], v[142:143], v[170:171]
	s_waitcnt vmcnt(0)
	v_fma_f64 v[1:2], v[1:2], v[174:175], -v[156:157]
	v_fma_f64 v[3:4], v[3:4], v[174:175], v[158:159]
	v_add_f64 v[135:136], v[135:136], v[138:139]
	v_add_f64 v[138:139], v[146:147], v[140:141]
	v_fma_f64 v[140:141], v[142:143], v[172:173], -v[148:149]
	v_fma_f64 v[142:143], v[144:145], v[172:173], v[150:151]
	v_add_f64 v[1:2], v[135:136], v[1:2]
	v_add_f64 v[3:4], v[138:139], v[3:4]
	v_mov_b32_e32 v135, s75
	s_mov_b32 s75, s76
	v_add_f64 v[1:2], v[1:2], v[140:141]
	v_add_f64 v[3:4], v[3:4], v[142:143]
	s_andn2_b32 exec_lo, exec_lo, s72
	s_cbranch_execnz .LBB126_501
; %bb.502:
	s_or_b32 exec_lo, exec_lo, s72
.LBB126_503:
	s_or_b32 exec_lo, exec_lo, s4
	v_and_b32_e32 v133, 7, v133
	s_mov_b32 s72, 0
	s_mov_b32 s4, exec_lo
	v_cmpx_ne_u32_e32 0, v133
	s_cbranch_execz .LBB126_507
; %bb.504:
	v_lshlrev_b32_e32 v135, 4, v135
	v_add_nc_u32_e32 v134, 0x3f0, v135
	.p2align	6
.LBB126_505:                            ; =>This Inner Loop Header: Depth=1
	s_clause 0x3
	buffer_load_dword v142, v135, s[0:3], 0 offen offset:8
	buffer_load_dword v143, v135, s[0:3], 0 offen offset:12
	buffer_load_dword v144, v135, s[0:3], 0 offen
	buffer_load_dword v145, v135, s[0:3], 0 offen offset:4
	ds_read_b128 v[138:141], v134
	v_add_nc_u32_e32 v133, -1, v133
	v_add_nc_u32_e32 v134, 16, v134
	v_add_nc_u32_e32 v135, 16, v135
	v_cmp_eq_u32_e32 vcc_lo, 0, v133
	s_or_b32 s72, vcc_lo, s72
	s_waitcnt vmcnt(2) lgkmcnt(0)
	v_mul_f64 v[146:147], v[140:141], v[142:143]
	v_mul_f64 v[142:143], v[138:139], v[142:143]
	s_waitcnt vmcnt(0)
	v_fma_f64 v[138:139], v[138:139], v[144:145], -v[146:147]
	v_fma_f64 v[140:141], v[140:141], v[144:145], v[142:143]
	v_add_f64 v[1:2], v[1:2], v[138:139]
	v_add_f64 v[3:4], v[3:4], v[140:141]
	s_andn2_b32 exec_lo, exec_lo, s72
	s_cbranch_execnz .LBB126_505
; %bb.506:
	s_or_b32 exec_lo, exec_lo, s72
.LBB126_507:
	s_or_b32 exec_lo, exec_lo, s4
.LBB126_508:
	s_or_b32 exec_lo, exec_lo, s8
	v_mov_b32_e32 v133, 0
	ds_read_b128 v[133:136], v133 offset:400
	s_waitcnt lgkmcnt(0)
	v_mul_f64 v[138:139], v[3:4], v[135:136]
	v_mul_f64 v[135:136], v[1:2], v[135:136]
	v_fma_f64 v[1:2], v[1:2], v[133:134], -v[138:139]
	v_fma_f64 v[3:4], v[3:4], v[133:134], v[135:136]
	buffer_store_dword v2, off, s[0:3], 0 offset:404
	buffer_store_dword v1, off, s[0:3], 0 offset:400
	;; [unrolled: 1-line block ×4, first 2 shown]
.LBB126_509:
	s_or_b32 exec_lo, exec_lo, s6
	v_mov_b32_e32 v4, s48
	v_cmp_lt_u32_e64 s4, 24, v0
	s_clause 0x3
	buffer_load_dword v1, v4, s[0:3], 0 offen
	buffer_load_dword v2, v4, s[0:3], 0 offen offset:4
	buffer_load_dword v3, v4, s[0:3], 0 offen offset:8
	;; [unrolled: 1-line block ×3, first 2 shown]
	s_waitcnt vmcnt(0)
	ds_write_b128 v132, v[1:4]
	s_waitcnt lgkmcnt(0)
	s_waitcnt_vscnt null, 0x0
	s_barrier
	buffer_gl0_inv
	s_and_saveexec_b32 s6, s4
	s_cbranch_execz .LBB126_523
; %bb.510:
	ds_read_b128 v[1:4], v132
	s_andn2_b32 vcc_lo, exec_lo, s7
	s_cbranch_vccnz .LBB126_512
; %bb.511:
	s_clause 0x3
	buffer_load_dword v133, v131, s[0:3], 0 offen offset:8
	buffer_load_dword v134, v131, s[0:3], 0 offen offset:12
	buffer_load_dword v135, v131, s[0:3], 0 offen
	buffer_load_dword v136, v131, s[0:3], 0 offen offset:4
	s_waitcnt vmcnt(2) lgkmcnt(0)
	v_mul_f64 v[138:139], v[3:4], v[133:134]
	v_mul_f64 v[133:134], v[1:2], v[133:134]
	s_waitcnt vmcnt(0)
	v_fma_f64 v[1:2], v[1:2], v[135:136], -v[138:139]
	v_fma_f64 v[3:4], v[3:4], v[135:136], v[133:134]
.LBB126_512:
	s_and_saveexec_b32 s8, s5
	s_cbranch_execz .LBB126_522
; %bb.513:
	v_subrev_nc_u32_e32 v134, 26, v0
	v_mov_b32_e32 v135, 25
	v_subrev_nc_u32_e32 v133, 25, v0
	s_mov_b32 s5, exec_lo
	v_cmpx_lt_u32_e32 6, v134
	s_cbranch_execz .LBB126_517
; %bb.514:
	v_and_b32_e32 v134, -8, v133
	s_movk_i32 s73, 0x580
	s_mov_b32 s72, 0
	s_mov_b32 s74, s47
	s_mov_b32 s75, 0
.LBB126_515:                            ; =>This Inner Loop Header: Depth=1
	v_mov_b32_e32 v138, s74
	v_mov_b32_e32 v184, s73
	s_add_i32 s76, s75, 8
	s_add_i32 s75, s75, 33
	v_cmp_eq_u32_e32 vcc_lo, s76, v134
	s_clause 0x1f
	buffer_load_dword v135, v138, s[0:3], 0 offen offset:8
	buffer_load_dword v136, v138, s[0:3], 0 offen offset:12
	buffer_load_dword v146, v138, s[0:3], 0 offen
	buffer_load_dword v147, v138, s[0:3], 0 offen offset:4
	buffer_load_dword v148, v138, s[0:3], 0 offen offset:24
	;; [unrolled: 1-line block ×29, first 2 shown]
	ds_read_b128 v[138:141], v184
	ds_read_b128 v[142:145], v184 offset:16
	s_addk_i32 s73, 0x80
	s_addk_i32 s74, 0x80
	s_or_b32 s72, vcc_lo, s72
	s_waitcnt vmcnt(30) lgkmcnt(1)
	v_mul_f64 v[176:177], v[140:141], v[135:136]
	v_mul_f64 v[135:136], v[138:139], v[135:136]
	s_waitcnt vmcnt(26) lgkmcnt(0)
	v_mul_f64 v[178:179], v[144:145], v[148:149]
	v_mul_f64 v[180:181], v[142:143], v[148:149]
	v_fma_f64 v[176:177], v[138:139], v[146:147], -v[176:177]
	v_fma_f64 v[135:136], v[140:141], v[146:147], v[135:136]
	ds_read_b128 v[138:141], v184 offset:32
	ds_read_b128 v[146:149], v184 offset:48
	s_waitcnt vmcnt(24)
	v_fma_f64 v[142:143], v[142:143], v[150:151], -v[178:179]
	v_fma_f64 v[144:145], v[144:145], v[150:151], v[180:181]
	s_waitcnt vmcnt(22) lgkmcnt(1)
	v_mul_f64 v[182:183], v[140:141], v[152:153]
	v_mul_f64 v[152:153], v[138:139], v[152:153]
	v_add_f64 v[1:2], v[1:2], v[176:177]
	v_add_f64 v[3:4], v[3:4], v[135:136]
	s_waitcnt vmcnt(18) lgkmcnt(0)
	v_mul_f64 v[135:136], v[148:149], v[156:157]
	v_mul_f64 v[150:151], v[146:147], v[156:157]
	v_fma_f64 v[156:157], v[138:139], v[154:155], -v[182:183]
	v_fma_f64 v[152:153], v[140:141], v[154:155], v[152:153]
	v_add_f64 v[142:143], v[1:2], v[142:143]
	v_add_f64 v[144:145], v[3:4], v[144:145]
	ds_read_b128 v[1:4], v184 offset:64
	ds_read_b128 v[138:141], v184 offset:80
	s_waitcnt vmcnt(16)
	v_fma_f64 v[135:136], v[146:147], v[158:159], -v[135:136]
	v_fma_f64 v[146:147], v[148:149], v[158:159], v[150:151]
	s_waitcnt vmcnt(12) lgkmcnt(1)
	v_mul_f64 v[154:155], v[3:4], v[160:161]
	v_mul_f64 v[160:161], v[1:2], v[160:161]
	v_add_f64 v[142:143], v[142:143], v[156:157]
	v_add_f64 v[144:145], v[144:145], v[152:153]
	s_waitcnt vmcnt(10) lgkmcnt(0)
	v_mul_f64 v[148:149], v[140:141], v[162:163]
	v_mul_f64 v[150:151], v[138:139], v[162:163]
	s_waitcnt vmcnt(8)
	v_fma_f64 v[152:153], v[1:2], v[166:167], -v[154:155]
	v_fma_f64 v[154:155], v[3:4], v[166:167], v[160:161]
	v_add_f64 v[135:136], v[142:143], v[135:136]
	v_add_f64 v[146:147], v[144:145], v[146:147]
	ds_read_b128 v[1:4], v184 offset:96
	ds_read_b128 v[142:145], v184 offset:112
	v_fma_f64 v[138:139], v[138:139], v[164:165], -v[148:149]
	v_fma_f64 v[140:141], v[140:141], v[164:165], v[150:151]
	s_waitcnt vmcnt(4) lgkmcnt(1)
	v_mul_f64 v[156:157], v[3:4], v[168:169]
	v_mul_f64 v[158:159], v[1:2], v[168:169]
	v_add_f64 v[135:136], v[135:136], v[152:153]
	v_add_f64 v[146:147], v[146:147], v[154:155]
	s_waitcnt vmcnt(2) lgkmcnt(0)
	v_mul_f64 v[148:149], v[144:145], v[170:171]
	v_mul_f64 v[150:151], v[142:143], v[170:171]
	s_waitcnt vmcnt(0)
	v_fma_f64 v[1:2], v[1:2], v[174:175], -v[156:157]
	v_fma_f64 v[3:4], v[3:4], v[174:175], v[158:159]
	v_add_f64 v[135:136], v[135:136], v[138:139]
	v_add_f64 v[138:139], v[146:147], v[140:141]
	v_fma_f64 v[140:141], v[142:143], v[172:173], -v[148:149]
	v_fma_f64 v[142:143], v[144:145], v[172:173], v[150:151]
	v_add_f64 v[1:2], v[135:136], v[1:2]
	v_add_f64 v[3:4], v[138:139], v[3:4]
	v_mov_b32_e32 v135, s75
	s_mov_b32 s75, s76
	v_add_f64 v[1:2], v[1:2], v[140:141]
	v_add_f64 v[3:4], v[3:4], v[142:143]
	s_andn2_b32 exec_lo, exec_lo, s72
	s_cbranch_execnz .LBB126_515
; %bb.516:
	s_or_b32 exec_lo, exec_lo, s72
.LBB126_517:
	s_or_b32 exec_lo, exec_lo, s5
	v_and_b32_e32 v133, 7, v133
	s_mov_b32 s72, 0
	s_mov_b32 s5, exec_lo
	v_cmpx_ne_u32_e32 0, v133
	s_cbranch_execz .LBB126_521
; %bb.518:
	v_lshlrev_b32_e32 v135, 4, v135
	v_add_nc_u32_e32 v134, 0x3f0, v135
	.p2align	6
.LBB126_519:                            ; =>This Inner Loop Header: Depth=1
	s_clause 0x3
	buffer_load_dword v142, v135, s[0:3], 0 offen offset:8
	buffer_load_dword v143, v135, s[0:3], 0 offen offset:12
	buffer_load_dword v144, v135, s[0:3], 0 offen
	buffer_load_dword v145, v135, s[0:3], 0 offen offset:4
	ds_read_b128 v[138:141], v134
	v_add_nc_u32_e32 v133, -1, v133
	v_add_nc_u32_e32 v134, 16, v134
	v_add_nc_u32_e32 v135, 16, v135
	v_cmp_eq_u32_e32 vcc_lo, 0, v133
	s_or_b32 s72, vcc_lo, s72
	s_waitcnt vmcnt(2) lgkmcnt(0)
	v_mul_f64 v[146:147], v[140:141], v[142:143]
	v_mul_f64 v[142:143], v[138:139], v[142:143]
	s_waitcnt vmcnt(0)
	v_fma_f64 v[138:139], v[138:139], v[144:145], -v[146:147]
	v_fma_f64 v[140:141], v[140:141], v[144:145], v[142:143]
	v_add_f64 v[1:2], v[1:2], v[138:139]
	v_add_f64 v[3:4], v[3:4], v[140:141]
	s_andn2_b32 exec_lo, exec_lo, s72
	s_cbranch_execnz .LBB126_519
; %bb.520:
	s_or_b32 exec_lo, exec_lo, s72
.LBB126_521:
	s_or_b32 exec_lo, exec_lo, s5
.LBB126_522:
	s_or_b32 exec_lo, exec_lo, s8
	v_mov_b32_e32 v133, 0
	ds_read_b128 v[133:136], v133 offset:384
	s_waitcnt lgkmcnt(0)
	v_mul_f64 v[138:139], v[3:4], v[135:136]
	v_mul_f64 v[135:136], v[1:2], v[135:136]
	v_fma_f64 v[1:2], v[1:2], v[133:134], -v[138:139]
	v_fma_f64 v[3:4], v[3:4], v[133:134], v[135:136]
	buffer_store_dword v2, off, s[0:3], 0 offset:388
	buffer_store_dword v1, off, s[0:3], 0 offset:384
	;; [unrolled: 1-line block ×4, first 2 shown]
.LBB126_523:
	s_or_b32 exec_lo, exec_lo, s6
	v_mov_b32_e32 v4, s49
	v_cmp_lt_u32_e64 s5, 23, v0
	s_clause 0x3
	buffer_load_dword v1, v4, s[0:3], 0 offen
	buffer_load_dword v2, v4, s[0:3], 0 offen offset:4
	buffer_load_dword v3, v4, s[0:3], 0 offen offset:8
	;; [unrolled: 1-line block ×3, first 2 shown]
	s_waitcnt vmcnt(0)
	ds_write_b128 v132, v[1:4]
	s_waitcnt lgkmcnt(0)
	s_waitcnt_vscnt null, 0x0
	s_barrier
	buffer_gl0_inv
	s_and_saveexec_b32 s6, s5
	s_cbranch_execz .LBB126_537
; %bb.524:
	ds_read_b128 v[1:4], v132
	s_andn2_b32 vcc_lo, exec_lo, s7
	s_cbranch_vccnz .LBB126_526
; %bb.525:
	s_clause 0x3
	buffer_load_dword v133, v131, s[0:3], 0 offen offset:8
	buffer_load_dword v134, v131, s[0:3], 0 offen offset:12
	buffer_load_dword v135, v131, s[0:3], 0 offen
	buffer_load_dword v136, v131, s[0:3], 0 offen offset:4
	s_waitcnt vmcnt(2) lgkmcnt(0)
	v_mul_f64 v[138:139], v[3:4], v[133:134]
	v_mul_f64 v[133:134], v[1:2], v[133:134]
	s_waitcnt vmcnt(0)
	v_fma_f64 v[1:2], v[1:2], v[135:136], -v[138:139]
	v_fma_f64 v[3:4], v[3:4], v[135:136], v[133:134]
.LBB126_526:
	s_and_saveexec_b32 s8, s4
	s_cbranch_execz .LBB126_536
; %bb.527:
	v_subrev_nc_u32_e32 v133, 25, v0
	v_cmp_lt_u32_e32 vcc_lo, 6, v133
	v_mov_b32_e32 v133, 24
	s_and_saveexec_b32 s4, vcc_lo
	s_cbranch_execz .LBB126_531
; %bb.528:
	v_and_b32_e32 v133, 56, v0
	s_mov_b32 s72, 24
	s_movk_i32 s74, 0x570
	s_mov_b32 s73, 0
	s_mov_b32 s75, s48
.LBB126_529:                            ; =>This Inner Loop Header: Depth=1
	v_mov_b32_e32 v136, s75
	s_add_i32 s72, s72, 8
	s_addk_i32 s75, 0x80
	v_cmp_eq_u32_e32 vcc_lo, s72, v133
	s_clause 0x1f
	buffer_load_dword v134, v136, s[0:3], 0 offen offset:8
	buffer_load_dword v135, v136, s[0:3], 0 offen offset:12
	buffer_load_dword v146, v136, s[0:3], 0 offen
	buffer_load_dword v147, v136, s[0:3], 0 offen offset:4
	buffer_load_dword v148, v136, s[0:3], 0 offen offset:24
	;; [unrolled: 1-line block ×29, first 2 shown]
	v_mov_b32_e32 v136, s74
	s_addk_i32 s74, 0x80
	s_or_b32 s73, vcc_lo, s73
	ds_read_b128 v[138:141], v136
	ds_read_b128 v[142:145], v136 offset:16
	s_waitcnt vmcnt(30) lgkmcnt(1)
	v_mul_f64 v[176:177], v[140:141], v[134:135]
	v_mul_f64 v[134:135], v[138:139], v[134:135]
	s_waitcnt vmcnt(26) lgkmcnt(0)
	v_mul_f64 v[178:179], v[144:145], v[148:149]
	v_mul_f64 v[180:181], v[142:143], v[148:149]
	v_fma_f64 v[176:177], v[138:139], v[146:147], -v[176:177]
	v_fma_f64 v[134:135], v[140:141], v[146:147], v[134:135]
	ds_read_b128 v[138:141], v136 offset:32
	ds_read_b128 v[146:149], v136 offset:48
	s_waitcnt vmcnt(24)
	v_fma_f64 v[142:143], v[142:143], v[150:151], -v[178:179]
	v_fma_f64 v[144:145], v[144:145], v[150:151], v[180:181]
	s_waitcnt vmcnt(22) lgkmcnt(1)
	v_mul_f64 v[182:183], v[140:141], v[152:153]
	v_mul_f64 v[152:153], v[138:139], v[152:153]
	v_add_f64 v[1:2], v[1:2], v[176:177]
	v_add_f64 v[3:4], v[3:4], v[134:135]
	s_waitcnt vmcnt(18) lgkmcnt(0)
	v_mul_f64 v[134:135], v[148:149], v[156:157]
	v_mul_f64 v[150:151], v[146:147], v[156:157]
	v_fma_f64 v[156:157], v[138:139], v[154:155], -v[182:183]
	v_fma_f64 v[152:153], v[140:141], v[154:155], v[152:153]
	v_add_f64 v[142:143], v[1:2], v[142:143]
	v_add_f64 v[144:145], v[3:4], v[144:145]
	ds_read_b128 v[1:4], v136 offset:64
	ds_read_b128 v[138:141], v136 offset:80
	s_waitcnt vmcnt(16)
	v_fma_f64 v[134:135], v[146:147], v[158:159], -v[134:135]
	v_fma_f64 v[146:147], v[148:149], v[158:159], v[150:151]
	s_waitcnt vmcnt(12) lgkmcnt(1)
	v_mul_f64 v[154:155], v[3:4], v[160:161]
	v_mul_f64 v[160:161], v[1:2], v[160:161]
	v_add_f64 v[142:143], v[142:143], v[156:157]
	v_add_f64 v[144:145], v[144:145], v[152:153]
	s_waitcnt vmcnt(10) lgkmcnt(0)
	v_mul_f64 v[148:149], v[140:141], v[162:163]
	v_mul_f64 v[150:151], v[138:139], v[162:163]
	s_waitcnt vmcnt(8)
	v_fma_f64 v[152:153], v[1:2], v[166:167], -v[154:155]
	v_fma_f64 v[154:155], v[3:4], v[166:167], v[160:161]
	v_add_f64 v[134:135], v[142:143], v[134:135]
	v_add_f64 v[146:147], v[144:145], v[146:147]
	ds_read_b128 v[1:4], v136 offset:96
	ds_read_b128 v[142:145], v136 offset:112
	v_fma_f64 v[138:139], v[138:139], v[164:165], -v[148:149]
	v_fma_f64 v[140:141], v[140:141], v[164:165], v[150:151]
	s_waitcnt vmcnt(4) lgkmcnt(1)
	v_mul_f64 v[156:157], v[3:4], v[168:169]
	v_mul_f64 v[158:159], v[1:2], v[168:169]
	v_add_f64 v[134:135], v[134:135], v[152:153]
	v_add_f64 v[146:147], v[146:147], v[154:155]
	s_waitcnt vmcnt(2) lgkmcnt(0)
	v_mul_f64 v[148:149], v[144:145], v[170:171]
	v_mul_f64 v[150:151], v[142:143], v[170:171]
	s_waitcnt vmcnt(0)
	v_fma_f64 v[1:2], v[1:2], v[174:175], -v[156:157]
	v_fma_f64 v[3:4], v[3:4], v[174:175], v[158:159]
	v_add_f64 v[134:135], v[134:135], v[138:139]
	v_add_f64 v[138:139], v[146:147], v[140:141]
	v_fma_f64 v[140:141], v[142:143], v[172:173], -v[148:149]
	v_fma_f64 v[142:143], v[144:145], v[172:173], v[150:151]
	v_add_f64 v[1:2], v[134:135], v[1:2]
	v_add_f64 v[3:4], v[138:139], v[3:4]
	;; [unrolled: 1-line block ×4, first 2 shown]
	s_andn2_b32 exec_lo, exec_lo, s73
	s_cbranch_execnz .LBB126_529
; %bb.530:
	s_or_b32 exec_lo, exec_lo, s73
.LBB126_531:
	s_or_b32 exec_lo, exec_lo, s4
	v_and_b32_e32 v134, 7, v0
	s_mov_b32 s72, 0
	s_mov_b32 s4, exec_lo
	v_cmpx_ne_u32_e32 0, v134
	s_cbranch_execz .LBB126_535
; %bb.532:
	v_lshlrev_b32_e32 v135, 4, v133
	v_add_nc_u32_e32 v133, 0x3f0, v135
	.p2align	6
.LBB126_533:                            ; =>This Inner Loop Header: Depth=1
	s_clause 0x3
	buffer_load_dword v142, v135, s[0:3], 0 offen offset:8
	buffer_load_dword v143, v135, s[0:3], 0 offen offset:12
	buffer_load_dword v144, v135, s[0:3], 0 offen
	buffer_load_dword v145, v135, s[0:3], 0 offen offset:4
	ds_read_b128 v[138:141], v133
	v_add_nc_u32_e32 v134, -1, v134
	v_add_nc_u32_e32 v133, 16, v133
	v_add_nc_u32_e32 v135, 16, v135
	v_cmp_eq_u32_e32 vcc_lo, 0, v134
	s_or_b32 s72, vcc_lo, s72
	s_waitcnt vmcnt(2) lgkmcnt(0)
	v_mul_f64 v[146:147], v[140:141], v[142:143]
	v_mul_f64 v[142:143], v[138:139], v[142:143]
	s_waitcnt vmcnt(0)
	v_fma_f64 v[138:139], v[138:139], v[144:145], -v[146:147]
	v_fma_f64 v[140:141], v[140:141], v[144:145], v[142:143]
	v_add_f64 v[1:2], v[1:2], v[138:139]
	v_add_f64 v[3:4], v[3:4], v[140:141]
	s_andn2_b32 exec_lo, exec_lo, s72
	s_cbranch_execnz .LBB126_533
; %bb.534:
	s_or_b32 exec_lo, exec_lo, s72
.LBB126_535:
	s_or_b32 exec_lo, exec_lo, s4
.LBB126_536:
	s_or_b32 exec_lo, exec_lo, s8
	v_mov_b32_e32 v133, 0
	ds_read_b128 v[133:136], v133 offset:368
	s_waitcnt lgkmcnt(0)
	v_mul_f64 v[138:139], v[3:4], v[135:136]
	v_mul_f64 v[135:136], v[1:2], v[135:136]
	v_fma_f64 v[1:2], v[1:2], v[133:134], -v[138:139]
	v_fma_f64 v[3:4], v[3:4], v[133:134], v[135:136]
	buffer_store_dword v2, off, s[0:3], 0 offset:372
	buffer_store_dword v1, off, s[0:3], 0 offset:368
	;; [unrolled: 1-line block ×4, first 2 shown]
.LBB126_537:
	s_or_b32 exec_lo, exec_lo, s6
	v_mov_b32_e32 v4, s50
	v_cmp_lt_u32_e64 s4, 22, v0
	s_clause 0x3
	buffer_load_dword v1, v4, s[0:3], 0 offen
	buffer_load_dword v2, v4, s[0:3], 0 offen offset:4
	buffer_load_dword v3, v4, s[0:3], 0 offen offset:8
	;; [unrolled: 1-line block ×3, first 2 shown]
	s_waitcnt vmcnt(0)
	ds_write_b128 v132, v[1:4]
	s_waitcnt lgkmcnt(0)
	s_waitcnt_vscnt null, 0x0
	s_barrier
	buffer_gl0_inv
	s_and_saveexec_b32 s6, s4
	s_cbranch_execz .LBB126_551
; %bb.538:
	ds_read_b128 v[1:4], v132
	s_andn2_b32 vcc_lo, exec_lo, s7
	s_cbranch_vccnz .LBB126_540
; %bb.539:
	s_clause 0x3
	buffer_load_dword v133, v131, s[0:3], 0 offen offset:8
	buffer_load_dword v134, v131, s[0:3], 0 offen offset:12
	buffer_load_dword v135, v131, s[0:3], 0 offen
	buffer_load_dword v136, v131, s[0:3], 0 offen offset:4
	s_waitcnt vmcnt(2) lgkmcnt(0)
	v_mul_f64 v[138:139], v[3:4], v[133:134]
	v_mul_f64 v[133:134], v[1:2], v[133:134]
	s_waitcnt vmcnt(0)
	v_fma_f64 v[1:2], v[1:2], v[135:136], -v[138:139]
	v_fma_f64 v[3:4], v[3:4], v[135:136], v[133:134]
.LBB126_540:
	s_and_saveexec_b32 s8, s5
	s_cbranch_execz .LBB126_550
; %bb.541:
	v_subrev_nc_u32_e32 v134, 24, v0
	v_mov_b32_e32 v135, 23
	v_subrev_nc_u32_e32 v133, 23, v0
	s_mov_b32 s5, exec_lo
	v_cmpx_lt_u32_e32 6, v134
	s_cbranch_execz .LBB126_545
; %bb.542:
	v_and_b32_e32 v134, -8, v133
	s_movk_i32 s73, 0x560
	s_mov_b32 s72, 0
	s_mov_b32 s74, s49
	;; [unrolled: 1-line block ×3, first 2 shown]
.LBB126_543:                            ; =>This Inner Loop Header: Depth=1
	v_mov_b32_e32 v138, s74
	v_mov_b32_e32 v184, s73
	s_add_i32 s76, s75, 8
	s_add_i32 s75, s75, 31
	v_cmp_eq_u32_e32 vcc_lo, s76, v134
	s_clause 0x1f
	buffer_load_dword v135, v138, s[0:3], 0 offen offset:8
	buffer_load_dword v136, v138, s[0:3], 0 offen offset:12
	buffer_load_dword v146, v138, s[0:3], 0 offen
	buffer_load_dword v147, v138, s[0:3], 0 offen offset:4
	buffer_load_dword v148, v138, s[0:3], 0 offen offset:24
	;; [unrolled: 1-line block ×29, first 2 shown]
	ds_read_b128 v[138:141], v184
	ds_read_b128 v[142:145], v184 offset:16
	s_addk_i32 s73, 0x80
	s_addk_i32 s74, 0x80
	s_or_b32 s72, vcc_lo, s72
	s_waitcnt vmcnt(30) lgkmcnt(1)
	v_mul_f64 v[176:177], v[140:141], v[135:136]
	v_mul_f64 v[135:136], v[138:139], v[135:136]
	s_waitcnt vmcnt(26) lgkmcnt(0)
	v_mul_f64 v[178:179], v[144:145], v[148:149]
	v_mul_f64 v[180:181], v[142:143], v[148:149]
	v_fma_f64 v[176:177], v[138:139], v[146:147], -v[176:177]
	v_fma_f64 v[135:136], v[140:141], v[146:147], v[135:136]
	ds_read_b128 v[138:141], v184 offset:32
	ds_read_b128 v[146:149], v184 offset:48
	s_waitcnt vmcnt(24)
	v_fma_f64 v[142:143], v[142:143], v[150:151], -v[178:179]
	v_fma_f64 v[144:145], v[144:145], v[150:151], v[180:181]
	s_waitcnt vmcnt(22) lgkmcnt(1)
	v_mul_f64 v[182:183], v[140:141], v[152:153]
	v_mul_f64 v[152:153], v[138:139], v[152:153]
	v_add_f64 v[1:2], v[1:2], v[176:177]
	v_add_f64 v[3:4], v[3:4], v[135:136]
	s_waitcnt vmcnt(18) lgkmcnt(0)
	v_mul_f64 v[135:136], v[148:149], v[156:157]
	v_mul_f64 v[150:151], v[146:147], v[156:157]
	v_fma_f64 v[156:157], v[138:139], v[154:155], -v[182:183]
	v_fma_f64 v[152:153], v[140:141], v[154:155], v[152:153]
	v_add_f64 v[142:143], v[1:2], v[142:143]
	v_add_f64 v[144:145], v[3:4], v[144:145]
	ds_read_b128 v[1:4], v184 offset:64
	ds_read_b128 v[138:141], v184 offset:80
	s_waitcnt vmcnt(16)
	v_fma_f64 v[135:136], v[146:147], v[158:159], -v[135:136]
	v_fma_f64 v[146:147], v[148:149], v[158:159], v[150:151]
	s_waitcnt vmcnt(12) lgkmcnt(1)
	v_mul_f64 v[154:155], v[3:4], v[160:161]
	v_mul_f64 v[160:161], v[1:2], v[160:161]
	v_add_f64 v[142:143], v[142:143], v[156:157]
	v_add_f64 v[144:145], v[144:145], v[152:153]
	s_waitcnt vmcnt(10) lgkmcnt(0)
	v_mul_f64 v[148:149], v[140:141], v[162:163]
	v_mul_f64 v[150:151], v[138:139], v[162:163]
	s_waitcnt vmcnt(8)
	v_fma_f64 v[152:153], v[1:2], v[166:167], -v[154:155]
	v_fma_f64 v[154:155], v[3:4], v[166:167], v[160:161]
	v_add_f64 v[135:136], v[142:143], v[135:136]
	v_add_f64 v[146:147], v[144:145], v[146:147]
	ds_read_b128 v[1:4], v184 offset:96
	ds_read_b128 v[142:145], v184 offset:112
	v_fma_f64 v[138:139], v[138:139], v[164:165], -v[148:149]
	v_fma_f64 v[140:141], v[140:141], v[164:165], v[150:151]
	s_waitcnt vmcnt(4) lgkmcnt(1)
	v_mul_f64 v[156:157], v[3:4], v[168:169]
	v_mul_f64 v[158:159], v[1:2], v[168:169]
	v_add_f64 v[135:136], v[135:136], v[152:153]
	v_add_f64 v[146:147], v[146:147], v[154:155]
	s_waitcnt vmcnt(2) lgkmcnt(0)
	v_mul_f64 v[148:149], v[144:145], v[170:171]
	v_mul_f64 v[150:151], v[142:143], v[170:171]
	s_waitcnt vmcnt(0)
	v_fma_f64 v[1:2], v[1:2], v[174:175], -v[156:157]
	v_fma_f64 v[3:4], v[3:4], v[174:175], v[158:159]
	v_add_f64 v[135:136], v[135:136], v[138:139]
	v_add_f64 v[138:139], v[146:147], v[140:141]
	v_fma_f64 v[140:141], v[142:143], v[172:173], -v[148:149]
	v_fma_f64 v[142:143], v[144:145], v[172:173], v[150:151]
	v_add_f64 v[1:2], v[135:136], v[1:2]
	v_add_f64 v[3:4], v[138:139], v[3:4]
	v_mov_b32_e32 v135, s75
	s_mov_b32 s75, s76
	v_add_f64 v[1:2], v[1:2], v[140:141]
	v_add_f64 v[3:4], v[3:4], v[142:143]
	s_andn2_b32 exec_lo, exec_lo, s72
	s_cbranch_execnz .LBB126_543
; %bb.544:
	s_or_b32 exec_lo, exec_lo, s72
.LBB126_545:
	s_or_b32 exec_lo, exec_lo, s5
	v_and_b32_e32 v133, 7, v133
	s_mov_b32 s72, 0
	s_mov_b32 s5, exec_lo
	v_cmpx_ne_u32_e32 0, v133
	s_cbranch_execz .LBB126_549
; %bb.546:
	v_lshlrev_b32_e32 v135, 4, v135
	v_add_nc_u32_e32 v134, 0x3f0, v135
	.p2align	6
.LBB126_547:                            ; =>This Inner Loop Header: Depth=1
	s_clause 0x3
	buffer_load_dword v142, v135, s[0:3], 0 offen offset:8
	buffer_load_dword v143, v135, s[0:3], 0 offen offset:12
	buffer_load_dword v144, v135, s[0:3], 0 offen
	buffer_load_dword v145, v135, s[0:3], 0 offen offset:4
	ds_read_b128 v[138:141], v134
	v_add_nc_u32_e32 v133, -1, v133
	v_add_nc_u32_e32 v134, 16, v134
	v_add_nc_u32_e32 v135, 16, v135
	v_cmp_eq_u32_e32 vcc_lo, 0, v133
	s_or_b32 s72, vcc_lo, s72
	s_waitcnt vmcnt(2) lgkmcnt(0)
	v_mul_f64 v[146:147], v[140:141], v[142:143]
	v_mul_f64 v[142:143], v[138:139], v[142:143]
	s_waitcnt vmcnt(0)
	v_fma_f64 v[138:139], v[138:139], v[144:145], -v[146:147]
	v_fma_f64 v[140:141], v[140:141], v[144:145], v[142:143]
	v_add_f64 v[1:2], v[1:2], v[138:139]
	v_add_f64 v[3:4], v[3:4], v[140:141]
	s_andn2_b32 exec_lo, exec_lo, s72
	s_cbranch_execnz .LBB126_547
; %bb.548:
	s_or_b32 exec_lo, exec_lo, s72
.LBB126_549:
	s_or_b32 exec_lo, exec_lo, s5
.LBB126_550:
	s_or_b32 exec_lo, exec_lo, s8
	v_mov_b32_e32 v133, 0
	ds_read_b128 v[133:136], v133 offset:352
	s_waitcnt lgkmcnt(0)
	v_mul_f64 v[138:139], v[3:4], v[135:136]
	v_mul_f64 v[135:136], v[1:2], v[135:136]
	v_fma_f64 v[1:2], v[1:2], v[133:134], -v[138:139]
	v_fma_f64 v[3:4], v[3:4], v[133:134], v[135:136]
	buffer_store_dword v2, off, s[0:3], 0 offset:356
	buffer_store_dword v1, off, s[0:3], 0 offset:352
	;; [unrolled: 1-line block ×4, first 2 shown]
.LBB126_551:
	s_or_b32 exec_lo, exec_lo, s6
	v_mov_b32_e32 v4, s51
	v_cmp_lt_u32_e64 s5, 21, v0
	s_clause 0x3
	buffer_load_dword v1, v4, s[0:3], 0 offen
	buffer_load_dword v2, v4, s[0:3], 0 offen offset:4
	buffer_load_dword v3, v4, s[0:3], 0 offen offset:8
	;; [unrolled: 1-line block ×3, first 2 shown]
	s_waitcnt vmcnt(0)
	ds_write_b128 v132, v[1:4]
	s_waitcnt lgkmcnt(0)
	s_waitcnt_vscnt null, 0x0
	s_barrier
	buffer_gl0_inv
	s_and_saveexec_b32 s6, s5
	s_cbranch_execz .LBB126_565
; %bb.552:
	ds_read_b128 v[1:4], v132
	s_andn2_b32 vcc_lo, exec_lo, s7
	s_cbranch_vccnz .LBB126_554
; %bb.553:
	s_clause 0x3
	buffer_load_dword v133, v131, s[0:3], 0 offen offset:8
	buffer_load_dword v134, v131, s[0:3], 0 offen offset:12
	buffer_load_dword v135, v131, s[0:3], 0 offen
	buffer_load_dword v136, v131, s[0:3], 0 offen offset:4
	s_waitcnt vmcnt(2) lgkmcnt(0)
	v_mul_f64 v[138:139], v[3:4], v[133:134]
	v_mul_f64 v[133:134], v[1:2], v[133:134]
	s_waitcnt vmcnt(0)
	v_fma_f64 v[1:2], v[1:2], v[135:136], -v[138:139]
	v_fma_f64 v[3:4], v[3:4], v[135:136], v[133:134]
.LBB126_554:
	s_and_saveexec_b32 s8, s4
	s_cbranch_execz .LBB126_564
; %bb.555:
	v_subrev_nc_u32_e32 v134, 23, v0
	v_mov_b32_e32 v135, 22
	v_subrev_nc_u32_e32 v133, 22, v0
	s_mov_b32 s4, exec_lo
	v_cmpx_lt_u32_e32 6, v134
	s_cbranch_execz .LBB126_559
; %bb.556:
	v_and_b32_e32 v134, -8, v133
	s_movk_i32 s73, 0x550
	s_mov_b32 s72, 0
	s_mov_b32 s74, s50
	;; [unrolled: 1-line block ×3, first 2 shown]
.LBB126_557:                            ; =>This Inner Loop Header: Depth=1
	v_mov_b32_e32 v138, s74
	v_mov_b32_e32 v184, s73
	s_add_i32 s76, s75, 8
	s_add_i32 s75, s75, 30
	v_cmp_eq_u32_e32 vcc_lo, s76, v134
	s_clause 0x1f
	buffer_load_dword v135, v138, s[0:3], 0 offen offset:8
	buffer_load_dword v136, v138, s[0:3], 0 offen offset:12
	buffer_load_dword v146, v138, s[0:3], 0 offen
	buffer_load_dword v147, v138, s[0:3], 0 offen offset:4
	buffer_load_dword v148, v138, s[0:3], 0 offen offset:24
	;; [unrolled: 1-line block ×29, first 2 shown]
	ds_read_b128 v[138:141], v184
	ds_read_b128 v[142:145], v184 offset:16
	s_addk_i32 s73, 0x80
	s_addk_i32 s74, 0x80
	s_or_b32 s72, vcc_lo, s72
	s_waitcnt vmcnt(30) lgkmcnt(1)
	v_mul_f64 v[176:177], v[140:141], v[135:136]
	v_mul_f64 v[135:136], v[138:139], v[135:136]
	s_waitcnt vmcnt(26) lgkmcnt(0)
	v_mul_f64 v[178:179], v[144:145], v[148:149]
	v_mul_f64 v[180:181], v[142:143], v[148:149]
	v_fma_f64 v[176:177], v[138:139], v[146:147], -v[176:177]
	v_fma_f64 v[135:136], v[140:141], v[146:147], v[135:136]
	ds_read_b128 v[138:141], v184 offset:32
	ds_read_b128 v[146:149], v184 offset:48
	s_waitcnt vmcnt(24)
	v_fma_f64 v[142:143], v[142:143], v[150:151], -v[178:179]
	v_fma_f64 v[144:145], v[144:145], v[150:151], v[180:181]
	s_waitcnt vmcnt(22) lgkmcnt(1)
	v_mul_f64 v[182:183], v[140:141], v[152:153]
	v_mul_f64 v[152:153], v[138:139], v[152:153]
	v_add_f64 v[1:2], v[1:2], v[176:177]
	v_add_f64 v[3:4], v[3:4], v[135:136]
	s_waitcnt vmcnt(18) lgkmcnt(0)
	v_mul_f64 v[135:136], v[148:149], v[156:157]
	v_mul_f64 v[150:151], v[146:147], v[156:157]
	v_fma_f64 v[156:157], v[138:139], v[154:155], -v[182:183]
	v_fma_f64 v[152:153], v[140:141], v[154:155], v[152:153]
	v_add_f64 v[142:143], v[1:2], v[142:143]
	v_add_f64 v[144:145], v[3:4], v[144:145]
	ds_read_b128 v[1:4], v184 offset:64
	ds_read_b128 v[138:141], v184 offset:80
	s_waitcnt vmcnt(16)
	v_fma_f64 v[135:136], v[146:147], v[158:159], -v[135:136]
	v_fma_f64 v[146:147], v[148:149], v[158:159], v[150:151]
	s_waitcnt vmcnt(12) lgkmcnt(1)
	v_mul_f64 v[154:155], v[3:4], v[160:161]
	v_mul_f64 v[160:161], v[1:2], v[160:161]
	v_add_f64 v[142:143], v[142:143], v[156:157]
	v_add_f64 v[144:145], v[144:145], v[152:153]
	s_waitcnt vmcnt(10) lgkmcnt(0)
	v_mul_f64 v[148:149], v[140:141], v[162:163]
	v_mul_f64 v[150:151], v[138:139], v[162:163]
	s_waitcnt vmcnt(8)
	v_fma_f64 v[152:153], v[1:2], v[166:167], -v[154:155]
	v_fma_f64 v[154:155], v[3:4], v[166:167], v[160:161]
	v_add_f64 v[135:136], v[142:143], v[135:136]
	v_add_f64 v[146:147], v[144:145], v[146:147]
	ds_read_b128 v[1:4], v184 offset:96
	ds_read_b128 v[142:145], v184 offset:112
	v_fma_f64 v[138:139], v[138:139], v[164:165], -v[148:149]
	v_fma_f64 v[140:141], v[140:141], v[164:165], v[150:151]
	s_waitcnt vmcnt(4) lgkmcnt(1)
	v_mul_f64 v[156:157], v[3:4], v[168:169]
	v_mul_f64 v[158:159], v[1:2], v[168:169]
	v_add_f64 v[135:136], v[135:136], v[152:153]
	v_add_f64 v[146:147], v[146:147], v[154:155]
	s_waitcnt vmcnt(2) lgkmcnt(0)
	v_mul_f64 v[148:149], v[144:145], v[170:171]
	v_mul_f64 v[150:151], v[142:143], v[170:171]
	s_waitcnt vmcnt(0)
	v_fma_f64 v[1:2], v[1:2], v[174:175], -v[156:157]
	v_fma_f64 v[3:4], v[3:4], v[174:175], v[158:159]
	v_add_f64 v[135:136], v[135:136], v[138:139]
	v_add_f64 v[138:139], v[146:147], v[140:141]
	v_fma_f64 v[140:141], v[142:143], v[172:173], -v[148:149]
	v_fma_f64 v[142:143], v[144:145], v[172:173], v[150:151]
	v_add_f64 v[1:2], v[135:136], v[1:2]
	v_add_f64 v[3:4], v[138:139], v[3:4]
	v_mov_b32_e32 v135, s75
	s_mov_b32 s75, s76
	v_add_f64 v[1:2], v[1:2], v[140:141]
	v_add_f64 v[3:4], v[3:4], v[142:143]
	s_andn2_b32 exec_lo, exec_lo, s72
	s_cbranch_execnz .LBB126_557
; %bb.558:
	s_or_b32 exec_lo, exec_lo, s72
.LBB126_559:
	s_or_b32 exec_lo, exec_lo, s4
	v_and_b32_e32 v133, 7, v133
	s_mov_b32 s72, 0
	s_mov_b32 s4, exec_lo
	v_cmpx_ne_u32_e32 0, v133
	s_cbranch_execz .LBB126_563
; %bb.560:
	v_lshlrev_b32_e32 v135, 4, v135
	v_add_nc_u32_e32 v134, 0x3f0, v135
	.p2align	6
.LBB126_561:                            ; =>This Inner Loop Header: Depth=1
	s_clause 0x3
	buffer_load_dword v142, v135, s[0:3], 0 offen offset:8
	buffer_load_dword v143, v135, s[0:3], 0 offen offset:12
	buffer_load_dword v144, v135, s[0:3], 0 offen
	buffer_load_dword v145, v135, s[0:3], 0 offen offset:4
	ds_read_b128 v[138:141], v134
	v_add_nc_u32_e32 v133, -1, v133
	v_add_nc_u32_e32 v134, 16, v134
	v_add_nc_u32_e32 v135, 16, v135
	v_cmp_eq_u32_e32 vcc_lo, 0, v133
	s_or_b32 s72, vcc_lo, s72
	s_waitcnt vmcnt(2) lgkmcnt(0)
	v_mul_f64 v[146:147], v[140:141], v[142:143]
	v_mul_f64 v[142:143], v[138:139], v[142:143]
	s_waitcnt vmcnt(0)
	v_fma_f64 v[138:139], v[138:139], v[144:145], -v[146:147]
	v_fma_f64 v[140:141], v[140:141], v[144:145], v[142:143]
	v_add_f64 v[1:2], v[1:2], v[138:139]
	v_add_f64 v[3:4], v[3:4], v[140:141]
	s_andn2_b32 exec_lo, exec_lo, s72
	s_cbranch_execnz .LBB126_561
; %bb.562:
	s_or_b32 exec_lo, exec_lo, s72
.LBB126_563:
	s_or_b32 exec_lo, exec_lo, s4
.LBB126_564:
	s_or_b32 exec_lo, exec_lo, s8
	v_mov_b32_e32 v133, 0
	ds_read_b128 v[133:136], v133 offset:336
	s_waitcnt lgkmcnt(0)
	v_mul_f64 v[138:139], v[3:4], v[135:136]
	v_mul_f64 v[135:136], v[1:2], v[135:136]
	v_fma_f64 v[1:2], v[1:2], v[133:134], -v[138:139]
	v_fma_f64 v[3:4], v[3:4], v[133:134], v[135:136]
	buffer_store_dword v2, off, s[0:3], 0 offset:340
	buffer_store_dword v1, off, s[0:3], 0 offset:336
	;; [unrolled: 1-line block ×4, first 2 shown]
.LBB126_565:
	s_or_b32 exec_lo, exec_lo, s6
	v_mov_b32_e32 v4, s52
	v_cmp_lt_u32_e64 s4, 20, v0
	s_clause 0x3
	buffer_load_dword v1, v4, s[0:3], 0 offen
	buffer_load_dword v2, v4, s[0:3], 0 offen offset:4
	buffer_load_dword v3, v4, s[0:3], 0 offen offset:8
	;; [unrolled: 1-line block ×3, first 2 shown]
	s_waitcnt vmcnt(0)
	ds_write_b128 v132, v[1:4]
	s_waitcnt lgkmcnt(0)
	s_waitcnt_vscnt null, 0x0
	s_barrier
	buffer_gl0_inv
	s_and_saveexec_b32 s6, s4
	s_cbranch_execz .LBB126_579
; %bb.566:
	ds_read_b128 v[1:4], v132
	s_andn2_b32 vcc_lo, exec_lo, s7
	s_cbranch_vccnz .LBB126_568
; %bb.567:
	s_clause 0x3
	buffer_load_dword v133, v131, s[0:3], 0 offen offset:8
	buffer_load_dword v134, v131, s[0:3], 0 offen offset:12
	buffer_load_dword v135, v131, s[0:3], 0 offen
	buffer_load_dword v136, v131, s[0:3], 0 offen offset:4
	s_waitcnt vmcnt(2) lgkmcnt(0)
	v_mul_f64 v[138:139], v[3:4], v[133:134]
	v_mul_f64 v[133:134], v[1:2], v[133:134]
	s_waitcnt vmcnt(0)
	v_fma_f64 v[1:2], v[1:2], v[135:136], -v[138:139]
	v_fma_f64 v[3:4], v[3:4], v[135:136], v[133:134]
.LBB126_568:
	s_and_saveexec_b32 s8, s5
	s_cbranch_execz .LBB126_578
; %bb.569:
	v_subrev_nc_u32_e32 v134, 22, v0
	v_mov_b32_e32 v135, 21
	v_subrev_nc_u32_e32 v133, 21, v0
	s_mov_b32 s5, exec_lo
	v_cmpx_lt_u32_e32 6, v134
	s_cbranch_execz .LBB126_573
; %bb.570:
	v_and_b32_e32 v134, -8, v133
	s_movk_i32 s73, 0x540
	s_mov_b32 s72, 0
	s_mov_b32 s74, s51
	;; [unrolled: 1-line block ×3, first 2 shown]
.LBB126_571:                            ; =>This Inner Loop Header: Depth=1
	v_mov_b32_e32 v138, s74
	v_mov_b32_e32 v184, s73
	s_add_i32 s76, s75, 8
	s_add_i32 s75, s75, 29
	v_cmp_eq_u32_e32 vcc_lo, s76, v134
	s_clause 0x1f
	buffer_load_dword v135, v138, s[0:3], 0 offen offset:8
	buffer_load_dword v136, v138, s[0:3], 0 offen offset:12
	buffer_load_dword v146, v138, s[0:3], 0 offen
	buffer_load_dword v147, v138, s[0:3], 0 offen offset:4
	buffer_load_dword v148, v138, s[0:3], 0 offen offset:24
	;; [unrolled: 1-line block ×29, first 2 shown]
	ds_read_b128 v[138:141], v184
	ds_read_b128 v[142:145], v184 offset:16
	s_addk_i32 s73, 0x80
	s_addk_i32 s74, 0x80
	s_or_b32 s72, vcc_lo, s72
	s_waitcnt vmcnt(30) lgkmcnt(1)
	v_mul_f64 v[176:177], v[140:141], v[135:136]
	v_mul_f64 v[135:136], v[138:139], v[135:136]
	s_waitcnt vmcnt(26) lgkmcnt(0)
	v_mul_f64 v[178:179], v[144:145], v[148:149]
	v_mul_f64 v[180:181], v[142:143], v[148:149]
	v_fma_f64 v[176:177], v[138:139], v[146:147], -v[176:177]
	v_fma_f64 v[135:136], v[140:141], v[146:147], v[135:136]
	ds_read_b128 v[138:141], v184 offset:32
	ds_read_b128 v[146:149], v184 offset:48
	s_waitcnt vmcnt(24)
	v_fma_f64 v[142:143], v[142:143], v[150:151], -v[178:179]
	v_fma_f64 v[144:145], v[144:145], v[150:151], v[180:181]
	s_waitcnt vmcnt(22) lgkmcnt(1)
	v_mul_f64 v[182:183], v[140:141], v[152:153]
	v_mul_f64 v[152:153], v[138:139], v[152:153]
	v_add_f64 v[1:2], v[1:2], v[176:177]
	v_add_f64 v[3:4], v[3:4], v[135:136]
	s_waitcnt vmcnt(18) lgkmcnt(0)
	v_mul_f64 v[135:136], v[148:149], v[156:157]
	v_mul_f64 v[150:151], v[146:147], v[156:157]
	v_fma_f64 v[156:157], v[138:139], v[154:155], -v[182:183]
	v_fma_f64 v[152:153], v[140:141], v[154:155], v[152:153]
	v_add_f64 v[142:143], v[1:2], v[142:143]
	v_add_f64 v[144:145], v[3:4], v[144:145]
	ds_read_b128 v[1:4], v184 offset:64
	ds_read_b128 v[138:141], v184 offset:80
	s_waitcnt vmcnt(16)
	v_fma_f64 v[135:136], v[146:147], v[158:159], -v[135:136]
	v_fma_f64 v[146:147], v[148:149], v[158:159], v[150:151]
	s_waitcnt vmcnt(12) lgkmcnt(1)
	v_mul_f64 v[154:155], v[3:4], v[160:161]
	v_mul_f64 v[160:161], v[1:2], v[160:161]
	v_add_f64 v[142:143], v[142:143], v[156:157]
	v_add_f64 v[144:145], v[144:145], v[152:153]
	s_waitcnt vmcnt(10) lgkmcnt(0)
	v_mul_f64 v[148:149], v[140:141], v[162:163]
	v_mul_f64 v[150:151], v[138:139], v[162:163]
	s_waitcnt vmcnt(8)
	v_fma_f64 v[152:153], v[1:2], v[166:167], -v[154:155]
	v_fma_f64 v[154:155], v[3:4], v[166:167], v[160:161]
	v_add_f64 v[135:136], v[142:143], v[135:136]
	v_add_f64 v[146:147], v[144:145], v[146:147]
	ds_read_b128 v[1:4], v184 offset:96
	ds_read_b128 v[142:145], v184 offset:112
	v_fma_f64 v[138:139], v[138:139], v[164:165], -v[148:149]
	v_fma_f64 v[140:141], v[140:141], v[164:165], v[150:151]
	s_waitcnt vmcnt(4) lgkmcnt(1)
	v_mul_f64 v[156:157], v[3:4], v[168:169]
	v_mul_f64 v[158:159], v[1:2], v[168:169]
	v_add_f64 v[135:136], v[135:136], v[152:153]
	v_add_f64 v[146:147], v[146:147], v[154:155]
	s_waitcnt vmcnt(2) lgkmcnt(0)
	v_mul_f64 v[148:149], v[144:145], v[170:171]
	v_mul_f64 v[150:151], v[142:143], v[170:171]
	s_waitcnt vmcnt(0)
	v_fma_f64 v[1:2], v[1:2], v[174:175], -v[156:157]
	v_fma_f64 v[3:4], v[3:4], v[174:175], v[158:159]
	v_add_f64 v[135:136], v[135:136], v[138:139]
	v_add_f64 v[138:139], v[146:147], v[140:141]
	v_fma_f64 v[140:141], v[142:143], v[172:173], -v[148:149]
	v_fma_f64 v[142:143], v[144:145], v[172:173], v[150:151]
	v_add_f64 v[1:2], v[135:136], v[1:2]
	v_add_f64 v[3:4], v[138:139], v[3:4]
	v_mov_b32_e32 v135, s75
	s_mov_b32 s75, s76
	v_add_f64 v[1:2], v[1:2], v[140:141]
	v_add_f64 v[3:4], v[3:4], v[142:143]
	s_andn2_b32 exec_lo, exec_lo, s72
	s_cbranch_execnz .LBB126_571
; %bb.572:
	s_or_b32 exec_lo, exec_lo, s72
.LBB126_573:
	s_or_b32 exec_lo, exec_lo, s5
	v_and_b32_e32 v133, 7, v133
	s_mov_b32 s72, 0
	s_mov_b32 s5, exec_lo
	v_cmpx_ne_u32_e32 0, v133
	s_cbranch_execz .LBB126_577
; %bb.574:
	v_lshlrev_b32_e32 v135, 4, v135
	v_add_nc_u32_e32 v134, 0x3f0, v135
	.p2align	6
.LBB126_575:                            ; =>This Inner Loop Header: Depth=1
	s_clause 0x3
	buffer_load_dword v142, v135, s[0:3], 0 offen offset:8
	buffer_load_dword v143, v135, s[0:3], 0 offen offset:12
	buffer_load_dword v144, v135, s[0:3], 0 offen
	buffer_load_dword v145, v135, s[0:3], 0 offen offset:4
	ds_read_b128 v[138:141], v134
	v_add_nc_u32_e32 v133, -1, v133
	v_add_nc_u32_e32 v134, 16, v134
	v_add_nc_u32_e32 v135, 16, v135
	v_cmp_eq_u32_e32 vcc_lo, 0, v133
	s_or_b32 s72, vcc_lo, s72
	s_waitcnt vmcnt(2) lgkmcnt(0)
	v_mul_f64 v[146:147], v[140:141], v[142:143]
	v_mul_f64 v[142:143], v[138:139], v[142:143]
	s_waitcnt vmcnt(0)
	v_fma_f64 v[138:139], v[138:139], v[144:145], -v[146:147]
	v_fma_f64 v[140:141], v[140:141], v[144:145], v[142:143]
	v_add_f64 v[1:2], v[1:2], v[138:139]
	v_add_f64 v[3:4], v[3:4], v[140:141]
	s_andn2_b32 exec_lo, exec_lo, s72
	s_cbranch_execnz .LBB126_575
; %bb.576:
	s_or_b32 exec_lo, exec_lo, s72
.LBB126_577:
	s_or_b32 exec_lo, exec_lo, s5
.LBB126_578:
	s_or_b32 exec_lo, exec_lo, s8
	v_mov_b32_e32 v133, 0
	ds_read_b128 v[133:136], v133 offset:320
	s_waitcnt lgkmcnt(0)
	v_mul_f64 v[138:139], v[3:4], v[135:136]
	v_mul_f64 v[135:136], v[1:2], v[135:136]
	v_fma_f64 v[1:2], v[1:2], v[133:134], -v[138:139]
	v_fma_f64 v[3:4], v[3:4], v[133:134], v[135:136]
	buffer_store_dword v2, off, s[0:3], 0 offset:324
	buffer_store_dword v1, off, s[0:3], 0 offset:320
	;; [unrolled: 1-line block ×4, first 2 shown]
.LBB126_579:
	s_or_b32 exec_lo, exec_lo, s6
	v_mov_b32_e32 v4, s53
	v_cmp_lt_u32_e64 s5, 19, v0
	s_clause 0x3
	buffer_load_dword v1, v4, s[0:3], 0 offen
	buffer_load_dword v2, v4, s[0:3], 0 offen offset:4
	buffer_load_dword v3, v4, s[0:3], 0 offen offset:8
	buffer_load_dword v4, v4, s[0:3], 0 offen offset:12
	s_waitcnt vmcnt(0)
	ds_write_b128 v132, v[1:4]
	s_waitcnt lgkmcnt(0)
	s_waitcnt_vscnt null, 0x0
	s_barrier
	buffer_gl0_inv
	s_and_saveexec_b32 s6, s5
	s_cbranch_execz .LBB126_593
; %bb.580:
	ds_read_b128 v[1:4], v132
	s_andn2_b32 vcc_lo, exec_lo, s7
	s_cbranch_vccnz .LBB126_582
; %bb.581:
	s_clause 0x3
	buffer_load_dword v133, v131, s[0:3], 0 offen offset:8
	buffer_load_dword v134, v131, s[0:3], 0 offen offset:12
	buffer_load_dword v135, v131, s[0:3], 0 offen
	buffer_load_dword v136, v131, s[0:3], 0 offen offset:4
	s_waitcnt vmcnt(2) lgkmcnt(0)
	v_mul_f64 v[138:139], v[3:4], v[133:134]
	v_mul_f64 v[133:134], v[1:2], v[133:134]
	s_waitcnt vmcnt(0)
	v_fma_f64 v[1:2], v[1:2], v[135:136], -v[138:139]
	v_fma_f64 v[3:4], v[3:4], v[135:136], v[133:134]
.LBB126_582:
	s_and_saveexec_b32 s8, s4
	s_cbranch_execz .LBB126_592
; %bb.583:
	v_subrev_nc_u32_e32 v134, 21, v0
	v_mov_b32_e32 v135, 20
	v_subrev_nc_u32_e32 v133, 20, v0
	s_mov_b32 s4, exec_lo
	v_cmpx_lt_u32_e32 6, v134
	s_cbranch_execz .LBB126_587
; %bb.584:
	v_and_b32_e32 v134, -8, v133
	s_movk_i32 s73, 0x530
	s_mov_b32 s72, 0
	s_mov_b32 s74, s52
	;; [unrolled: 1-line block ×3, first 2 shown]
.LBB126_585:                            ; =>This Inner Loop Header: Depth=1
	v_mov_b32_e32 v138, s74
	v_mov_b32_e32 v184, s73
	s_add_i32 s76, s75, 8
	s_add_i32 s75, s75, 28
	v_cmp_eq_u32_e32 vcc_lo, s76, v134
	s_clause 0x1f
	buffer_load_dword v135, v138, s[0:3], 0 offen offset:8
	buffer_load_dword v136, v138, s[0:3], 0 offen offset:12
	buffer_load_dword v146, v138, s[0:3], 0 offen
	buffer_load_dword v147, v138, s[0:3], 0 offen offset:4
	buffer_load_dword v148, v138, s[0:3], 0 offen offset:24
	;; [unrolled: 1-line block ×29, first 2 shown]
	ds_read_b128 v[138:141], v184
	ds_read_b128 v[142:145], v184 offset:16
	s_addk_i32 s73, 0x80
	s_addk_i32 s74, 0x80
	s_or_b32 s72, vcc_lo, s72
	s_waitcnt vmcnt(30) lgkmcnt(1)
	v_mul_f64 v[176:177], v[140:141], v[135:136]
	v_mul_f64 v[135:136], v[138:139], v[135:136]
	s_waitcnt vmcnt(26) lgkmcnt(0)
	v_mul_f64 v[178:179], v[144:145], v[148:149]
	v_mul_f64 v[180:181], v[142:143], v[148:149]
	v_fma_f64 v[176:177], v[138:139], v[146:147], -v[176:177]
	v_fma_f64 v[135:136], v[140:141], v[146:147], v[135:136]
	ds_read_b128 v[138:141], v184 offset:32
	ds_read_b128 v[146:149], v184 offset:48
	s_waitcnt vmcnt(24)
	v_fma_f64 v[142:143], v[142:143], v[150:151], -v[178:179]
	v_fma_f64 v[144:145], v[144:145], v[150:151], v[180:181]
	s_waitcnt vmcnt(22) lgkmcnt(1)
	v_mul_f64 v[182:183], v[140:141], v[152:153]
	v_mul_f64 v[152:153], v[138:139], v[152:153]
	v_add_f64 v[1:2], v[1:2], v[176:177]
	v_add_f64 v[3:4], v[3:4], v[135:136]
	s_waitcnt vmcnt(18) lgkmcnt(0)
	v_mul_f64 v[135:136], v[148:149], v[156:157]
	v_mul_f64 v[150:151], v[146:147], v[156:157]
	v_fma_f64 v[156:157], v[138:139], v[154:155], -v[182:183]
	v_fma_f64 v[152:153], v[140:141], v[154:155], v[152:153]
	v_add_f64 v[142:143], v[1:2], v[142:143]
	v_add_f64 v[144:145], v[3:4], v[144:145]
	ds_read_b128 v[1:4], v184 offset:64
	ds_read_b128 v[138:141], v184 offset:80
	s_waitcnt vmcnt(16)
	v_fma_f64 v[135:136], v[146:147], v[158:159], -v[135:136]
	v_fma_f64 v[146:147], v[148:149], v[158:159], v[150:151]
	s_waitcnt vmcnt(12) lgkmcnt(1)
	v_mul_f64 v[154:155], v[3:4], v[160:161]
	v_mul_f64 v[160:161], v[1:2], v[160:161]
	v_add_f64 v[142:143], v[142:143], v[156:157]
	v_add_f64 v[144:145], v[144:145], v[152:153]
	s_waitcnt vmcnt(10) lgkmcnt(0)
	v_mul_f64 v[148:149], v[140:141], v[162:163]
	v_mul_f64 v[150:151], v[138:139], v[162:163]
	s_waitcnt vmcnt(8)
	v_fma_f64 v[152:153], v[1:2], v[166:167], -v[154:155]
	v_fma_f64 v[154:155], v[3:4], v[166:167], v[160:161]
	v_add_f64 v[135:136], v[142:143], v[135:136]
	v_add_f64 v[146:147], v[144:145], v[146:147]
	ds_read_b128 v[1:4], v184 offset:96
	ds_read_b128 v[142:145], v184 offset:112
	v_fma_f64 v[138:139], v[138:139], v[164:165], -v[148:149]
	v_fma_f64 v[140:141], v[140:141], v[164:165], v[150:151]
	s_waitcnt vmcnt(4) lgkmcnt(1)
	v_mul_f64 v[156:157], v[3:4], v[168:169]
	v_mul_f64 v[158:159], v[1:2], v[168:169]
	v_add_f64 v[135:136], v[135:136], v[152:153]
	v_add_f64 v[146:147], v[146:147], v[154:155]
	s_waitcnt vmcnt(2) lgkmcnt(0)
	v_mul_f64 v[148:149], v[144:145], v[170:171]
	v_mul_f64 v[150:151], v[142:143], v[170:171]
	s_waitcnt vmcnt(0)
	v_fma_f64 v[1:2], v[1:2], v[174:175], -v[156:157]
	v_fma_f64 v[3:4], v[3:4], v[174:175], v[158:159]
	v_add_f64 v[135:136], v[135:136], v[138:139]
	v_add_f64 v[138:139], v[146:147], v[140:141]
	v_fma_f64 v[140:141], v[142:143], v[172:173], -v[148:149]
	v_fma_f64 v[142:143], v[144:145], v[172:173], v[150:151]
	v_add_f64 v[1:2], v[135:136], v[1:2]
	v_add_f64 v[3:4], v[138:139], v[3:4]
	v_mov_b32_e32 v135, s75
	s_mov_b32 s75, s76
	v_add_f64 v[1:2], v[1:2], v[140:141]
	v_add_f64 v[3:4], v[3:4], v[142:143]
	s_andn2_b32 exec_lo, exec_lo, s72
	s_cbranch_execnz .LBB126_585
; %bb.586:
	s_or_b32 exec_lo, exec_lo, s72
.LBB126_587:
	s_or_b32 exec_lo, exec_lo, s4
	v_and_b32_e32 v133, 7, v133
	s_mov_b32 s72, 0
	s_mov_b32 s4, exec_lo
	v_cmpx_ne_u32_e32 0, v133
	s_cbranch_execz .LBB126_591
; %bb.588:
	v_lshlrev_b32_e32 v135, 4, v135
	v_add_nc_u32_e32 v134, 0x3f0, v135
	.p2align	6
.LBB126_589:                            ; =>This Inner Loop Header: Depth=1
	s_clause 0x3
	buffer_load_dword v142, v135, s[0:3], 0 offen offset:8
	buffer_load_dword v143, v135, s[0:3], 0 offen offset:12
	buffer_load_dword v144, v135, s[0:3], 0 offen
	buffer_load_dword v145, v135, s[0:3], 0 offen offset:4
	ds_read_b128 v[138:141], v134
	v_add_nc_u32_e32 v133, -1, v133
	v_add_nc_u32_e32 v134, 16, v134
	v_add_nc_u32_e32 v135, 16, v135
	v_cmp_eq_u32_e32 vcc_lo, 0, v133
	s_or_b32 s72, vcc_lo, s72
	s_waitcnt vmcnt(2) lgkmcnt(0)
	v_mul_f64 v[146:147], v[140:141], v[142:143]
	v_mul_f64 v[142:143], v[138:139], v[142:143]
	s_waitcnt vmcnt(0)
	v_fma_f64 v[138:139], v[138:139], v[144:145], -v[146:147]
	v_fma_f64 v[140:141], v[140:141], v[144:145], v[142:143]
	v_add_f64 v[1:2], v[1:2], v[138:139]
	v_add_f64 v[3:4], v[3:4], v[140:141]
	s_andn2_b32 exec_lo, exec_lo, s72
	s_cbranch_execnz .LBB126_589
; %bb.590:
	s_or_b32 exec_lo, exec_lo, s72
.LBB126_591:
	s_or_b32 exec_lo, exec_lo, s4
.LBB126_592:
	s_or_b32 exec_lo, exec_lo, s8
	v_mov_b32_e32 v133, 0
	ds_read_b128 v[133:136], v133 offset:304
	s_waitcnt lgkmcnt(0)
	v_mul_f64 v[138:139], v[3:4], v[135:136]
	v_mul_f64 v[135:136], v[1:2], v[135:136]
	v_fma_f64 v[1:2], v[1:2], v[133:134], -v[138:139]
	v_fma_f64 v[3:4], v[3:4], v[133:134], v[135:136]
	buffer_store_dword v2, off, s[0:3], 0 offset:308
	buffer_store_dword v1, off, s[0:3], 0 offset:304
	;; [unrolled: 1-line block ×4, first 2 shown]
.LBB126_593:
	s_or_b32 exec_lo, exec_lo, s6
	v_mov_b32_e32 v4, s54
	v_cmp_lt_u32_e64 s4, 18, v0
	s_clause 0x3
	buffer_load_dword v1, v4, s[0:3], 0 offen
	buffer_load_dword v2, v4, s[0:3], 0 offen offset:4
	buffer_load_dword v3, v4, s[0:3], 0 offen offset:8
	;; [unrolled: 1-line block ×3, first 2 shown]
	s_waitcnt vmcnt(0)
	ds_write_b128 v132, v[1:4]
	s_waitcnt lgkmcnt(0)
	s_waitcnt_vscnt null, 0x0
	s_barrier
	buffer_gl0_inv
	s_and_saveexec_b32 s6, s4
	s_cbranch_execz .LBB126_607
; %bb.594:
	ds_read_b128 v[1:4], v132
	s_andn2_b32 vcc_lo, exec_lo, s7
	s_cbranch_vccnz .LBB126_596
; %bb.595:
	s_clause 0x3
	buffer_load_dword v133, v131, s[0:3], 0 offen offset:8
	buffer_load_dword v134, v131, s[0:3], 0 offen offset:12
	buffer_load_dword v135, v131, s[0:3], 0 offen
	buffer_load_dword v136, v131, s[0:3], 0 offen offset:4
	s_waitcnt vmcnt(2) lgkmcnt(0)
	v_mul_f64 v[138:139], v[3:4], v[133:134]
	v_mul_f64 v[133:134], v[1:2], v[133:134]
	s_waitcnt vmcnt(0)
	v_fma_f64 v[1:2], v[1:2], v[135:136], -v[138:139]
	v_fma_f64 v[3:4], v[3:4], v[135:136], v[133:134]
.LBB126_596:
	s_and_saveexec_b32 s8, s5
	s_cbranch_execz .LBB126_606
; %bb.597:
	v_subrev_nc_u32_e32 v134, 20, v0
	v_mov_b32_e32 v135, 19
	v_subrev_nc_u32_e32 v133, 19, v0
	s_mov_b32 s5, exec_lo
	v_cmpx_lt_u32_e32 6, v134
	s_cbranch_execz .LBB126_601
; %bb.598:
	v_and_b32_e32 v134, -8, v133
	s_movk_i32 s73, 0x520
	s_mov_b32 s72, 0
	s_mov_b32 s74, s53
	;; [unrolled: 1-line block ×3, first 2 shown]
.LBB126_599:                            ; =>This Inner Loop Header: Depth=1
	v_mov_b32_e32 v138, s74
	v_mov_b32_e32 v184, s73
	s_add_i32 s76, s75, 8
	s_add_i32 s75, s75, 27
	v_cmp_eq_u32_e32 vcc_lo, s76, v134
	s_clause 0x1f
	buffer_load_dword v135, v138, s[0:3], 0 offen offset:8
	buffer_load_dword v136, v138, s[0:3], 0 offen offset:12
	buffer_load_dword v146, v138, s[0:3], 0 offen
	buffer_load_dword v147, v138, s[0:3], 0 offen offset:4
	buffer_load_dword v148, v138, s[0:3], 0 offen offset:24
	;; [unrolled: 1-line block ×29, first 2 shown]
	ds_read_b128 v[138:141], v184
	ds_read_b128 v[142:145], v184 offset:16
	s_addk_i32 s73, 0x80
	s_addk_i32 s74, 0x80
	s_or_b32 s72, vcc_lo, s72
	s_waitcnt vmcnt(30) lgkmcnt(1)
	v_mul_f64 v[176:177], v[140:141], v[135:136]
	v_mul_f64 v[135:136], v[138:139], v[135:136]
	s_waitcnt vmcnt(26) lgkmcnt(0)
	v_mul_f64 v[178:179], v[144:145], v[148:149]
	v_mul_f64 v[180:181], v[142:143], v[148:149]
	v_fma_f64 v[176:177], v[138:139], v[146:147], -v[176:177]
	v_fma_f64 v[135:136], v[140:141], v[146:147], v[135:136]
	ds_read_b128 v[138:141], v184 offset:32
	ds_read_b128 v[146:149], v184 offset:48
	s_waitcnt vmcnt(24)
	v_fma_f64 v[142:143], v[142:143], v[150:151], -v[178:179]
	v_fma_f64 v[144:145], v[144:145], v[150:151], v[180:181]
	s_waitcnt vmcnt(22) lgkmcnt(1)
	v_mul_f64 v[182:183], v[140:141], v[152:153]
	v_mul_f64 v[152:153], v[138:139], v[152:153]
	v_add_f64 v[1:2], v[1:2], v[176:177]
	v_add_f64 v[3:4], v[3:4], v[135:136]
	s_waitcnt vmcnt(18) lgkmcnt(0)
	v_mul_f64 v[135:136], v[148:149], v[156:157]
	v_mul_f64 v[150:151], v[146:147], v[156:157]
	v_fma_f64 v[156:157], v[138:139], v[154:155], -v[182:183]
	v_fma_f64 v[152:153], v[140:141], v[154:155], v[152:153]
	v_add_f64 v[142:143], v[1:2], v[142:143]
	v_add_f64 v[144:145], v[3:4], v[144:145]
	ds_read_b128 v[1:4], v184 offset:64
	ds_read_b128 v[138:141], v184 offset:80
	s_waitcnt vmcnt(16)
	v_fma_f64 v[135:136], v[146:147], v[158:159], -v[135:136]
	v_fma_f64 v[146:147], v[148:149], v[158:159], v[150:151]
	s_waitcnt vmcnt(12) lgkmcnt(1)
	v_mul_f64 v[154:155], v[3:4], v[160:161]
	v_mul_f64 v[160:161], v[1:2], v[160:161]
	v_add_f64 v[142:143], v[142:143], v[156:157]
	v_add_f64 v[144:145], v[144:145], v[152:153]
	s_waitcnt vmcnt(10) lgkmcnt(0)
	v_mul_f64 v[148:149], v[140:141], v[162:163]
	v_mul_f64 v[150:151], v[138:139], v[162:163]
	s_waitcnt vmcnt(8)
	v_fma_f64 v[152:153], v[1:2], v[166:167], -v[154:155]
	v_fma_f64 v[154:155], v[3:4], v[166:167], v[160:161]
	v_add_f64 v[135:136], v[142:143], v[135:136]
	v_add_f64 v[146:147], v[144:145], v[146:147]
	ds_read_b128 v[1:4], v184 offset:96
	ds_read_b128 v[142:145], v184 offset:112
	v_fma_f64 v[138:139], v[138:139], v[164:165], -v[148:149]
	v_fma_f64 v[140:141], v[140:141], v[164:165], v[150:151]
	s_waitcnt vmcnt(4) lgkmcnt(1)
	v_mul_f64 v[156:157], v[3:4], v[168:169]
	v_mul_f64 v[158:159], v[1:2], v[168:169]
	v_add_f64 v[135:136], v[135:136], v[152:153]
	v_add_f64 v[146:147], v[146:147], v[154:155]
	s_waitcnt vmcnt(2) lgkmcnt(0)
	v_mul_f64 v[148:149], v[144:145], v[170:171]
	v_mul_f64 v[150:151], v[142:143], v[170:171]
	s_waitcnt vmcnt(0)
	v_fma_f64 v[1:2], v[1:2], v[174:175], -v[156:157]
	v_fma_f64 v[3:4], v[3:4], v[174:175], v[158:159]
	v_add_f64 v[135:136], v[135:136], v[138:139]
	v_add_f64 v[138:139], v[146:147], v[140:141]
	v_fma_f64 v[140:141], v[142:143], v[172:173], -v[148:149]
	v_fma_f64 v[142:143], v[144:145], v[172:173], v[150:151]
	v_add_f64 v[1:2], v[135:136], v[1:2]
	v_add_f64 v[3:4], v[138:139], v[3:4]
	v_mov_b32_e32 v135, s75
	s_mov_b32 s75, s76
	v_add_f64 v[1:2], v[1:2], v[140:141]
	v_add_f64 v[3:4], v[3:4], v[142:143]
	s_andn2_b32 exec_lo, exec_lo, s72
	s_cbranch_execnz .LBB126_599
; %bb.600:
	s_or_b32 exec_lo, exec_lo, s72
.LBB126_601:
	s_or_b32 exec_lo, exec_lo, s5
	v_and_b32_e32 v133, 7, v133
	s_mov_b32 s72, 0
	s_mov_b32 s5, exec_lo
	v_cmpx_ne_u32_e32 0, v133
	s_cbranch_execz .LBB126_605
; %bb.602:
	v_lshlrev_b32_e32 v135, 4, v135
	v_add_nc_u32_e32 v134, 0x3f0, v135
	.p2align	6
.LBB126_603:                            ; =>This Inner Loop Header: Depth=1
	s_clause 0x3
	buffer_load_dword v142, v135, s[0:3], 0 offen offset:8
	buffer_load_dword v143, v135, s[0:3], 0 offen offset:12
	buffer_load_dword v144, v135, s[0:3], 0 offen
	buffer_load_dword v145, v135, s[0:3], 0 offen offset:4
	ds_read_b128 v[138:141], v134
	v_add_nc_u32_e32 v133, -1, v133
	v_add_nc_u32_e32 v134, 16, v134
	v_add_nc_u32_e32 v135, 16, v135
	v_cmp_eq_u32_e32 vcc_lo, 0, v133
	s_or_b32 s72, vcc_lo, s72
	s_waitcnt vmcnt(2) lgkmcnt(0)
	v_mul_f64 v[146:147], v[140:141], v[142:143]
	v_mul_f64 v[142:143], v[138:139], v[142:143]
	s_waitcnt vmcnt(0)
	v_fma_f64 v[138:139], v[138:139], v[144:145], -v[146:147]
	v_fma_f64 v[140:141], v[140:141], v[144:145], v[142:143]
	v_add_f64 v[1:2], v[1:2], v[138:139]
	v_add_f64 v[3:4], v[3:4], v[140:141]
	s_andn2_b32 exec_lo, exec_lo, s72
	s_cbranch_execnz .LBB126_603
; %bb.604:
	s_or_b32 exec_lo, exec_lo, s72
.LBB126_605:
	s_or_b32 exec_lo, exec_lo, s5
.LBB126_606:
	s_or_b32 exec_lo, exec_lo, s8
	v_mov_b32_e32 v133, 0
	ds_read_b128 v[133:136], v133 offset:288
	s_waitcnt lgkmcnt(0)
	v_mul_f64 v[138:139], v[3:4], v[135:136]
	v_mul_f64 v[135:136], v[1:2], v[135:136]
	v_fma_f64 v[1:2], v[1:2], v[133:134], -v[138:139]
	v_fma_f64 v[3:4], v[3:4], v[133:134], v[135:136]
	buffer_store_dword v2, off, s[0:3], 0 offset:292
	buffer_store_dword v1, off, s[0:3], 0 offset:288
	;; [unrolled: 1-line block ×4, first 2 shown]
.LBB126_607:
	s_or_b32 exec_lo, exec_lo, s6
	v_mov_b32_e32 v4, s55
	v_cmp_lt_u32_e64 s5, 17, v0
	s_clause 0x3
	buffer_load_dword v1, v4, s[0:3], 0 offen
	buffer_load_dword v2, v4, s[0:3], 0 offen offset:4
	buffer_load_dword v3, v4, s[0:3], 0 offen offset:8
	;; [unrolled: 1-line block ×3, first 2 shown]
	s_waitcnt vmcnt(0)
	ds_write_b128 v132, v[1:4]
	s_waitcnt lgkmcnt(0)
	s_waitcnt_vscnt null, 0x0
	s_barrier
	buffer_gl0_inv
	s_and_saveexec_b32 s6, s5
	s_cbranch_execz .LBB126_621
; %bb.608:
	ds_read_b128 v[1:4], v132
	s_andn2_b32 vcc_lo, exec_lo, s7
	s_cbranch_vccnz .LBB126_610
; %bb.609:
	s_clause 0x3
	buffer_load_dword v133, v131, s[0:3], 0 offen offset:8
	buffer_load_dword v134, v131, s[0:3], 0 offen offset:12
	buffer_load_dword v135, v131, s[0:3], 0 offen
	buffer_load_dword v136, v131, s[0:3], 0 offen offset:4
	s_waitcnt vmcnt(2) lgkmcnt(0)
	v_mul_f64 v[138:139], v[3:4], v[133:134]
	v_mul_f64 v[133:134], v[1:2], v[133:134]
	s_waitcnt vmcnt(0)
	v_fma_f64 v[1:2], v[1:2], v[135:136], -v[138:139]
	v_fma_f64 v[3:4], v[3:4], v[135:136], v[133:134]
.LBB126_610:
	s_and_saveexec_b32 s8, s4
	s_cbranch_execz .LBB126_620
; %bb.611:
	v_subrev_nc_u32_e32 v134, 19, v0
	v_mov_b32_e32 v135, 18
	v_subrev_nc_u32_e32 v133, 18, v0
	s_mov_b32 s4, exec_lo
	v_cmpx_lt_u32_e32 6, v134
	s_cbranch_execz .LBB126_615
; %bb.612:
	v_and_b32_e32 v134, -8, v133
	s_movk_i32 s73, 0x510
	s_mov_b32 s72, 0
	s_mov_b32 s74, s54
	;; [unrolled: 1-line block ×3, first 2 shown]
.LBB126_613:                            ; =>This Inner Loop Header: Depth=1
	v_mov_b32_e32 v138, s74
	v_mov_b32_e32 v184, s73
	s_add_i32 s76, s75, 8
	s_add_i32 s75, s75, 26
	v_cmp_eq_u32_e32 vcc_lo, s76, v134
	s_clause 0x1f
	buffer_load_dword v135, v138, s[0:3], 0 offen offset:8
	buffer_load_dword v136, v138, s[0:3], 0 offen offset:12
	buffer_load_dword v146, v138, s[0:3], 0 offen
	buffer_load_dword v147, v138, s[0:3], 0 offen offset:4
	buffer_load_dword v148, v138, s[0:3], 0 offen offset:24
	buffer_load_dword v149, v138, s[0:3], 0 offen offset:28
	buffer_load_dword v150, v138, s[0:3], 0 offen offset:16
	buffer_load_dword v151, v138, s[0:3], 0 offen offset:20
	buffer_load_dword v152, v138, s[0:3], 0 offen offset:40
	buffer_load_dword v153, v138, s[0:3], 0 offen offset:44
	buffer_load_dword v154, v138, s[0:3], 0 offen offset:32
	buffer_load_dword v155, v138, s[0:3], 0 offen offset:36
	buffer_load_dword v156, v138, s[0:3], 0 offen offset:56
	buffer_load_dword v157, v138, s[0:3], 0 offen offset:60
	buffer_load_dword v158, v138, s[0:3], 0 offen offset:48
	buffer_load_dword v159, v138, s[0:3], 0 offen offset:52
	buffer_load_dword v161, v138, s[0:3], 0 offen offset:76
	buffer_load_dword v162, v138, s[0:3], 0 offen offset:88
	buffer_load_dword v164, v138, s[0:3], 0 offen offset:80
	buffer_load_dword v160, v138, s[0:3], 0 offen offset:72
	buffer_load_dword v165, v138, s[0:3], 0 offen offset:84
	buffer_load_dword v163, v138, s[0:3], 0 offen offset:92
	buffer_load_dword v167, v138, s[0:3], 0 offen offset:68
	buffer_load_dword v166, v138, s[0:3], 0 offen offset:64
	buffer_load_dword v169, v138, s[0:3], 0 offen offset:108
	buffer_load_dword v170, v138, s[0:3], 0 offen offset:120
	buffer_load_dword v172, v138, s[0:3], 0 offen offset:112
	buffer_load_dword v168, v138, s[0:3], 0 offen offset:104
	buffer_load_dword v173, v138, s[0:3], 0 offen offset:116
	buffer_load_dword v171, v138, s[0:3], 0 offen offset:124
	buffer_load_dword v175, v138, s[0:3], 0 offen offset:100
	buffer_load_dword v174, v138, s[0:3], 0 offen offset:96
	ds_read_b128 v[138:141], v184
	ds_read_b128 v[142:145], v184 offset:16
	s_addk_i32 s73, 0x80
	s_addk_i32 s74, 0x80
	s_or_b32 s72, vcc_lo, s72
	s_waitcnt vmcnt(30) lgkmcnt(1)
	v_mul_f64 v[176:177], v[140:141], v[135:136]
	v_mul_f64 v[135:136], v[138:139], v[135:136]
	s_waitcnt vmcnt(26) lgkmcnt(0)
	v_mul_f64 v[178:179], v[144:145], v[148:149]
	v_mul_f64 v[180:181], v[142:143], v[148:149]
	v_fma_f64 v[176:177], v[138:139], v[146:147], -v[176:177]
	v_fma_f64 v[135:136], v[140:141], v[146:147], v[135:136]
	ds_read_b128 v[138:141], v184 offset:32
	ds_read_b128 v[146:149], v184 offset:48
	s_waitcnt vmcnt(24)
	v_fma_f64 v[142:143], v[142:143], v[150:151], -v[178:179]
	v_fma_f64 v[144:145], v[144:145], v[150:151], v[180:181]
	s_waitcnt vmcnt(22) lgkmcnt(1)
	v_mul_f64 v[182:183], v[140:141], v[152:153]
	v_mul_f64 v[152:153], v[138:139], v[152:153]
	v_add_f64 v[1:2], v[1:2], v[176:177]
	v_add_f64 v[3:4], v[3:4], v[135:136]
	s_waitcnt vmcnt(18) lgkmcnt(0)
	v_mul_f64 v[135:136], v[148:149], v[156:157]
	v_mul_f64 v[150:151], v[146:147], v[156:157]
	v_fma_f64 v[156:157], v[138:139], v[154:155], -v[182:183]
	v_fma_f64 v[152:153], v[140:141], v[154:155], v[152:153]
	v_add_f64 v[142:143], v[1:2], v[142:143]
	v_add_f64 v[144:145], v[3:4], v[144:145]
	ds_read_b128 v[1:4], v184 offset:64
	ds_read_b128 v[138:141], v184 offset:80
	s_waitcnt vmcnt(16)
	v_fma_f64 v[135:136], v[146:147], v[158:159], -v[135:136]
	v_fma_f64 v[146:147], v[148:149], v[158:159], v[150:151]
	s_waitcnt vmcnt(12) lgkmcnt(1)
	v_mul_f64 v[154:155], v[3:4], v[160:161]
	v_mul_f64 v[160:161], v[1:2], v[160:161]
	v_add_f64 v[142:143], v[142:143], v[156:157]
	v_add_f64 v[144:145], v[144:145], v[152:153]
	s_waitcnt vmcnt(10) lgkmcnt(0)
	v_mul_f64 v[148:149], v[140:141], v[162:163]
	v_mul_f64 v[150:151], v[138:139], v[162:163]
	s_waitcnt vmcnt(8)
	v_fma_f64 v[152:153], v[1:2], v[166:167], -v[154:155]
	v_fma_f64 v[154:155], v[3:4], v[166:167], v[160:161]
	v_add_f64 v[135:136], v[142:143], v[135:136]
	v_add_f64 v[146:147], v[144:145], v[146:147]
	ds_read_b128 v[1:4], v184 offset:96
	ds_read_b128 v[142:145], v184 offset:112
	v_fma_f64 v[138:139], v[138:139], v[164:165], -v[148:149]
	v_fma_f64 v[140:141], v[140:141], v[164:165], v[150:151]
	s_waitcnt vmcnt(4) lgkmcnt(1)
	v_mul_f64 v[156:157], v[3:4], v[168:169]
	v_mul_f64 v[158:159], v[1:2], v[168:169]
	v_add_f64 v[135:136], v[135:136], v[152:153]
	v_add_f64 v[146:147], v[146:147], v[154:155]
	s_waitcnt vmcnt(2) lgkmcnt(0)
	v_mul_f64 v[148:149], v[144:145], v[170:171]
	v_mul_f64 v[150:151], v[142:143], v[170:171]
	s_waitcnt vmcnt(0)
	v_fma_f64 v[1:2], v[1:2], v[174:175], -v[156:157]
	v_fma_f64 v[3:4], v[3:4], v[174:175], v[158:159]
	v_add_f64 v[135:136], v[135:136], v[138:139]
	v_add_f64 v[138:139], v[146:147], v[140:141]
	v_fma_f64 v[140:141], v[142:143], v[172:173], -v[148:149]
	v_fma_f64 v[142:143], v[144:145], v[172:173], v[150:151]
	v_add_f64 v[1:2], v[135:136], v[1:2]
	v_add_f64 v[3:4], v[138:139], v[3:4]
	v_mov_b32_e32 v135, s75
	s_mov_b32 s75, s76
	v_add_f64 v[1:2], v[1:2], v[140:141]
	v_add_f64 v[3:4], v[3:4], v[142:143]
	s_andn2_b32 exec_lo, exec_lo, s72
	s_cbranch_execnz .LBB126_613
; %bb.614:
	s_or_b32 exec_lo, exec_lo, s72
.LBB126_615:
	s_or_b32 exec_lo, exec_lo, s4
	v_and_b32_e32 v133, 7, v133
	s_mov_b32 s72, 0
	s_mov_b32 s4, exec_lo
	v_cmpx_ne_u32_e32 0, v133
	s_cbranch_execz .LBB126_619
; %bb.616:
	v_lshlrev_b32_e32 v135, 4, v135
	v_add_nc_u32_e32 v134, 0x3f0, v135
	.p2align	6
.LBB126_617:                            ; =>This Inner Loop Header: Depth=1
	s_clause 0x3
	buffer_load_dword v142, v135, s[0:3], 0 offen offset:8
	buffer_load_dword v143, v135, s[0:3], 0 offen offset:12
	buffer_load_dword v144, v135, s[0:3], 0 offen
	buffer_load_dword v145, v135, s[0:3], 0 offen offset:4
	ds_read_b128 v[138:141], v134
	v_add_nc_u32_e32 v133, -1, v133
	v_add_nc_u32_e32 v134, 16, v134
	v_add_nc_u32_e32 v135, 16, v135
	v_cmp_eq_u32_e32 vcc_lo, 0, v133
	s_or_b32 s72, vcc_lo, s72
	s_waitcnt vmcnt(2) lgkmcnt(0)
	v_mul_f64 v[146:147], v[140:141], v[142:143]
	v_mul_f64 v[142:143], v[138:139], v[142:143]
	s_waitcnt vmcnt(0)
	v_fma_f64 v[138:139], v[138:139], v[144:145], -v[146:147]
	v_fma_f64 v[140:141], v[140:141], v[144:145], v[142:143]
	v_add_f64 v[1:2], v[1:2], v[138:139]
	v_add_f64 v[3:4], v[3:4], v[140:141]
	s_andn2_b32 exec_lo, exec_lo, s72
	s_cbranch_execnz .LBB126_617
; %bb.618:
	s_or_b32 exec_lo, exec_lo, s72
.LBB126_619:
	s_or_b32 exec_lo, exec_lo, s4
.LBB126_620:
	s_or_b32 exec_lo, exec_lo, s8
	v_mov_b32_e32 v133, 0
	ds_read_b128 v[133:136], v133 offset:272
	s_waitcnt lgkmcnt(0)
	v_mul_f64 v[138:139], v[3:4], v[135:136]
	v_mul_f64 v[135:136], v[1:2], v[135:136]
	v_fma_f64 v[1:2], v[1:2], v[133:134], -v[138:139]
	v_fma_f64 v[3:4], v[3:4], v[133:134], v[135:136]
	buffer_store_dword v2, off, s[0:3], 0 offset:276
	buffer_store_dword v1, off, s[0:3], 0 offset:272
	;; [unrolled: 1-line block ×4, first 2 shown]
.LBB126_621:
	s_or_b32 exec_lo, exec_lo, s6
	v_mov_b32_e32 v4, s56
	v_cmp_lt_u32_e64 s4, 16, v0
	s_clause 0x3
	buffer_load_dword v1, v4, s[0:3], 0 offen
	buffer_load_dword v2, v4, s[0:3], 0 offen offset:4
	buffer_load_dword v3, v4, s[0:3], 0 offen offset:8
	;; [unrolled: 1-line block ×3, first 2 shown]
	s_waitcnt vmcnt(0)
	ds_write_b128 v132, v[1:4]
	s_waitcnt lgkmcnt(0)
	s_waitcnt_vscnt null, 0x0
	s_barrier
	buffer_gl0_inv
	s_and_saveexec_b32 s6, s4
	s_cbranch_execz .LBB126_635
; %bb.622:
	ds_read_b128 v[1:4], v132
	s_andn2_b32 vcc_lo, exec_lo, s7
	s_cbranch_vccnz .LBB126_624
; %bb.623:
	s_clause 0x3
	buffer_load_dword v133, v131, s[0:3], 0 offen offset:8
	buffer_load_dword v134, v131, s[0:3], 0 offen offset:12
	buffer_load_dword v135, v131, s[0:3], 0 offen
	buffer_load_dword v136, v131, s[0:3], 0 offen offset:4
	s_waitcnt vmcnt(2) lgkmcnt(0)
	v_mul_f64 v[138:139], v[3:4], v[133:134]
	v_mul_f64 v[133:134], v[1:2], v[133:134]
	s_waitcnt vmcnt(0)
	v_fma_f64 v[1:2], v[1:2], v[135:136], -v[138:139]
	v_fma_f64 v[3:4], v[3:4], v[135:136], v[133:134]
.LBB126_624:
	s_and_saveexec_b32 s8, s5
	s_cbranch_execz .LBB126_634
; %bb.625:
	v_subrev_nc_u32_e32 v134, 18, v0
	v_mov_b32_e32 v135, 17
	v_subrev_nc_u32_e32 v133, 17, v0
	s_mov_b32 s5, exec_lo
	v_cmpx_lt_u32_e32 6, v134
	s_cbranch_execz .LBB126_629
; %bb.626:
	v_and_b32_e32 v134, -8, v133
	s_movk_i32 s73, 0x500
	s_mov_b32 s72, 0
	s_mov_b32 s74, s55
	;; [unrolled: 1-line block ×3, first 2 shown]
.LBB126_627:                            ; =>This Inner Loop Header: Depth=1
	v_mov_b32_e32 v138, s74
	v_mov_b32_e32 v184, s73
	s_add_i32 s76, s75, 8
	s_add_i32 s75, s75, 25
	v_cmp_eq_u32_e32 vcc_lo, s76, v134
	s_clause 0x1f
	buffer_load_dword v135, v138, s[0:3], 0 offen offset:8
	buffer_load_dword v136, v138, s[0:3], 0 offen offset:12
	buffer_load_dword v146, v138, s[0:3], 0 offen
	buffer_load_dword v147, v138, s[0:3], 0 offen offset:4
	buffer_load_dword v148, v138, s[0:3], 0 offen offset:24
	;; [unrolled: 1-line block ×29, first 2 shown]
	ds_read_b128 v[138:141], v184
	ds_read_b128 v[142:145], v184 offset:16
	s_addk_i32 s73, 0x80
	s_addk_i32 s74, 0x80
	s_or_b32 s72, vcc_lo, s72
	s_waitcnt vmcnt(30) lgkmcnt(1)
	v_mul_f64 v[176:177], v[140:141], v[135:136]
	v_mul_f64 v[135:136], v[138:139], v[135:136]
	s_waitcnt vmcnt(26) lgkmcnt(0)
	v_mul_f64 v[178:179], v[144:145], v[148:149]
	v_mul_f64 v[180:181], v[142:143], v[148:149]
	v_fma_f64 v[176:177], v[138:139], v[146:147], -v[176:177]
	v_fma_f64 v[135:136], v[140:141], v[146:147], v[135:136]
	ds_read_b128 v[138:141], v184 offset:32
	ds_read_b128 v[146:149], v184 offset:48
	s_waitcnt vmcnt(24)
	v_fma_f64 v[142:143], v[142:143], v[150:151], -v[178:179]
	v_fma_f64 v[144:145], v[144:145], v[150:151], v[180:181]
	s_waitcnt vmcnt(22) lgkmcnt(1)
	v_mul_f64 v[182:183], v[140:141], v[152:153]
	v_mul_f64 v[152:153], v[138:139], v[152:153]
	v_add_f64 v[1:2], v[1:2], v[176:177]
	v_add_f64 v[3:4], v[3:4], v[135:136]
	s_waitcnt vmcnt(18) lgkmcnt(0)
	v_mul_f64 v[135:136], v[148:149], v[156:157]
	v_mul_f64 v[150:151], v[146:147], v[156:157]
	v_fma_f64 v[156:157], v[138:139], v[154:155], -v[182:183]
	v_fma_f64 v[152:153], v[140:141], v[154:155], v[152:153]
	v_add_f64 v[142:143], v[1:2], v[142:143]
	v_add_f64 v[144:145], v[3:4], v[144:145]
	ds_read_b128 v[1:4], v184 offset:64
	ds_read_b128 v[138:141], v184 offset:80
	s_waitcnt vmcnt(16)
	v_fma_f64 v[135:136], v[146:147], v[158:159], -v[135:136]
	v_fma_f64 v[146:147], v[148:149], v[158:159], v[150:151]
	s_waitcnt vmcnt(12) lgkmcnt(1)
	v_mul_f64 v[154:155], v[3:4], v[160:161]
	v_mul_f64 v[160:161], v[1:2], v[160:161]
	v_add_f64 v[142:143], v[142:143], v[156:157]
	v_add_f64 v[144:145], v[144:145], v[152:153]
	s_waitcnt vmcnt(10) lgkmcnt(0)
	v_mul_f64 v[148:149], v[140:141], v[162:163]
	v_mul_f64 v[150:151], v[138:139], v[162:163]
	s_waitcnt vmcnt(8)
	v_fma_f64 v[152:153], v[1:2], v[166:167], -v[154:155]
	v_fma_f64 v[154:155], v[3:4], v[166:167], v[160:161]
	v_add_f64 v[135:136], v[142:143], v[135:136]
	v_add_f64 v[146:147], v[144:145], v[146:147]
	ds_read_b128 v[1:4], v184 offset:96
	ds_read_b128 v[142:145], v184 offset:112
	v_fma_f64 v[138:139], v[138:139], v[164:165], -v[148:149]
	v_fma_f64 v[140:141], v[140:141], v[164:165], v[150:151]
	s_waitcnt vmcnt(4) lgkmcnt(1)
	v_mul_f64 v[156:157], v[3:4], v[168:169]
	v_mul_f64 v[158:159], v[1:2], v[168:169]
	v_add_f64 v[135:136], v[135:136], v[152:153]
	v_add_f64 v[146:147], v[146:147], v[154:155]
	s_waitcnt vmcnt(2) lgkmcnt(0)
	v_mul_f64 v[148:149], v[144:145], v[170:171]
	v_mul_f64 v[150:151], v[142:143], v[170:171]
	s_waitcnt vmcnt(0)
	v_fma_f64 v[1:2], v[1:2], v[174:175], -v[156:157]
	v_fma_f64 v[3:4], v[3:4], v[174:175], v[158:159]
	v_add_f64 v[135:136], v[135:136], v[138:139]
	v_add_f64 v[138:139], v[146:147], v[140:141]
	v_fma_f64 v[140:141], v[142:143], v[172:173], -v[148:149]
	v_fma_f64 v[142:143], v[144:145], v[172:173], v[150:151]
	v_add_f64 v[1:2], v[135:136], v[1:2]
	v_add_f64 v[3:4], v[138:139], v[3:4]
	v_mov_b32_e32 v135, s75
	s_mov_b32 s75, s76
	v_add_f64 v[1:2], v[1:2], v[140:141]
	v_add_f64 v[3:4], v[3:4], v[142:143]
	s_andn2_b32 exec_lo, exec_lo, s72
	s_cbranch_execnz .LBB126_627
; %bb.628:
	s_or_b32 exec_lo, exec_lo, s72
.LBB126_629:
	s_or_b32 exec_lo, exec_lo, s5
	v_and_b32_e32 v133, 7, v133
	s_mov_b32 s72, 0
	s_mov_b32 s5, exec_lo
	v_cmpx_ne_u32_e32 0, v133
	s_cbranch_execz .LBB126_633
; %bb.630:
	v_lshlrev_b32_e32 v135, 4, v135
	v_add_nc_u32_e32 v134, 0x3f0, v135
	.p2align	6
.LBB126_631:                            ; =>This Inner Loop Header: Depth=1
	s_clause 0x3
	buffer_load_dword v142, v135, s[0:3], 0 offen offset:8
	buffer_load_dword v143, v135, s[0:3], 0 offen offset:12
	buffer_load_dword v144, v135, s[0:3], 0 offen
	buffer_load_dword v145, v135, s[0:3], 0 offen offset:4
	ds_read_b128 v[138:141], v134
	v_add_nc_u32_e32 v133, -1, v133
	v_add_nc_u32_e32 v134, 16, v134
	v_add_nc_u32_e32 v135, 16, v135
	v_cmp_eq_u32_e32 vcc_lo, 0, v133
	s_or_b32 s72, vcc_lo, s72
	s_waitcnt vmcnt(2) lgkmcnt(0)
	v_mul_f64 v[146:147], v[140:141], v[142:143]
	v_mul_f64 v[142:143], v[138:139], v[142:143]
	s_waitcnt vmcnt(0)
	v_fma_f64 v[138:139], v[138:139], v[144:145], -v[146:147]
	v_fma_f64 v[140:141], v[140:141], v[144:145], v[142:143]
	v_add_f64 v[1:2], v[1:2], v[138:139]
	v_add_f64 v[3:4], v[3:4], v[140:141]
	s_andn2_b32 exec_lo, exec_lo, s72
	s_cbranch_execnz .LBB126_631
; %bb.632:
	s_or_b32 exec_lo, exec_lo, s72
.LBB126_633:
	s_or_b32 exec_lo, exec_lo, s5
.LBB126_634:
	s_or_b32 exec_lo, exec_lo, s8
	v_mov_b32_e32 v133, 0
	ds_read_b128 v[133:136], v133 offset:256
	s_waitcnt lgkmcnt(0)
	v_mul_f64 v[138:139], v[3:4], v[135:136]
	v_mul_f64 v[135:136], v[1:2], v[135:136]
	v_fma_f64 v[1:2], v[1:2], v[133:134], -v[138:139]
	v_fma_f64 v[3:4], v[3:4], v[133:134], v[135:136]
	buffer_store_dword v2, off, s[0:3], 0 offset:260
	buffer_store_dword v1, off, s[0:3], 0 offset:256
	;; [unrolled: 1-line block ×4, first 2 shown]
.LBB126_635:
	s_or_b32 exec_lo, exec_lo, s6
	v_mov_b32_e32 v4, s57
	v_cmp_lt_u32_e64 s5, 15, v0
	s_clause 0x3
	buffer_load_dword v1, v4, s[0:3], 0 offen
	buffer_load_dword v2, v4, s[0:3], 0 offen offset:4
	buffer_load_dword v3, v4, s[0:3], 0 offen offset:8
	;; [unrolled: 1-line block ×3, first 2 shown]
	s_waitcnt vmcnt(0)
	ds_write_b128 v132, v[1:4]
	s_waitcnt lgkmcnt(0)
	s_waitcnt_vscnt null, 0x0
	s_barrier
	buffer_gl0_inv
	s_and_saveexec_b32 s6, s5
	s_cbranch_execz .LBB126_649
; %bb.636:
	ds_read_b128 v[1:4], v132
	s_andn2_b32 vcc_lo, exec_lo, s7
	s_cbranch_vccnz .LBB126_638
; %bb.637:
	s_clause 0x3
	buffer_load_dword v133, v131, s[0:3], 0 offen offset:8
	buffer_load_dword v134, v131, s[0:3], 0 offen offset:12
	buffer_load_dword v135, v131, s[0:3], 0 offen
	buffer_load_dword v136, v131, s[0:3], 0 offen offset:4
	s_waitcnt vmcnt(2) lgkmcnt(0)
	v_mul_f64 v[138:139], v[3:4], v[133:134]
	v_mul_f64 v[133:134], v[1:2], v[133:134]
	s_waitcnt vmcnt(0)
	v_fma_f64 v[1:2], v[1:2], v[135:136], -v[138:139]
	v_fma_f64 v[3:4], v[3:4], v[135:136], v[133:134]
.LBB126_638:
	s_and_saveexec_b32 s8, s4
	s_cbranch_execz .LBB126_648
; %bb.639:
	v_subrev_nc_u32_e32 v133, 17, v0
	v_cmp_lt_u32_e32 vcc_lo, 6, v133
	v_mov_b32_e32 v133, 16
	s_and_saveexec_b32 s4, vcc_lo
	s_cbranch_execz .LBB126_643
; %bb.640:
	v_and_b32_e32 v133, 56, v0
	s_mov_b32 s72, 16
	s_movk_i32 s74, 0x4f0
	s_mov_b32 s73, 0
	s_mov_b32 s75, s56
.LBB126_641:                            ; =>This Inner Loop Header: Depth=1
	v_mov_b32_e32 v136, s75
	s_add_i32 s72, s72, 8
	s_addk_i32 s75, 0x80
	v_cmp_eq_u32_e32 vcc_lo, s72, v133
	s_clause 0x1f
	buffer_load_dword v134, v136, s[0:3], 0 offen offset:8
	buffer_load_dword v135, v136, s[0:3], 0 offen offset:12
	buffer_load_dword v146, v136, s[0:3], 0 offen
	buffer_load_dword v147, v136, s[0:3], 0 offen offset:4
	buffer_load_dword v148, v136, s[0:3], 0 offen offset:24
	;; [unrolled: 1-line block ×29, first 2 shown]
	v_mov_b32_e32 v136, s74
	s_addk_i32 s74, 0x80
	s_or_b32 s73, vcc_lo, s73
	ds_read_b128 v[138:141], v136
	ds_read_b128 v[142:145], v136 offset:16
	s_waitcnt vmcnt(30) lgkmcnt(1)
	v_mul_f64 v[176:177], v[140:141], v[134:135]
	v_mul_f64 v[134:135], v[138:139], v[134:135]
	s_waitcnt vmcnt(26) lgkmcnt(0)
	v_mul_f64 v[178:179], v[144:145], v[148:149]
	v_mul_f64 v[180:181], v[142:143], v[148:149]
	v_fma_f64 v[176:177], v[138:139], v[146:147], -v[176:177]
	v_fma_f64 v[134:135], v[140:141], v[146:147], v[134:135]
	ds_read_b128 v[138:141], v136 offset:32
	ds_read_b128 v[146:149], v136 offset:48
	s_waitcnt vmcnt(24)
	v_fma_f64 v[142:143], v[142:143], v[150:151], -v[178:179]
	v_fma_f64 v[144:145], v[144:145], v[150:151], v[180:181]
	s_waitcnt vmcnt(22) lgkmcnt(1)
	v_mul_f64 v[182:183], v[140:141], v[152:153]
	v_mul_f64 v[152:153], v[138:139], v[152:153]
	v_add_f64 v[1:2], v[1:2], v[176:177]
	v_add_f64 v[3:4], v[3:4], v[134:135]
	s_waitcnt vmcnt(18) lgkmcnt(0)
	v_mul_f64 v[134:135], v[148:149], v[156:157]
	v_mul_f64 v[150:151], v[146:147], v[156:157]
	v_fma_f64 v[156:157], v[138:139], v[154:155], -v[182:183]
	v_fma_f64 v[152:153], v[140:141], v[154:155], v[152:153]
	v_add_f64 v[142:143], v[1:2], v[142:143]
	v_add_f64 v[144:145], v[3:4], v[144:145]
	ds_read_b128 v[1:4], v136 offset:64
	ds_read_b128 v[138:141], v136 offset:80
	s_waitcnt vmcnt(16)
	v_fma_f64 v[134:135], v[146:147], v[158:159], -v[134:135]
	v_fma_f64 v[146:147], v[148:149], v[158:159], v[150:151]
	s_waitcnt vmcnt(12) lgkmcnt(1)
	v_mul_f64 v[154:155], v[3:4], v[160:161]
	v_mul_f64 v[160:161], v[1:2], v[160:161]
	v_add_f64 v[142:143], v[142:143], v[156:157]
	v_add_f64 v[144:145], v[144:145], v[152:153]
	s_waitcnt vmcnt(10) lgkmcnt(0)
	v_mul_f64 v[148:149], v[140:141], v[162:163]
	v_mul_f64 v[150:151], v[138:139], v[162:163]
	s_waitcnt vmcnt(8)
	v_fma_f64 v[152:153], v[1:2], v[166:167], -v[154:155]
	v_fma_f64 v[154:155], v[3:4], v[166:167], v[160:161]
	v_add_f64 v[134:135], v[142:143], v[134:135]
	v_add_f64 v[146:147], v[144:145], v[146:147]
	ds_read_b128 v[1:4], v136 offset:96
	ds_read_b128 v[142:145], v136 offset:112
	v_fma_f64 v[138:139], v[138:139], v[164:165], -v[148:149]
	v_fma_f64 v[140:141], v[140:141], v[164:165], v[150:151]
	s_waitcnt vmcnt(4) lgkmcnt(1)
	v_mul_f64 v[156:157], v[3:4], v[168:169]
	v_mul_f64 v[158:159], v[1:2], v[168:169]
	v_add_f64 v[134:135], v[134:135], v[152:153]
	v_add_f64 v[146:147], v[146:147], v[154:155]
	s_waitcnt vmcnt(2) lgkmcnt(0)
	v_mul_f64 v[148:149], v[144:145], v[170:171]
	v_mul_f64 v[150:151], v[142:143], v[170:171]
	s_waitcnt vmcnt(0)
	v_fma_f64 v[1:2], v[1:2], v[174:175], -v[156:157]
	v_fma_f64 v[3:4], v[3:4], v[174:175], v[158:159]
	v_add_f64 v[134:135], v[134:135], v[138:139]
	v_add_f64 v[138:139], v[146:147], v[140:141]
	v_fma_f64 v[140:141], v[142:143], v[172:173], -v[148:149]
	v_fma_f64 v[142:143], v[144:145], v[172:173], v[150:151]
	v_add_f64 v[1:2], v[134:135], v[1:2]
	v_add_f64 v[3:4], v[138:139], v[3:4]
	v_add_f64 v[1:2], v[1:2], v[140:141]
	v_add_f64 v[3:4], v[3:4], v[142:143]
	s_andn2_b32 exec_lo, exec_lo, s73
	s_cbranch_execnz .LBB126_641
; %bb.642:
	s_or_b32 exec_lo, exec_lo, s73
.LBB126_643:
	s_or_b32 exec_lo, exec_lo, s4
	v_and_b32_e32 v134, 7, v0
	s_mov_b32 s72, 0
	s_mov_b32 s4, exec_lo
	v_cmpx_ne_u32_e32 0, v134
	s_cbranch_execz .LBB126_647
; %bb.644:
	v_lshlrev_b32_e32 v135, 4, v133
	v_add_nc_u32_e32 v133, 0x3f0, v135
	.p2align	6
.LBB126_645:                            ; =>This Inner Loop Header: Depth=1
	s_clause 0x3
	buffer_load_dword v142, v135, s[0:3], 0 offen offset:8
	buffer_load_dword v143, v135, s[0:3], 0 offen offset:12
	buffer_load_dword v144, v135, s[0:3], 0 offen
	buffer_load_dword v145, v135, s[0:3], 0 offen offset:4
	ds_read_b128 v[138:141], v133
	v_add_nc_u32_e32 v134, -1, v134
	v_add_nc_u32_e32 v133, 16, v133
	v_add_nc_u32_e32 v135, 16, v135
	v_cmp_eq_u32_e32 vcc_lo, 0, v134
	s_or_b32 s72, vcc_lo, s72
	s_waitcnt vmcnt(2) lgkmcnt(0)
	v_mul_f64 v[146:147], v[140:141], v[142:143]
	v_mul_f64 v[142:143], v[138:139], v[142:143]
	s_waitcnt vmcnt(0)
	v_fma_f64 v[138:139], v[138:139], v[144:145], -v[146:147]
	v_fma_f64 v[140:141], v[140:141], v[144:145], v[142:143]
	v_add_f64 v[1:2], v[1:2], v[138:139]
	v_add_f64 v[3:4], v[3:4], v[140:141]
	s_andn2_b32 exec_lo, exec_lo, s72
	s_cbranch_execnz .LBB126_645
; %bb.646:
	s_or_b32 exec_lo, exec_lo, s72
.LBB126_647:
	s_or_b32 exec_lo, exec_lo, s4
.LBB126_648:
	s_or_b32 exec_lo, exec_lo, s8
	v_mov_b32_e32 v133, 0
	ds_read_b128 v[133:136], v133 offset:240
	s_waitcnt lgkmcnt(0)
	v_mul_f64 v[138:139], v[3:4], v[135:136]
	v_mul_f64 v[135:136], v[1:2], v[135:136]
	v_fma_f64 v[1:2], v[1:2], v[133:134], -v[138:139]
	v_fma_f64 v[3:4], v[3:4], v[133:134], v[135:136]
	buffer_store_dword v2, off, s[0:3], 0 offset:244
	buffer_store_dword v1, off, s[0:3], 0 offset:240
	;; [unrolled: 1-line block ×4, first 2 shown]
.LBB126_649:
	s_or_b32 exec_lo, exec_lo, s6
	v_mov_b32_e32 v4, s58
	v_cmp_lt_u32_e64 s4, 14, v0
	s_clause 0x3
	buffer_load_dword v1, v4, s[0:3], 0 offen
	buffer_load_dword v2, v4, s[0:3], 0 offen offset:4
	buffer_load_dword v3, v4, s[0:3], 0 offen offset:8
	;; [unrolled: 1-line block ×3, first 2 shown]
	s_waitcnt vmcnt(0)
	ds_write_b128 v132, v[1:4]
	s_waitcnt lgkmcnt(0)
	s_waitcnt_vscnt null, 0x0
	s_barrier
	buffer_gl0_inv
	s_and_saveexec_b32 s6, s4
	s_cbranch_execz .LBB126_663
; %bb.650:
	ds_read_b128 v[1:4], v132
	s_andn2_b32 vcc_lo, exec_lo, s7
	s_cbranch_vccnz .LBB126_652
; %bb.651:
	s_clause 0x3
	buffer_load_dword v133, v131, s[0:3], 0 offen offset:8
	buffer_load_dword v134, v131, s[0:3], 0 offen offset:12
	buffer_load_dword v135, v131, s[0:3], 0 offen
	buffer_load_dword v136, v131, s[0:3], 0 offen offset:4
	s_waitcnt vmcnt(2) lgkmcnt(0)
	v_mul_f64 v[138:139], v[3:4], v[133:134]
	v_mul_f64 v[133:134], v[1:2], v[133:134]
	s_waitcnt vmcnt(0)
	v_fma_f64 v[1:2], v[1:2], v[135:136], -v[138:139]
	v_fma_f64 v[3:4], v[3:4], v[135:136], v[133:134]
.LBB126_652:
	s_and_saveexec_b32 s8, s5
	s_cbranch_execz .LBB126_662
; %bb.653:
	v_add_nc_u32_e32 v134, -16, v0
	v_add_nc_u32_e32 v133, -15, v0
	v_mov_b32_e32 v135, 15
	s_mov_b32 s5, exec_lo
	v_cmpx_lt_u32_e32 6, v134
	s_cbranch_execz .LBB126_657
; %bb.654:
	v_and_b32_e32 v134, -8, v133
	s_movk_i32 s73, 0x4e0
	s_mov_b32 s72, 0
	s_mov_b32 s74, s57
	;; [unrolled: 1-line block ×3, first 2 shown]
.LBB126_655:                            ; =>This Inner Loop Header: Depth=1
	v_mov_b32_e32 v138, s74
	v_mov_b32_e32 v184, s73
	s_add_i32 s76, s75, 8
	s_add_i32 s75, s75, 23
	v_cmp_eq_u32_e32 vcc_lo, s76, v134
	s_clause 0x1f
	buffer_load_dword v135, v138, s[0:3], 0 offen offset:8
	buffer_load_dword v136, v138, s[0:3], 0 offen offset:12
	buffer_load_dword v146, v138, s[0:3], 0 offen
	buffer_load_dword v147, v138, s[0:3], 0 offen offset:4
	buffer_load_dword v148, v138, s[0:3], 0 offen offset:24
	;; [unrolled: 1-line block ×29, first 2 shown]
	ds_read_b128 v[138:141], v184
	ds_read_b128 v[142:145], v184 offset:16
	s_addk_i32 s73, 0x80
	s_addk_i32 s74, 0x80
	s_or_b32 s72, vcc_lo, s72
	s_waitcnt vmcnt(30) lgkmcnt(1)
	v_mul_f64 v[176:177], v[140:141], v[135:136]
	v_mul_f64 v[135:136], v[138:139], v[135:136]
	s_waitcnt vmcnt(26) lgkmcnt(0)
	v_mul_f64 v[178:179], v[144:145], v[148:149]
	v_mul_f64 v[180:181], v[142:143], v[148:149]
	v_fma_f64 v[176:177], v[138:139], v[146:147], -v[176:177]
	v_fma_f64 v[135:136], v[140:141], v[146:147], v[135:136]
	ds_read_b128 v[138:141], v184 offset:32
	ds_read_b128 v[146:149], v184 offset:48
	s_waitcnt vmcnt(24)
	v_fma_f64 v[142:143], v[142:143], v[150:151], -v[178:179]
	v_fma_f64 v[144:145], v[144:145], v[150:151], v[180:181]
	s_waitcnt vmcnt(22) lgkmcnt(1)
	v_mul_f64 v[182:183], v[140:141], v[152:153]
	v_mul_f64 v[152:153], v[138:139], v[152:153]
	v_add_f64 v[1:2], v[1:2], v[176:177]
	v_add_f64 v[3:4], v[3:4], v[135:136]
	s_waitcnt vmcnt(18) lgkmcnt(0)
	v_mul_f64 v[135:136], v[148:149], v[156:157]
	v_mul_f64 v[150:151], v[146:147], v[156:157]
	v_fma_f64 v[156:157], v[138:139], v[154:155], -v[182:183]
	v_fma_f64 v[152:153], v[140:141], v[154:155], v[152:153]
	v_add_f64 v[142:143], v[1:2], v[142:143]
	v_add_f64 v[144:145], v[3:4], v[144:145]
	ds_read_b128 v[1:4], v184 offset:64
	ds_read_b128 v[138:141], v184 offset:80
	s_waitcnt vmcnt(16)
	v_fma_f64 v[135:136], v[146:147], v[158:159], -v[135:136]
	v_fma_f64 v[146:147], v[148:149], v[158:159], v[150:151]
	s_waitcnt vmcnt(12) lgkmcnt(1)
	v_mul_f64 v[154:155], v[3:4], v[160:161]
	v_mul_f64 v[160:161], v[1:2], v[160:161]
	v_add_f64 v[142:143], v[142:143], v[156:157]
	v_add_f64 v[144:145], v[144:145], v[152:153]
	s_waitcnt vmcnt(10) lgkmcnt(0)
	v_mul_f64 v[148:149], v[140:141], v[162:163]
	v_mul_f64 v[150:151], v[138:139], v[162:163]
	s_waitcnt vmcnt(8)
	v_fma_f64 v[152:153], v[1:2], v[166:167], -v[154:155]
	v_fma_f64 v[154:155], v[3:4], v[166:167], v[160:161]
	v_add_f64 v[135:136], v[142:143], v[135:136]
	v_add_f64 v[146:147], v[144:145], v[146:147]
	ds_read_b128 v[1:4], v184 offset:96
	ds_read_b128 v[142:145], v184 offset:112
	v_fma_f64 v[138:139], v[138:139], v[164:165], -v[148:149]
	v_fma_f64 v[140:141], v[140:141], v[164:165], v[150:151]
	s_waitcnt vmcnt(4) lgkmcnt(1)
	v_mul_f64 v[156:157], v[3:4], v[168:169]
	v_mul_f64 v[158:159], v[1:2], v[168:169]
	v_add_f64 v[135:136], v[135:136], v[152:153]
	v_add_f64 v[146:147], v[146:147], v[154:155]
	s_waitcnt vmcnt(2) lgkmcnt(0)
	v_mul_f64 v[148:149], v[144:145], v[170:171]
	v_mul_f64 v[150:151], v[142:143], v[170:171]
	s_waitcnt vmcnt(0)
	v_fma_f64 v[1:2], v[1:2], v[174:175], -v[156:157]
	v_fma_f64 v[3:4], v[3:4], v[174:175], v[158:159]
	v_add_f64 v[135:136], v[135:136], v[138:139]
	v_add_f64 v[138:139], v[146:147], v[140:141]
	v_fma_f64 v[140:141], v[142:143], v[172:173], -v[148:149]
	v_fma_f64 v[142:143], v[144:145], v[172:173], v[150:151]
	v_add_f64 v[1:2], v[135:136], v[1:2]
	v_add_f64 v[3:4], v[138:139], v[3:4]
	v_mov_b32_e32 v135, s75
	s_mov_b32 s75, s76
	v_add_f64 v[1:2], v[1:2], v[140:141]
	v_add_f64 v[3:4], v[3:4], v[142:143]
	s_andn2_b32 exec_lo, exec_lo, s72
	s_cbranch_execnz .LBB126_655
; %bb.656:
	s_or_b32 exec_lo, exec_lo, s72
.LBB126_657:
	s_or_b32 exec_lo, exec_lo, s5
	v_and_b32_e32 v133, 7, v133
	s_mov_b32 s72, 0
	s_mov_b32 s5, exec_lo
	v_cmpx_ne_u32_e32 0, v133
	s_cbranch_execz .LBB126_661
; %bb.658:
	v_lshlrev_b32_e32 v135, 4, v135
	v_add_nc_u32_e32 v134, 0x3f0, v135
	.p2align	6
.LBB126_659:                            ; =>This Inner Loop Header: Depth=1
	s_clause 0x3
	buffer_load_dword v142, v135, s[0:3], 0 offen offset:8
	buffer_load_dword v143, v135, s[0:3], 0 offen offset:12
	buffer_load_dword v144, v135, s[0:3], 0 offen
	buffer_load_dword v145, v135, s[0:3], 0 offen offset:4
	ds_read_b128 v[138:141], v134
	v_add_nc_u32_e32 v133, -1, v133
	v_add_nc_u32_e32 v134, 16, v134
	v_add_nc_u32_e32 v135, 16, v135
	v_cmp_eq_u32_e32 vcc_lo, 0, v133
	s_or_b32 s72, vcc_lo, s72
	s_waitcnt vmcnt(2) lgkmcnt(0)
	v_mul_f64 v[146:147], v[140:141], v[142:143]
	v_mul_f64 v[142:143], v[138:139], v[142:143]
	s_waitcnt vmcnt(0)
	v_fma_f64 v[138:139], v[138:139], v[144:145], -v[146:147]
	v_fma_f64 v[140:141], v[140:141], v[144:145], v[142:143]
	v_add_f64 v[1:2], v[1:2], v[138:139]
	v_add_f64 v[3:4], v[3:4], v[140:141]
	s_andn2_b32 exec_lo, exec_lo, s72
	s_cbranch_execnz .LBB126_659
; %bb.660:
	s_or_b32 exec_lo, exec_lo, s72
.LBB126_661:
	s_or_b32 exec_lo, exec_lo, s5
.LBB126_662:
	s_or_b32 exec_lo, exec_lo, s8
	v_mov_b32_e32 v133, 0
	ds_read_b128 v[133:136], v133 offset:224
	s_waitcnt lgkmcnt(0)
	v_mul_f64 v[138:139], v[3:4], v[135:136]
	v_mul_f64 v[135:136], v[1:2], v[135:136]
	v_fma_f64 v[1:2], v[1:2], v[133:134], -v[138:139]
	v_fma_f64 v[3:4], v[3:4], v[133:134], v[135:136]
	buffer_store_dword v2, off, s[0:3], 0 offset:228
	buffer_store_dword v1, off, s[0:3], 0 offset:224
	;; [unrolled: 1-line block ×4, first 2 shown]
.LBB126_663:
	s_or_b32 exec_lo, exec_lo, s6
	v_mov_b32_e32 v4, s59
	v_cmp_lt_u32_e64 s5, 13, v0
	s_clause 0x3
	buffer_load_dword v1, v4, s[0:3], 0 offen
	buffer_load_dword v2, v4, s[0:3], 0 offen offset:4
	buffer_load_dword v3, v4, s[0:3], 0 offen offset:8
	;; [unrolled: 1-line block ×3, first 2 shown]
	s_waitcnt vmcnt(0)
	ds_write_b128 v132, v[1:4]
	s_waitcnt lgkmcnt(0)
	s_waitcnt_vscnt null, 0x0
	s_barrier
	buffer_gl0_inv
	s_and_saveexec_b32 s6, s5
	s_cbranch_execz .LBB126_677
; %bb.664:
	ds_read_b128 v[1:4], v132
	s_andn2_b32 vcc_lo, exec_lo, s7
	s_cbranch_vccnz .LBB126_666
; %bb.665:
	s_clause 0x3
	buffer_load_dword v133, v131, s[0:3], 0 offen offset:8
	buffer_load_dword v134, v131, s[0:3], 0 offen offset:12
	buffer_load_dword v135, v131, s[0:3], 0 offen
	buffer_load_dword v136, v131, s[0:3], 0 offen offset:4
	s_waitcnt vmcnt(2) lgkmcnt(0)
	v_mul_f64 v[138:139], v[3:4], v[133:134]
	v_mul_f64 v[133:134], v[1:2], v[133:134]
	s_waitcnt vmcnt(0)
	v_fma_f64 v[1:2], v[1:2], v[135:136], -v[138:139]
	v_fma_f64 v[3:4], v[3:4], v[135:136], v[133:134]
.LBB126_666:
	s_and_saveexec_b32 s8, s4
	s_cbranch_execz .LBB126_676
; %bb.667:
	v_add_nc_u32_e32 v134, -15, v0
	v_add_nc_u32_e32 v133, -14, v0
	v_mov_b32_e32 v135, 14
	s_mov_b32 s4, exec_lo
	v_cmpx_lt_u32_e32 6, v134
	s_cbranch_execz .LBB126_671
; %bb.668:
	v_and_b32_e32 v134, -8, v133
	s_movk_i32 s73, 0x4d0
	s_mov_b32 s72, 0
	s_mov_b32 s74, s58
	;; [unrolled: 1-line block ×3, first 2 shown]
.LBB126_669:                            ; =>This Inner Loop Header: Depth=1
	v_mov_b32_e32 v138, s74
	v_mov_b32_e32 v184, s73
	s_add_i32 s76, s75, 8
	s_add_i32 s75, s75, 22
	v_cmp_eq_u32_e32 vcc_lo, s76, v134
	s_clause 0x1f
	buffer_load_dword v135, v138, s[0:3], 0 offen offset:8
	buffer_load_dword v136, v138, s[0:3], 0 offen offset:12
	buffer_load_dword v146, v138, s[0:3], 0 offen
	buffer_load_dword v147, v138, s[0:3], 0 offen offset:4
	buffer_load_dword v148, v138, s[0:3], 0 offen offset:24
	;; [unrolled: 1-line block ×29, first 2 shown]
	ds_read_b128 v[138:141], v184
	ds_read_b128 v[142:145], v184 offset:16
	s_addk_i32 s73, 0x80
	s_addk_i32 s74, 0x80
	s_or_b32 s72, vcc_lo, s72
	s_waitcnt vmcnt(30) lgkmcnt(1)
	v_mul_f64 v[176:177], v[140:141], v[135:136]
	v_mul_f64 v[135:136], v[138:139], v[135:136]
	s_waitcnt vmcnt(26) lgkmcnt(0)
	v_mul_f64 v[178:179], v[144:145], v[148:149]
	v_mul_f64 v[180:181], v[142:143], v[148:149]
	v_fma_f64 v[176:177], v[138:139], v[146:147], -v[176:177]
	v_fma_f64 v[135:136], v[140:141], v[146:147], v[135:136]
	ds_read_b128 v[138:141], v184 offset:32
	ds_read_b128 v[146:149], v184 offset:48
	s_waitcnt vmcnt(24)
	v_fma_f64 v[142:143], v[142:143], v[150:151], -v[178:179]
	v_fma_f64 v[144:145], v[144:145], v[150:151], v[180:181]
	s_waitcnt vmcnt(22) lgkmcnt(1)
	v_mul_f64 v[182:183], v[140:141], v[152:153]
	v_mul_f64 v[152:153], v[138:139], v[152:153]
	v_add_f64 v[1:2], v[1:2], v[176:177]
	v_add_f64 v[3:4], v[3:4], v[135:136]
	s_waitcnt vmcnt(18) lgkmcnt(0)
	v_mul_f64 v[135:136], v[148:149], v[156:157]
	v_mul_f64 v[150:151], v[146:147], v[156:157]
	v_fma_f64 v[156:157], v[138:139], v[154:155], -v[182:183]
	v_fma_f64 v[152:153], v[140:141], v[154:155], v[152:153]
	v_add_f64 v[142:143], v[1:2], v[142:143]
	v_add_f64 v[144:145], v[3:4], v[144:145]
	ds_read_b128 v[1:4], v184 offset:64
	ds_read_b128 v[138:141], v184 offset:80
	s_waitcnt vmcnt(16)
	v_fma_f64 v[135:136], v[146:147], v[158:159], -v[135:136]
	v_fma_f64 v[146:147], v[148:149], v[158:159], v[150:151]
	s_waitcnt vmcnt(12) lgkmcnt(1)
	v_mul_f64 v[154:155], v[3:4], v[160:161]
	v_mul_f64 v[160:161], v[1:2], v[160:161]
	v_add_f64 v[142:143], v[142:143], v[156:157]
	v_add_f64 v[144:145], v[144:145], v[152:153]
	s_waitcnt vmcnt(10) lgkmcnt(0)
	v_mul_f64 v[148:149], v[140:141], v[162:163]
	v_mul_f64 v[150:151], v[138:139], v[162:163]
	s_waitcnt vmcnt(8)
	v_fma_f64 v[152:153], v[1:2], v[166:167], -v[154:155]
	v_fma_f64 v[154:155], v[3:4], v[166:167], v[160:161]
	v_add_f64 v[135:136], v[142:143], v[135:136]
	v_add_f64 v[146:147], v[144:145], v[146:147]
	ds_read_b128 v[1:4], v184 offset:96
	ds_read_b128 v[142:145], v184 offset:112
	v_fma_f64 v[138:139], v[138:139], v[164:165], -v[148:149]
	v_fma_f64 v[140:141], v[140:141], v[164:165], v[150:151]
	s_waitcnt vmcnt(4) lgkmcnt(1)
	v_mul_f64 v[156:157], v[3:4], v[168:169]
	v_mul_f64 v[158:159], v[1:2], v[168:169]
	v_add_f64 v[135:136], v[135:136], v[152:153]
	v_add_f64 v[146:147], v[146:147], v[154:155]
	s_waitcnt vmcnt(2) lgkmcnt(0)
	v_mul_f64 v[148:149], v[144:145], v[170:171]
	v_mul_f64 v[150:151], v[142:143], v[170:171]
	s_waitcnt vmcnt(0)
	v_fma_f64 v[1:2], v[1:2], v[174:175], -v[156:157]
	v_fma_f64 v[3:4], v[3:4], v[174:175], v[158:159]
	v_add_f64 v[135:136], v[135:136], v[138:139]
	v_add_f64 v[138:139], v[146:147], v[140:141]
	v_fma_f64 v[140:141], v[142:143], v[172:173], -v[148:149]
	v_fma_f64 v[142:143], v[144:145], v[172:173], v[150:151]
	v_add_f64 v[1:2], v[135:136], v[1:2]
	v_add_f64 v[3:4], v[138:139], v[3:4]
	v_mov_b32_e32 v135, s75
	s_mov_b32 s75, s76
	v_add_f64 v[1:2], v[1:2], v[140:141]
	v_add_f64 v[3:4], v[3:4], v[142:143]
	s_andn2_b32 exec_lo, exec_lo, s72
	s_cbranch_execnz .LBB126_669
; %bb.670:
	s_or_b32 exec_lo, exec_lo, s72
.LBB126_671:
	s_or_b32 exec_lo, exec_lo, s4
	v_and_b32_e32 v133, 7, v133
	s_mov_b32 s72, 0
	s_mov_b32 s4, exec_lo
	v_cmpx_ne_u32_e32 0, v133
	s_cbranch_execz .LBB126_675
; %bb.672:
	v_lshlrev_b32_e32 v135, 4, v135
	v_add_nc_u32_e32 v134, 0x3f0, v135
	.p2align	6
.LBB126_673:                            ; =>This Inner Loop Header: Depth=1
	s_clause 0x3
	buffer_load_dword v142, v135, s[0:3], 0 offen offset:8
	buffer_load_dword v143, v135, s[0:3], 0 offen offset:12
	buffer_load_dword v144, v135, s[0:3], 0 offen
	buffer_load_dword v145, v135, s[0:3], 0 offen offset:4
	ds_read_b128 v[138:141], v134
	v_add_nc_u32_e32 v133, -1, v133
	v_add_nc_u32_e32 v134, 16, v134
	v_add_nc_u32_e32 v135, 16, v135
	v_cmp_eq_u32_e32 vcc_lo, 0, v133
	s_or_b32 s72, vcc_lo, s72
	s_waitcnt vmcnt(2) lgkmcnt(0)
	v_mul_f64 v[146:147], v[140:141], v[142:143]
	v_mul_f64 v[142:143], v[138:139], v[142:143]
	s_waitcnt vmcnt(0)
	v_fma_f64 v[138:139], v[138:139], v[144:145], -v[146:147]
	v_fma_f64 v[140:141], v[140:141], v[144:145], v[142:143]
	v_add_f64 v[1:2], v[1:2], v[138:139]
	v_add_f64 v[3:4], v[3:4], v[140:141]
	s_andn2_b32 exec_lo, exec_lo, s72
	s_cbranch_execnz .LBB126_673
; %bb.674:
	s_or_b32 exec_lo, exec_lo, s72
.LBB126_675:
	s_or_b32 exec_lo, exec_lo, s4
.LBB126_676:
	s_or_b32 exec_lo, exec_lo, s8
	v_mov_b32_e32 v133, 0
	ds_read_b128 v[133:136], v133 offset:208
	s_waitcnt lgkmcnt(0)
	v_mul_f64 v[138:139], v[3:4], v[135:136]
	v_mul_f64 v[135:136], v[1:2], v[135:136]
	v_fma_f64 v[1:2], v[1:2], v[133:134], -v[138:139]
	v_fma_f64 v[3:4], v[3:4], v[133:134], v[135:136]
	buffer_store_dword v2, off, s[0:3], 0 offset:212
	buffer_store_dword v1, off, s[0:3], 0 offset:208
	;; [unrolled: 1-line block ×4, first 2 shown]
.LBB126_677:
	s_or_b32 exec_lo, exec_lo, s6
	v_mov_b32_e32 v4, s60
	v_cmp_lt_u32_e64 s4, 12, v0
	s_clause 0x3
	buffer_load_dword v1, v4, s[0:3], 0 offen
	buffer_load_dword v2, v4, s[0:3], 0 offen offset:4
	buffer_load_dword v3, v4, s[0:3], 0 offen offset:8
	;; [unrolled: 1-line block ×3, first 2 shown]
	s_waitcnt vmcnt(0)
	ds_write_b128 v132, v[1:4]
	s_waitcnt lgkmcnt(0)
	s_waitcnt_vscnt null, 0x0
	s_barrier
	buffer_gl0_inv
	s_and_saveexec_b32 s6, s4
	s_cbranch_execz .LBB126_691
; %bb.678:
	ds_read_b128 v[1:4], v132
	s_andn2_b32 vcc_lo, exec_lo, s7
	s_cbranch_vccnz .LBB126_680
; %bb.679:
	s_clause 0x3
	buffer_load_dword v133, v131, s[0:3], 0 offen offset:8
	buffer_load_dword v134, v131, s[0:3], 0 offen offset:12
	buffer_load_dword v135, v131, s[0:3], 0 offen
	buffer_load_dword v136, v131, s[0:3], 0 offen offset:4
	s_waitcnt vmcnt(2) lgkmcnt(0)
	v_mul_f64 v[138:139], v[3:4], v[133:134]
	v_mul_f64 v[133:134], v[1:2], v[133:134]
	s_waitcnt vmcnt(0)
	v_fma_f64 v[1:2], v[1:2], v[135:136], -v[138:139]
	v_fma_f64 v[3:4], v[3:4], v[135:136], v[133:134]
.LBB126_680:
	s_and_saveexec_b32 s8, s5
	s_cbranch_execz .LBB126_690
; %bb.681:
	v_add_nc_u32_e32 v134, -14, v0
	v_add_nc_u32_e32 v133, -13, v0
	v_mov_b32_e32 v135, 13
	s_mov_b32 s5, exec_lo
	v_cmpx_lt_u32_e32 6, v134
	s_cbranch_execz .LBB126_685
; %bb.682:
	v_and_b32_e32 v134, -8, v133
	s_movk_i32 s73, 0x4c0
	s_mov_b32 s72, 0
	s_mov_b32 s74, s59
	;; [unrolled: 1-line block ×3, first 2 shown]
.LBB126_683:                            ; =>This Inner Loop Header: Depth=1
	v_mov_b32_e32 v138, s74
	v_mov_b32_e32 v184, s73
	s_add_i32 s76, s75, 8
	s_add_i32 s75, s75, 21
	v_cmp_eq_u32_e32 vcc_lo, s76, v134
	s_clause 0x1f
	buffer_load_dword v135, v138, s[0:3], 0 offen offset:8
	buffer_load_dword v136, v138, s[0:3], 0 offen offset:12
	buffer_load_dword v146, v138, s[0:3], 0 offen
	buffer_load_dword v147, v138, s[0:3], 0 offen offset:4
	buffer_load_dword v148, v138, s[0:3], 0 offen offset:24
	;; [unrolled: 1-line block ×29, first 2 shown]
	ds_read_b128 v[138:141], v184
	ds_read_b128 v[142:145], v184 offset:16
	s_addk_i32 s73, 0x80
	s_addk_i32 s74, 0x80
	s_or_b32 s72, vcc_lo, s72
	s_waitcnt vmcnt(30) lgkmcnt(1)
	v_mul_f64 v[176:177], v[140:141], v[135:136]
	v_mul_f64 v[135:136], v[138:139], v[135:136]
	s_waitcnt vmcnt(26) lgkmcnt(0)
	v_mul_f64 v[178:179], v[144:145], v[148:149]
	v_mul_f64 v[180:181], v[142:143], v[148:149]
	v_fma_f64 v[176:177], v[138:139], v[146:147], -v[176:177]
	v_fma_f64 v[135:136], v[140:141], v[146:147], v[135:136]
	ds_read_b128 v[138:141], v184 offset:32
	ds_read_b128 v[146:149], v184 offset:48
	s_waitcnt vmcnt(24)
	v_fma_f64 v[142:143], v[142:143], v[150:151], -v[178:179]
	v_fma_f64 v[144:145], v[144:145], v[150:151], v[180:181]
	s_waitcnt vmcnt(22) lgkmcnt(1)
	v_mul_f64 v[182:183], v[140:141], v[152:153]
	v_mul_f64 v[152:153], v[138:139], v[152:153]
	v_add_f64 v[1:2], v[1:2], v[176:177]
	v_add_f64 v[3:4], v[3:4], v[135:136]
	s_waitcnt vmcnt(18) lgkmcnt(0)
	v_mul_f64 v[135:136], v[148:149], v[156:157]
	v_mul_f64 v[150:151], v[146:147], v[156:157]
	v_fma_f64 v[156:157], v[138:139], v[154:155], -v[182:183]
	v_fma_f64 v[152:153], v[140:141], v[154:155], v[152:153]
	v_add_f64 v[142:143], v[1:2], v[142:143]
	v_add_f64 v[144:145], v[3:4], v[144:145]
	ds_read_b128 v[1:4], v184 offset:64
	ds_read_b128 v[138:141], v184 offset:80
	s_waitcnt vmcnt(16)
	v_fma_f64 v[135:136], v[146:147], v[158:159], -v[135:136]
	v_fma_f64 v[146:147], v[148:149], v[158:159], v[150:151]
	s_waitcnt vmcnt(12) lgkmcnt(1)
	v_mul_f64 v[154:155], v[3:4], v[160:161]
	v_mul_f64 v[160:161], v[1:2], v[160:161]
	v_add_f64 v[142:143], v[142:143], v[156:157]
	v_add_f64 v[144:145], v[144:145], v[152:153]
	s_waitcnt vmcnt(10) lgkmcnt(0)
	v_mul_f64 v[148:149], v[140:141], v[162:163]
	v_mul_f64 v[150:151], v[138:139], v[162:163]
	s_waitcnt vmcnt(8)
	v_fma_f64 v[152:153], v[1:2], v[166:167], -v[154:155]
	v_fma_f64 v[154:155], v[3:4], v[166:167], v[160:161]
	v_add_f64 v[135:136], v[142:143], v[135:136]
	v_add_f64 v[146:147], v[144:145], v[146:147]
	ds_read_b128 v[1:4], v184 offset:96
	ds_read_b128 v[142:145], v184 offset:112
	v_fma_f64 v[138:139], v[138:139], v[164:165], -v[148:149]
	v_fma_f64 v[140:141], v[140:141], v[164:165], v[150:151]
	s_waitcnt vmcnt(4) lgkmcnt(1)
	v_mul_f64 v[156:157], v[3:4], v[168:169]
	v_mul_f64 v[158:159], v[1:2], v[168:169]
	v_add_f64 v[135:136], v[135:136], v[152:153]
	v_add_f64 v[146:147], v[146:147], v[154:155]
	s_waitcnt vmcnt(2) lgkmcnt(0)
	v_mul_f64 v[148:149], v[144:145], v[170:171]
	v_mul_f64 v[150:151], v[142:143], v[170:171]
	s_waitcnt vmcnt(0)
	v_fma_f64 v[1:2], v[1:2], v[174:175], -v[156:157]
	v_fma_f64 v[3:4], v[3:4], v[174:175], v[158:159]
	v_add_f64 v[135:136], v[135:136], v[138:139]
	v_add_f64 v[138:139], v[146:147], v[140:141]
	v_fma_f64 v[140:141], v[142:143], v[172:173], -v[148:149]
	v_fma_f64 v[142:143], v[144:145], v[172:173], v[150:151]
	v_add_f64 v[1:2], v[135:136], v[1:2]
	v_add_f64 v[3:4], v[138:139], v[3:4]
	v_mov_b32_e32 v135, s75
	s_mov_b32 s75, s76
	v_add_f64 v[1:2], v[1:2], v[140:141]
	v_add_f64 v[3:4], v[3:4], v[142:143]
	s_andn2_b32 exec_lo, exec_lo, s72
	s_cbranch_execnz .LBB126_683
; %bb.684:
	s_or_b32 exec_lo, exec_lo, s72
.LBB126_685:
	s_or_b32 exec_lo, exec_lo, s5
	v_and_b32_e32 v133, 7, v133
	s_mov_b32 s72, 0
	s_mov_b32 s5, exec_lo
	v_cmpx_ne_u32_e32 0, v133
	s_cbranch_execz .LBB126_689
; %bb.686:
	v_lshlrev_b32_e32 v135, 4, v135
	v_add_nc_u32_e32 v134, 0x3f0, v135
	.p2align	6
.LBB126_687:                            ; =>This Inner Loop Header: Depth=1
	s_clause 0x3
	buffer_load_dword v142, v135, s[0:3], 0 offen offset:8
	buffer_load_dword v143, v135, s[0:3], 0 offen offset:12
	buffer_load_dword v144, v135, s[0:3], 0 offen
	buffer_load_dword v145, v135, s[0:3], 0 offen offset:4
	ds_read_b128 v[138:141], v134
	v_add_nc_u32_e32 v133, -1, v133
	v_add_nc_u32_e32 v134, 16, v134
	v_add_nc_u32_e32 v135, 16, v135
	v_cmp_eq_u32_e32 vcc_lo, 0, v133
	s_or_b32 s72, vcc_lo, s72
	s_waitcnt vmcnt(2) lgkmcnt(0)
	v_mul_f64 v[146:147], v[140:141], v[142:143]
	v_mul_f64 v[142:143], v[138:139], v[142:143]
	s_waitcnt vmcnt(0)
	v_fma_f64 v[138:139], v[138:139], v[144:145], -v[146:147]
	v_fma_f64 v[140:141], v[140:141], v[144:145], v[142:143]
	v_add_f64 v[1:2], v[1:2], v[138:139]
	v_add_f64 v[3:4], v[3:4], v[140:141]
	s_andn2_b32 exec_lo, exec_lo, s72
	s_cbranch_execnz .LBB126_687
; %bb.688:
	s_or_b32 exec_lo, exec_lo, s72
.LBB126_689:
	s_or_b32 exec_lo, exec_lo, s5
.LBB126_690:
	s_or_b32 exec_lo, exec_lo, s8
	v_mov_b32_e32 v133, 0
	ds_read_b128 v[133:136], v133 offset:192
	s_waitcnt lgkmcnt(0)
	v_mul_f64 v[138:139], v[3:4], v[135:136]
	v_mul_f64 v[135:136], v[1:2], v[135:136]
	v_fma_f64 v[1:2], v[1:2], v[133:134], -v[138:139]
	v_fma_f64 v[3:4], v[3:4], v[133:134], v[135:136]
	buffer_store_dword v2, off, s[0:3], 0 offset:196
	buffer_store_dword v1, off, s[0:3], 0 offset:192
	;; [unrolled: 1-line block ×4, first 2 shown]
.LBB126_691:
	s_or_b32 exec_lo, exec_lo, s6
	v_mov_b32_e32 v4, s61
	v_cmp_lt_u32_e64 s5, 11, v0
	s_clause 0x3
	buffer_load_dword v1, v4, s[0:3], 0 offen
	buffer_load_dword v2, v4, s[0:3], 0 offen offset:4
	buffer_load_dword v3, v4, s[0:3], 0 offen offset:8
	buffer_load_dword v4, v4, s[0:3], 0 offen offset:12
	s_waitcnt vmcnt(0)
	ds_write_b128 v132, v[1:4]
	s_waitcnt lgkmcnt(0)
	s_waitcnt_vscnt null, 0x0
	s_barrier
	buffer_gl0_inv
	s_and_saveexec_b32 s6, s5
	s_cbranch_execz .LBB126_705
; %bb.692:
	ds_read_b128 v[1:4], v132
	s_andn2_b32 vcc_lo, exec_lo, s7
	s_cbranch_vccnz .LBB126_694
; %bb.693:
	s_clause 0x3
	buffer_load_dword v133, v131, s[0:3], 0 offen offset:8
	buffer_load_dword v134, v131, s[0:3], 0 offen offset:12
	buffer_load_dword v135, v131, s[0:3], 0 offen
	buffer_load_dword v136, v131, s[0:3], 0 offen offset:4
	s_waitcnt vmcnt(2) lgkmcnt(0)
	v_mul_f64 v[138:139], v[3:4], v[133:134]
	v_mul_f64 v[133:134], v[1:2], v[133:134]
	s_waitcnt vmcnt(0)
	v_fma_f64 v[1:2], v[1:2], v[135:136], -v[138:139]
	v_fma_f64 v[3:4], v[3:4], v[135:136], v[133:134]
.LBB126_694:
	s_and_saveexec_b32 s8, s4
	s_cbranch_execz .LBB126_704
; %bb.695:
	v_add_nc_u32_e32 v134, -13, v0
	v_add_nc_u32_e32 v133, -12, v0
	v_mov_b32_e32 v135, 12
	s_mov_b32 s4, exec_lo
	v_cmpx_lt_u32_e32 6, v134
	s_cbranch_execz .LBB126_699
; %bb.696:
	v_and_b32_e32 v134, -8, v133
	s_movk_i32 s73, 0x4b0
	s_mov_b32 s72, 0
	s_mov_b32 s74, s60
	s_mov_b32 s75, 0
.LBB126_697:                            ; =>This Inner Loop Header: Depth=1
	v_mov_b32_e32 v138, s74
	v_mov_b32_e32 v184, s73
	s_add_i32 s76, s75, 8
	s_add_i32 s75, s75, 20
	v_cmp_eq_u32_e32 vcc_lo, s76, v134
	s_clause 0x1f
	buffer_load_dword v135, v138, s[0:3], 0 offen offset:8
	buffer_load_dword v136, v138, s[0:3], 0 offen offset:12
	buffer_load_dword v146, v138, s[0:3], 0 offen
	buffer_load_dword v147, v138, s[0:3], 0 offen offset:4
	buffer_load_dword v148, v138, s[0:3], 0 offen offset:24
	buffer_load_dword v149, v138, s[0:3], 0 offen offset:28
	buffer_load_dword v150, v138, s[0:3], 0 offen offset:16
	buffer_load_dword v151, v138, s[0:3], 0 offen offset:20
	buffer_load_dword v152, v138, s[0:3], 0 offen offset:40
	buffer_load_dword v153, v138, s[0:3], 0 offen offset:44
	buffer_load_dword v154, v138, s[0:3], 0 offen offset:32
	buffer_load_dword v155, v138, s[0:3], 0 offen offset:36
	buffer_load_dword v156, v138, s[0:3], 0 offen offset:56
	buffer_load_dword v157, v138, s[0:3], 0 offen offset:60
	buffer_load_dword v158, v138, s[0:3], 0 offen offset:48
	buffer_load_dword v159, v138, s[0:3], 0 offen offset:52
	buffer_load_dword v161, v138, s[0:3], 0 offen offset:76
	buffer_load_dword v162, v138, s[0:3], 0 offen offset:88
	buffer_load_dword v164, v138, s[0:3], 0 offen offset:80
	buffer_load_dword v160, v138, s[0:3], 0 offen offset:72
	buffer_load_dword v165, v138, s[0:3], 0 offen offset:84
	buffer_load_dword v163, v138, s[0:3], 0 offen offset:92
	buffer_load_dword v167, v138, s[0:3], 0 offen offset:68
	buffer_load_dword v166, v138, s[0:3], 0 offen offset:64
	buffer_load_dword v169, v138, s[0:3], 0 offen offset:108
	buffer_load_dword v170, v138, s[0:3], 0 offen offset:120
	buffer_load_dword v172, v138, s[0:3], 0 offen offset:112
	buffer_load_dword v168, v138, s[0:3], 0 offen offset:104
	buffer_load_dword v173, v138, s[0:3], 0 offen offset:116
	buffer_load_dword v171, v138, s[0:3], 0 offen offset:124
	buffer_load_dword v175, v138, s[0:3], 0 offen offset:100
	buffer_load_dword v174, v138, s[0:3], 0 offen offset:96
	ds_read_b128 v[138:141], v184
	ds_read_b128 v[142:145], v184 offset:16
	s_addk_i32 s73, 0x80
	s_addk_i32 s74, 0x80
	s_or_b32 s72, vcc_lo, s72
	s_waitcnt vmcnt(30) lgkmcnt(1)
	v_mul_f64 v[176:177], v[140:141], v[135:136]
	v_mul_f64 v[135:136], v[138:139], v[135:136]
	s_waitcnt vmcnt(26) lgkmcnt(0)
	v_mul_f64 v[178:179], v[144:145], v[148:149]
	v_mul_f64 v[180:181], v[142:143], v[148:149]
	v_fma_f64 v[176:177], v[138:139], v[146:147], -v[176:177]
	v_fma_f64 v[135:136], v[140:141], v[146:147], v[135:136]
	ds_read_b128 v[138:141], v184 offset:32
	ds_read_b128 v[146:149], v184 offset:48
	s_waitcnt vmcnt(24)
	v_fma_f64 v[142:143], v[142:143], v[150:151], -v[178:179]
	v_fma_f64 v[144:145], v[144:145], v[150:151], v[180:181]
	s_waitcnt vmcnt(22) lgkmcnt(1)
	v_mul_f64 v[182:183], v[140:141], v[152:153]
	v_mul_f64 v[152:153], v[138:139], v[152:153]
	v_add_f64 v[1:2], v[1:2], v[176:177]
	v_add_f64 v[3:4], v[3:4], v[135:136]
	s_waitcnt vmcnt(18) lgkmcnt(0)
	v_mul_f64 v[135:136], v[148:149], v[156:157]
	v_mul_f64 v[150:151], v[146:147], v[156:157]
	v_fma_f64 v[156:157], v[138:139], v[154:155], -v[182:183]
	v_fma_f64 v[152:153], v[140:141], v[154:155], v[152:153]
	v_add_f64 v[142:143], v[1:2], v[142:143]
	v_add_f64 v[144:145], v[3:4], v[144:145]
	ds_read_b128 v[1:4], v184 offset:64
	ds_read_b128 v[138:141], v184 offset:80
	s_waitcnt vmcnt(16)
	v_fma_f64 v[135:136], v[146:147], v[158:159], -v[135:136]
	v_fma_f64 v[146:147], v[148:149], v[158:159], v[150:151]
	s_waitcnt vmcnt(12) lgkmcnt(1)
	v_mul_f64 v[154:155], v[3:4], v[160:161]
	v_mul_f64 v[160:161], v[1:2], v[160:161]
	v_add_f64 v[142:143], v[142:143], v[156:157]
	v_add_f64 v[144:145], v[144:145], v[152:153]
	s_waitcnt vmcnt(10) lgkmcnt(0)
	v_mul_f64 v[148:149], v[140:141], v[162:163]
	v_mul_f64 v[150:151], v[138:139], v[162:163]
	s_waitcnt vmcnt(8)
	v_fma_f64 v[152:153], v[1:2], v[166:167], -v[154:155]
	v_fma_f64 v[154:155], v[3:4], v[166:167], v[160:161]
	v_add_f64 v[135:136], v[142:143], v[135:136]
	v_add_f64 v[146:147], v[144:145], v[146:147]
	ds_read_b128 v[1:4], v184 offset:96
	ds_read_b128 v[142:145], v184 offset:112
	v_fma_f64 v[138:139], v[138:139], v[164:165], -v[148:149]
	v_fma_f64 v[140:141], v[140:141], v[164:165], v[150:151]
	s_waitcnt vmcnt(4) lgkmcnt(1)
	v_mul_f64 v[156:157], v[3:4], v[168:169]
	v_mul_f64 v[158:159], v[1:2], v[168:169]
	v_add_f64 v[135:136], v[135:136], v[152:153]
	v_add_f64 v[146:147], v[146:147], v[154:155]
	s_waitcnt vmcnt(2) lgkmcnt(0)
	v_mul_f64 v[148:149], v[144:145], v[170:171]
	v_mul_f64 v[150:151], v[142:143], v[170:171]
	s_waitcnt vmcnt(0)
	v_fma_f64 v[1:2], v[1:2], v[174:175], -v[156:157]
	v_fma_f64 v[3:4], v[3:4], v[174:175], v[158:159]
	v_add_f64 v[135:136], v[135:136], v[138:139]
	v_add_f64 v[138:139], v[146:147], v[140:141]
	v_fma_f64 v[140:141], v[142:143], v[172:173], -v[148:149]
	v_fma_f64 v[142:143], v[144:145], v[172:173], v[150:151]
	v_add_f64 v[1:2], v[135:136], v[1:2]
	v_add_f64 v[3:4], v[138:139], v[3:4]
	v_mov_b32_e32 v135, s75
	s_mov_b32 s75, s76
	v_add_f64 v[1:2], v[1:2], v[140:141]
	v_add_f64 v[3:4], v[3:4], v[142:143]
	s_andn2_b32 exec_lo, exec_lo, s72
	s_cbranch_execnz .LBB126_697
; %bb.698:
	s_or_b32 exec_lo, exec_lo, s72
.LBB126_699:
	s_or_b32 exec_lo, exec_lo, s4
	v_and_b32_e32 v133, 7, v133
	s_mov_b32 s72, 0
	s_mov_b32 s4, exec_lo
	v_cmpx_ne_u32_e32 0, v133
	s_cbranch_execz .LBB126_703
; %bb.700:
	v_lshlrev_b32_e32 v135, 4, v135
	v_add_nc_u32_e32 v134, 0x3f0, v135
	.p2align	6
.LBB126_701:                            ; =>This Inner Loop Header: Depth=1
	s_clause 0x3
	buffer_load_dword v142, v135, s[0:3], 0 offen offset:8
	buffer_load_dword v143, v135, s[0:3], 0 offen offset:12
	buffer_load_dword v144, v135, s[0:3], 0 offen
	buffer_load_dword v145, v135, s[0:3], 0 offen offset:4
	ds_read_b128 v[138:141], v134
	v_add_nc_u32_e32 v133, -1, v133
	v_add_nc_u32_e32 v134, 16, v134
	v_add_nc_u32_e32 v135, 16, v135
	v_cmp_eq_u32_e32 vcc_lo, 0, v133
	s_or_b32 s72, vcc_lo, s72
	s_waitcnt vmcnt(2) lgkmcnt(0)
	v_mul_f64 v[146:147], v[140:141], v[142:143]
	v_mul_f64 v[142:143], v[138:139], v[142:143]
	s_waitcnt vmcnt(0)
	v_fma_f64 v[138:139], v[138:139], v[144:145], -v[146:147]
	v_fma_f64 v[140:141], v[140:141], v[144:145], v[142:143]
	v_add_f64 v[1:2], v[1:2], v[138:139]
	v_add_f64 v[3:4], v[3:4], v[140:141]
	s_andn2_b32 exec_lo, exec_lo, s72
	s_cbranch_execnz .LBB126_701
; %bb.702:
	s_or_b32 exec_lo, exec_lo, s72
.LBB126_703:
	s_or_b32 exec_lo, exec_lo, s4
.LBB126_704:
	s_or_b32 exec_lo, exec_lo, s8
	v_mov_b32_e32 v133, 0
	ds_read_b128 v[133:136], v133 offset:176
	s_waitcnt lgkmcnt(0)
	v_mul_f64 v[138:139], v[3:4], v[135:136]
	v_mul_f64 v[135:136], v[1:2], v[135:136]
	v_fma_f64 v[1:2], v[1:2], v[133:134], -v[138:139]
	v_fma_f64 v[3:4], v[3:4], v[133:134], v[135:136]
	buffer_store_dword v2, off, s[0:3], 0 offset:180
	buffer_store_dword v1, off, s[0:3], 0 offset:176
	;; [unrolled: 1-line block ×4, first 2 shown]
.LBB126_705:
	s_or_b32 exec_lo, exec_lo, s6
	v_mov_b32_e32 v4, s62
	v_cmp_lt_u32_e64 s4, 10, v0
	s_clause 0x3
	buffer_load_dword v1, v4, s[0:3], 0 offen
	buffer_load_dword v2, v4, s[0:3], 0 offen offset:4
	buffer_load_dword v3, v4, s[0:3], 0 offen offset:8
	;; [unrolled: 1-line block ×3, first 2 shown]
	s_waitcnt vmcnt(0)
	ds_write_b128 v132, v[1:4]
	s_waitcnt lgkmcnt(0)
	s_waitcnt_vscnt null, 0x0
	s_barrier
	buffer_gl0_inv
	s_and_saveexec_b32 s6, s4
	s_cbranch_execz .LBB126_719
; %bb.706:
	ds_read_b128 v[1:4], v132
	s_andn2_b32 vcc_lo, exec_lo, s7
	s_cbranch_vccnz .LBB126_708
; %bb.707:
	s_clause 0x3
	buffer_load_dword v133, v131, s[0:3], 0 offen offset:8
	buffer_load_dword v134, v131, s[0:3], 0 offen offset:12
	buffer_load_dword v135, v131, s[0:3], 0 offen
	buffer_load_dword v136, v131, s[0:3], 0 offen offset:4
	s_waitcnt vmcnt(2) lgkmcnt(0)
	v_mul_f64 v[138:139], v[3:4], v[133:134]
	v_mul_f64 v[133:134], v[1:2], v[133:134]
	s_waitcnt vmcnt(0)
	v_fma_f64 v[1:2], v[1:2], v[135:136], -v[138:139]
	v_fma_f64 v[3:4], v[3:4], v[135:136], v[133:134]
.LBB126_708:
	s_and_saveexec_b32 s8, s5
	s_cbranch_execz .LBB126_718
; %bb.709:
	v_add_nc_u32_e32 v134, -12, v0
	v_add_nc_u32_e32 v133, -11, v0
	v_mov_b32_e32 v135, 11
	s_mov_b32 s5, exec_lo
	v_cmpx_lt_u32_e32 6, v134
	s_cbranch_execz .LBB126_713
; %bb.710:
	v_and_b32_e32 v134, -8, v133
	s_movk_i32 s73, 0x4a0
	s_mov_b32 s72, 0
	s_mov_b32 s74, s61
	;; [unrolled: 1-line block ×3, first 2 shown]
.LBB126_711:                            ; =>This Inner Loop Header: Depth=1
	v_mov_b32_e32 v138, s74
	v_mov_b32_e32 v184, s73
	s_add_i32 s76, s75, 8
	s_add_i32 s75, s75, 19
	v_cmp_eq_u32_e32 vcc_lo, s76, v134
	s_clause 0x1f
	buffer_load_dword v135, v138, s[0:3], 0 offen offset:8
	buffer_load_dword v136, v138, s[0:3], 0 offen offset:12
	buffer_load_dword v146, v138, s[0:3], 0 offen
	buffer_load_dword v147, v138, s[0:3], 0 offen offset:4
	buffer_load_dword v148, v138, s[0:3], 0 offen offset:24
	;; [unrolled: 1-line block ×29, first 2 shown]
	ds_read_b128 v[138:141], v184
	ds_read_b128 v[142:145], v184 offset:16
	s_addk_i32 s73, 0x80
	s_addk_i32 s74, 0x80
	s_or_b32 s72, vcc_lo, s72
	s_waitcnt vmcnt(30) lgkmcnt(1)
	v_mul_f64 v[176:177], v[140:141], v[135:136]
	v_mul_f64 v[135:136], v[138:139], v[135:136]
	s_waitcnt vmcnt(26) lgkmcnt(0)
	v_mul_f64 v[178:179], v[144:145], v[148:149]
	v_mul_f64 v[180:181], v[142:143], v[148:149]
	v_fma_f64 v[176:177], v[138:139], v[146:147], -v[176:177]
	v_fma_f64 v[135:136], v[140:141], v[146:147], v[135:136]
	ds_read_b128 v[138:141], v184 offset:32
	ds_read_b128 v[146:149], v184 offset:48
	s_waitcnt vmcnt(24)
	v_fma_f64 v[142:143], v[142:143], v[150:151], -v[178:179]
	v_fma_f64 v[144:145], v[144:145], v[150:151], v[180:181]
	s_waitcnt vmcnt(22) lgkmcnt(1)
	v_mul_f64 v[182:183], v[140:141], v[152:153]
	v_mul_f64 v[152:153], v[138:139], v[152:153]
	v_add_f64 v[1:2], v[1:2], v[176:177]
	v_add_f64 v[3:4], v[3:4], v[135:136]
	s_waitcnt vmcnt(18) lgkmcnt(0)
	v_mul_f64 v[135:136], v[148:149], v[156:157]
	v_mul_f64 v[150:151], v[146:147], v[156:157]
	v_fma_f64 v[156:157], v[138:139], v[154:155], -v[182:183]
	v_fma_f64 v[152:153], v[140:141], v[154:155], v[152:153]
	v_add_f64 v[142:143], v[1:2], v[142:143]
	v_add_f64 v[144:145], v[3:4], v[144:145]
	ds_read_b128 v[1:4], v184 offset:64
	ds_read_b128 v[138:141], v184 offset:80
	s_waitcnt vmcnt(16)
	v_fma_f64 v[135:136], v[146:147], v[158:159], -v[135:136]
	v_fma_f64 v[146:147], v[148:149], v[158:159], v[150:151]
	s_waitcnt vmcnt(12) lgkmcnt(1)
	v_mul_f64 v[154:155], v[3:4], v[160:161]
	v_mul_f64 v[160:161], v[1:2], v[160:161]
	v_add_f64 v[142:143], v[142:143], v[156:157]
	v_add_f64 v[144:145], v[144:145], v[152:153]
	s_waitcnt vmcnt(10) lgkmcnt(0)
	v_mul_f64 v[148:149], v[140:141], v[162:163]
	v_mul_f64 v[150:151], v[138:139], v[162:163]
	s_waitcnt vmcnt(8)
	v_fma_f64 v[152:153], v[1:2], v[166:167], -v[154:155]
	v_fma_f64 v[154:155], v[3:4], v[166:167], v[160:161]
	v_add_f64 v[135:136], v[142:143], v[135:136]
	v_add_f64 v[146:147], v[144:145], v[146:147]
	ds_read_b128 v[1:4], v184 offset:96
	ds_read_b128 v[142:145], v184 offset:112
	v_fma_f64 v[138:139], v[138:139], v[164:165], -v[148:149]
	v_fma_f64 v[140:141], v[140:141], v[164:165], v[150:151]
	s_waitcnt vmcnt(4) lgkmcnt(1)
	v_mul_f64 v[156:157], v[3:4], v[168:169]
	v_mul_f64 v[158:159], v[1:2], v[168:169]
	v_add_f64 v[135:136], v[135:136], v[152:153]
	v_add_f64 v[146:147], v[146:147], v[154:155]
	s_waitcnt vmcnt(2) lgkmcnt(0)
	v_mul_f64 v[148:149], v[144:145], v[170:171]
	v_mul_f64 v[150:151], v[142:143], v[170:171]
	s_waitcnt vmcnt(0)
	v_fma_f64 v[1:2], v[1:2], v[174:175], -v[156:157]
	v_fma_f64 v[3:4], v[3:4], v[174:175], v[158:159]
	v_add_f64 v[135:136], v[135:136], v[138:139]
	v_add_f64 v[138:139], v[146:147], v[140:141]
	v_fma_f64 v[140:141], v[142:143], v[172:173], -v[148:149]
	v_fma_f64 v[142:143], v[144:145], v[172:173], v[150:151]
	v_add_f64 v[1:2], v[135:136], v[1:2]
	v_add_f64 v[3:4], v[138:139], v[3:4]
	v_mov_b32_e32 v135, s75
	s_mov_b32 s75, s76
	v_add_f64 v[1:2], v[1:2], v[140:141]
	v_add_f64 v[3:4], v[3:4], v[142:143]
	s_andn2_b32 exec_lo, exec_lo, s72
	s_cbranch_execnz .LBB126_711
; %bb.712:
	s_or_b32 exec_lo, exec_lo, s72
.LBB126_713:
	s_or_b32 exec_lo, exec_lo, s5
	v_and_b32_e32 v133, 7, v133
	s_mov_b32 s72, 0
	s_mov_b32 s5, exec_lo
	v_cmpx_ne_u32_e32 0, v133
	s_cbranch_execz .LBB126_717
; %bb.714:
	v_lshlrev_b32_e32 v135, 4, v135
	v_add_nc_u32_e32 v134, 0x3f0, v135
	.p2align	6
.LBB126_715:                            ; =>This Inner Loop Header: Depth=1
	s_clause 0x3
	buffer_load_dword v142, v135, s[0:3], 0 offen offset:8
	buffer_load_dword v143, v135, s[0:3], 0 offen offset:12
	buffer_load_dword v144, v135, s[0:3], 0 offen
	buffer_load_dword v145, v135, s[0:3], 0 offen offset:4
	ds_read_b128 v[138:141], v134
	v_add_nc_u32_e32 v133, -1, v133
	v_add_nc_u32_e32 v134, 16, v134
	v_add_nc_u32_e32 v135, 16, v135
	v_cmp_eq_u32_e32 vcc_lo, 0, v133
	s_or_b32 s72, vcc_lo, s72
	s_waitcnt vmcnt(2) lgkmcnt(0)
	v_mul_f64 v[146:147], v[140:141], v[142:143]
	v_mul_f64 v[142:143], v[138:139], v[142:143]
	s_waitcnt vmcnt(0)
	v_fma_f64 v[138:139], v[138:139], v[144:145], -v[146:147]
	v_fma_f64 v[140:141], v[140:141], v[144:145], v[142:143]
	v_add_f64 v[1:2], v[1:2], v[138:139]
	v_add_f64 v[3:4], v[3:4], v[140:141]
	s_andn2_b32 exec_lo, exec_lo, s72
	s_cbranch_execnz .LBB126_715
; %bb.716:
	s_or_b32 exec_lo, exec_lo, s72
.LBB126_717:
	s_or_b32 exec_lo, exec_lo, s5
.LBB126_718:
	s_or_b32 exec_lo, exec_lo, s8
	v_mov_b32_e32 v133, 0
	ds_read_b128 v[133:136], v133 offset:160
	s_waitcnt lgkmcnt(0)
	v_mul_f64 v[138:139], v[3:4], v[135:136]
	v_mul_f64 v[135:136], v[1:2], v[135:136]
	v_fma_f64 v[1:2], v[1:2], v[133:134], -v[138:139]
	v_fma_f64 v[3:4], v[3:4], v[133:134], v[135:136]
	buffer_store_dword v2, off, s[0:3], 0 offset:164
	buffer_store_dword v1, off, s[0:3], 0 offset:160
	;; [unrolled: 1-line block ×4, first 2 shown]
.LBB126_719:
	s_or_b32 exec_lo, exec_lo, s6
	v_mov_b32_e32 v4, s63
	v_cmp_lt_u32_e64 s5, 9, v0
	s_clause 0x3
	buffer_load_dword v1, v4, s[0:3], 0 offen
	buffer_load_dword v2, v4, s[0:3], 0 offen offset:4
	buffer_load_dword v3, v4, s[0:3], 0 offen offset:8
	;; [unrolled: 1-line block ×3, first 2 shown]
	s_waitcnt vmcnt(0)
	ds_write_b128 v132, v[1:4]
	s_waitcnt lgkmcnt(0)
	s_waitcnt_vscnt null, 0x0
	s_barrier
	buffer_gl0_inv
	s_and_saveexec_b32 s6, s5
	s_cbranch_execz .LBB126_733
; %bb.720:
	ds_read_b128 v[1:4], v132
	s_andn2_b32 vcc_lo, exec_lo, s7
	s_cbranch_vccnz .LBB126_722
; %bb.721:
	s_clause 0x3
	buffer_load_dword v133, v131, s[0:3], 0 offen offset:8
	buffer_load_dword v134, v131, s[0:3], 0 offen offset:12
	buffer_load_dword v135, v131, s[0:3], 0 offen
	buffer_load_dword v136, v131, s[0:3], 0 offen offset:4
	s_waitcnt vmcnt(2) lgkmcnt(0)
	v_mul_f64 v[138:139], v[3:4], v[133:134]
	v_mul_f64 v[133:134], v[1:2], v[133:134]
	s_waitcnt vmcnt(0)
	v_fma_f64 v[1:2], v[1:2], v[135:136], -v[138:139]
	v_fma_f64 v[3:4], v[3:4], v[135:136], v[133:134]
.LBB126_722:
	s_and_saveexec_b32 s8, s4
	s_cbranch_execz .LBB126_732
; %bb.723:
	v_add_nc_u32_e32 v134, -11, v0
	v_add_nc_u32_e32 v133, -10, v0
	v_mov_b32_e32 v135, 10
	s_mov_b32 s4, exec_lo
	v_cmpx_lt_u32_e32 6, v134
	s_cbranch_execz .LBB126_727
; %bb.724:
	v_and_b32_e32 v134, -8, v133
	s_movk_i32 s73, 0x490
	s_mov_b32 s72, 0
	s_mov_b32 s74, s62
	;; [unrolled: 1-line block ×3, first 2 shown]
.LBB126_725:                            ; =>This Inner Loop Header: Depth=1
	v_mov_b32_e32 v138, s74
	v_mov_b32_e32 v184, s73
	s_add_i32 s76, s75, 8
	s_add_i32 s75, s75, 18
	v_cmp_eq_u32_e32 vcc_lo, s76, v134
	s_clause 0x1f
	buffer_load_dword v135, v138, s[0:3], 0 offen offset:8
	buffer_load_dword v136, v138, s[0:3], 0 offen offset:12
	buffer_load_dword v146, v138, s[0:3], 0 offen
	buffer_load_dword v147, v138, s[0:3], 0 offen offset:4
	buffer_load_dword v148, v138, s[0:3], 0 offen offset:24
	;; [unrolled: 1-line block ×29, first 2 shown]
	ds_read_b128 v[138:141], v184
	ds_read_b128 v[142:145], v184 offset:16
	s_addk_i32 s73, 0x80
	s_addk_i32 s74, 0x80
	s_or_b32 s72, vcc_lo, s72
	s_waitcnt vmcnt(30) lgkmcnt(1)
	v_mul_f64 v[176:177], v[140:141], v[135:136]
	v_mul_f64 v[135:136], v[138:139], v[135:136]
	s_waitcnt vmcnt(26) lgkmcnt(0)
	v_mul_f64 v[178:179], v[144:145], v[148:149]
	v_mul_f64 v[180:181], v[142:143], v[148:149]
	v_fma_f64 v[176:177], v[138:139], v[146:147], -v[176:177]
	v_fma_f64 v[135:136], v[140:141], v[146:147], v[135:136]
	ds_read_b128 v[138:141], v184 offset:32
	ds_read_b128 v[146:149], v184 offset:48
	s_waitcnt vmcnt(24)
	v_fma_f64 v[142:143], v[142:143], v[150:151], -v[178:179]
	v_fma_f64 v[144:145], v[144:145], v[150:151], v[180:181]
	s_waitcnt vmcnt(22) lgkmcnt(1)
	v_mul_f64 v[182:183], v[140:141], v[152:153]
	v_mul_f64 v[152:153], v[138:139], v[152:153]
	v_add_f64 v[1:2], v[1:2], v[176:177]
	v_add_f64 v[3:4], v[3:4], v[135:136]
	s_waitcnt vmcnt(18) lgkmcnt(0)
	v_mul_f64 v[135:136], v[148:149], v[156:157]
	v_mul_f64 v[150:151], v[146:147], v[156:157]
	v_fma_f64 v[156:157], v[138:139], v[154:155], -v[182:183]
	v_fma_f64 v[152:153], v[140:141], v[154:155], v[152:153]
	v_add_f64 v[142:143], v[1:2], v[142:143]
	v_add_f64 v[144:145], v[3:4], v[144:145]
	ds_read_b128 v[1:4], v184 offset:64
	ds_read_b128 v[138:141], v184 offset:80
	s_waitcnt vmcnt(16)
	v_fma_f64 v[135:136], v[146:147], v[158:159], -v[135:136]
	v_fma_f64 v[146:147], v[148:149], v[158:159], v[150:151]
	s_waitcnt vmcnt(12) lgkmcnt(1)
	v_mul_f64 v[154:155], v[3:4], v[160:161]
	v_mul_f64 v[160:161], v[1:2], v[160:161]
	v_add_f64 v[142:143], v[142:143], v[156:157]
	v_add_f64 v[144:145], v[144:145], v[152:153]
	s_waitcnt vmcnt(10) lgkmcnt(0)
	v_mul_f64 v[148:149], v[140:141], v[162:163]
	v_mul_f64 v[150:151], v[138:139], v[162:163]
	s_waitcnt vmcnt(8)
	v_fma_f64 v[152:153], v[1:2], v[166:167], -v[154:155]
	v_fma_f64 v[154:155], v[3:4], v[166:167], v[160:161]
	v_add_f64 v[135:136], v[142:143], v[135:136]
	v_add_f64 v[146:147], v[144:145], v[146:147]
	ds_read_b128 v[1:4], v184 offset:96
	ds_read_b128 v[142:145], v184 offset:112
	v_fma_f64 v[138:139], v[138:139], v[164:165], -v[148:149]
	v_fma_f64 v[140:141], v[140:141], v[164:165], v[150:151]
	s_waitcnt vmcnt(4) lgkmcnt(1)
	v_mul_f64 v[156:157], v[3:4], v[168:169]
	v_mul_f64 v[158:159], v[1:2], v[168:169]
	v_add_f64 v[135:136], v[135:136], v[152:153]
	v_add_f64 v[146:147], v[146:147], v[154:155]
	s_waitcnt vmcnt(2) lgkmcnt(0)
	v_mul_f64 v[148:149], v[144:145], v[170:171]
	v_mul_f64 v[150:151], v[142:143], v[170:171]
	s_waitcnt vmcnt(0)
	v_fma_f64 v[1:2], v[1:2], v[174:175], -v[156:157]
	v_fma_f64 v[3:4], v[3:4], v[174:175], v[158:159]
	v_add_f64 v[135:136], v[135:136], v[138:139]
	v_add_f64 v[138:139], v[146:147], v[140:141]
	v_fma_f64 v[140:141], v[142:143], v[172:173], -v[148:149]
	v_fma_f64 v[142:143], v[144:145], v[172:173], v[150:151]
	v_add_f64 v[1:2], v[135:136], v[1:2]
	v_add_f64 v[3:4], v[138:139], v[3:4]
	v_mov_b32_e32 v135, s75
	s_mov_b32 s75, s76
	v_add_f64 v[1:2], v[1:2], v[140:141]
	v_add_f64 v[3:4], v[3:4], v[142:143]
	s_andn2_b32 exec_lo, exec_lo, s72
	s_cbranch_execnz .LBB126_725
; %bb.726:
	s_or_b32 exec_lo, exec_lo, s72
.LBB126_727:
	s_or_b32 exec_lo, exec_lo, s4
	v_and_b32_e32 v133, 7, v133
	s_mov_b32 s72, 0
	s_mov_b32 s4, exec_lo
	v_cmpx_ne_u32_e32 0, v133
	s_cbranch_execz .LBB126_731
; %bb.728:
	v_lshlrev_b32_e32 v135, 4, v135
	v_add_nc_u32_e32 v134, 0x3f0, v135
	.p2align	6
.LBB126_729:                            ; =>This Inner Loop Header: Depth=1
	s_clause 0x3
	buffer_load_dword v142, v135, s[0:3], 0 offen offset:8
	buffer_load_dword v143, v135, s[0:3], 0 offen offset:12
	buffer_load_dword v144, v135, s[0:3], 0 offen
	buffer_load_dword v145, v135, s[0:3], 0 offen offset:4
	ds_read_b128 v[138:141], v134
	v_add_nc_u32_e32 v133, -1, v133
	v_add_nc_u32_e32 v134, 16, v134
	v_add_nc_u32_e32 v135, 16, v135
	v_cmp_eq_u32_e32 vcc_lo, 0, v133
	s_or_b32 s72, vcc_lo, s72
	s_waitcnt vmcnt(2) lgkmcnt(0)
	v_mul_f64 v[146:147], v[140:141], v[142:143]
	v_mul_f64 v[142:143], v[138:139], v[142:143]
	s_waitcnt vmcnt(0)
	v_fma_f64 v[138:139], v[138:139], v[144:145], -v[146:147]
	v_fma_f64 v[140:141], v[140:141], v[144:145], v[142:143]
	v_add_f64 v[1:2], v[1:2], v[138:139]
	v_add_f64 v[3:4], v[3:4], v[140:141]
	s_andn2_b32 exec_lo, exec_lo, s72
	s_cbranch_execnz .LBB126_729
; %bb.730:
	s_or_b32 exec_lo, exec_lo, s72
.LBB126_731:
	s_or_b32 exec_lo, exec_lo, s4
.LBB126_732:
	s_or_b32 exec_lo, exec_lo, s8
	v_mov_b32_e32 v133, 0
	ds_read_b128 v[133:136], v133 offset:144
	s_waitcnt lgkmcnt(0)
	v_mul_f64 v[138:139], v[3:4], v[135:136]
	v_mul_f64 v[135:136], v[1:2], v[135:136]
	v_fma_f64 v[1:2], v[1:2], v[133:134], -v[138:139]
	v_fma_f64 v[3:4], v[3:4], v[133:134], v[135:136]
	buffer_store_dword v2, off, s[0:3], 0 offset:148
	buffer_store_dword v1, off, s[0:3], 0 offset:144
	;; [unrolled: 1-line block ×4, first 2 shown]
.LBB126_733:
	s_or_b32 exec_lo, exec_lo, s6
	v_mov_b32_e32 v4, s64
	v_cmp_lt_u32_e64 s4, 8, v0
	s_clause 0x3
	buffer_load_dword v1, v4, s[0:3], 0 offen
	buffer_load_dword v2, v4, s[0:3], 0 offen offset:4
	buffer_load_dword v3, v4, s[0:3], 0 offen offset:8
	;; [unrolled: 1-line block ×3, first 2 shown]
	s_waitcnt vmcnt(0)
	ds_write_b128 v132, v[1:4]
	s_waitcnt lgkmcnt(0)
	s_waitcnt_vscnt null, 0x0
	s_barrier
	buffer_gl0_inv
	s_and_saveexec_b32 s6, s4
	s_cbranch_execz .LBB126_747
; %bb.734:
	ds_read_b128 v[1:4], v132
	s_andn2_b32 vcc_lo, exec_lo, s7
	s_cbranch_vccnz .LBB126_736
; %bb.735:
	s_clause 0x3
	buffer_load_dword v133, v131, s[0:3], 0 offen offset:8
	buffer_load_dword v134, v131, s[0:3], 0 offen offset:12
	buffer_load_dword v135, v131, s[0:3], 0 offen
	buffer_load_dword v136, v131, s[0:3], 0 offen offset:4
	s_waitcnt vmcnt(2) lgkmcnt(0)
	v_mul_f64 v[138:139], v[3:4], v[133:134]
	v_mul_f64 v[133:134], v[1:2], v[133:134]
	s_waitcnt vmcnt(0)
	v_fma_f64 v[1:2], v[1:2], v[135:136], -v[138:139]
	v_fma_f64 v[3:4], v[3:4], v[135:136], v[133:134]
.LBB126_736:
	s_and_saveexec_b32 s8, s5
	s_cbranch_execz .LBB126_746
; %bb.737:
	v_add_nc_u32_e32 v134, -10, v0
	v_add_nc_u32_e32 v133, -9, v0
	v_mov_b32_e32 v135, 9
	s_mov_b32 s5, exec_lo
	v_cmpx_lt_u32_e32 6, v134
	s_cbranch_execz .LBB126_741
; %bb.738:
	v_and_b32_e32 v134, -8, v133
	s_movk_i32 s73, 0x480
	s_mov_b32 s72, 0
	s_mov_b32 s74, s63
	;; [unrolled: 1-line block ×3, first 2 shown]
.LBB126_739:                            ; =>This Inner Loop Header: Depth=1
	v_mov_b32_e32 v138, s74
	v_mov_b32_e32 v184, s73
	s_add_i32 s76, s75, 8
	s_add_i32 s75, s75, 17
	v_cmp_eq_u32_e32 vcc_lo, s76, v134
	s_clause 0x1f
	buffer_load_dword v135, v138, s[0:3], 0 offen offset:8
	buffer_load_dword v136, v138, s[0:3], 0 offen offset:12
	buffer_load_dword v146, v138, s[0:3], 0 offen
	buffer_load_dword v147, v138, s[0:3], 0 offen offset:4
	buffer_load_dword v148, v138, s[0:3], 0 offen offset:24
	;; [unrolled: 1-line block ×29, first 2 shown]
	ds_read_b128 v[138:141], v184
	ds_read_b128 v[142:145], v184 offset:16
	s_addk_i32 s73, 0x80
	s_addk_i32 s74, 0x80
	s_or_b32 s72, vcc_lo, s72
	s_waitcnt vmcnt(30) lgkmcnt(1)
	v_mul_f64 v[176:177], v[140:141], v[135:136]
	v_mul_f64 v[135:136], v[138:139], v[135:136]
	s_waitcnt vmcnt(26) lgkmcnt(0)
	v_mul_f64 v[178:179], v[144:145], v[148:149]
	v_mul_f64 v[180:181], v[142:143], v[148:149]
	v_fma_f64 v[176:177], v[138:139], v[146:147], -v[176:177]
	v_fma_f64 v[135:136], v[140:141], v[146:147], v[135:136]
	ds_read_b128 v[138:141], v184 offset:32
	ds_read_b128 v[146:149], v184 offset:48
	s_waitcnt vmcnt(24)
	v_fma_f64 v[142:143], v[142:143], v[150:151], -v[178:179]
	v_fma_f64 v[144:145], v[144:145], v[150:151], v[180:181]
	s_waitcnt vmcnt(22) lgkmcnt(1)
	v_mul_f64 v[182:183], v[140:141], v[152:153]
	v_mul_f64 v[152:153], v[138:139], v[152:153]
	v_add_f64 v[1:2], v[1:2], v[176:177]
	v_add_f64 v[3:4], v[3:4], v[135:136]
	s_waitcnt vmcnt(18) lgkmcnt(0)
	v_mul_f64 v[135:136], v[148:149], v[156:157]
	v_mul_f64 v[150:151], v[146:147], v[156:157]
	v_fma_f64 v[156:157], v[138:139], v[154:155], -v[182:183]
	v_fma_f64 v[152:153], v[140:141], v[154:155], v[152:153]
	v_add_f64 v[142:143], v[1:2], v[142:143]
	v_add_f64 v[144:145], v[3:4], v[144:145]
	ds_read_b128 v[1:4], v184 offset:64
	ds_read_b128 v[138:141], v184 offset:80
	s_waitcnt vmcnt(16)
	v_fma_f64 v[135:136], v[146:147], v[158:159], -v[135:136]
	v_fma_f64 v[146:147], v[148:149], v[158:159], v[150:151]
	s_waitcnt vmcnt(12) lgkmcnt(1)
	v_mul_f64 v[154:155], v[3:4], v[160:161]
	v_mul_f64 v[160:161], v[1:2], v[160:161]
	v_add_f64 v[142:143], v[142:143], v[156:157]
	v_add_f64 v[144:145], v[144:145], v[152:153]
	s_waitcnt vmcnt(10) lgkmcnt(0)
	v_mul_f64 v[148:149], v[140:141], v[162:163]
	v_mul_f64 v[150:151], v[138:139], v[162:163]
	s_waitcnt vmcnt(8)
	v_fma_f64 v[152:153], v[1:2], v[166:167], -v[154:155]
	v_fma_f64 v[154:155], v[3:4], v[166:167], v[160:161]
	v_add_f64 v[135:136], v[142:143], v[135:136]
	v_add_f64 v[146:147], v[144:145], v[146:147]
	ds_read_b128 v[1:4], v184 offset:96
	ds_read_b128 v[142:145], v184 offset:112
	v_fma_f64 v[138:139], v[138:139], v[164:165], -v[148:149]
	v_fma_f64 v[140:141], v[140:141], v[164:165], v[150:151]
	s_waitcnt vmcnt(4) lgkmcnt(1)
	v_mul_f64 v[156:157], v[3:4], v[168:169]
	v_mul_f64 v[158:159], v[1:2], v[168:169]
	v_add_f64 v[135:136], v[135:136], v[152:153]
	v_add_f64 v[146:147], v[146:147], v[154:155]
	s_waitcnt vmcnt(2) lgkmcnt(0)
	v_mul_f64 v[148:149], v[144:145], v[170:171]
	v_mul_f64 v[150:151], v[142:143], v[170:171]
	s_waitcnt vmcnt(0)
	v_fma_f64 v[1:2], v[1:2], v[174:175], -v[156:157]
	v_fma_f64 v[3:4], v[3:4], v[174:175], v[158:159]
	v_add_f64 v[135:136], v[135:136], v[138:139]
	v_add_f64 v[138:139], v[146:147], v[140:141]
	v_fma_f64 v[140:141], v[142:143], v[172:173], -v[148:149]
	v_fma_f64 v[142:143], v[144:145], v[172:173], v[150:151]
	v_add_f64 v[1:2], v[135:136], v[1:2]
	v_add_f64 v[3:4], v[138:139], v[3:4]
	v_mov_b32_e32 v135, s75
	s_mov_b32 s75, s76
	v_add_f64 v[1:2], v[1:2], v[140:141]
	v_add_f64 v[3:4], v[3:4], v[142:143]
	s_andn2_b32 exec_lo, exec_lo, s72
	s_cbranch_execnz .LBB126_739
; %bb.740:
	s_or_b32 exec_lo, exec_lo, s72
.LBB126_741:
	s_or_b32 exec_lo, exec_lo, s5
	v_and_b32_e32 v133, 7, v133
	s_mov_b32 s72, 0
	s_mov_b32 s5, exec_lo
	v_cmpx_ne_u32_e32 0, v133
	s_cbranch_execz .LBB126_745
; %bb.742:
	v_lshlrev_b32_e32 v135, 4, v135
	v_add_nc_u32_e32 v134, 0x3f0, v135
	.p2align	6
.LBB126_743:                            ; =>This Inner Loop Header: Depth=1
	s_clause 0x3
	buffer_load_dword v142, v135, s[0:3], 0 offen offset:8
	buffer_load_dword v143, v135, s[0:3], 0 offen offset:12
	buffer_load_dword v144, v135, s[0:3], 0 offen
	buffer_load_dword v145, v135, s[0:3], 0 offen offset:4
	ds_read_b128 v[138:141], v134
	v_add_nc_u32_e32 v133, -1, v133
	v_add_nc_u32_e32 v134, 16, v134
	v_add_nc_u32_e32 v135, 16, v135
	v_cmp_eq_u32_e32 vcc_lo, 0, v133
	s_or_b32 s72, vcc_lo, s72
	s_waitcnt vmcnt(2) lgkmcnt(0)
	v_mul_f64 v[146:147], v[140:141], v[142:143]
	v_mul_f64 v[142:143], v[138:139], v[142:143]
	s_waitcnt vmcnt(0)
	v_fma_f64 v[138:139], v[138:139], v[144:145], -v[146:147]
	v_fma_f64 v[140:141], v[140:141], v[144:145], v[142:143]
	v_add_f64 v[1:2], v[1:2], v[138:139]
	v_add_f64 v[3:4], v[3:4], v[140:141]
	s_andn2_b32 exec_lo, exec_lo, s72
	s_cbranch_execnz .LBB126_743
; %bb.744:
	s_or_b32 exec_lo, exec_lo, s72
.LBB126_745:
	s_or_b32 exec_lo, exec_lo, s5
.LBB126_746:
	s_or_b32 exec_lo, exec_lo, s8
	v_mov_b32_e32 v133, 0
	ds_read_b128 v[133:136], v133 offset:128
	s_waitcnt lgkmcnt(0)
	v_mul_f64 v[138:139], v[3:4], v[135:136]
	v_mul_f64 v[135:136], v[1:2], v[135:136]
	v_fma_f64 v[1:2], v[1:2], v[133:134], -v[138:139]
	v_fma_f64 v[3:4], v[3:4], v[133:134], v[135:136]
	buffer_store_dword v2, off, s[0:3], 0 offset:132
	buffer_store_dword v1, off, s[0:3], 0 offset:128
	;; [unrolled: 1-line block ×4, first 2 shown]
.LBB126_747:
	s_or_b32 exec_lo, exec_lo, s6
	v_mov_b32_e32 v4, s65
	v_cmp_lt_u32_e64 s5, 7, v0
	s_clause 0x3
	buffer_load_dword v1, v4, s[0:3], 0 offen
	buffer_load_dword v2, v4, s[0:3], 0 offen offset:4
	buffer_load_dword v3, v4, s[0:3], 0 offen offset:8
	;; [unrolled: 1-line block ×3, first 2 shown]
	s_waitcnt vmcnt(0)
	ds_write_b128 v132, v[1:4]
	s_waitcnt lgkmcnt(0)
	s_waitcnt_vscnt null, 0x0
	s_barrier
	buffer_gl0_inv
	s_and_saveexec_b32 s6, s5
	s_cbranch_execz .LBB126_761
; %bb.748:
	ds_read_b128 v[1:4], v132
	s_andn2_b32 vcc_lo, exec_lo, s7
	s_cbranch_vccnz .LBB126_750
; %bb.749:
	s_clause 0x3
	buffer_load_dword v133, v131, s[0:3], 0 offen offset:8
	buffer_load_dword v134, v131, s[0:3], 0 offen offset:12
	buffer_load_dword v135, v131, s[0:3], 0 offen
	buffer_load_dword v136, v131, s[0:3], 0 offen offset:4
	s_waitcnt vmcnt(2) lgkmcnt(0)
	v_mul_f64 v[138:139], v[3:4], v[133:134]
	v_mul_f64 v[133:134], v[1:2], v[133:134]
	s_waitcnt vmcnt(0)
	v_fma_f64 v[1:2], v[1:2], v[135:136], -v[138:139]
	v_fma_f64 v[3:4], v[3:4], v[135:136], v[133:134]
.LBB126_750:
	s_and_saveexec_b32 s8, s4
	s_cbranch_execz .LBB126_760
; %bb.751:
	v_add_nc_u32_e32 v133, -9, v0
	v_cmp_lt_u32_e32 vcc_lo, 6, v133
	v_mov_b32_e32 v133, 8
	s_and_saveexec_b32 s4, vcc_lo
	s_cbranch_execz .LBB126_755
; %bb.752:
	v_and_b32_e32 v133, 56, v0
	s_mov_b32 s72, 8
	s_movk_i32 s74, 0x470
	s_mov_b32 s73, 0
	s_mov_b32 s75, s64
.LBB126_753:                            ; =>This Inner Loop Header: Depth=1
	v_mov_b32_e32 v136, s75
	s_add_i32 s72, s72, 8
	s_addk_i32 s75, 0x80
	v_cmp_eq_u32_e32 vcc_lo, s72, v133
	s_clause 0x1f
	buffer_load_dword v134, v136, s[0:3], 0 offen offset:8
	buffer_load_dword v135, v136, s[0:3], 0 offen offset:12
	buffer_load_dword v146, v136, s[0:3], 0 offen
	buffer_load_dword v147, v136, s[0:3], 0 offen offset:4
	buffer_load_dword v148, v136, s[0:3], 0 offen offset:24
	;; [unrolled: 1-line block ×29, first 2 shown]
	v_mov_b32_e32 v136, s74
	s_addk_i32 s74, 0x80
	s_or_b32 s73, vcc_lo, s73
	ds_read_b128 v[138:141], v136
	ds_read_b128 v[142:145], v136 offset:16
	s_waitcnt vmcnt(30) lgkmcnt(1)
	v_mul_f64 v[176:177], v[140:141], v[134:135]
	v_mul_f64 v[134:135], v[138:139], v[134:135]
	s_waitcnt vmcnt(26) lgkmcnt(0)
	v_mul_f64 v[178:179], v[144:145], v[148:149]
	v_mul_f64 v[180:181], v[142:143], v[148:149]
	v_fma_f64 v[176:177], v[138:139], v[146:147], -v[176:177]
	v_fma_f64 v[134:135], v[140:141], v[146:147], v[134:135]
	ds_read_b128 v[138:141], v136 offset:32
	ds_read_b128 v[146:149], v136 offset:48
	s_waitcnt vmcnt(24)
	v_fma_f64 v[142:143], v[142:143], v[150:151], -v[178:179]
	v_fma_f64 v[144:145], v[144:145], v[150:151], v[180:181]
	s_waitcnt vmcnt(22) lgkmcnt(1)
	v_mul_f64 v[182:183], v[140:141], v[152:153]
	v_mul_f64 v[152:153], v[138:139], v[152:153]
	v_add_f64 v[1:2], v[1:2], v[176:177]
	v_add_f64 v[3:4], v[3:4], v[134:135]
	s_waitcnt vmcnt(18) lgkmcnt(0)
	v_mul_f64 v[134:135], v[148:149], v[156:157]
	v_mul_f64 v[150:151], v[146:147], v[156:157]
	v_fma_f64 v[156:157], v[138:139], v[154:155], -v[182:183]
	v_fma_f64 v[152:153], v[140:141], v[154:155], v[152:153]
	v_add_f64 v[142:143], v[1:2], v[142:143]
	v_add_f64 v[144:145], v[3:4], v[144:145]
	ds_read_b128 v[1:4], v136 offset:64
	ds_read_b128 v[138:141], v136 offset:80
	s_waitcnt vmcnt(16)
	v_fma_f64 v[134:135], v[146:147], v[158:159], -v[134:135]
	v_fma_f64 v[146:147], v[148:149], v[158:159], v[150:151]
	s_waitcnt vmcnt(12) lgkmcnt(1)
	v_mul_f64 v[154:155], v[3:4], v[160:161]
	v_mul_f64 v[160:161], v[1:2], v[160:161]
	v_add_f64 v[142:143], v[142:143], v[156:157]
	v_add_f64 v[144:145], v[144:145], v[152:153]
	s_waitcnt vmcnt(10) lgkmcnt(0)
	v_mul_f64 v[148:149], v[140:141], v[162:163]
	v_mul_f64 v[150:151], v[138:139], v[162:163]
	s_waitcnt vmcnt(8)
	v_fma_f64 v[152:153], v[1:2], v[166:167], -v[154:155]
	v_fma_f64 v[154:155], v[3:4], v[166:167], v[160:161]
	v_add_f64 v[134:135], v[142:143], v[134:135]
	v_add_f64 v[146:147], v[144:145], v[146:147]
	ds_read_b128 v[1:4], v136 offset:96
	ds_read_b128 v[142:145], v136 offset:112
	v_fma_f64 v[138:139], v[138:139], v[164:165], -v[148:149]
	v_fma_f64 v[140:141], v[140:141], v[164:165], v[150:151]
	s_waitcnt vmcnt(4) lgkmcnt(1)
	v_mul_f64 v[156:157], v[3:4], v[168:169]
	v_mul_f64 v[158:159], v[1:2], v[168:169]
	v_add_f64 v[134:135], v[134:135], v[152:153]
	v_add_f64 v[146:147], v[146:147], v[154:155]
	s_waitcnt vmcnt(2) lgkmcnt(0)
	v_mul_f64 v[148:149], v[144:145], v[170:171]
	v_mul_f64 v[150:151], v[142:143], v[170:171]
	s_waitcnt vmcnt(0)
	v_fma_f64 v[1:2], v[1:2], v[174:175], -v[156:157]
	v_fma_f64 v[3:4], v[3:4], v[174:175], v[158:159]
	v_add_f64 v[134:135], v[134:135], v[138:139]
	v_add_f64 v[138:139], v[146:147], v[140:141]
	v_fma_f64 v[140:141], v[142:143], v[172:173], -v[148:149]
	v_fma_f64 v[142:143], v[144:145], v[172:173], v[150:151]
	v_add_f64 v[1:2], v[134:135], v[1:2]
	v_add_f64 v[3:4], v[138:139], v[3:4]
	;; [unrolled: 1-line block ×4, first 2 shown]
	s_andn2_b32 exec_lo, exec_lo, s73
	s_cbranch_execnz .LBB126_753
; %bb.754:
	s_or_b32 exec_lo, exec_lo, s73
.LBB126_755:
	s_or_b32 exec_lo, exec_lo, s4
	v_and_b32_e32 v134, 7, v0
	s_mov_b32 s72, 0
	s_mov_b32 s4, exec_lo
	v_cmpx_ne_u32_e32 0, v134
	s_cbranch_execz .LBB126_759
; %bb.756:
	v_lshlrev_b32_e32 v135, 4, v133
	v_add_nc_u32_e32 v133, 0x3f0, v135
	.p2align	6
.LBB126_757:                            ; =>This Inner Loop Header: Depth=1
	s_clause 0x3
	buffer_load_dword v142, v135, s[0:3], 0 offen offset:8
	buffer_load_dword v143, v135, s[0:3], 0 offen offset:12
	buffer_load_dword v144, v135, s[0:3], 0 offen
	buffer_load_dword v145, v135, s[0:3], 0 offen offset:4
	ds_read_b128 v[138:141], v133
	v_add_nc_u32_e32 v134, -1, v134
	v_add_nc_u32_e32 v133, 16, v133
	v_add_nc_u32_e32 v135, 16, v135
	v_cmp_eq_u32_e32 vcc_lo, 0, v134
	s_or_b32 s72, vcc_lo, s72
	s_waitcnt vmcnt(2) lgkmcnt(0)
	v_mul_f64 v[146:147], v[140:141], v[142:143]
	v_mul_f64 v[142:143], v[138:139], v[142:143]
	s_waitcnt vmcnt(0)
	v_fma_f64 v[138:139], v[138:139], v[144:145], -v[146:147]
	v_fma_f64 v[140:141], v[140:141], v[144:145], v[142:143]
	v_add_f64 v[1:2], v[1:2], v[138:139]
	v_add_f64 v[3:4], v[3:4], v[140:141]
	s_andn2_b32 exec_lo, exec_lo, s72
	s_cbranch_execnz .LBB126_757
; %bb.758:
	s_or_b32 exec_lo, exec_lo, s72
.LBB126_759:
	s_or_b32 exec_lo, exec_lo, s4
.LBB126_760:
	s_or_b32 exec_lo, exec_lo, s8
	v_mov_b32_e32 v133, 0
	ds_read_b128 v[133:136], v133 offset:112
	s_waitcnt lgkmcnt(0)
	v_mul_f64 v[138:139], v[3:4], v[135:136]
	v_mul_f64 v[135:136], v[1:2], v[135:136]
	v_fma_f64 v[1:2], v[1:2], v[133:134], -v[138:139]
	v_fma_f64 v[3:4], v[3:4], v[133:134], v[135:136]
	buffer_store_dword v2, off, s[0:3], 0 offset:116
	buffer_store_dword v1, off, s[0:3], 0 offset:112
	;; [unrolled: 1-line block ×4, first 2 shown]
.LBB126_761:
	s_or_b32 exec_lo, exec_lo, s6
	v_mov_b32_e32 v4, s66
	v_cmp_lt_u32_e64 s4, 6, v0
	s_clause 0x3
	buffer_load_dword v1, v4, s[0:3], 0 offen
	buffer_load_dword v2, v4, s[0:3], 0 offen offset:4
	buffer_load_dword v3, v4, s[0:3], 0 offen offset:8
	;; [unrolled: 1-line block ×3, first 2 shown]
	s_waitcnt vmcnt(0)
	ds_write_b128 v132, v[1:4]
	s_waitcnt lgkmcnt(0)
	s_waitcnt_vscnt null, 0x0
	s_barrier
	buffer_gl0_inv
	s_and_saveexec_b32 s6, s4
	s_cbranch_execz .LBB126_775
; %bb.762:
	ds_read_b128 v[1:4], v132
	s_andn2_b32 vcc_lo, exec_lo, s7
	s_cbranch_vccnz .LBB126_764
; %bb.763:
	s_clause 0x3
	buffer_load_dword v133, v131, s[0:3], 0 offen offset:8
	buffer_load_dword v134, v131, s[0:3], 0 offen offset:12
	buffer_load_dword v135, v131, s[0:3], 0 offen
	buffer_load_dword v136, v131, s[0:3], 0 offen offset:4
	s_waitcnt vmcnt(2) lgkmcnt(0)
	v_mul_f64 v[138:139], v[3:4], v[133:134]
	v_mul_f64 v[133:134], v[1:2], v[133:134]
	s_waitcnt vmcnt(0)
	v_fma_f64 v[1:2], v[1:2], v[135:136], -v[138:139]
	v_fma_f64 v[3:4], v[3:4], v[135:136], v[133:134]
.LBB126_764:
	s_and_saveexec_b32 s8, s5
	s_cbranch_execz .LBB126_774
; %bb.765:
	v_add_nc_u32_e32 v134, -8, v0
	v_add_nc_u32_e32 v133, -7, v0
	v_mov_b32_e32 v135, 7
	s_mov_b32 s5, exec_lo
	v_cmpx_lt_u32_e32 6, v134
	s_cbranch_execz .LBB126_769
; %bb.766:
	v_and_b32_e32 v134, -8, v133
	s_movk_i32 s73, 0x460
	s_mov_b32 s72, 0
	s_mov_b32 s74, s65
	;; [unrolled: 1-line block ×3, first 2 shown]
.LBB126_767:                            ; =>This Inner Loop Header: Depth=1
	v_mov_b32_e32 v138, s74
	v_mov_b32_e32 v184, s73
	s_add_i32 s76, s75, 8
	s_add_i32 s75, s75, 15
	v_cmp_eq_u32_e32 vcc_lo, s76, v134
	s_clause 0x1f
	buffer_load_dword v135, v138, s[0:3], 0 offen offset:8
	buffer_load_dword v136, v138, s[0:3], 0 offen offset:12
	buffer_load_dword v146, v138, s[0:3], 0 offen
	buffer_load_dword v147, v138, s[0:3], 0 offen offset:4
	buffer_load_dword v148, v138, s[0:3], 0 offen offset:24
	;; [unrolled: 1-line block ×29, first 2 shown]
	ds_read_b128 v[138:141], v184
	ds_read_b128 v[142:145], v184 offset:16
	s_addk_i32 s73, 0x80
	s_addk_i32 s74, 0x80
	s_or_b32 s72, vcc_lo, s72
	s_waitcnt vmcnt(30) lgkmcnt(1)
	v_mul_f64 v[176:177], v[140:141], v[135:136]
	v_mul_f64 v[135:136], v[138:139], v[135:136]
	s_waitcnt vmcnt(26) lgkmcnt(0)
	v_mul_f64 v[178:179], v[144:145], v[148:149]
	v_mul_f64 v[180:181], v[142:143], v[148:149]
	v_fma_f64 v[176:177], v[138:139], v[146:147], -v[176:177]
	v_fma_f64 v[135:136], v[140:141], v[146:147], v[135:136]
	ds_read_b128 v[138:141], v184 offset:32
	ds_read_b128 v[146:149], v184 offset:48
	s_waitcnt vmcnt(24)
	v_fma_f64 v[142:143], v[142:143], v[150:151], -v[178:179]
	v_fma_f64 v[144:145], v[144:145], v[150:151], v[180:181]
	s_waitcnt vmcnt(22) lgkmcnt(1)
	v_mul_f64 v[182:183], v[140:141], v[152:153]
	v_mul_f64 v[152:153], v[138:139], v[152:153]
	v_add_f64 v[1:2], v[1:2], v[176:177]
	v_add_f64 v[3:4], v[3:4], v[135:136]
	s_waitcnt vmcnt(18) lgkmcnt(0)
	v_mul_f64 v[135:136], v[148:149], v[156:157]
	v_mul_f64 v[150:151], v[146:147], v[156:157]
	v_fma_f64 v[156:157], v[138:139], v[154:155], -v[182:183]
	v_fma_f64 v[152:153], v[140:141], v[154:155], v[152:153]
	v_add_f64 v[142:143], v[1:2], v[142:143]
	v_add_f64 v[144:145], v[3:4], v[144:145]
	ds_read_b128 v[1:4], v184 offset:64
	ds_read_b128 v[138:141], v184 offset:80
	s_waitcnt vmcnt(16)
	v_fma_f64 v[135:136], v[146:147], v[158:159], -v[135:136]
	v_fma_f64 v[146:147], v[148:149], v[158:159], v[150:151]
	s_waitcnt vmcnt(12) lgkmcnt(1)
	v_mul_f64 v[154:155], v[3:4], v[160:161]
	v_mul_f64 v[160:161], v[1:2], v[160:161]
	v_add_f64 v[142:143], v[142:143], v[156:157]
	v_add_f64 v[144:145], v[144:145], v[152:153]
	s_waitcnt vmcnt(10) lgkmcnt(0)
	v_mul_f64 v[148:149], v[140:141], v[162:163]
	v_mul_f64 v[150:151], v[138:139], v[162:163]
	s_waitcnt vmcnt(8)
	v_fma_f64 v[152:153], v[1:2], v[166:167], -v[154:155]
	v_fma_f64 v[154:155], v[3:4], v[166:167], v[160:161]
	v_add_f64 v[135:136], v[142:143], v[135:136]
	v_add_f64 v[146:147], v[144:145], v[146:147]
	ds_read_b128 v[1:4], v184 offset:96
	ds_read_b128 v[142:145], v184 offset:112
	v_fma_f64 v[138:139], v[138:139], v[164:165], -v[148:149]
	v_fma_f64 v[140:141], v[140:141], v[164:165], v[150:151]
	s_waitcnt vmcnt(4) lgkmcnt(1)
	v_mul_f64 v[156:157], v[3:4], v[168:169]
	v_mul_f64 v[158:159], v[1:2], v[168:169]
	v_add_f64 v[135:136], v[135:136], v[152:153]
	v_add_f64 v[146:147], v[146:147], v[154:155]
	s_waitcnt vmcnt(2) lgkmcnt(0)
	v_mul_f64 v[148:149], v[144:145], v[170:171]
	v_mul_f64 v[150:151], v[142:143], v[170:171]
	s_waitcnt vmcnt(0)
	v_fma_f64 v[1:2], v[1:2], v[174:175], -v[156:157]
	v_fma_f64 v[3:4], v[3:4], v[174:175], v[158:159]
	v_add_f64 v[135:136], v[135:136], v[138:139]
	v_add_f64 v[138:139], v[146:147], v[140:141]
	v_fma_f64 v[140:141], v[142:143], v[172:173], -v[148:149]
	v_fma_f64 v[142:143], v[144:145], v[172:173], v[150:151]
	v_add_f64 v[1:2], v[135:136], v[1:2]
	v_add_f64 v[3:4], v[138:139], v[3:4]
	v_mov_b32_e32 v135, s75
	s_mov_b32 s75, s76
	v_add_f64 v[1:2], v[1:2], v[140:141]
	v_add_f64 v[3:4], v[3:4], v[142:143]
	s_andn2_b32 exec_lo, exec_lo, s72
	s_cbranch_execnz .LBB126_767
; %bb.768:
	s_or_b32 exec_lo, exec_lo, s72
.LBB126_769:
	s_or_b32 exec_lo, exec_lo, s5
	v_and_b32_e32 v133, 7, v133
	s_mov_b32 s72, 0
	s_mov_b32 s5, exec_lo
	v_cmpx_ne_u32_e32 0, v133
	s_cbranch_execz .LBB126_773
; %bb.770:
	v_lshlrev_b32_e32 v135, 4, v135
	v_add_nc_u32_e32 v134, 0x3f0, v135
	.p2align	6
.LBB126_771:                            ; =>This Inner Loop Header: Depth=1
	s_clause 0x3
	buffer_load_dword v142, v135, s[0:3], 0 offen offset:8
	buffer_load_dword v143, v135, s[0:3], 0 offen offset:12
	buffer_load_dword v144, v135, s[0:3], 0 offen
	buffer_load_dword v145, v135, s[0:3], 0 offen offset:4
	ds_read_b128 v[138:141], v134
	v_add_nc_u32_e32 v133, -1, v133
	v_add_nc_u32_e32 v134, 16, v134
	v_add_nc_u32_e32 v135, 16, v135
	v_cmp_eq_u32_e32 vcc_lo, 0, v133
	s_or_b32 s72, vcc_lo, s72
	s_waitcnt vmcnt(2) lgkmcnt(0)
	v_mul_f64 v[146:147], v[140:141], v[142:143]
	v_mul_f64 v[142:143], v[138:139], v[142:143]
	s_waitcnt vmcnt(0)
	v_fma_f64 v[138:139], v[138:139], v[144:145], -v[146:147]
	v_fma_f64 v[140:141], v[140:141], v[144:145], v[142:143]
	v_add_f64 v[1:2], v[1:2], v[138:139]
	v_add_f64 v[3:4], v[3:4], v[140:141]
	s_andn2_b32 exec_lo, exec_lo, s72
	s_cbranch_execnz .LBB126_771
; %bb.772:
	s_or_b32 exec_lo, exec_lo, s72
.LBB126_773:
	s_or_b32 exec_lo, exec_lo, s5
.LBB126_774:
	s_or_b32 exec_lo, exec_lo, s8
	v_mov_b32_e32 v133, 0
	ds_read_b128 v[133:136], v133 offset:96
	s_waitcnt lgkmcnt(0)
	v_mul_f64 v[138:139], v[3:4], v[135:136]
	v_mul_f64 v[135:136], v[1:2], v[135:136]
	v_fma_f64 v[1:2], v[1:2], v[133:134], -v[138:139]
	v_fma_f64 v[3:4], v[3:4], v[133:134], v[135:136]
	buffer_store_dword v2, off, s[0:3], 0 offset:100
	buffer_store_dword v1, off, s[0:3], 0 offset:96
	;; [unrolled: 1-line block ×4, first 2 shown]
.LBB126_775:
	s_or_b32 exec_lo, exec_lo, s6
	v_mov_b32_e32 v4, s67
	v_cmp_lt_u32_e64 s5, 5, v0
	s_clause 0x3
	buffer_load_dword v1, v4, s[0:3], 0 offen
	buffer_load_dword v2, v4, s[0:3], 0 offen offset:4
	buffer_load_dword v3, v4, s[0:3], 0 offen offset:8
	;; [unrolled: 1-line block ×3, first 2 shown]
	s_waitcnt vmcnt(0)
	ds_write_b128 v132, v[1:4]
	s_waitcnt lgkmcnt(0)
	s_waitcnt_vscnt null, 0x0
	s_barrier
	buffer_gl0_inv
	s_and_saveexec_b32 s6, s5
	s_cbranch_execz .LBB126_789
; %bb.776:
	ds_read_b128 v[1:4], v132
	s_andn2_b32 vcc_lo, exec_lo, s7
	s_cbranch_vccnz .LBB126_778
; %bb.777:
	s_clause 0x3
	buffer_load_dword v133, v131, s[0:3], 0 offen offset:8
	buffer_load_dword v134, v131, s[0:3], 0 offen offset:12
	buffer_load_dword v135, v131, s[0:3], 0 offen
	buffer_load_dword v136, v131, s[0:3], 0 offen offset:4
	s_waitcnt vmcnt(2) lgkmcnt(0)
	v_mul_f64 v[138:139], v[3:4], v[133:134]
	v_mul_f64 v[133:134], v[1:2], v[133:134]
	s_waitcnt vmcnt(0)
	v_fma_f64 v[1:2], v[1:2], v[135:136], -v[138:139]
	v_fma_f64 v[3:4], v[3:4], v[135:136], v[133:134]
.LBB126_778:
	s_and_saveexec_b32 s8, s4
	s_cbranch_execz .LBB126_788
; %bb.779:
	v_add_nc_u32_e32 v134, -7, v0
	v_add_nc_u32_e32 v133, -6, v0
	v_mov_b32_e32 v135, 6
	s_mov_b32 s4, exec_lo
	v_cmpx_lt_u32_e32 6, v134
	s_cbranch_execz .LBB126_783
; %bb.780:
	v_and_b32_e32 v134, -8, v133
	s_movk_i32 s73, 0x450
	s_mov_b32 s72, 0
	s_mov_b32 s74, s66
	;; [unrolled: 1-line block ×3, first 2 shown]
.LBB126_781:                            ; =>This Inner Loop Header: Depth=1
	v_mov_b32_e32 v138, s74
	v_mov_b32_e32 v184, s73
	s_add_i32 s76, s75, 8
	s_add_i32 s75, s75, 14
	v_cmp_eq_u32_e32 vcc_lo, s76, v134
	s_clause 0x1f
	buffer_load_dword v135, v138, s[0:3], 0 offen offset:8
	buffer_load_dword v136, v138, s[0:3], 0 offen offset:12
	buffer_load_dword v146, v138, s[0:3], 0 offen
	buffer_load_dword v147, v138, s[0:3], 0 offen offset:4
	buffer_load_dword v148, v138, s[0:3], 0 offen offset:24
	;; [unrolled: 1-line block ×29, first 2 shown]
	ds_read_b128 v[138:141], v184
	ds_read_b128 v[142:145], v184 offset:16
	s_addk_i32 s73, 0x80
	s_addk_i32 s74, 0x80
	s_or_b32 s72, vcc_lo, s72
	s_waitcnt vmcnt(30) lgkmcnt(1)
	v_mul_f64 v[176:177], v[140:141], v[135:136]
	v_mul_f64 v[135:136], v[138:139], v[135:136]
	s_waitcnt vmcnt(26) lgkmcnt(0)
	v_mul_f64 v[178:179], v[144:145], v[148:149]
	v_mul_f64 v[180:181], v[142:143], v[148:149]
	v_fma_f64 v[176:177], v[138:139], v[146:147], -v[176:177]
	v_fma_f64 v[135:136], v[140:141], v[146:147], v[135:136]
	ds_read_b128 v[138:141], v184 offset:32
	ds_read_b128 v[146:149], v184 offset:48
	s_waitcnt vmcnt(24)
	v_fma_f64 v[142:143], v[142:143], v[150:151], -v[178:179]
	v_fma_f64 v[144:145], v[144:145], v[150:151], v[180:181]
	s_waitcnt vmcnt(22) lgkmcnt(1)
	v_mul_f64 v[182:183], v[140:141], v[152:153]
	v_mul_f64 v[152:153], v[138:139], v[152:153]
	v_add_f64 v[1:2], v[1:2], v[176:177]
	v_add_f64 v[3:4], v[3:4], v[135:136]
	s_waitcnt vmcnt(18) lgkmcnt(0)
	v_mul_f64 v[135:136], v[148:149], v[156:157]
	v_mul_f64 v[150:151], v[146:147], v[156:157]
	v_fma_f64 v[156:157], v[138:139], v[154:155], -v[182:183]
	v_fma_f64 v[152:153], v[140:141], v[154:155], v[152:153]
	v_add_f64 v[142:143], v[1:2], v[142:143]
	v_add_f64 v[144:145], v[3:4], v[144:145]
	ds_read_b128 v[1:4], v184 offset:64
	ds_read_b128 v[138:141], v184 offset:80
	s_waitcnt vmcnt(16)
	v_fma_f64 v[135:136], v[146:147], v[158:159], -v[135:136]
	v_fma_f64 v[146:147], v[148:149], v[158:159], v[150:151]
	s_waitcnt vmcnt(12) lgkmcnt(1)
	v_mul_f64 v[154:155], v[3:4], v[160:161]
	v_mul_f64 v[160:161], v[1:2], v[160:161]
	v_add_f64 v[142:143], v[142:143], v[156:157]
	v_add_f64 v[144:145], v[144:145], v[152:153]
	s_waitcnt vmcnt(10) lgkmcnt(0)
	v_mul_f64 v[148:149], v[140:141], v[162:163]
	v_mul_f64 v[150:151], v[138:139], v[162:163]
	s_waitcnt vmcnt(8)
	v_fma_f64 v[152:153], v[1:2], v[166:167], -v[154:155]
	v_fma_f64 v[154:155], v[3:4], v[166:167], v[160:161]
	v_add_f64 v[135:136], v[142:143], v[135:136]
	v_add_f64 v[146:147], v[144:145], v[146:147]
	ds_read_b128 v[1:4], v184 offset:96
	ds_read_b128 v[142:145], v184 offset:112
	v_fma_f64 v[138:139], v[138:139], v[164:165], -v[148:149]
	v_fma_f64 v[140:141], v[140:141], v[164:165], v[150:151]
	s_waitcnt vmcnt(4) lgkmcnt(1)
	v_mul_f64 v[156:157], v[3:4], v[168:169]
	v_mul_f64 v[158:159], v[1:2], v[168:169]
	v_add_f64 v[135:136], v[135:136], v[152:153]
	v_add_f64 v[146:147], v[146:147], v[154:155]
	s_waitcnt vmcnt(2) lgkmcnt(0)
	v_mul_f64 v[148:149], v[144:145], v[170:171]
	v_mul_f64 v[150:151], v[142:143], v[170:171]
	s_waitcnt vmcnt(0)
	v_fma_f64 v[1:2], v[1:2], v[174:175], -v[156:157]
	v_fma_f64 v[3:4], v[3:4], v[174:175], v[158:159]
	v_add_f64 v[135:136], v[135:136], v[138:139]
	v_add_f64 v[138:139], v[146:147], v[140:141]
	v_fma_f64 v[140:141], v[142:143], v[172:173], -v[148:149]
	v_fma_f64 v[142:143], v[144:145], v[172:173], v[150:151]
	v_add_f64 v[1:2], v[135:136], v[1:2]
	v_add_f64 v[3:4], v[138:139], v[3:4]
	v_mov_b32_e32 v135, s75
	s_mov_b32 s75, s76
	v_add_f64 v[1:2], v[1:2], v[140:141]
	v_add_f64 v[3:4], v[3:4], v[142:143]
	s_andn2_b32 exec_lo, exec_lo, s72
	s_cbranch_execnz .LBB126_781
; %bb.782:
	s_or_b32 exec_lo, exec_lo, s72
.LBB126_783:
	s_or_b32 exec_lo, exec_lo, s4
	v_and_b32_e32 v133, 7, v133
	s_mov_b32 s72, 0
	s_mov_b32 s4, exec_lo
	v_cmpx_ne_u32_e32 0, v133
	s_cbranch_execz .LBB126_787
; %bb.784:
	v_lshlrev_b32_e32 v135, 4, v135
	v_add_nc_u32_e32 v134, 0x3f0, v135
	.p2align	6
.LBB126_785:                            ; =>This Inner Loop Header: Depth=1
	s_clause 0x3
	buffer_load_dword v142, v135, s[0:3], 0 offen offset:8
	buffer_load_dword v143, v135, s[0:3], 0 offen offset:12
	buffer_load_dword v144, v135, s[0:3], 0 offen
	buffer_load_dword v145, v135, s[0:3], 0 offen offset:4
	ds_read_b128 v[138:141], v134
	v_add_nc_u32_e32 v133, -1, v133
	v_add_nc_u32_e32 v134, 16, v134
	v_add_nc_u32_e32 v135, 16, v135
	v_cmp_eq_u32_e32 vcc_lo, 0, v133
	s_or_b32 s72, vcc_lo, s72
	s_waitcnt vmcnt(2) lgkmcnt(0)
	v_mul_f64 v[146:147], v[140:141], v[142:143]
	v_mul_f64 v[142:143], v[138:139], v[142:143]
	s_waitcnt vmcnt(0)
	v_fma_f64 v[138:139], v[138:139], v[144:145], -v[146:147]
	v_fma_f64 v[140:141], v[140:141], v[144:145], v[142:143]
	v_add_f64 v[1:2], v[1:2], v[138:139]
	v_add_f64 v[3:4], v[3:4], v[140:141]
	s_andn2_b32 exec_lo, exec_lo, s72
	s_cbranch_execnz .LBB126_785
; %bb.786:
	s_or_b32 exec_lo, exec_lo, s72
.LBB126_787:
	s_or_b32 exec_lo, exec_lo, s4
.LBB126_788:
	s_or_b32 exec_lo, exec_lo, s8
	v_mov_b32_e32 v133, 0
	ds_read_b128 v[133:136], v133 offset:80
	s_waitcnt lgkmcnt(0)
	v_mul_f64 v[138:139], v[3:4], v[135:136]
	v_mul_f64 v[135:136], v[1:2], v[135:136]
	v_fma_f64 v[1:2], v[1:2], v[133:134], -v[138:139]
	v_fma_f64 v[3:4], v[3:4], v[133:134], v[135:136]
	buffer_store_dword v2, off, s[0:3], 0 offset:84
	buffer_store_dword v1, off, s[0:3], 0 offset:80
	;; [unrolled: 1-line block ×4, first 2 shown]
.LBB126_789:
	s_or_b32 exec_lo, exec_lo, s6
	v_mov_b32_e32 v4, s68
	v_cmp_lt_u32_e64 s4, 4, v0
	s_clause 0x3
	buffer_load_dword v1, v4, s[0:3], 0 offen
	buffer_load_dword v2, v4, s[0:3], 0 offen offset:4
	buffer_load_dword v3, v4, s[0:3], 0 offen offset:8
	;; [unrolled: 1-line block ×3, first 2 shown]
	s_waitcnt vmcnt(0)
	ds_write_b128 v132, v[1:4]
	s_waitcnt lgkmcnt(0)
	s_waitcnt_vscnt null, 0x0
	s_barrier
	buffer_gl0_inv
	s_and_saveexec_b32 s6, s4
	s_cbranch_execz .LBB126_803
; %bb.790:
	ds_read_b128 v[1:4], v132
	s_andn2_b32 vcc_lo, exec_lo, s7
	s_cbranch_vccnz .LBB126_792
; %bb.791:
	s_clause 0x3
	buffer_load_dword v133, v131, s[0:3], 0 offen offset:8
	buffer_load_dword v134, v131, s[0:3], 0 offen offset:12
	buffer_load_dword v135, v131, s[0:3], 0 offen
	buffer_load_dword v136, v131, s[0:3], 0 offen offset:4
	s_waitcnt vmcnt(2) lgkmcnt(0)
	v_mul_f64 v[138:139], v[3:4], v[133:134]
	v_mul_f64 v[133:134], v[1:2], v[133:134]
	s_waitcnt vmcnt(0)
	v_fma_f64 v[1:2], v[1:2], v[135:136], -v[138:139]
	v_fma_f64 v[3:4], v[3:4], v[135:136], v[133:134]
.LBB126_792:
	s_and_saveexec_b32 s8, s5
	s_cbranch_execz .LBB126_802
; %bb.793:
	v_add_nc_u32_e32 v134, -6, v0
	v_add_nc_u32_e32 v133, -5, v0
	v_mov_b32_e32 v135, 5
	s_mov_b32 s5, exec_lo
	v_cmpx_lt_u32_e32 6, v134
	s_cbranch_execz .LBB126_797
; %bb.794:
	v_and_b32_e32 v134, -8, v133
	s_movk_i32 s73, 0x440
	s_mov_b32 s72, 0
	s_mov_b32 s74, s67
	;; [unrolled: 1-line block ×3, first 2 shown]
.LBB126_795:                            ; =>This Inner Loop Header: Depth=1
	v_mov_b32_e32 v138, s74
	v_mov_b32_e32 v184, s73
	s_add_i32 s76, s75, 8
	s_add_i32 s75, s75, 13
	v_cmp_eq_u32_e32 vcc_lo, s76, v134
	s_clause 0x1f
	buffer_load_dword v135, v138, s[0:3], 0 offen offset:8
	buffer_load_dword v136, v138, s[0:3], 0 offen offset:12
	buffer_load_dword v146, v138, s[0:3], 0 offen
	buffer_load_dword v147, v138, s[0:3], 0 offen offset:4
	buffer_load_dword v148, v138, s[0:3], 0 offen offset:24
	;; [unrolled: 1-line block ×29, first 2 shown]
	ds_read_b128 v[138:141], v184
	ds_read_b128 v[142:145], v184 offset:16
	s_addk_i32 s73, 0x80
	s_addk_i32 s74, 0x80
	s_or_b32 s72, vcc_lo, s72
	s_waitcnt vmcnt(30) lgkmcnt(1)
	v_mul_f64 v[176:177], v[140:141], v[135:136]
	v_mul_f64 v[135:136], v[138:139], v[135:136]
	s_waitcnt vmcnt(26) lgkmcnt(0)
	v_mul_f64 v[178:179], v[144:145], v[148:149]
	v_mul_f64 v[180:181], v[142:143], v[148:149]
	v_fma_f64 v[176:177], v[138:139], v[146:147], -v[176:177]
	v_fma_f64 v[135:136], v[140:141], v[146:147], v[135:136]
	ds_read_b128 v[138:141], v184 offset:32
	ds_read_b128 v[146:149], v184 offset:48
	s_waitcnt vmcnt(24)
	v_fma_f64 v[142:143], v[142:143], v[150:151], -v[178:179]
	v_fma_f64 v[144:145], v[144:145], v[150:151], v[180:181]
	s_waitcnt vmcnt(22) lgkmcnt(1)
	v_mul_f64 v[182:183], v[140:141], v[152:153]
	v_mul_f64 v[152:153], v[138:139], v[152:153]
	v_add_f64 v[1:2], v[1:2], v[176:177]
	v_add_f64 v[3:4], v[3:4], v[135:136]
	s_waitcnt vmcnt(18) lgkmcnt(0)
	v_mul_f64 v[135:136], v[148:149], v[156:157]
	v_mul_f64 v[150:151], v[146:147], v[156:157]
	v_fma_f64 v[156:157], v[138:139], v[154:155], -v[182:183]
	v_fma_f64 v[152:153], v[140:141], v[154:155], v[152:153]
	v_add_f64 v[142:143], v[1:2], v[142:143]
	v_add_f64 v[144:145], v[3:4], v[144:145]
	ds_read_b128 v[1:4], v184 offset:64
	ds_read_b128 v[138:141], v184 offset:80
	s_waitcnt vmcnt(16)
	v_fma_f64 v[135:136], v[146:147], v[158:159], -v[135:136]
	v_fma_f64 v[146:147], v[148:149], v[158:159], v[150:151]
	s_waitcnt vmcnt(12) lgkmcnt(1)
	v_mul_f64 v[154:155], v[3:4], v[160:161]
	v_mul_f64 v[160:161], v[1:2], v[160:161]
	v_add_f64 v[142:143], v[142:143], v[156:157]
	v_add_f64 v[144:145], v[144:145], v[152:153]
	s_waitcnt vmcnt(10) lgkmcnt(0)
	v_mul_f64 v[148:149], v[140:141], v[162:163]
	v_mul_f64 v[150:151], v[138:139], v[162:163]
	s_waitcnt vmcnt(8)
	v_fma_f64 v[152:153], v[1:2], v[166:167], -v[154:155]
	v_fma_f64 v[154:155], v[3:4], v[166:167], v[160:161]
	v_add_f64 v[135:136], v[142:143], v[135:136]
	v_add_f64 v[146:147], v[144:145], v[146:147]
	ds_read_b128 v[1:4], v184 offset:96
	ds_read_b128 v[142:145], v184 offset:112
	v_fma_f64 v[138:139], v[138:139], v[164:165], -v[148:149]
	v_fma_f64 v[140:141], v[140:141], v[164:165], v[150:151]
	s_waitcnt vmcnt(4) lgkmcnt(1)
	v_mul_f64 v[156:157], v[3:4], v[168:169]
	v_mul_f64 v[158:159], v[1:2], v[168:169]
	v_add_f64 v[135:136], v[135:136], v[152:153]
	v_add_f64 v[146:147], v[146:147], v[154:155]
	s_waitcnt vmcnt(2) lgkmcnt(0)
	v_mul_f64 v[148:149], v[144:145], v[170:171]
	v_mul_f64 v[150:151], v[142:143], v[170:171]
	s_waitcnt vmcnt(0)
	v_fma_f64 v[1:2], v[1:2], v[174:175], -v[156:157]
	v_fma_f64 v[3:4], v[3:4], v[174:175], v[158:159]
	v_add_f64 v[135:136], v[135:136], v[138:139]
	v_add_f64 v[138:139], v[146:147], v[140:141]
	v_fma_f64 v[140:141], v[142:143], v[172:173], -v[148:149]
	v_fma_f64 v[142:143], v[144:145], v[172:173], v[150:151]
	v_add_f64 v[1:2], v[135:136], v[1:2]
	v_add_f64 v[3:4], v[138:139], v[3:4]
	v_mov_b32_e32 v135, s75
	s_mov_b32 s75, s76
	v_add_f64 v[1:2], v[1:2], v[140:141]
	v_add_f64 v[3:4], v[3:4], v[142:143]
	s_andn2_b32 exec_lo, exec_lo, s72
	s_cbranch_execnz .LBB126_795
; %bb.796:
	s_or_b32 exec_lo, exec_lo, s72
.LBB126_797:
	s_or_b32 exec_lo, exec_lo, s5
	v_and_b32_e32 v133, 7, v133
	s_mov_b32 s72, 0
	s_mov_b32 s5, exec_lo
	v_cmpx_ne_u32_e32 0, v133
	s_cbranch_execz .LBB126_801
; %bb.798:
	v_lshlrev_b32_e32 v135, 4, v135
	v_add_nc_u32_e32 v134, 0x3f0, v135
	.p2align	6
.LBB126_799:                            ; =>This Inner Loop Header: Depth=1
	s_clause 0x3
	buffer_load_dword v142, v135, s[0:3], 0 offen offset:8
	buffer_load_dword v143, v135, s[0:3], 0 offen offset:12
	buffer_load_dword v144, v135, s[0:3], 0 offen
	buffer_load_dword v145, v135, s[0:3], 0 offen offset:4
	ds_read_b128 v[138:141], v134
	v_add_nc_u32_e32 v133, -1, v133
	v_add_nc_u32_e32 v134, 16, v134
	v_add_nc_u32_e32 v135, 16, v135
	v_cmp_eq_u32_e32 vcc_lo, 0, v133
	s_or_b32 s72, vcc_lo, s72
	s_waitcnt vmcnt(2) lgkmcnt(0)
	v_mul_f64 v[146:147], v[140:141], v[142:143]
	v_mul_f64 v[142:143], v[138:139], v[142:143]
	s_waitcnt vmcnt(0)
	v_fma_f64 v[138:139], v[138:139], v[144:145], -v[146:147]
	v_fma_f64 v[140:141], v[140:141], v[144:145], v[142:143]
	v_add_f64 v[1:2], v[1:2], v[138:139]
	v_add_f64 v[3:4], v[3:4], v[140:141]
	s_andn2_b32 exec_lo, exec_lo, s72
	s_cbranch_execnz .LBB126_799
; %bb.800:
	s_or_b32 exec_lo, exec_lo, s72
.LBB126_801:
	s_or_b32 exec_lo, exec_lo, s5
.LBB126_802:
	s_or_b32 exec_lo, exec_lo, s8
	v_mov_b32_e32 v133, 0
	ds_read_b128 v[133:136], v133 offset:64
	s_waitcnt lgkmcnt(0)
	v_mul_f64 v[138:139], v[3:4], v[135:136]
	v_mul_f64 v[135:136], v[1:2], v[135:136]
	v_fma_f64 v[1:2], v[1:2], v[133:134], -v[138:139]
	v_fma_f64 v[3:4], v[3:4], v[133:134], v[135:136]
	buffer_store_dword v2, off, s[0:3], 0 offset:68
	buffer_store_dword v1, off, s[0:3], 0 offset:64
	;; [unrolled: 1-line block ×4, first 2 shown]
.LBB126_803:
	s_or_b32 exec_lo, exec_lo, s6
	v_mov_b32_e32 v4, s69
	v_cmp_lt_u32_e64 s5, 3, v0
	s_clause 0x3
	buffer_load_dword v1, v4, s[0:3], 0 offen
	buffer_load_dword v2, v4, s[0:3], 0 offen offset:4
	buffer_load_dword v3, v4, s[0:3], 0 offen offset:8
	;; [unrolled: 1-line block ×3, first 2 shown]
	s_waitcnt vmcnt(0)
	ds_write_b128 v132, v[1:4]
	s_waitcnt lgkmcnt(0)
	s_waitcnt_vscnt null, 0x0
	s_barrier
	buffer_gl0_inv
	s_and_saveexec_b32 s6, s5
	s_cbranch_execz .LBB126_817
; %bb.804:
	ds_read_b128 v[1:4], v132
	s_andn2_b32 vcc_lo, exec_lo, s7
	s_cbranch_vccnz .LBB126_806
; %bb.805:
	s_clause 0x3
	buffer_load_dword v133, v131, s[0:3], 0 offen offset:8
	buffer_load_dword v134, v131, s[0:3], 0 offen offset:12
	buffer_load_dword v135, v131, s[0:3], 0 offen
	buffer_load_dword v136, v131, s[0:3], 0 offen offset:4
	s_waitcnt vmcnt(2) lgkmcnt(0)
	v_mul_f64 v[138:139], v[3:4], v[133:134]
	v_mul_f64 v[133:134], v[1:2], v[133:134]
	s_waitcnt vmcnt(0)
	v_fma_f64 v[1:2], v[1:2], v[135:136], -v[138:139]
	v_fma_f64 v[3:4], v[3:4], v[135:136], v[133:134]
.LBB126_806:
	s_and_saveexec_b32 s8, s4
	s_cbranch_execz .LBB126_816
; %bb.807:
	v_add_nc_u32_e32 v134, -5, v0
	v_add_nc_u32_e32 v133, -4, v0
	v_mov_b32_e32 v135, 4
	s_mov_b32 s4, exec_lo
	v_cmpx_lt_u32_e32 6, v134
	s_cbranch_execz .LBB126_811
; %bb.808:
	v_and_b32_e32 v134, -8, v133
	s_movk_i32 s73, 0x430
	s_mov_b32 s72, 0
	s_mov_b32 s74, s68
	;; [unrolled: 1-line block ×3, first 2 shown]
.LBB126_809:                            ; =>This Inner Loop Header: Depth=1
	v_mov_b32_e32 v138, s74
	v_mov_b32_e32 v184, s73
	s_add_i32 s76, s75, 8
	s_add_i32 s75, s75, 12
	v_cmp_eq_u32_e32 vcc_lo, s76, v134
	s_clause 0x1f
	buffer_load_dword v135, v138, s[0:3], 0 offen offset:8
	buffer_load_dword v136, v138, s[0:3], 0 offen offset:12
	buffer_load_dword v146, v138, s[0:3], 0 offen
	buffer_load_dword v147, v138, s[0:3], 0 offen offset:4
	buffer_load_dword v148, v138, s[0:3], 0 offen offset:24
	;; [unrolled: 1-line block ×29, first 2 shown]
	ds_read_b128 v[138:141], v184
	ds_read_b128 v[142:145], v184 offset:16
	s_addk_i32 s73, 0x80
	s_addk_i32 s74, 0x80
	s_or_b32 s72, vcc_lo, s72
	s_waitcnt vmcnt(30) lgkmcnt(1)
	v_mul_f64 v[176:177], v[140:141], v[135:136]
	v_mul_f64 v[135:136], v[138:139], v[135:136]
	s_waitcnt vmcnt(26) lgkmcnt(0)
	v_mul_f64 v[178:179], v[144:145], v[148:149]
	v_mul_f64 v[180:181], v[142:143], v[148:149]
	v_fma_f64 v[176:177], v[138:139], v[146:147], -v[176:177]
	v_fma_f64 v[135:136], v[140:141], v[146:147], v[135:136]
	ds_read_b128 v[138:141], v184 offset:32
	ds_read_b128 v[146:149], v184 offset:48
	s_waitcnt vmcnt(24)
	v_fma_f64 v[142:143], v[142:143], v[150:151], -v[178:179]
	v_fma_f64 v[144:145], v[144:145], v[150:151], v[180:181]
	s_waitcnt vmcnt(22) lgkmcnt(1)
	v_mul_f64 v[182:183], v[140:141], v[152:153]
	v_mul_f64 v[152:153], v[138:139], v[152:153]
	v_add_f64 v[1:2], v[1:2], v[176:177]
	v_add_f64 v[3:4], v[3:4], v[135:136]
	s_waitcnt vmcnt(18) lgkmcnt(0)
	v_mul_f64 v[135:136], v[148:149], v[156:157]
	v_mul_f64 v[150:151], v[146:147], v[156:157]
	v_fma_f64 v[156:157], v[138:139], v[154:155], -v[182:183]
	v_fma_f64 v[152:153], v[140:141], v[154:155], v[152:153]
	v_add_f64 v[142:143], v[1:2], v[142:143]
	v_add_f64 v[144:145], v[3:4], v[144:145]
	ds_read_b128 v[1:4], v184 offset:64
	ds_read_b128 v[138:141], v184 offset:80
	s_waitcnt vmcnt(16)
	v_fma_f64 v[135:136], v[146:147], v[158:159], -v[135:136]
	v_fma_f64 v[146:147], v[148:149], v[158:159], v[150:151]
	s_waitcnt vmcnt(12) lgkmcnt(1)
	v_mul_f64 v[154:155], v[3:4], v[160:161]
	v_mul_f64 v[160:161], v[1:2], v[160:161]
	v_add_f64 v[142:143], v[142:143], v[156:157]
	v_add_f64 v[144:145], v[144:145], v[152:153]
	s_waitcnt vmcnt(10) lgkmcnt(0)
	v_mul_f64 v[148:149], v[140:141], v[162:163]
	v_mul_f64 v[150:151], v[138:139], v[162:163]
	s_waitcnt vmcnt(8)
	v_fma_f64 v[152:153], v[1:2], v[166:167], -v[154:155]
	v_fma_f64 v[154:155], v[3:4], v[166:167], v[160:161]
	v_add_f64 v[135:136], v[142:143], v[135:136]
	v_add_f64 v[146:147], v[144:145], v[146:147]
	ds_read_b128 v[1:4], v184 offset:96
	ds_read_b128 v[142:145], v184 offset:112
	v_fma_f64 v[138:139], v[138:139], v[164:165], -v[148:149]
	v_fma_f64 v[140:141], v[140:141], v[164:165], v[150:151]
	s_waitcnt vmcnt(4) lgkmcnt(1)
	v_mul_f64 v[156:157], v[3:4], v[168:169]
	v_mul_f64 v[158:159], v[1:2], v[168:169]
	v_add_f64 v[135:136], v[135:136], v[152:153]
	v_add_f64 v[146:147], v[146:147], v[154:155]
	s_waitcnt vmcnt(2) lgkmcnt(0)
	v_mul_f64 v[148:149], v[144:145], v[170:171]
	v_mul_f64 v[150:151], v[142:143], v[170:171]
	s_waitcnt vmcnt(0)
	v_fma_f64 v[1:2], v[1:2], v[174:175], -v[156:157]
	v_fma_f64 v[3:4], v[3:4], v[174:175], v[158:159]
	v_add_f64 v[135:136], v[135:136], v[138:139]
	v_add_f64 v[138:139], v[146:147], v[140:141]
	v_fma_f64 v[140:141], v[142:143], v[172:173], -v[148:149]
	v_fma_f64 v[142:143], v[144:145], v[172:173], v[150:151]
	v_add_f64 v[1:2], v[135:136], v[1:2]
	v_add_f64 v[3:4], v[138:139], v[3:4]
	v_mov_b32_e32 v135, s75
	s_mov_b32 s75, s76
	v_add_f64 v[1:2], v[1:2], v[140:141]
	v_add_f64 v[3:4], v[3:4], v[142:143]
	s_andn2_b32 exec_lo, exec_lo, s72
	s_cbranch_execnz .LBB126_809
; %bb.810:
	s_or_b32 exec_lo, exec_lo, s72
.LBB126_811:
	s_or_b32 exec_lo, exec_lo, s4
	v_and_b32_e32 v133, 7, v133
	s_mov_b32 s72, 0
	s_mov_b32 s4, exec_lo
	v_cmpx_ne_u32_e32 0, v133
	s_cbranch_execz .LBB126_815
; %bb.812:
	v_lshlrev_b32_e32 v135, 4, v135
	v_add_nc_u32_e32 v134, 0x3f0, v135
	.p2align	6
.LBB126_813:                            ; =>This Inner Loop Header: Depth=1
	s_clause 0x3
	buffer_load_dword v142, v135, s[0:3], 0 offen offset:8
	buffer_load_dword v143, v135, s[0:3], 0 offen offset:12
	buffer_load_dword v144, v135, s[0:3], 0 offen
	buffer_load_dword v145, v135, s[0:3], 0 offen offset:4
	ds_read_b128 v[138:141], v134
	v_add_nc_u32_e32 v133, -1, v133
	v_add_nc_u32_e32 v134, 16, v134
	v_add_nc_u32_e32 v135, 16, v135
	v_cmp_eq_u32_e32 vcc_lo, 0, v133
	s_or_b32 s72, vcc_lo, s72
	s_waitcnt vmcnt(2) lgkmcnt(0)
	v_mul_f64 v[146:147], v[140:141], v[142:143]
	v_mul_f64 v[142:143], v[138:139], v[142:143]
	s_waitcnt vmcnt(0)
	v_fma_f64 v[138:139], v[138:139], v[144:145], -v[146:147]
	v_fma_f64 v[140:141], v[140:141], v[144:145], v[142:143]
	v_add_f64 v[1:2], v[1:2], v[138:139]
	v_add_f64 v[3:4], v[3:4], v[140:141]
	s_andn2_b32 exec_lo, exec_lo, s72
	s_cbranch_execnz .LBB126_813
; %bb.814:
	s_or_b32 exec_lo, exec_lo, s72
.LBB126_815:
	s_or_b32 exec_lo, exec_lo, s4
.LBB126_816:
	s_or_b32 exec_lo, exec_lo, s8
	v_mov_b32_e32 v133, 0
	ds_read_b128 v[133:136], v133 offset:48
	s_waitcnt lgkmcnt(0)
	v_mul_f64 v[138:139], v[3:4], v[135:136]
	v_mul_f64 v[135:136], v[1:2], v[135:136]
	v_fma_f64 v[1:2], v[1:2], v[133:134], -v[138:139]
	v_fma_f64 v[3:4], v[3:4], v[133:134], v[135:136]
	buffer_store_dword v2, off, s[0:3], 0 offset:52
	buffer_store_dword v1, off, s[0:3], 0 offset:48
	;; [unrolled: 1-line block ×4, first 2 shown]
.LBB126_817:
	s_or_b32 exec_lo, exec_lo, s6
	v_mov_b32_e32 v4, s70
	v_cmp_lt_u32_e64 s6, 2, v0
	s_clause 0x3
	buffer_load_dword v1, v4, s[0:3], 0 offen
	buffer_load_dword v2, v4, s[0:3], 0 offen offset:4
	buffer_load_dword v3, v4, s[0:3], 0 offen offset:8
	;; [unrolled: 1-line block ×3, first 2 shown]
	s_waitcnt vmcnt(0)
	ds_write_b128 v132, v[1:4]
	s_waitcnt lgkmcnt(0)
	s_waitcnt_vscnt null, 0x0
	s_barrier
	buffer_gl0_inv
	s_and_saveexec_b32 s4, s6
	s_cbranch_execz .LBB126_831
; %bb.818:
	ds_read_b128 v[1:4], v132
	s_andn2_b32 vcc_lo, exec_lo, s7
	s_cbranch_vccnz .LBB126_820
; %bb.819:
	s_clause 0x3
	buffer_load_dword v133, v131, s[0:3], 0 offen offset:8
	buffer_load_dword v134, v131, s[0:3], 0 offen offset:12
	buffer_load_dword v135, v131, s[0:3], 0 offen
	buffer_load_dword v136, v131, s[0:3], 0 offen offset:4
	s_waitcnt vmcnt(2) lgkmcnt(0)
	v_mul_f64 v[138:139], v[3:4], v[133:134]
	v_mul_f64 v[133:134], v[1:2], v[133:134]
	s_waitcnt vmcnt(0)
	v_fma_f64 v[1:2], v[1:2], v[135:136], -v[138:139]
	v_fma_f64 v[3:4], v[3:4], v[135:136], v[133:134]
.LBB126_820:
	s_and_saveexec_b32 s8, s5
	s_cbranch_execz .LBB126_830
; %bb.821:
	v_add_nc_u32_e32 v134, -4, v0
	v_add_nc_u32_e32 v133, -3, v0
	v_mov_b32_e32 v135, 3
	s_mov_b32 s5, exec_lo
	v_cmpx_lt_u32_e32 6, v134
	s_cbranch_execz .LBB126_825
; %bb.822:
	v_and_b32_e32 v134, -8, v133
	s_movk_i32 s73, 0x420
	s_mov_b32 s72, 0
	s_mov_b32 s74, s69
	;; [unrolled: 1-line block ×3, first 2 shown]
.LBB126_823:                            ; =>This Inner Loop Header: Depth=1
	v_mov_b32_e32 v138, s74
	v_mov_b32_e32 v184, s73
	s_add_i32 s76, s75, 8
	s_add_i32 s75, s75, 11
	v_cmp_eq_u32_e32 vcc_lo, s76, v134
	s_clause 0x1f
	buffer_load_dword v135, v138, s[0:3], 0 offen offset:8
	buffer_load_dword v136, v138, s[0:3], 0 offen offset:12
	buffer_load_dword v146, v138, s[0:3], 0 offen
	buffer_load_dword v147, v138, s[0:3], 0 offen offset:4
	buffer_load_dword v148, v138, s[0:3], 0 offen offset:24
	;; [unrolled: 1-line block ×29, first 2 shown]
	ds_read_b128 v[138:141], v184
	ds_read_b128 v[142:145], v184 offset:16
	s_addk_i32 s73, 0x80
	s_addk_i32 s74, 0x80
	s_or_b32 s72, vcc_lo, s72
	s_waitcnt vmcnt(30) lgkmcnt(1)
	v_mul_f64 v[176:177], v[140:141], v[135:136]
	v_mul_f64 v[135:136], v[138:139], v[135:136]
	s_waitcnt vmcnt(26) lgkmcnt(0)
	v_mul_f64 v[178:179], v[144:145], v[148:149]
	v_mul_f64 v[180:181], v[142:143], v[148:149]
	v_fma_f64 v[176:177], v[138:139], v[146:147], -v[176:177]
	v_fma_f64 v[135:136], v[140:141], v[146:147], v[135:136]
	ds_read_b128 v[138:141], v184 offset:32
	ds_read_b128 v[146:149], v184 offset:48
	s_waitcnt vmcnt(24)
	v_fma_f64 v[142:143], v[142:143], v[150:151], -v[178:179]
	v_fma_f64 v[144:145], v[144:145], v[150:151], v[180:181]
	s_waitcnt vmcnt(22) lgkmcnt(1)
	v_mul_f64 v[182:183], v[140:141], v[152:153]
	v_mul_f64 v[152:153], v[138:139], v[152:153]
	v_add_f64 v[1:2], v[1:2], v[176:177]
	v_add_f64 v[3:4], v[3:4], v[135:136]
	s_waitcnt vmcnt(18) lgkmcnt(0)
	v_mul_f64 v[135:136], v[148:149], v[156:157]
	v_mul_f64 v[150:151], v[146:147], v[156:157]
	v_fma_f64 v[156:157], v[138:139], v[154:155], -v[182:183]
	v_fma_f64 v[152:153], v[140:141], v[154:155], v[152:153]
	v_add_f64 v[142:143], v[1:2], v[142:143]
	v_add_f64 v[144:145], v[3:4], v[144:145]
	ds_read_b128 v[1:4], v184 offset:64
	ds_read_b128 v[138:141], v184 offset:80
	s_waitcnt vmcnt(16)
	v_fma_f64 v[135:136], v[146:147], v[158:159], -v[135:136]
	v_fma_f64 v[146:147], v[148:149], v[158:159], v[150:151]
	s_waitcnt vmcnt(12) lgkmcnt(1)
	v_mul_f64 v[154:155], v[3:4], v[160:161]
	v_mul_f64 v[160:161], v[1:2], v[160:161]
	v_add_f64 v[142:143], v[142:143], v[156:157]
	v_add_f64 v[144:145], v[144:145], v[152:153]
	s_waitcnt vmcnt(10) lgkmcnt(0)
	v_mul_f64 v[148:149], v[140:141], v[162:163]
	v_mul_f64 v[150:151], v[138:139], v[162:163]
	s_waitcnt vmcnt(8)
	v_fma_f64 v[152:153], v[1:2], v[166:167], -v[154:155]
	v_fma_f64 v[154:155], v[3:4], v[166:167], v[160:161]
	v_add_f64 v[135:136], v[142:143], v[135:136]
	v_add_f64 v[146:147], v[144:145], v[146:147]
	ds_read_b128 v[1:4], v184 offset:96
	ds_read_b128 v[142:145], v184 offset:112
	v_fma_f64 v[138:139], v[138:139], v[164:165], -v[148:149]
	v_fma_f64 v[140:141], v[140:141], v[164:165], v[150:151]
	s_waitcnt vmcnt(4) lgkmcnt(1)
	v_mul_f64 v[156:157], v[3:4], v[168:169]
	v_mul_f64 v[158:159], v[1:2], v[168:169]
	v_add_f64 v[135:136], v[135:136], v[152:153]
	v_add_f64 v[146:147], v[146:147], v[154:155]
	s_waitcnt vmcnt(2) lgkmcnt(0)
	v_mul_f64 v[148:149], v[144:145], v[170:171]
	v_mul_f64 v[150:151], v[142:143], v[170:171]
	s_waitcnt vmcnt(0)
	v_fma_f64 v[1:2], v[1:2], v[174:175], -v[156:157]
	v_fma_f64 v[3:4], v[3:4], v[174:175], v[158:159]
	v_add_f64 v[135:136], v[135:136], v[138:139]
	v_add_f64 v[138:139], v[146:147], v[140:141]
	v_fma_f64 v[140:141], v[142:143], v[172:173], -v[148:149]
	v_fma_f64 v[142:143], v[144:145], v[172:173], v[150:151]
	v_add_f64 v[1:2], v[135:136], v[1:2]
	v_add_f64 v[3:4], v[138:139], v[3:4]
	v_mov_b32_e32 v135, s75
	s_mov_b32 s75, s76
	v_add_f64 v[1:2], v[1:2], v[140:141]
	v_add_f64 v[3:4], v[3:4], v[142:143]
	s_andn2_b32 exec_lo, exec_lo, s72
	s_cbranch_execnz .LBB126_823
; %bb.824:
	s_or_b32 exec_lo, exec_lo, s72
.LBB126_825:
	s_or_b32 exec_lo, exec_lo, s5
	v_and_b32_e32 v133, 7, v133
	s_mov_b32 s72, 0
	s_mov_b32 s5, exec_lo
	v_cmpx_ne_u32_e32 0, v133
	s_cbranch_execz .LBB126_829
; %bb.826:
	v_lshlrev_b32_e32 v135, 4, v135
	v_add_nc_u32_e32 v134, 0x3f0, v135
	.p2align	6
.LBB126_827:                            ; =>This Inner Loop Header: Depth=1
	s_clause 0x3
	buffer_load_dword v142, v135, s[0:3], 0 offen offset:8
	buffer_load_dword v143, v135, s[0:3], 0 offen offset:12
	buffer_load_dword v144, v135, s[0:3], 0 offen
	buffer_load_dword v145, v135, s[0:3], 0 offen offset:4
	ds_read_b128 v[138:141], v134
	v_add_nc_u32_e32 v133, -1, v133
	v_add_nc_u32_e32 v134, 16, v134
	v_add_nc_u32_e32 v135, 16, v135
	v_cmp_eq_u32_e32 vcc_lo, 0, v133
	s_or_b32 s72, vcc_lo, s72
	s_waitcnt vmcnt(2) lgkmcnt(0)
	v_mul_f64 v[146:147], v[140:141], v[142:143]
	v_mul_f64 v[142:143], v[138:139], v[142:143]
	s_waitcnt vmcnt(0)
	v_fma_f64 v[138:139], v[138:139], v[144:145], -v[146:147]
	v_fma_f64 v[140:141], v[140:141], v[144:145], v[142:143]
	v_add_f64 v[1:2], v[1:2], v[138:139]
	v_add_f64 v[3:4], v[3:4], v[140:141]
	s_andn2_b32 exec_lo, exec_lo, s72
	s_cbranch_execnz .LBB126_827
; %bb.828:
	s_or_b32 exec_lo, exec_lo, s72
.LBB126_829:
	s_or_b32 exec_lo, exec_lo, s5
.LBB126_830:
	s_or_b32 exec_lo, exec_lo, s8
	v_mov_b32_e32 v133, 0
	ds_read_b128 v[133:136], v133 offset:32
	s_waitcnt lgkmcnt(0)
	v_mul_f64 v[138:139], v[3:4], v[135:136]
	v_mul_f64 v[135:136], v[1:2], v[135:136]
	v_fma_f64 v[1:2], v[1:2], v[133:134], -v[138:139]
	v_fma_f64 v[3:4], v[3:4], v[133:134], v[135:136]
	buffer_store_dword v2, off, s[0:3], 0 offset:36
	buffer_store_dword v1, off, s[0:3], 0 offset:32
	;; [unrolled: 1-line block ×4, first 2 shown]
.LBB126_831:
	s_or_b32 exec_lo, exec_lo, s4
	v_mov_b32_e32 v4, s71
	v_cmp_lt_u32_e64 s4, 1, v0
	s_clause 0x3
	buffer_load_dword v1, v4, s[0:3], 0 offen
	buffer_load_dword v2, v4, s[0:3], 0 offen offset:4
	buffer_load_dword v3, v4, s[0:3], 0 offen offset:8
	;; [unrolled: 1-line block ×3, first 2 shown]
	s_waitcnt vmcnt(0)
	ds_write_b128 v132, v[1:4]
	s_waitcnt lgkmcnt(0)
	s_waitcnt_vscnt null, 0x0
	s_barrier
	buffer_gl0_inv
	s_and_saveexec_b32 s5, s4
	s_cbranch_execz .LBB126_845
; %bb.832:
	ds_read_b128 v[1:4], v132
	s_andn2_b32 vcc_lo, exec_lo, s7
	s_cbranch_vccnz .LBB126_834
; %bb.833:
	s_clause 0x3
	buffer_load_dword v133, v131, s[0:3], 0 offen offset:8
	buffer_load_dword v134, v131, s[0:3], 0 offen offset:12
	buffer_load_dword v135, v131, s[0:3], 0 offen
	buffer_load_dword v136, v131, s[0:3], 0 offen offset:4
	s_waitcnt vmcnt(2) lgkmcnt(0)
	v_mul_f64 v[138:139], v[3:4], v[133:134]
	v_mul_f64 v[133:134], v[1:2], v[133:134]
	s_waitcnt vmcnt(0)
	v_fma_f64 v[1:2], v[1:2], v[135:136], -v[138:139]
	v_fma_f64 v[3:4], v[3:4], v[135:136], v[133:134]
.LBB126_834:
	s_and_saveexec_b32 s8, s6
	s_cbranch_execz .LBB126_844
; %bb.835:
	v_add_nc_u32_e32 v134, -3, v0
	v_add_nc_u32_e32 v133, -2, v0
	v_mov_b32_e32 v135, 2
	s_mov_b32 s6, exec_lo
	v_cmpx_lt_u32_e32 6, v134
	s_cbranch_execz .LBB126_839
; %bb.836:
	v_and_b32_e32 v134, -8, v133
	s_movk_i32 s73, 0x410
	s_mov_b32 s72, 0
	s_mov_b32 s74, s70
	;; [unrolled: 1-line block ×3, first 2 shown]
.LBB126_837:                            ; =>This Inner Loop Header: Depth=1
	v_mov_b32_e32 v138, s74
	v_mov_b32_e32 v184, s73
	s_add_i32 s76, s75, 8
	s_add_i32 s75, s75, 10
	v_cmp_eq_u32_e32 vcc_lo, s76, v134
	s_clause 0x1f
	buffer_load_dword v135, v138, s[0:3], 0 offen offset:8
	buffer_load_dword v136, v138, s[0:3], 0 offen offset:12
	buffer_load_dword v146, v138, s[0:3], 0 offen
	buffer_load_dword v147, v138, s[0:3], 0 offen offset:4
	buffer_load_dword v148, v138, s[0:3], 0 offen offset:24
	;; [unrolled: 1-line block ×29, first 2 shown]
	ds_read_b128 v[138:141], v184
	ds_read_b128 v[142:145], v184 offset:16
	s_addk_i32 s73, 0x80
	s_addk_i32 s74, 0x80
	s_or_b32 s72, vcc_lo, s72
	s_waitcnt vmcnt(30) lgkmcnt(1)
	v_mul_f64 v[176:177], v[140:141], v[135:136]
	v_mul_f64 v[135:136], v[138:139], v[135:136]
	s_waitcnt vmcnt(26) lgkmcnt(0)
	v_mul_f64 v[178:179], v[144:145], v[148:149]
	v_mul_f64 v[180:181], v[142:143], v[148:149]
	v_fma_f64 v[176:177], v[138:139], v[146:147], -v[176:177]
	v_fma_f64 v[135:136], v[140:141], v[146:147], v[135:136]
	ds_read_b128 v[138:141], v184 offset:32
	ds_read_b128 v[146:149], v184 offset:48
	s_waitcnt vmcnt(24)
	v_fma_f64 v[142:143], v[142:143], v[150:151], -v[178:179]
	v_fma_f64 v[144:145], v[144:145], v[150:151], v[180:181]
	s_waitcnt vmcnt(22) lgkmcnt(1)
	v_mul_f64 v[182:183], v[140:141], v[152:153]
	v_mul_f64 v[152:153], v[138:139], v[152:153]
	v_add_f64 v[1:2], v[1:2], v[176:177]
	v_add_f64 v[3:4], v[3:4], v[135:136]
	s_waitcnt vmcnt(18) lgkmcnt(0)
	v_mul_f64 v[135:136], v[148:149], v[156:157]
	v_mul_f64 v[150:151], v[146:147], v[156:157]
	v_fma_f64 v[156:157], v[138:139], v[154:155], -v[182:183]
	v_fma_f64 v[152:153], v[140:141], v[154:155], v[152:153]
	v_add_f64 v[142:143], v[1:2], v[142:143]
	v_add_f64 v[144:145], v[3:4], v[144:145]
	ds_read_b128 v[1:4], v184 offset:64
	ds_read_b128 v[138:141], v184 offset:80
	s_waitcnt vmcnt(16)
	v_fma_f64 v[135:136], v[146:147], v[158:159], -v[135:136]
	v_fma_f64 v[146:147], v[148:149], v[158:159], v[150:151]
	s_waitcnt vmcnt(12) lgkmcnt(1)
	v_mul_f64 v[154:155], v[3:4], v[160:161]
	v_mul_f64 v[160:161], v[1:2], v[160:161]
	v_add_f64 v[142:143], v[142:143], v[156:157]
	v_add_f64 v[144:145], v[144:145], v[152:153]
	s_waitcnt vmcnt(10) lgkmcnt(0)
	v_mul_f64 v[148:149], v[140:141], v[162:163]
	v_mul_f64 v[150:151], v[138:139], v[162:163]
	s_waitcnt vmcnt(8)
	v_fma_f64 v[152:153], v[1:2], v[166:167], -v[154:155]
	v_fma_f64 v[154:155], v[3:4], v[166:167], v[160:161]
	v_add_f64 v[135:136], v[142:143], v[135:136]
	v_add_f64 v[146:147], v[144:145], v[146:147]
	ds_read_b128 v[1:4], v184 offset:96
	ds_read_b128 v[142:145], v184 offset:112
	v_fma_f64 v[138:139], v[138:139], v[164:165], -v[148:149]
	v_fma_f64 v[140:141], v[140:141], v[164:165], v[150:151]
	s_waitcnt vmcnt(4) lgkmcnt(1)
	v_mul_f64 v[156:157], v[3:4], v[168:169]
	v_mul_f64 v[158:159], v[1:2], v[168:169]
	v_add_f64 v[135:136], v[135:136], v[152:153]
	v_add_f64 v[146:147], v[146:147], v[154:155]
	s_waitcnt vmcnt(2) lgkmcnt(0)
	v_mul_f64 v[148:149], v[144:145], v[170:171]
	v_mul_f64 v[150:151], v[142:143], v[170:171]
	s_waitcnt vmcnt(0)
	v_fma_f64 v[1:2], v[1:2], v[174:175], -v[156:157]
	v_fma_f64 v[3:4], v[3:4], v[174:175], v[158:159]
	v_add_f64 v[135:136], v[135:136], v[138:139]
	v_add_f64 v[138:139], v[146:147], v[140:141]
	v_fma_f64 v[140:141], v[142:143], v[172:173], -v[148:149]
	v_fma_f64 v[142:143], v[144:145], v[172:173], v[150:151]
	v_add_f64 v[1:2], v[135:136], v[1:2]
	v_add_f64 v[3:4], v[138:139], v[3:4]
	v_mov_b32_e32 v135, s75
	s_mov_b32 s75, s76
	v_add_f64 v[1:2], v[1:2], v[140:141]
	v_add_f64 v[3:4], v[3:4], v[142:143]
	s_andn2_b32 exec_lo, exec_lo, s72
	s_cbranch_execnz .LBB126_837
; %bb.838:
	s_or_b32 exec_lo, exec_lo, s72
.LBB126_839:
	s_or_b32 exec_lo, exec_lo, s6
	v_and_b32_e32 v133, 7, v133
	s_mov_b32 s72, 0
	s_mov_b32 s6, exec_lo
	v_cmpx_ne_u32_e32 0, v133
	s_cbranch_execz .LBB126_843
; %bb.840:
	v_lshlrev_b32_e32 v135, 4, v135
	v_add_nc_u32_e32 v134, 0x3f0, v135
	.p2align	6
.LBB126_841:                            ; =>This Inner Loop Header: Depth=1
	s_clause 0x3
	buffer_load_dword v142, v135, s[0:3], 0 offen offset:8
	buffer_load_dword v143, v135, s[0:3], 0 offen offset:12
	buffer_load_dword v144, v135, s[0:3], 0 offen
	buffer_load_dword v145, v135, s[0:3], 0 offen offset:4
	ds_read_b128 v[138:141], v134
	v_add_nc_u32_e32 v133, -1, v133
	v_add_nc_u32_e32 v134, 16, v134
	v_add_nc_u32_e32 v135, 16, v135
	v_cmp_eq_u32_e32 vcc_lo, 0, v133
	s_or_b32 s72, vcc_lo, s72
	s_waitcnt vmcnt(2) lgkmcnt(0)
	v_mul_f64 v[146:147], v[140:141], v[142:143]
	v_mul_f64 v[142:143], v[138:139], v[142:143]
	s_waitcnt vmcnt(0)
	v_fma_f64 v[138:139], v[138:139], v[144:145], -v[146:147]
	v_fma_f64 v[140:141], v[140:141], v[144:145], v[142:143]
	v_add_f64 v[1:2], v[1:2], v[138:139]
	v_add_f64 v[3:4], v[3:4], v[140:141]
	s_andn2_b32 exec_lo, exec_lo, s72
	s_cbranch_execnz .LBB126_841
; %bb.842:
	s_or_b32 exec_lo, exec_lo, s72
.LBB126_843:
	s_or_b32 exec_lo, exec_lo, s6
.LBB126_844:
	s_or_b32 exec_lo, exec_lo, s8
	v_mov_b32_e32 v133, 0
	ds_read_b128 v[133:136], v133 offset:16
	s_waitcnt lgkmcnt(0)
	v_mul_f64 v[138:139], v[3:4], v[135:136]
	v_mul_f64 v[135:136], v[1:2], v[135:136]
	v_fma_f64 v[1:2], v[1:2], v[133:134], -v[138:139]
	v_fma_f64 v[3:4], v[3:4], v[133:134], v[135:136]
	buffer_store_dword v2, off, s[0:3], 0 offset:20
	buffer_store_dword v1, off, s[0:3], 0 offset:16
	;; [unrolled: 1-line block ×4, first 2 shown]
.LBB126_845:
	s_or_b32 exec_lo, exec_lo, s5
	s_clause 0x3
	buffer_load_dword v1, off, s[0:3], 0
	buffer_load_dword v2, off, s[0:3], 0 offset:4
	buffer_load_dword v3, off, s[0:3], 0 offset:8
	;; [unrolled: 1-line block ×3, first 2 shown]
	s_mov_b32 s5, 0
	s_mov_b32 s8, 0
	s_mov_b32 s6, exec_lo
                                        ; implicit-def: $sgpr72
	s_waitcnt vmcnt(0)
	ds_write_b128 v132, v[1:4]
	s_waitcnt lgkmcnt(0)
	s_waitcnt_vscnt null, 0x0
	s_barrier
	buffer_gl0_inv
                                        ; implicit-def: $vgpr1_vgpr2
	v_cmpx_ne_u32_e32 0, v0
	s_cbranch_execz .LBB126_859
; %bb.846:
	ds_read_b128 v[1:4], v132
	s_andn2_b32 vcc_lo, exec_lo, s7
	s_cbranch_vccnz .LBB126_848
; %bb.847:
	s_clause 0x3
	buffer_load_dword v133, v131, s[0:3], 0 offen offset:8
	buffer_load_dword v134, v131, s[0:3], 0 offen offset:12
	buffer_load_dword v135, v131, s[0:3], 0 offen
	buffer_load_dword v136, v131, s[0:3], 0 offen offset:4
	s_waitcnt vmcnt(2) lgkmcnt(0)
	v_mul_f64 v[138:139], v[3:4], v[133:134]
	v_mul_f64 v[133:134], v[1:2], v[133:134]
	s_waitcnt vmcnt(0)
	v_fma_f64 v[1:2], v[1:2], v[135:136], -v[138:139]
	v_fma_f64 v[3:4], v[3:4], v[135:136], v[133:134]
.LBB126_848:
	s_and_saveexec_b32 s8, s4
	s_cbranch_execz .LBB126_858
; %bb.849:
	v_add_nc_u32_e32 v134, -2, v0
	v_add_nc_u32_e32 v133, -1, v0
	v_mov_b32_e32 v135, 1
	s_mov_b32 s4, exec_lo
	v_cmpx_lt_u32_e32 6, v134
	s_cbranch_execz .LBB126_853
; %bb.850:
	v_and_b32_e32 v134, -8, v133
	s_movk_i32 s73, 0x400
	s_mov_b32 s72, 0
	s_mov_b32 s74, s71
	;; [unrolled: 1-line block ×3, first 2 shown]
.LBB126_851:                            ; =>This Inner Loop Header: Depth=1
	v_mov_b32_e32 v138, s74
	v_mov_b32_e32 v184, s73
	s_add_i32 s76, s75, 8
	s_add_i32 s75, s75, 9
	v_cmp_eq_u32_e32 vcc_lo, s76, v134
	s_clause 0x1f
	buffer_load_dword v135, v138, s[0:3], 0 offen offset:8
	buffer_load_dword v136, v138, s[0:3], 0 offen offset:12
	buffer_load_dword v146, v138, s[0:3], 0 offen
	buffer_load_dword v147, v138, s[0:3], 0 offen offset:4
	buffer_load_dword v148, v138, s[0:3], 0 offen offset:24
	;; [unrolled: 1-line block ×29, first 2 shown]
	ds_read_b128 v[138:141], v184
	ds_read_b128 v[142:145], v184 offset:16
	s_addk_i32 s73, 0x80
	s_addk_i32 s74, 0x80
	s_or_b32 s72, vcc_lo, s72
	s_waitcnt vmcnt(30) lgkmcnt(1)
	v_mul_f64 v[176:177], v[140:141], v[135:136]
	v_mul_f64 v[135:136], v[138:139], v[135:136]
	s_waitcnt vmcnt(26) lgkmcnt(0)
	v_mul_f64 v[178:179], v[144:145], v[148:149]
	v_mul_f64 v[180:181], v[142:143], v[148:149]
	v_fma_f64 v[176:177], v[138:139], v[146:147], -v[176:177]
	v_fma_f64 v[135:136], v[140:141], v[146:147], v[135:136]
	ds_read_b128 v[138:141], v184 offset:32
	ds_read_b128 v[146:149], v184 offset:48
	s_waitcnt vmcnt(24)
	v_fma_f64 v[142:143], v[142:143], v[150:151], -v[178:179]
	v_fma_f64 v[144:145], v[144:145], v[150:151], v[180:181]
	s_waitcnt vmcnt(22) lgkmcnt(1)
	v_mul_f64 v[182:183], v[140:141], v[152:153]
	v_mul_f64 v[152:153], v[138:139], v[152:153]
	v_add_f64 v[1:2], v[1:2], v[176:177]
	v_add_f64 v[3:4], v[3:4], v[135:136]
	s_waitcnt vmcnt(18) lgkmcnt(0)
	v_mul_f64 v[135:136], v[148:149], v[156:157]
	v_mul_f64 v[150:151], v[146:147], v[156:157]
	v_fma_f64 v[156:157], v[138:139], v[154:155], -v[182:183]
	v_fma_f64 v[152:153], v[140:141], v[154:155], v[152:153]
	v_add_f64 v[142:143], v[1:2], v[142:143]
	v_add_f64 v[144:145], v[3:4], v[144:145]
	ds_read_b128 v[1:4], v184 offset:64
	ds_read_b128 v[138:141], v184 offset:80
	s_waitcnt vmcnt(16)
	v_fma_f64 v[135:136], v[146:147], v[158:159], -v[135:136]
	v_fma_f64 v[146:147], v[148:149], v[158:159], v[150:151]
	s_waitcnt vmcnt(12) lgkmcnt(1)
	v_mul_f64 v[154:155], v[3:4], v[160:161]
	v_mul_f64 v[160:161], v[1:2], v[160:161]
	v_add_f64 v[142:143], v[142:143], v[156:157]
	v_add_f64 v[144:145], v[144:145], v[152:153]
	s_waitcnt vmcnt(10) lgkmcnt(0)
	v_mul_f64 v[148:149], v[140:141], v[162:163]
	v_mul_f64 v[150:151], v[138:139], v[162:163]
	s_waitcnt vmcnt(8)
	v_fma_f64 v[152:153], v[1:2], v[166:167], -v[154:155]
	v_fma_f64 v[154:155], v[3:4], v[166:167], v[160:161]
	v_add_f64 v[135:136], v[142:143], v[135:136]
	v_add_f64 v[146:147], v[144:145], v[146:147]
	ds_read_b128 v[1:4], v184 offset:96
	ds_read_b128 v[142:145], v184 offset:112
	v_fma_f64 v[138:139], v[138:139], v[164:165], -v[148:149]
	v_fma_f64 v[140:141], v[140:141], v[164:165], v[150:151]
	s_waitcnt vmcnt(4) lgkmcnt(1)
	v_mul_f64 v[156:157], v[3:4], v[168:169]
	v_mul_f64 v[158:159], v[1:2], v[168:169]
	v_add_f64 v[135:136], v[135:136], v[152:153]
	v_add_f64 v[146:147], v[146:147], v[154:155]
	s_waitcnt vmcnt(2) lgkmcnt(0)
	v_mul_f64 v[148:149], v[144:145], v[170:171]
	v_mul_f64 v[150:151], v[142:143], v[170:171]
	s_waitcnt vmcnt(0)
	v_fma_f64 v[1:2], v[1:2], v[174:175], -v[156:157]
	v_fma_f64 v[3:4], v[3:4], v[174:175], v[158:159]
	v_add_f64 v[135:136], v[135:136], v[138:139]
	v_add_f64 v[138:139], v[146:147], v[140:141]
	v_fma_f64 v[140:141], v[142:143], v[172:173], -v[148:149]
	v_fma_f64 v[142:143], v[144:145], v[172:173], v[150:151]
	v_add_f64 v[1:2], v[135:136], v[1:2]
	v_add_f64 v[3:4], v[138:139], v[3:4]
	v_mov_b32_e32 v135, s75
	s_mov_b32 s75, s76
	v_add_f64 v[1:2], v[1:2], v[140:141]
	v_add_f64 v[3:4], v[3:4], v[142:143]
	s_andn2_b32 exec_lo, exec_lo, s72
	s_cbranch_execnz .LBB126_851
; %bb.852:
	s_or_b32 exec_lo, exec_lo, s72
.LBB126_853:
	s_or_b32 exec_lo, exec_lo, s4
	v_and_b32_e32 v133, 7, v133
	s_mov_b32 s72, 0
	s_mov_b32 s4, exec_lo
	v_cmpx_ne_u32_e32 0, v133
	s_cbranch_execz .LBB126_857
; %bb.854:
	v_lshlrev_b32_e32 v135, 4, v135
	v_add_nc_u32_e32 v134, 0x3f0, v135
	.p2align	6
.LBB126_855:                            ; =>This Inner Loop Header: Depth=1
	s_clause 0x3
	buffer_load_dword v142, v135, s[0:3], 0 offen offset:8
	buffer_load_dword v143, v135, s[0:3], 0 offen offset:12
	buffer_load_dword v144, v135, s[0:3], 0 offen
	buffer_load_dword v145, v135, s[0:3], 0 offen offset:4
	ds_read_b128 v[138:141], v134
	v_add_nc_u32_e32 v133, -1, v133
	v_add_nc_u32_e32 v134, 16, v134
	v_add_nc_u32_e32 v135, 16, v135
	v_cmp_eq_u32_e32 vcc_lo, 0, v133
	s_or_b32 s72, vcc_lo, s72
	s_waitcnt vmcnt(2) lgkmcnt(0)
	v_mul_f64 v[146:147], v[140:141], v[142:143]
	v_mul_f64 v[142:143], v[138:139], v[142:143]
	s_waitcnt vmcnt(0)
	v_fma_f64 v[138:139], v[138:139], v[144:145], -v[146:147]
	v_fma_f64 v[140:141], v[140:141], v[144:145], v[142:143]
	v_add_f64 v[1:2], v[1:2], v[138:139]
	v_add_f64 v[3:4], v[3:4], v[140:141]
	s_andn2_b32 exec_lo, exec_lo, s72
	s_cbranch_execnz .LBB126_855
; %bb.856:
	s_or_b32 exec_lo, exec_lo, s72
.LBB126_857:
	s_or_b32 exec_lo, exec_lo, s4
.LBB126_858:
	s_or_b32 exec_lo, exec_lo, s8
	v_mov_b32_e32 v133, 0
	s_mov_b32 s8, exec_lo
	s_or_b32 s72, 0, 8
	ds_read_b128 v[133:136], v133
	s_waitcnt lgkmcnt(0)
	v_mul_f64 v[138:139], v[3:4], v[135:136]
	v_mul_f64 v[135:136], v[1:2], v[135:136]
	v_fma_f64 v[138:139], v[1:2], v[133:134], -v[138:139]
	v_fma_f64 v[1:2], v[3:4], v[133:134], v[135:136]
	buffer_store_dword v139, off, s[0:3], 0 offset:4
	buffer_store_dword v138, off, s[0:3], 0
.LBB126_859:
	s_or_b32 exec_lo, exec_lo, s6
	s_and_b32 vcc_lo, exec_lo, s5
	s_cbranch_vccnz .LBB126_861
	s_branch .LBB126_1364
.LBB126_860:
	s_mov_b32 s8, 0
                                        ; implicit-def: $vgpr1_vgpr2
                                        ; implicit-def: $sgpr72
	s_cbranch_execz .LBB126_1364
.LBB126_861:
	v_mov_b32_e32 v4, s71
	v_cmp_eq_u32_e64 s4, 0, v0
	v_cndmask_b32_e64 v133, 0, 1, s7
	s_clause 0x3
	buffer_load_dword v1, v4, s[0:3], 0 offen
	buffer_load_dword v2, v4, s[0:3], 0 offen offset:4
	buffer_load_dword v3, v4, s[0:3], 0 offen offset:8
	;; [unrolled: 1-line block ×3, first 2 shown]
	s_waitcnt vmcnt(0)
	ds_write_b128 v132, v[1:4]
	s_waitcnt lgkmcnt(0)
	s_waitcnt_vscnt null, 0x0
	s_barrier
	buffer_gl0_inv
	s_and_saveexec_b32 s5, s4
	s_cbranch_execz .LBB126_865
; %bb.862:
	ds_read_b128 v[1:4], v132
	s_andn2_b32 vcc_lo, exec_lo, s7
	s_cbranch_vccnz .LBB126_864
; %bb.863:
	s_clause 0x3
	buffer_load_dword v134, v131, s[0:3], 0 offen offset:8
	buffer_load_dword v135, v131, s[0:3], 0 offen offset:12
	buffer_load_dword v138, v131, s[0:3], 0 offen
	buffer_load_dword v139, v131, s[0:3], 0 offen offset:4
	s_waitcnt vmcnt(2) lgkmcnt(0)
	v_mul_f64 v[140:141], v[3:4], v[134:135]
	v_mul_f64 v[134:135], v[1:2], v[134:135]
	s_waitcnt vmcnt(0)
	v_fma_f64 v[1:2], v[1:2], v[138:139], -v[140:141]
	v_fma_f64 v[3:4], v[3:4], v[138:139], v[134:135]
.LBB126_864:
	v_mov_b32_e32 v134, 0
	ds_read_b128 v[138:141], v134 offset:16
	s_waitcnt lgkmcnt(0)
	v_mul_f64 v[134:135], v[3:4], v[140:141]
	v_mul_f64 v[140:141], v[1:2], v[140:141]
	v_fma_f64 v[1:2], v[1:2], v[138:139], -v[134:135]
	v_fma_f64 v[3:4], v[3:4], v[138:139], v[140:141]
	buffer_store_dword v2, off, s[0:3], 0 offset:20
	buffer_store_dword v1, off, s[0:3], 0 offset:16
	;; [unrolled: 1-line block ×4, first 2 shown]
.LBB126_865:
	s_or_b32 exec_lo, exec_lo, s5
	v_mov_b32_e32 v4, s70
	s_mov_b32 s5, exec_lo
	s_clause 0x3
	buffer_load_dword v1, v4, s[0:3], 0 offen
	buffer_load_dword v2, v4, s[0:3], 0 offen offset:4
	buffer_load_dword v3, v4, s[0:3], 0 offen offset:8
	;; [unrolled: 1-line block ×3, first 2 shown]
	s_waitcnt vmcnt(0)
	ds_write_b128 v132, v[1:4]
	s_waitcnt lgkmcnt(0)
	s_waitcnt_vscnt null, 0x0
	s_barrier
	buffer_gl0_inv
	v_cmpx_gt_u32_e32 2, v0
	s_cbranch_execz .LBB126_871
; %bb.866:
	ds_read_b128 v[1:4], v132
	v_cmp_ne_u32_e32 vcc_lo, 1, v133
	s_cbranch_vccnz .LBB126_868
; %bb.867:
	s_clause 0x3
	buffer_load_dword v134, v131, s[0:3], 0 offen offset:8
	buffer_load_dword v135, v131, s[0:3], 0 offen offset:12
	buffer_load_dword v138, v131, s[0:3], 0 offen
	buffer_load_dword v139, v131, s[0:3], 0 offen offset:4
	s_waitcnt vmcnt(2) lgkmcnt(0)
	v_mul_f64 v[140:141], v[3:4], v[134:135]
	v_mul_f64 v[134:135], v[1:2], v[134:135]
	s_waitcnt vmcnt(0)
	v_fma_f64 v[1:2], v[1:2], v[138:139], -v[140:141]
	v_fma_f64 v[3:4], v[3:4], v[138:139], v[134:135]
.LBB126_868:
	s_and_saveexec_b32 s6, s4
	s_cbranch_execz .LBB126_870
; %bb.869:
	s_clause 0x3
	buffer_load_dword v134, off, s[0:3], 0 offset:24
	buffer_load_dword v135, off, s[0:3], 0 offset:28
	;; [unrolled: 1-line block ×4, first 2 shown]
	v_mov_b32_e32 v136, 0
	ds_read_b128 v[138:141], v136 offset:1024
	s_waitcnt vmcnt(2) lgkmcnt(0)
	v_mul_f64 v[144:145], v[140:141], v[134:135]
	v_mul_f64 v[134:135], v[138:139], v[134:135]
	s_waitcnt vmcnt(0)
	v_fma_f64 v[138:139], v[138:139], v[142:143], -v[144:145]
	v_fma_f64 v[134:135], v[140:141], v[142:143], v[134:135]
	v_add_f64 v[1:2], v[1:2], v[138:139]
	v_add_f64 v[3:4], v[3:4], v[134:135]
.LBB126_870:
	s_or_b32 exec_lo, exec_lo, s6
	v_mov_b32_e32 v134, 0
	ds_read_b128 v[138:141], v134 offset:32
	s_waitcnt lgkmcnt(0)
	v_mul_f64 v[134:135], v[3:4], v[140:141]
	v_mul_f64 v[140:141], v[1:2], v[140:141]
	v_fma_f64 v[1:2], v[1:2], v[138:139], -v[134:135]
	v_fma_f64 v[3:4], v[3:4], v[138:139], v[140:141]
	buffer_store_dword v2, off, s[0:3], 0 offset:36
	buffer_store_dword v1, off, s[0:3], 0 offset:32
	;; [unrolled: 1-line block ×4, first 2 shown]
.LBB126_871:
	s_or_b32 exec_lo, exec_lo, s5
	v_mov_b32_e32 v4, s69
	v_cmp_gt_u32_e64 s5, 3, v0
	s_clause 0x3
	buffer_load_dword v1, v4, s[0:3], 0 offen
	buffer_load_dword v2, v4, s[0:3], 0 offen offset:4
	buffer_load_dword v3, v4, s[0:3], 0 offen offset:8
	;; [unrolled: 1-line block ×3, first 2 shown]
	s_waitcnt vmcnt(0)
	ds_write_b128 v132, v[1:4]
	s_waitcnt lgkmcnt(0)
	s_waitcnt_vscnt null, 0x0
	s_barrier
	buffer_gl0_inv
	s_and_saveexec_b32 s6, s5
	s_cbranch_execz .LBB126_879
; %bb.872:
	ds_read_b128 v[1:4], v132
	v_cmp_ne_u32_e32 vcc_lo, 1, v133
	s_cbranch_vccnz .LBB126_874
; %bb.873:
	s_clause 0x3
	buffer_load_dword v134, v131, s[0:3], 0 offen offset:8
	buffer_load_dword v135, v131, s[0:3], 0 offen offset:12
	buffer_load_dword v138, v131, s[0:3], 0 offen
	buffer_load_dword v139, v131, s[0:3], 0 offen offset:4
	s_waitcnt vmcnt(2) lgkmcnt(0)
	v_mul_f64 v[140:141], v[3:4], v[134:135]
	v_mul_f64 v[134:135], v[1:2], v[134:135]
	s_waitcnt vmcnt(0)
	v_fma_f64 v[1:2], v[1:2], v[138:139], -v[140:141]
	v_fma_f64 v[3:4], v[3:4], v[138:139], v[134:135]
.LBB126_874:
	s_mov_b32 s7, exec_lo
	v_cmpx_ne_u32_e32 2, v0
	s_cbranch_execz .LBB126_878
; %bb.875:
	s_clause 0x3
	buffer_load_dword v134, v131, s[0:3], 0 offen offset:24
	buffer_load_dword v135, v131, s[0:3], 0 offen offset:28
	;; [unrolled: 1-line block ×4, first 2 shown]
	ds_read_b128 v[138:141], v132 offset:16
	s_waitcnt vmcnt(2) lgkmcnt(0)
	v_mul_f64 v[144:145], v[140:141], v[134:135]
	v_mul_f64 v[134:135], v[138:139], v[134:135]
	s_waitcnt vmcnt(0)
	v_fma_f64 v[138:139], v[138:139], v[142:143], -v[144:145]
	v_fma_f64 v[134:135], v[140:141], v[142:143], v[134:135]
	v_add_f64 v[1:2], v[1:2], v[138:139]
	v_add_f64 v[3:4], v[3:4], v[134:135]
	s_and_saveexec_b32 s72, s4
	s_cbranch_execz .LBB126_877
; %bb.876:
	s_clause 0x3
	buffer_load_dword v134, off, s[0:3], 0 offset:40
	buffer_load_dword v135, off, s[0:3], 0 offset:44
	;; [unrolled: 1-line block ×4, first 2 shown]
	v_mov_b32_e32 v136, 0
	ds_read_b128 v[138:141], v136 offset:1040
	s_waitcnt vmcnt(2) lgkmcnt(0)
	v_mul_f64 v[144:145], v[138:139], v[134:135]
	v_mul_f64 v[134:135], v[140:141], v[134:135]
	s_waitcnt vmcnt(0)
	v_fma_f64 v[140:141], v[140:141], v[142:143], v[144:145]
	v_fma_f64 v[134:135], v[138:139], v[142:143], -v[134:135]
	v_add_f64 v[3:4], v[3:4], v[140:141]
	v_add_f64 v[1:2], v[1:2], v[134:135]
.LBB126_877:
	s_or_b32 exec_lo, exec_lo, s72
.LBB126_878:
	s_or_b32 exec_lo, exec_lo, s7
	v_mov_b32_e32 v134, 0
	ds_read_b128 v[138:141], v134 offset:48
	s_waitcnt lgkmcnt(0)
	v_mul_f64 v[134:135], v[3:4], v[140:141]
	v_mul_f64 v[140:141], v[1:2], v[140:141]
	v_fma_f64 v[1:2], v[1:2], v[138:139], -v[134:135]
	v_fma_f64 v[3:4], v[3:4], v[138:139], v[140:141]
	buffer_store_dword v2, off, s[0:3], 0 offset:52
	buffer_store_dword v1, off, s[0:3], 0 offset:48
	;; [unrolled: 1-line block ×4, first 2 shown]
.LBB126_879:
	s_or_b32 exec_lo, exec_lo, s6
	v_mov_b32_e32 v4, s68
	s_mov_b32 s6, exec_lo
	s_clause 0x3
	buffer_load_dword v1, v4, s[0:3], 0 offen
	buffer_load_dword v2, v4, s[0:3], 0 offen offset:4
	buffer_load_dword v3, v4, s[0:3], 0 offen offset:8
	;; [unrolled: 1-line block ×3, first 2 shown]
	s_waitcnt vmcnt(0)
	ds_write_b128 v132, v[1:4]
	s_waitcnt lgkmcnt(0)
	s_waitcnt_vscnt null, 0x0
	s_barrier
	buffer_gl0_inv
	v_cmpx_gt_u32_e32 4, v0
	s_cbranch_execz .LBB126_887
; %bb.880:
	ds_read_b128 v[1:4], v132
	v_cmp_ne_u32_e32 vcc_lo, 1, v133
	s_cbranch_vccnz .LBB126_882
; %bb.881:
	s_clause 0x3
	buffer_load_dword v134, v131, s[0:3], 0 offen offset:8
	buffer_load_dword v135, v131, s[0:3], 0 offen offset:12
	buffer_load_dword v138, v131, s[0:3], 0 offen
	buffer_load_dword v139, v131, s[0:3], 0 offen offset:4
	s_waitcnt vmcnt(2) lgkmcnt(0)
	v_mul_f64 v[140:141], v[3:4], v[134:135]
	v_mul_f64 v[134:135], v[1:2], v[134:135]
	s_waitcnt vmcnt(0)
	v_fma_f64 v[1:2], v[1:2], v[138:139], -v[140:141]
	v_fma_f64 v[3:4], v[3:4], v[138:139], v[134:135]
.LBB126_882:
	s_mov_b32 s7, exec_lo
	v_cmpx_ne_u32_e32 3, v0
	s_cbranch_execz .LBB126_886
; %bb.883:
	v_or_b32_e32 v134, 0x400, v137
	v_add3_u32 v135, 0, v137, 16
	v_mov_b32_e32 v136, v0
	s_mov_b32 s72, 0
	.p2align	6
.LBB126_884:                            ; =>This Inner Loop Header: Depth=1
	s_clause 0x3
	buffer_load_dword v142, v135, s[0:3], 0 offen offset:8
	buffer_load_dword v143, v135, s[0:3], 0 offen offset:12
	buffer_load_dword v144, v135, s[0:3], 0 offen
	buffer_load_dword v145, v135, s[0:3], 0 offen offset:4
	ds_read_b128 v[138:141], v134
	v_add_nc_u32_e32 v136, 1, v136
	v_add_nc_u32_e32 v134, 16, v134
	;; [unrolled: 1-line block ×3, first 2 shown]
	v_cmp_lt_u32_e32 vcc_lo, 2, v136
	s_or_b32 s72, vcc_lo, s72
	s_waitcnt vmcnt(2) lgkmcnt(0)
	v_mul_f64 v[146:147], v[140:141], v[142:143]
	v_mul_f64 v[142:143], v[138:139], v[142:143]
	s_waitcnt vmcnt(0)
	v_fma_f64 v[138:139], v[138:139], v[144:145], -v[146:147]
	v_fma_f64 v[140:141], v[140:141], v[144:145], v[142:143]
	v_add_f64 v[1:2], v[1:2], v[138:139]
	v_add_f64 v[3:4], v[3:4], v[140:141]
	s_andn2_b32 exec_lo, exec_lo, s72
	s_cbranch_execnz .LBB126_884
; %bb.885:
	s_or_b32 exec_lo, exec_lo, s72
.LBB126_886:
	s_or_b32 exec_lo, exec_lo, s7
	v_mov_b32_e32 v134, 0
	ds_read_b128 v[138:141], v134 offset:64
	s_waitcnt lgkmcnt(0)
	v_mul_f64 v[134:135], v[3:4], v[140:141]
	v_mul_f64 v[140:141], v[1:2], v[140:141]
	v_fma_f64 v[1:2], v[1:2], v[138:139], -v[134:135]
	v_fma_f64 v[3:4], v[3:4], v[138:139], v[140:141]
	buffer_store_dword v2, off, s[0:3], 0 offset:68
	buffer_store_dword v1, off, s[0:3], 0 offset:64
	;; [unrolled: 1-line block ×4, first 2 shown]
.LBB126_887:
	s_or_b32 exec_lo, exec_lo, s6
	v_mov_b32_e32 v4, s67
	v_cmp_gt_u32_e64 s6, 5, v0
	s_clause 0x3
	buffer_load_dword v1, v4, s[0:3], 0 offen
	buffer_load_dword v2, v4, s[0:3], 0 offen offset:4
	buffer_load_dword v3, v4, s[0:3], 0 offen offset:8
	;; [unrolled: 1-line block ×3, first 2 shown]
	s_waitcnt vmcnt(0)
	ds_write_b128 v132, v[1:4]
	s_waitcnt lgkmcnt(0)
	s_waitcnt_vscnt null, 0x0
	s_barrier
	buffer_gl0_inv
	s_and_saveexec_b32 s7, s6
	s_cbranch_execz .LBB126_895
; %bb.888:
	ds_read_b128 v[1:4], v132
	v_cmp_ne_u32_e32 vcc_lo, 1, v133
	s_cbranch_vccnz .LBB126_890
; %bb.889:
	s_clause 0x3
	buffer_load_dword v134, v131, s[0:3], 0 offen offset:8
	buffer_load_dword v135, v131, s[0:3], 0 offen offset:12
	buffer_load_dword v138, v131, s[0:3], 0 offen
	buffer_load_dword v139, v131, s[0:3], 0 offen offset:4
	s_waitcnt vmcnt(2) lgkmcnt(0)
	v_mul_f64 v[140:141], v[3:4], v[134:135]
	v_mul_f64 v[134:135], v[1:2], v[134:135]
	s_waitcnt vmcnt(0)
	v_fma_f64 v[1:2], v[1:2], v[138:139], -v[140:141]
	v_fma_f64 v[3:4], v[3:4], v[138:139], v[134:135]
.LBB126_890:
	s_mov_b32 s72, exec_lo
	v_cmpx_ne_u32_e32 4, v0
	s_cbranch_execz .LBB126_894
; %bb.891:
	v_or_b32_e32 v134, 0x400, v137
	v_add3_u32 v135, 0, v137, 16
	v_mov_b32_e32 v136, v0
	s_mov_b32 s73, 0
	.p2align	6
.LBB126_892:                            ; =>This Inner Loop Header: Depth=1
	s_clause 0x3
	buffer_load_dword v142, v135, s[0:3], 0 offen offset:8
	buffer_load_dword v143, v135, s[0:3], 0 offen offset:12
	buffer_load_dword v144, v135, s[0:3], 0 offen
	buffer_load_dword v145, v135, s[0:3], 0 offen offset:4
	ds_read_b128 v[138:141], v134
	v_add_nc_u32_e32 v136, 1, v136
	v_add_nc_u32_e32 v134, 16, v134
	;; [unrolled: 1-line block ×3, first 2 shown]
	v_cmp_lt_u32_e32 vcc_lo, 3, v136
	s_or_b32 s73, vcc_lo, s73
	s_waitcnt vmcnt(2) lgkmcnt(0)
	v_mul_f64 v[146:147], v[140:141], v[142:143]
	v_mul_f64 v[142:143], v[138:139], v[142:143]
	s_waitcnt vmcnt(0)
	v_fma_f64 v[138:139], v[138:139], v[144:145], -v[146:147]
	v_fma_f64 v[140:141], v[140:141], v[144:145], v[142:143]
	v_add_f64 v[1:2], v[1:2], v[138:139]
	v_add_f64 v[3:4], v[3:4], v[140:141]
	s_andn2_b32 exec_lo, exec_lo, s73
	s_cbranch_execnz .LBB126_892
; %bb.893:
	s_or_b32 exec_lo, exec_lo, s73
.LBB126_894:
	s_or_b32 exec_lo, exec_lo, s72
	v_mov_b32_e32 v134, 0
	ds_read_b128 v[138:141], v134 offset:80
	s_waitcnt lgkmcnt(0)
	v_mul_f64 v[134:135], v[3:4], v[140:141]
	v_mul_f64 v[140:141], v[1:2], v[140:141]
	v_fma_f64 v[1:2], v[1:2], v[138:139], -v[134:135]
	v_fma_f64 v[3:4], v[3:4], v[138:139], v[140:141]
	buffer_store_dword v2, off, s[0:3], 0 offset:84
	buffer_store_dword v1, off, s[0:3], 0 offset:80
	;; [unrolled: 1-line block ×4, first 2 shown]
.LBB126_895:
	s_or_b32 exec_lo, exec_lo, s7
	v_mov_b32_e32 v4, s66
	s_mov_b32 s7, exec_lo
	s_clause 0x3
	buffer_load_dword v1, v4, s[0:3], 0 offen
	buffer_load_dword v2, v4, s[0:3], 0 offen offset:4
	buffer_load_dword v3, v4, s[0:3], 0 offen offset:8
	;; [unrolled: 1-line block ×3, first 2 shown]
	s_waitcnt vmcnt(0)
	ds_write_b128 v132, v[1:4]
	s_waitcnt lgkmcnt(0)
	s_waitcnt_vscnt null, 0x0
	s_barrier
	buffer_gl0_inv
	v_cmpx_gt_u32_e32 6, v0
	s_cbranch_execz .LBB126_903
; %bb.896:
	ds_read_b128 v[1:4], v132
	v_cmp_ne_u32_e32 vcc_lo, 1, v133
	s_cbranch_vccnz .LBB126_898
; %bb.897:
	s_clause 0x3
	buffer_load_dword v134, v131, s[0:3], 0 offen offset:8
	buffer_load_dword v135, v131, s[0:3], 0 offen offset:12
	buffer_load_dword v138, v131, s[0:3], 0 offen
	buffer_load_dword v139, v131, s[0:3], 0 offen offset:4
	s_waitcnt vmcnt(2) lgkmcnt(0)
	v_mul_f64 v[140:141], v[3:4], v[134:135]
	v_mul_f64 v[134:135], v[1:2], v[134:135]
	s_waitcnt vmcnt(0)
	v_fma_f64 v[1:2], v[1:2], v[138:139], -v[140:141]
	v_fma_f64 v[3:4], v[3:4], v[138:139], v[134:135]
.LBB126_898:
	s_mov_b32 s72, exec_lo
	v_cmpx_ne_u32_e32 5, v0
	s_cbranch_execz .LBB126_902
; %bb.899:
	v_or_b32_e32 v134, 0x400, v137
	v_add3_u32 v135, 0, v137, 16
	v_mov_b32_e32 v136, v0
	s_mov_b32 s73, 0
	.p2align	6
.LBB126_900:                            ; =>This Inner Loop Header: Depth=1
	s_clause 0x3
	buffer_load_dword v142, v135, s[0:3], 0 offen offset:8
	buffer_load_dword v143, v135, s[0:3], 0 offen offset:12
	buffer_load_dword v144, v135, s[0:3], 0 offen
	buffer_load_dword v145, v135, s[0:3], 0 offen offset:4
	ds_read_b128 v[138:141], v134
	v_add_nc_u32_e32 v136, 1, v136
	v_add_nc_u32_e32 v134, 16, v134
	;; [unrolled: 1-line block ×3, first 2 shown]
	v_cmp_lt_u32_e32 vcc_lo, 4, v136
	s_or_b32 s73, vcc_lo, s73
	s_waitcnt vmcnt(2) lgkmcnt(0)
	v_mul_f64 v[146:147], v[140:141], v[142:143]
	v_mul_f64 v[142:143], v[138:139], v[142:143]
	s_waitcnt vmcnt(0)
	v_fma_f64 v[138:139], v[138:139], v[144:145], -v[146:147]
	v_fma_f64 v[140:141], v[140:141], v[144:145], v[142:143]
	v_add_f64 v[1:2], v[1:2], v[138:139]
	v_add_f64 v[3:4], v[3:4], v[140:141]
	s_andn2_b32 exec_lo, exec_lo, s73
	s_cbranch_execnz .LBB126_900
; %bb.901:
	s_or_b32 exec_lo, exec_lo, s73
.LBB126_902:
	s_or_b32 exec_lo, exec_lo, s72
	v_mov_b32_e32 v134, 0
	ds_read_b128 v[138:141], v134 offset:96
	s_waitcnt lgkmcnt(0)
	v_mul_f64 v[134:135], v[3:4], v[140:141]
	v_mul_f64 v[140:141], v[1:2], v[140:141]
	v_fma_f64 v[1:2], v[1:2], v[138:139], -v[134:135]
	v_fma_f64 v[3:4], v[3:4], v[138:139], v[140:141]
	buffer_store_dword v2, off, s[0:3], 0 offset:100
	buffer_store_dword v1, off, s[0:3], 0 offset:96
	;; [unrolled: 1-line block ×4, first 2 shown]
.LBB126_903:
	s_or_b32 exec_lo, exec_lo, s7
	v_mov_b32_e32 v4, s65
	v_cmp_gt_u32_e64 s7, 7, v0
	s_clause 0x3
	buffer_load_dword v1, v4, s[0:3], 0 offen
	buffer_load_dword v2, v4, s[0:3], 0 offen offset:4
	buffer_load_dword v3, v4, s[0:3], 0 offen offset:8
	;; [unrolled: 1-line block ×3, first 2 shown]
	s_waitcnt vmcnt(0)
	ds_write_b128 v132, v[1:4]
	s_waitcnt lgkmcnt(0)
	s_waitcnt_vscnt null, 0x0
	s_barrier
	buffer_gl0_inv
	s_and_saveexec_b32 s72, s7
	s_cbranch_execz .LBB126_911
; %bb.904:
	ds_read_b128 v[1:4], v132
	v_cmp_ne_u32_e32 vcc_lo, 1, v133
	s_cbranch_vccnz .LBB126_906
; %bb.905:
	s_clause 0x3
	buffer_load_dword v134, v131, s[0:3], 0 offen offset:8
	buffer_load_dword v135, v131, s[0:3], 0 offen offset:12
	buffer_load_dword v138, v131, s[0:3], 0 offen
	buffer_load_dword v139, v131, s[0:3], 0 offen offset:4
	s_waitcnt vmcnt(2) lgkmcnt(0)
	v_mul_f64 v[140:141], v[3:4], v[134:135]
	v_mul_f64 v[134:135], v[1:2], v[134:135]
	s_waitcnt vmcnt(0)
	v_fma_f64 v[1:2], v[1:2], v[138:139], -v[140:141]
	v_fma_f64 v[3:4], v[3:4], v[138:139], v[134:135]
.LBB126_906:
	s_mov_b32 s73, exec_lo
	v_cmpx_ne_u32_e32 6, v0
	s_cbranch_execz .LBB126_910
; %bb.907:
	v_or_b32_e32 v134, 0x400, v137
	v_add3_u32 v135, 0, v137, 16
	v_mov_b32_e32 v136, v0
	s_mov_b32 s74, 0
	.p2align	6
.LBB126_908:                            ; =>This Inner Loop Header: Depth=1
	s_clause 0x3
	buffer_load_dword v142, v135, s[0:3], 0 offen offset:8
	buffer_load_dword v143, v135, s[0:3], 0 offen offset:12
	buffer_load_dword v144, v135, s[0:3], 0 offen
	buffer_load_dword v145, v135, s[0:3], 0 offen offset:4
	ds_read_b128 v[138:141], v134
	v_add_nc_u32_e32 v136, 1, v136
	v_add_nc_u32_e32 v134, 16, v134
	;; [unrolled: 1-line block ×3, first 2 shown]
	v_cmp_lt_u32_e32 vcc_lo, 5, v136
	s_or_b32 s74, vcc_lo, s74
	s_waitcnt vmcnt(2) lgkmcnt(0)
	v_mul_f64 v[146:147], v[140:141], v[142:143]
	v_mul_f64 v[142:143], v[138:139], v[142:143]
	s_waitcnt vmcnt(0)
	v_fma_f64 v[138:139], v[138:139], v[144:145], -v[146:147]
	v_fma_f64 v[140:141], v[140:141], v[144:145], v[142:143]
	v_add_f64 v[1:2], v[1:2], v[138:139]
	v_add_f64 v[3:4], v[3:4], v[140:141]
	s_andn2_b32 exec_lo, exec_lo, s74
	s_cbranch_execnz .LBB126_908
; %bb.909:
	s_or_b32 exec_lo, exec_lo, s74
.LBB126_910:
	s_or_b32 exec_lo, exec_lo, s73
	v_mov_b32_e32 v134, 0
	ds_read_b128 v[138:141], v134 offset:112
	s_waitcnt lgkmcnt(0)
	v_mul_f64 v[134:135], v[3:4], v[140:141]
	v_mul_f64 v[140:141], v[1:2], v[140:141]
	v_fma_f64 v[1:2], v[1:2], v[138:139], -v[134:135]
	v_fma_f64 v[3:4], v[3:4], v[138:139], v[140:141]
	buffer_store_dword v2, off, s[0:3], 0 offset:116
	buffer_store_dword v1, off, s[0:3], 0 offset:112
	;; [unrolled: 1-line block ×4, first 2 shown]
.LBB126_911:
	s_or_b32 exec_lo, exec_lo, s72
	v_mov_b32_e32 v4, s64
	s_mov_b32 s72, exec_lo
	s_clause 0x3
	buffer_load_dword v1, v4, s[0:3], 0 offen
	buffer_load_dword v2, v4, s[0:3], 0 offen offset:4
	buffer_load_dword v3, v4, s[0:3], 0 offen offset:8
	;; [unrolled: 1-line block ×3, first 2 shown]
	s_waitcnt vmcnt(0)
	ds_write_b128 v132, v[1:4]
	s_waitcnt lgkmcnt(0)
	s_waitcnt_vscnt null, 0x0
	s_barrier
	buffer_gl0_inv
	v_cmpx_gt_u32_e32 8, v0
	s_cbranch_execz .LBB126_919
; %bb.912:
	ds_read_b128 v[1:4], v132
	v_cmp_ne_u32_e32 vcc_lo, 1, v133
	s_cbranch_vccnz .LBB126_914
; %bb.913:
	s_clause 0x3
	buffer_load_dword v134, v131, s[0:3], 0 offen offset:8
	buffer_load_dword v135, v131, s[0:3], 0 offen offset:12
	buffer_load_dword v138, v131, s[0:3], 0 offen
	buffer_load_dword v139, v131, s[0:3], 0 offen offset:4
	s_waitcnt vmcnt(2) lgkmcnt(0)
	v_mul_f64 v[140:141], v[3:4], v[134:135]
	v_mul_f64 v[134:135], v[1:2], v[134:135]
	s_waitcnt vmcnt(0)
	v_fma_f64 v[1:2], v[1:2], v[138:139], -v[140:141]
	v_fma_f64 v[3:4], v[3:4], v[138:139], v[134:135]
.LBB126_914:
	s_mov_b32 s73, exec_lo
	v_cmpx_ne_u32_e32 7, v0
	s_cbranch_execz .LBB126_918
; %bb.915:
	v_or_b32_e32 v134, 0x400, v137
	v_add3_u32 v135, 0, v137, 16
	v_mov_b32_e32 v136, v0
	s_mov_b32 s74, 0
	.p2align	6
.LBB126_916:                            ; =>This Inner Loop Header: Depth=1
	s_clause 0x3
	buffer_load_dword v142, v135, s[0:3], 0 offen offset:8
	buffer_load_dword v143, v135, s[0:3], 0 offen offset:12
	buffer_load_dword v144, v135, s[0:3], 0 offen
	buffer_load_dword v145, v135, s[0:3], 0 offen offset:4
	ds_read_b128 v[138:141], v134
	v_add_nc_u32_e32 v136, 1, v136
	v_add_nc_u32_e32 v134, 16, v134
	;; [unrolled: 1-line block ×3, first 2 shown]
	v_cmp_lt_u32_e32 vcc_lo, 6, v136
	s_or_b32 s74, vcc_lo, s74
	s_waitcnt vmcnt(2) lgkmcnt(0)
	v_mul_f64 v[146:147], v[140:141], v[142:143]
	v_mul_f64 v[142:143], v[138:139], v[142:143]
	s_waitcnt vmcnt(0)
	v_fma_f64 v[138:139], v[138:139], v[144:145], -v[146:147]
	v_fma_f64 v[140:141], v[140:141], v[144:145], v[142:143]
	v_add_f64 v[1:2], v[1:2], v[138:139]
	v_add_f64 v[3:4], v[3:4], v[140:141]
	s_andn2_b32 exec_lo, exec_lo, s74
	s_cbranch_execnz .LBB126_916
; %bb.917:
	s_or_b32 exec_lo, exec_lo, s74
.LBB126_918:
	s_or_b32 exec_lo, exec_lo, s73
	v_mov_b32_e32 v134, 0
	ds_read_b128 v[138:141], v134 offset:128
	s_waitcnt lgkmcnt(0)
	v_mul_f64 v[134:135], v[3:4], v[140:141]
	v_mul_f64 v[140:141], v[1:2], v[140:141]
	v_fma_f64 v[1:2], v[1:2], v[138:139], -v[134:135]
	v_fma_f64 v[3:4], v[3:4], v[138:139], v[140:141]
	buffer_store_dword v2, off, s[0:3], 0 offset:132
	buffer_store_dword v1, off, s[0:3], 0 offset:128
	;; [unrolled: 1-line block ×4, first 2 shown]
.LBB126_919:
	s_or_b32 exec_lo, exec_lo, s72
	v_mov_b32_e32 v4, s63
	s_mov_b32 s72, exec_lo
	s_clause 0x3
	buffer_load_dword v1, v4, s[0:3], 0 offen
	buffer_load_dword v2, v4, s[0:3], 0 offen offset:4
	buffer_load_dword v3, v4, s[0:3], 0 offen offset:8
	;; [unrolled: 1-line block ×3, first 2 shown]
	s_waitcnt vmcnt(0)
	ds_write_b128 v132, v[1:4]
	s_waitcnt lgkmcnt(0)
	s_waitcnt_vscnt null, 0x0
	s_barrier
	buffer_gl0_inv
	v_cmpx_gt_u32_e32 9, v0
	s_cbranch_execz .LBB126_939
; %bb.920:
	ds_read_b128 v[1:4], v132
	v_cmp_ne_u32_e32 vcc_lo, 1, v133
	s_cbranch_vccnz .LBB126_922
; %bb.921:
	s_clause 0x3
	buffer_load_dword v134, v131, s[0:3], 0 offen offset:8
	buffer_load_dword v135, v131, s[0:3], 0 offen offset:12
	buffer_load_dword v138, v131, s[0:3], 0 offen
	buffer_load_dword v139, v131, s[0:3], 0 offen offset:4
	s_waitcnt vmcnt(2) lgkmcnt(0)
	v_mul_f64 v[140:141], v[3:4], v[134:135]
	v_mul_f64 v[134:135], v[1:2], v[134:135]
	s_waitcnt vmcnt(0)
	v_fma_f64 v[1:2], v[1:2], v[138:139], -v[140:141]
	v_fma_f64 v[3:4], v[3:4], v[138:139], v[134:135]
.LBB126_922:
	s_mov_b32 s73, exec_lo
	v_cmpx_ne_u32_e32 8, v0
	s_cbranch_execz .LBB126_938
; %bb.923:
	s_clause 0x3
	buffer_load_dword v134, v131, s[0:3], 0 offen offset:24
	buffer_load_dword v135, v131, s[0:3], 0 offen offset:28
	buffer_load_dword v142, v131, s[0:3], 0 offen offset:16
	buffer_load_dword v143, v131, s[0:3], 0 offen offset:20
	ds_read_b128 v[138:141], v132 offset:16
	s_waitcnt vmcnt(2) lgkmcnt(0)
	v_mul_f64 v[144:145], v[140:141], v[134:135]
	v_mul_f64 v[134:135], v[138:139], v[134:135]
	s_waitcnt vmcnt(0)
	v_fma_f64 v[138:139], v[138:139], v[142:143], -v[144:145]
	v_fma_f64 v[134:135], v[140:141], v[142:143], v[134:135]
	v_add_f64 v[1:2], v[1:2], v[138:139]
	v_add_f64 v[3:4], v[3:4], v[134:135]
	s_and_saveexec_b32 s74, s7
	s_cbranch_execz .LBB126_937
; %bb.924:
	s_clause 0x3
	buffer_load_dword v134, v131, s[0:3], 0 offen offset:40
	buffer_load_dword v135, v131, s[0:3], 0 offen offset:44
	buffer_load_dword v142, v131, s[0:3], 0 offen offset:32
	buffer_load_dword v143, v131, s[0:3], 0 offen offset:36
	ds_read_b128 v[138:141], v132 offset:32
	s_mov_b32 s7, exec_lo
	s_waitcnt vmcnt(2) lgkmcnt(0)
	v_mul_f64 v[144:145], v[140:141], v[134:135]
	v_mul_f64 v[134:135], v[138:139], v[134:135]
	s_waitcnt vmcnt(0)
	v_fma_f64 v[138:139], v[138:139], v[142:143], -v[144:145]
	v_fma_f64 v[134:135], v[140:141], v[142:143], v[134:135]
	v_add_f64 v[1:2], v[1:2], v[138:139]
	v_add_f64 v[3:4], v[3:4], v[134:135]
	v_cmpx_ne_u32_e32 6, v0
	s_cbranch_execz .LBB126_936
; %bb.925:
	s_clause 0x3
	buffer_load_dword v134, v131, s[0:3], 0 offen offset:56
	buffer_load_dword v135, v131, s[0:3], 0 offen offset:60
	buffer_load_dword v142, v131, s[0:3], 0 offen offset:48
	buffer_load_dword v143, v131, s[0:3], 0 offen offset:52
	ds_read_b128 v[138:141], v132 offset:48
	s_waitcnt vmcnt(2) lgkmcnt(0)
	v_mul_f64 v[144:145], v[140:141], v[134:135]
	v_mul_f64 v[134:135], v[138:139], v[134:135]
	s_waitcnt vmcnt(0)
	v_fma_f64 v[138:139], v[138:139], v[142:143], -v[144:145]
	v_fma_f64 v[134:135], v[140:141], v[142:143], v[134:135]
	v_add_f64 v[1:2], v[1:2], v[138:139]
	v_add_f64 v[3:4], v[3:4], v[134:135]
	s_and_saveexec_b32 s75, s6
	s_cbranch_execz .LBB126_935
; %bb.926:
	s_clause 0x3
	buffer_load_dword v134, v131, s[0:3], 0 offen offset:72
	buffer_load_dword v135, v131, s[0:3], 0 offen offset:76
	buffer_load_dword v142, v131, s[0:3], 0 offen offset:64
	buffer_load_dword v143, v131, s[0:3], 0 offen offset:68
	ds_read_b128 v[138:141], v132 offset:64
	s_mov_b32 s6, exec_lo
	s_waitcnt vmcnt(2) lgkmcnt(0)
	v_mul_f64 v[144:145], v[140:141], v[134:135]
	v_mul_f64 v[134:135], v[138:139], v[134:135]
	s_waitcnt vmcnt(0)
	v_fma_f64 v[138:139], v[138:139], v[142:143], -v[144:145]
	v_fma_f64 v[134:135], v[140:141], v[142:143], v[134:135]
	v_add_f64 v[1:2], v[1:2], v[138:139]
	v_add_f64 v[3:4], v[3:4], v[134:135]
	;; [unrolled: 35-line block ×3, first 2 shown]
	v_cmpx_ne_u32_e32 2, v0
	s_cbranch_execz .LBB126_932
; %bb.929:
	s_clause 0x3
	buffer_load_dword v134, v131, s[0:3], 0 offen offset:120
	buffer_load_dword v135, v131, s[0:3], 0 offen offset:124
	;; [unrolled: 1-line block ×4, first 2 shown]
	ds_read_b128 v[138:141], v132 offset:112
	s_waitcnt vmcnt(2) lgkmcnt(0)
	v_mul_f64 v[144:145], v[140:141], v[134:135]
	v_mul_f64 v[134:135], v[138:139], v[134:135]
	s_waitcnt vmcnt(0)
	v_fma_f64 v[138:139], v[138:139], v[142:143], -v[144:145]
	v_fma_f64 v[134:135], v[140:141], v[142:143], v[134:135]
	v_add_f64 v[1:2], v[1:2], v[138:139]
	v_add_f64 v[3:4], v[3:4], v[134:135]
	s_and_saveexec_b32 s77, s4
	s_cbranch_execz .LBB126_931
; %bb.930:
	s_clause 0x3
	buffer_load_dword v134, v131, s[0:3], 0 offen offset:136
	buffer_load_dword v135, v131, s[0:3], 0 offen offset:140
	;; [unrolled: 1-line block ×4, first 2 shown]
	ds_read_b128 v[138:141], v132 offset:128
	s_waitcnt vmcnt(2) lgkmcnt(0)
	v_mul_f64 v[144:145], v[140:141], v[134:135]
	v_mul_f64 v[134:135], v[138:139], v[134:135]
	s_waitcnt vmcnt(0)
	v_fma_f64 v[138:139], v[138:139], v[142:143], -v[144:145]
	v_fma_f64 v[134:135], v[140:141], v[142:143], v[134:135]
	v_add_f64 v[1:2], v[1:2], v[138:139]
	v_add_f64 v[3:4], v[3:4], v[134:135]
.LBB126_931:
	s_or_b32 exec_lo, exec_lo, s77
.LBB126_932:
	s_or_b32 exec_lo, exec_lo, s5
.LBB126_933:
	s_or_b32 exec_lo, exec_lo, s76
.LBB126_934:
	s_or_b32 exec_lo, exec_lo, s6
.LBB126_935:
	s_or_b32 exec_lo, exec_lo, s75
.LBB126_936:
	s_or_b32 exec_lo, exec_lo, s7
.LBB126_937:
	s_or_b32 exec_lo, exec_lo, s74
.LBB126_938:
	s_or_b32 exec_lo, exec_lo, s73
	v_mov_b32_e32 v134, 0
	ds_read_b128 v[138:141], v134 offset:144
	s_waitcnt lgkmcnt(0)
	v_mul_f64 v[134:135], v[3:4], v[140:141]
	v_mul_f64 v[140:141], v[1:2], v[140:141]
	v_fma_f64 v[1:2], v[1:2], v[138:139], -v[134:135]
	v_fma_f64 v[3:4], v[3:4], v[138:139], v[140:141]
	buffer_store_dword v2, off, s[0:3], 0 offset:148
	buffer_store_dword v1, off, s[0:3], 0 offset:144
	;; [unrolled: 1-line block ×4, first 2 shown]
.LBB126_939:
	s_or_b32 exec_lo, exec_lo, s72
	v_mov_b32_e32 v4, s62
	s_mov_b32 s4, exec_lo
	s_clause 0x3
	buffer_load_dword v1, v4, s[0:3], 0 offen
	buffer_load_dword v2, v4, s[0:3], 0 offen offset:4
	buffer_load_dword v3, v4, s[0:3], 0 offen offset:8
	;; [unrolled: 1-line block ×3, first 2 shown]
	s_waitcnt vmcnt(0)
	ds_write_b128 v132, v[1:4]
	s_waitcnt lgkmcnt(0)
	s_waitcnt_vscnt null, 0x0
	s_barrier
	buffer_gl0_inv
	v_cmpx_gt_u32_e32 10, v0
	s_cbranch_execz .LBB126_947
; %bb.940:
	ds_read_b128 v[1:4], v132
	v_cmp_ne_u32_e32 vcc_lo, 1, v133
	s_cbranch_vccnz .LBB126_942
; %bb.941:
	s_clause 0x3
	buffer_load_dword v134, v131, s[0:3], 0 offen offset:8
	buffer_load_dword v135, v131, s[0:3], 0 offen offset:12
	buffer_load_dword v138, v131, s[0:3], 0 offen
	buffer_load_dword v139, v131, s[0:3], 0 offen offset:4
	s_waitcnt vmcnt(2) lgkmcnt(0)
	v_mul_f64 v[140:141], v[3:4], v[134:135]
	v_mul_f64 v[134:135], v[1:2], v[134:135]
	s_waitcnt vmcnt(0)
	v_fma_f64 v[1:2], v[1:2], v[138:139], -v[140:141]
	v_fma_f64 v[3:4], v[3:4], v[138:139], v[134:135]
.LBB126_942:
	s_mov_b32 s5, exec_lo
	v_cmpx_ne_u32_e32 9, v0
	s_cbranch_execz .LBB126_946
; %bb.943:
	v_or_b32_e32 v134, 0x400, v137
	v_add3_u32 v135, 0, v137, 16
	v_mov_b32_e32 v136, v0
	s_mov_b32 s6, 0
	.p2align	6
.LBB126_944:                            ; =>This Inner Loop Header: Depth=1
	s_clause 0x3
	buffer_load_dword v142, v135, s[0:3], 0 offen offset:8
	buffer_load_dword v143, v135, s[0:3], 0 offen offset:12
	buffer_load_dword v144, v135, s[0:3], 0 offen
	buffer_load_dword v145, v135, s[0:3], 0 offen offset:4
	ds_read_b128 v[138:141], v134
	v_add_nc_u32_e32 v136, 1, v136
	v_add_nc_u32_e32 v134, 16, v134
	;; [unrolled: 1-line block ×3, first 2 shown]
	v_cmp_lt_u32_e32 vcc_lo, 8, v136
	s_or_b32 s6, vcc_lo, s6
	s_waitcnt vmcnt(2) lgkmcnt(0)
	v_mul_f64 v[146:147], v[140:141], v[142:143]
	v_mul_f64 v[142:143], v[138:139], v[142:143]
	s_waitcnt vmcnt(0)
	v_fma_f64 v[138:139], v[138:139], v[144:145], -v[146:147]
	v_fma_f64 v[140:141], v[140:141], v[144:145], v[142:143]
	v_add_f64 v[1:2], v[1:2], v[138:139]
	v_add_f64 v[3:4], v[3:4], v[140:141]
	s_andn2_b32 exec_lo, exec_lo, s6
	s_cbranch_execnz .LBB126_944
; %bb.945:
	s_or_b32 exec_lo, exec_lo, s6
.LBB126_946:
	s_or_b32 exec_lo, exec_lo, s5
	v_mov_b32_e32 v134, 0
	ds_read_b128 v[138:141], v134 offset:160
	s_waitcnt lgkmcnt(0)
	v_mul_f64 v[134:135], v[3:4], v[140:141]
	v_mul_f64 v[140:141], v[1:2], v[140:141]
	v_fma_f64 v[1:2], v[1:2], v[138:139], -v[134:135]
	v_fma_f64 v[3:4], v[3:4], v[138:139], v[140:141]
	buffer_store_dword v2, off, s[0:3], 0 offset:164
	buffer_store_dword v1, off, s[0:3], 0 offset:160
	;; [unrolled: 1-line block ×4, first 2 shown]
.LBB126_947:
	s_or_b32 exec_lo, exec_lo, s4
	v_mov_b32_e32 v4, s61
	s_mov_b32 s4, exec_lo
	s_clause 0x3
	buffer_load_dword v1, v4, s[0:3], 0 offen
	buffer_load_dword v2, v4, s[0:3], 0 offen offset:4
	buffer_load_dword v3, v4, s[0:3], 0 offen offset:8
	;; [unrolled: 1-line block ×3, first 2 shown]
	s_waitcnt vmcnt(0)
	ds_write_b128 v132, v[1:4]
	s_waitcnt lgkmcnt(0)
	s_waitcnt_vscnt null, 0x0
	s_barrier
	buffer_gl0_inv
	v_cmpx_gt_u32_e32 11, v0
	s_cbranch_execz .LBB126_955
; %bb.948:
	ds_read_b128 v[1:4], v132
	v_cmp_ne_u32_e32 vcc_lo, 1, v133
	s_cbranch_vccnz .LBB126_950
; %bb.949:
	s_clause 0x3
	buffer_load_dword v134, v131, s[0:3], 0 offen offset:8
	buffer_load_dword v135, v131, s[0:3], 0 offen offset:12
	buffer_load_dword v138, v131, s[0:3], 0 offen
	buffer_load_dword v139, v131, s[0:3], 0 offen offset:4
	s_waitcnt vmcnt(2) lgkmcnt(0)
	v_mul_f64 v[140:141], v[3:4], v[134:135]
	v_mul_f64 v[134:135], v[1:2], v[134:135]
	s_waitcnt vmcnt(0)
	v_fma_f64 v[1:2], v[1:2], v[138:139], -v[140:141]
	v_fma_f64 v[3:4], v[3:4], v[138:139], v[134:135]
.LBB126_950:
	s_mov_b32 s5, exec_lo
	v_cmpx_ne_u32_e32 10, v0
	s_cbranch_execz .LBB126_954
; %bb.951:
	v_or_b32_e32 v134, 0x400, v137
	v_add3_u32 v135, 0, v137, 16
	v_mov_b32_e32 v136, v0
	s_mov_b32 s6, 0
	.p2align	6
.LBB126_952:                            ; =>This Inner Loop Header: Depth=1
	s_clause 0x3
	buffer_load_dword v142, v135, s[0:3], 0 offen offset:8
	buffer_load_dword v143, v135, s[0:3], 0 offen offset:12
	buffer_load_dword v144, v135, s[0:3], 0 offen
	buffer_load_dword v145, v135, s[0:3], 0 offen offset:4
	ds_read_b128 v[138:141], v134
	v_add_nc_u32_e32 v136, 1, v136
	v_add_nc_u32_e32 v134, 16, v134
	;; [unrolled: 1-line block ×3, first 2 shown]
	v_cmp_lt_u32_e32 vcc_lo, 9, v136
	s_or_b32 s6, vcc_lo, s6
	s_waitcnt vmcnt(2) lgkmcnt(0)
	v_mul_f64 v[146:147], v[140:141], v[142:143]
	v_mul_f64 v[142:143], v[138:139], v[142:143]
	s_waitcnt vmcnt(0)
	v_fma_f64 v[138:139], v[138:139], v[144:145], -v[146:147]
	v_fma_f64 v[140:141], v[140:141], v[144:145], v[142:143]
	v_add_f64 v[1:2], v[1:2], v[138:139]
	v_add_f64 v[3:4], v[3:4], v[140:141]
	s_andn2_b32 exec_lo, exec_lo, s6
	s_cbranch_execnz .LBB126_952
; %bb.953:
	s_or_b32 exec_lo, exec_lo, s6
.LBB126_954:
	s_or_b32 exec_lo, exec_lo, s5
	v_mov_b32_e32 v134, 0
	ds_read_b128 v[138:141], v134 offset:176
	s_waitcnt lgkmcnt(0)
	v_mul_f64 v[134:135], v[3:4], v[140:141]
	v_mul_f64 v[140:141], v[1:2], v[140:141]
	v_fma_f64 v[1:2], v[1:2], v[138:139], -v[134:135]
	v_fma_f64 v[3:4], v[3:4], v[138:139], v[140:141]
	buffer_store_dword v2, off, s[0:3], 0 offset:180
	buffer_store_dword v1, off, s[0:3], 0 offset:176
	;; [unrolled: 1-line block ×4, first 2 shown]
.LBB126_955:
	s_or_b32 exec_lo, exec_lo, s4
	v_mov_b32_e32 v4, s60
	s_mov_b32 s4, exec_lo
	s_clause 0x3
	buffer_load_dword v1, v4, s[0:3], 0 offen
	buffer_load_dword v2, v4, s[0:3], 0 offen offset:4
	buffer_load_dword v3, v4, s[0:3], 0 offen offset:8
	;; [unrolled: 1-line block ×3, first 2 shown]
	s_waitcnt vmcnt(0)
	ds_write_b128 v132, v[1:4]
	s_waitcnt lgkmcnt(0)
	s_waitcnt_vscnt null, 0x0
	s_barrier
	buffer_gl0_inv
	v_cmpx_gt_u32_e32 12, v0
	s_cbranch_execz .LBB126_963
; %bb.956:
	ds_read_b128 v[1:4], v132
	v_cmp_ne_u32_e32 vcc_lo, 1, v133
	s_cbranch_vccnz .LBB126_958
; %bb.957:
	s_clause 0x3
	buffer_load_dword v134, v131, s[0:3], 0 offen offset:8
	buffer_load_dword v135, v131, s[0:3], 0 offen offset:12
	buffer_load_dword v138, v131, s[0:3], 0 offen
	buffer_load_dword v139, v131, s[0:3], 0 offen offset:4
	s_waitcnt vmcnt(2) lgkmcnt(0)
	v_mul_f64 v[140:141], v[3:4], v[134:135]
	v_mul_f64 v[134:135], v[1:2], v[134:135]
	s_waitcnt vmcnt(0)
	v_fma_f64 v[1:2], v[1:2], v[138:139], -v[140:141]
	v_fma_f64 v[3:4], v[3:4], v[138:139], v[134:135]
.LBB126_958:
	s_mov_b32 s5, exec_lo
	v_cmpx_ne_u32_e32 11, v0
	s_cbranch_execz .LBB126_962
; %bb.959:
	v_or_b32_e32 v134, 0x400, v137
	v_add3_u32 v135, 0, v137, 16
	v_mov_b32_e32 v136, v0
	s_mov_b32 s6, 0
	.p2align	6
.LBB126_960:                            ; =>This Inner Loop Header: Depth=1
	s_clause 0x3
	buffer_load_dword v142, v135, s[0:3], 0 offen offset:8
	buffer_load_dword v143, v135, s[0:3], 0 offen offset:12
	buffer_load_dword v144, v135, s[0:3], 0 offen
	buffer_load_dword v145, v135, s[0:3], 0 offen offset:4
	ds_read_b128 v[138:141], v134
	v_add_nc_u32_e32 v136, 1, v136
	v_add_nc_u32_e32 v134, 16, v134
	;; [unrolled: 1-line block ×3, first 2 shown]
	v_cmp_lt_u32_e32 vcc_lo, 10, v136
	s_or_b32 s6, vcc_lo, s6
	s_waitcnt vmcnt(2) lgkmcnt(0)
	v_mul_f64 v[146:147], v[140:141], v[142:143]
	v_mul_f64 v[142:143], v[138:139], v[142:143]
	s_waitcnt vmcnt(0)
	v_fma_f64 v[138:139], v[138:139], v[144:145], -v[146:147]
	v_fma_f64 v[140:141], v[140:141], v[144:145], v[142:143]
	v_add_f64 v[1:2], v[1:2], v[138:139]
	v_add_f64 v[3:4], v[3:4], v[140:141]
	s_andn2_b32 exec_lo, exec_lo, s6
	s_cbranch_execnz .LBB126_960
; %bb.961:
	s_or_b32 exec_lo, exec_lo, s6
.LBB126_962:
	s_or_b32 exec_lo, exec_lo, s5
	v_mov_b32_e32 v134, 0
	ds_read_b128 v[138:141], v134 offset:192
	s_waitcnt lgkmcnt(0)
	v_mul_f64 v[134:135], v[3:4], v[140:141]
	v_mul_f64 v[140:141], v[1:2], v[140:141]
	v_fma_f64 v[1:2], v[1:2], v[138:139], -v[134:135]
	v_fma_f64 v[3:4], v[3:4], v[138:139], v[140:141]
	buffer_store_dword v2, off, s[0:3], 0 offset:196
	buffer_store_dword v1, off, s[0:3], 0 offset:192
	;; [unrolled: 1-line block ×4, first 2 shown]
.LBB126_963:
	s_or_b32 exec_lo, exec_lo, s4
	v_mov_b32_e32 v4, s59
	s_mov_b32 s4, exec_lo
	s_clause 0x3
	buffer_load_dword v1, v4, s[0:3], 0 offen
	buffer_load_dword v2, v4, s[0:3], 0 offen offset:4
	buffer_load_dword v3, v4, s[0:3], 0 offen offset:8
	;; [unrolled: 1-line block ×3, first 2 shown]
	s_waitcnt vmcnt(0)
	ds_write_b128 v132, v[1:4]
	s_waitcnt lgkmcnt(0)
	s_waitcnt_vscnt null, 0x0
	s_barrier
	buffer_gl0_inv
	v_cmpx_gt_u32_e32 13, v0
	s_cbranch_execz .LBB126_971
; %bb.964:
	ds_read_b128 v[1:4], v132
	v_cmp_ne_u32_e32 vcc_lo, 1, v133
	s_cbranch_vccnz .LBB126_966
; %bb.965:
	s_clause 0x3
	buffer_load_dword v134, v131, s[0:3], 0 offen offset:8
	buffer_load_dword v135, v131, s[0:3], 0 offen offset:12
	buffer_load_dword v138, v131, s[0:3], 0 offen
	buffer_load_dword v139, v131, s[0:3], 0 offen offset:4
	s_waitcnt vmcnt(2) lgkmcnt(0)
	v_mul_f64 v[140:141], v[3:4], v[134:135]
	v_mul_f64 v[134:135], v[1:2], v[134:135]
	s_waitcnt vmcnt(0)
	v_fma_f64 v[1:2], v[1:2], v[138:139], -v[140:141]
	v_fma_f64 v[3:4], v[3:4], v[138:139], v[134:135]
.LBB126_966:
	s_mov_b32 s5, exec_lo
	v_cmpx_ne_u32_e32 12, v0
	s_cbranch_execz .LBB126_970
; %bb.967:
	v_or_b32_e32 v134, 0x400, v137
	v_add3_u32 v135, 0, v137, 16
	v_mov_b32_e32 v136, v0
	s_mov_b32 s6, 0
	.p2align	6
.LBB126_968:                            ; =>This Inner Loop Header: Depth=1
	s_clause 0x3
	buffer_load_dword v142, v135, s[0:3], 0 offen offset:8
	buffer_load_dword v143, v135, s[0:3], 0 offen offset:12
	buffer_load_dword v144, v135, s[0:3], 0 offen
	buffer_load_dword v145, v135, s[0:3], 0 offen offset:4
	ds_read_b128 v[138:141], v134
	v_add_nc_u32_e32 v136, 1, v136
	v_add_nc_u32_e32 v134, 16, v134
	;; [unrolled: 1-line block ×3, first 2 shown]
	v_cmp_lt_u32_e32 vcc_lo, 11, v136
	s_or_b32 s6, vcc_lo, s6
	s_waitcnt vmcnt(2) lgkmcnt(0)
	v_mul_f64 v[146:147], v[140:141], v[142:143]
	v_mul_f64 v[142:143], v[138:139], v[142:143]
	s_waitcnt vmcnt(0)
	v_fma_f64 v[138:139], v[138:139], v[144:145], -v[146:147]
	v_fma_f64 v[140:141], v[140:141], v[144:145], v[142:143]
	v_add_f64 v[1:2], v[1:2], v[138:139]
	v_add_f64 v[3:4], v[3:4], v[140:141]
	s_andn2_b32 exec_lo, exec_lo, s6
	s_cbranch_execnz .LBB126_968
; %bb.969:
	s_or_b32 exec_lo, exec_lo, s6
.LBB126_970:
	s_or_b32 exec_lo, exec_lo, s5
	v_mov_b32_e32 v134, 0
	ds_read_b128 v[138:141], v134 offset:208
	s_waitcnt lgkmcnt(0)
	v_mul_f64 v[134:135], v[3:4], v[140:141]
	v_mul_f64 v[140:141], v[1:2], v[140:141]
	v_fma_f64 v[1:2], v[1:2], v[138:139], -v[134:135]
	v_fma_f64 v[3:4], v[3:4], v[138:139], v[140:141]
	buffer_store_dword v2, off, s[0:3], 0 offset:212
	buffer_store_dword v1, off, s[0:3], 0 offset:208
	;; [unrolled: 1-line block ×4, first 2 shown]
.LBB126_971:
	s_or_b32 exec_lo, exec_lo, s4
	v_mov_b32_e32 v4, s58
	s_mov_b32 s4, exec_lo
	s_clause 0x3
	buffer_load_dword v1, v4, s[0:3], 0 offen
	buffer_load_dword v2, v4, s[0:3], 0 offen offset:4
	buffer_load_dword v3, v4, s[0:3], 0 offen offset:8
	;; [unrolled: 1-line block ×3, first 2 shown]
	s_waitcnt vmcnt(0)
	ds_write_b128 v132, v[1:4]
	s_waitcnt lgkmcnt(0)
	s_waitcnt_vscnt null, 0x0
	s_barrier
	buffer_gl0_inv
	v_cmpx_gt_u32_e32 14, v0
	s_cbranch_execz .LBB126_979
; %bb.972:
	ds_read_b128 v[1:4], v132
	v_cmp_ne_u32_e32 vcc_lo, 1, v133
	s_cbranch_vccnz .LBB126_974
; %bb.973:
	s_clause 0x3
	buffer_load_dword v134, v131, s[0:3], 0 offen offset:8
	buffer_load_dword v135, v131, s[0:3], 0 offen offset:12
	buffer_load_dword v138, v131, s[0:3], 0 offen
	buffer_load_dword v139, v131, s[0:3], 0 offen offset:4
	s_waitcnt vmcnt(2) lgkmcnt(0)
	v_mul_f64 v[140:141], v[3:4], v[134:135]
	v_mul_f64 v[134:135], v[1:2], v[134:135]
	s_waitcnt vmcnt(0)
	v_fma_f64 v[1:2], v[1:2], v[138:139], -v[140:141]
	v_fma_f64 v[3:4], v[3:4], v[138:139], v[134:135]
.LBB126_974:
	s_mov_b32 s5, exec_lo
	v_cmpx_ne_u32_e32 13, v0
	s_cbranch_execz .LBB126_978
; %bb.975:
	v_or_b32_e32 v134, 0x400, v137
	v_add3_u32 v135, 0, v137, 16
	v_mov_b32_e32 v136, v0
	s_mov_b32 s6, 0
	.p2align	6
.LBB126_976:                            ; =>This Inner Loop Header: Depth=1
	s_clause 0x3
	buffer_load_dword v142, v135, s[0:3], 0 offen offset:8
	buffer_load_dword v143, v135, s[0:3], 0 offen offset:12
	buffer_load_dword v144, v135, s[0:3], 0 offen
	buffer_load_dword v145, v135, s[0:3], 0 offen offset:4
	ds_read_b128 v[138:141], v134
	v_add_nc_u32_e32 v136, 1, v136
	v_add_nc_u32_e32 v134, 16, v134
	;; [unrolled: 1-line block ×3, first 2 shown]
	v_cmp_lt_u32_e32 vcc_lo, 12, v136
	s_or_b32 s6, vcc_lo, s6
	s_waitcnt vmcnt(2) lgkmcnt(0)
	v_mul_f64 v[146:147], v[140:141], v[142:143]
	v_mul_f64 v[142:143], v[138:139], v[142:143]
	s_waitcnt vmcnt(0)
	v_fma_f64 v[138:139], v[138:139], v[144:145], -v[146:147]
	v_fma_f64 v[140:141], v[140:141], v[144:145], v[142:143]
	v_add_f64 v[1:2], v[1:2], v[138:139]
	v_add_f64 v[3:4], v[3:4], v[140:141]
	s_andn2_b32 exec_lo, exec_lo, s6
	s_cbranch_execnz .LBB126_976
; %bb.977:
	s_or_b32 exec_lo, exec_lo, s6
.LBB126_978:
	s_or_b32 exec_lo, exec_lo, s5
	v_mov_b32_e32 v134, 0
	ds_read_b128 v[138:141], v134 offset:224
	s_waitcnt lgkmcnt(0)
	v_mul_f64 v[134:135], v[3:4], v[140:141]
	v_mul_f64 v[140:141], v[1:2], v[140:141]
	v_fma_f64 v[1:2], v[1:2], v[138:139], -v[134:135]
	v_fma_f64 v[3:4], v[3:4], v[138:139], v[140:141]
	buffer_store_dword v2, off, s[0:3], 0 offset:228
	buffer_store_dword v1, off, s[0:3], 0 offset:224
	;; [unrolled: 1-line block ×4, first 2 shown]
.LBB126_979:
	s_or_b32 exec_lo, exec_lo, s4
	v_mov_b32_e32 v4, s57
	s_mov_b32 s4, exec_lo
	s_clause 0x3
	buffer_load_dword v1, v4, s[0:3], 0 offen
	buffer_load_dword v2, v4, s[0:3], 0 offen offset:4
	buffer_load_dword v3, v4, s[0:3], 0 offen offset:8
	;; [unrolled: 1-line block ×3, first 2 shown]
	s_waitcnt vmcnt(0)
	ds_write_b128 v132, v[1:4]
	s_waitcnt lgkmcnt(0)
	s_waitcnt_vscnt null, 0x0
	s_barrier
	buffer_gl0_inv
	v_cmpx_gt_u32_e32 15, v0
	s_cbranch_execz .LBB126_987
; %bb.980:
	ds_read_b128 v[1:4], v132
	v_cmp_ne_u32_e32 vcc_lo, 1, v133
	s_cbranch_vccnz .LBB126_982
; %bb.981:
	s_clause 0x3
	buffer_load_dword v134, v131, s[0:3], 0 offen offset:8
	buffer_load_dword v135, v131, s[0:3], 0 offen offset:12
	buffer_load_dword v138, v131, s[0:3], 0 offen
	buffer_load_dword v139, v131, s[0:3], 0 offen offset:4
	s_waitcnt vmcnt(2) lgkmcnt(0)
	v_mul_f64 v[140:141], v[3:4], v[134:135]
	v_mul_f64 v[134:135], v[1:2], v[134:135]
	s_waitcnt vmcnt(0)
	v_fma_f64 v[1:2], v[1:2], v[138:139], -v[140:141]
	v_fma_f64 v[3:4], v[3:4], v[138:139], v[134:135]
.LBB126_982:
	s_mov_b32 s5, exec_lo
	v_cmpx_ne_u32_e32 14, v0
	s_cbranch_execz .LBB126_986
; %bb.983:
	v_or_b32_e32 v134, 0x400, v137
	v_add3_u32 v135, 0, v137, 16
	v_mov_b32_e32 v136, v0
	s_mov_b32 s6, 0
	.p2align	6
.LBB126_984:                            ; =>This Inner Loop Header: Depth=1
	s_clause 0x3
	buffer_load_dword v142, v135, s[0:3], 0 offen offset:8
	buffer_load_dword v143, v135, s[0:3], 0 offen offset:12
	buffer_load_dword v144, v135, s[0:3], 0 offen
	buffer_load_dword v145, v135, s[0:3], 0 offen offset:4
	ds_read_b128 v[138:141], v134
	v_add_nc_u32_e32 v136, 1, v136
	v_add_nc_u32_e32 v134, 16, v134
	;; [unrolled: 1-line block ×3, first 2 shown]
	v_cmp_lt_u32_e32 vcc_lo, 13, v136
	s_or_b32 s6, vcc_lo, s6
	s_waitcnt vmcnt(2) lgkmcnt(0)
	v_mul_f64 v[146:147], v[140:141], v[142:143]
	v_mul_f64 v[142:143], v[138:139], v[142:143]
	s_waitcnt vmcnt(0)
	v_fma_f64 v[138:139], v[138:139], v[144:145], -v[146:147]
	v_fma_f64 v[140:141], v[140:141], v[144:145], v[142:143]
	v_add_f64 v[1:2], v[1:2], v[138:139]
	v_add_f64 v[3:4], v[3:4], v[140:141]
	s_andn2_b32 exec_lo, exec_lo, s6
	s_cbranch_execnz .LBB126_984
; %bb.985:
	s_or_b32 exec_lo, exec_lo, s6
.LBB126_986:
	s_or_b32 exec_lo, exec_lo, s5
	v_mov_b32_e32 v134, 0
	ds_read_b128 v[138:141], v134 offset:240
	s_waitcnt lgkmcnt(0)
	v_mul_f64 v[134:135], v[3:4], v[140:141]
	v_mul_f64 v[140:141], v[1:2], v[140:141]
	v_fma_f64 v[1:2], v[1:2], v[138:139], -v[134:135]
	v_fma_f64 v[3:4], v[3:4], v[138:139], v[140:141]
	buffer_store_dword v2, off, s[0:3], 0 offset:244
	buffer_store_dword v1, off, s[0:3], 0 offset:240
	;; [unrolled: 1-line block ×4, first 2 shown]
.LBB126_987:
	s_or_b32 exec_lo, exec_lo, s4
	v_mov_b32_e32 v4, s56
	s_mov_b32 s4, exec_lo
	s_clause 0x3
	buffer_load_dword v1, v4, s[0:3], 0 offen
	buffer_load_dword v2, v4, s[0:3], 0 offen offset:4
	buffer_load_dword v3, v4, s[0:3], 0 offen offset:8
	;; [unrolled: 1-line block ×3, first 2 shown]
	s_waitcnt vmcnt(0)
	ds_write_b128 v132, v[1:4]
	s_waitcnt lgkmcnt(0)
	s_waitcnt_vscnt null, 0x0
	s_barrier
	buffer_gl0_inv
	v_cmpx_gt_u32_e32 16, v0
	s_cbranch_execz .LBB126_995
; %bb.988:
	ds_read_b128 v[1:4], v132
	v_cmp_ne_u32_e32 vcc_lo, 1, v133
	s_cbranch_vccnz .LBB126_990
; %bb.989:
	s_clause 0x3
	buffer_load_dword v134, v131, s[0:3], 0 offen offset:8
	buffer_load_dword v135, v131, s[0:3], 0 offen offset:12
	buffer_load_dword v138, v131, s[0:3], 0 offen
	buffer_load_dword v139, v131, s[0:3], 0 offen offset:4
	s_waitcnt vmcnt(2) lgkmcnt(0)
	v_mul_f64 v[140:141], v[3:4], v[134:135]
	v_mul_f64 v[134:135], v[1:2], v[134:135]
	s_waitcnt vmcnt(0)
	v_fma_f64 v[1:2], v[1:2], v[138:139], -v[140:141]
	v_fma_f64 v[3:4], v[3:4], v[138:139], v[134:135]
.LBB126_990:
	s_mov_b32 s5, exec_lo
	v_cmpx_ne_u32_e32 15, v0
	s_cbranch_execz .LBB126_994
; %bb.991:
	v_or_b32_e32 v134, 0x400, v137
	v_add3_u32 v135, 0, v137, 16
	v_mov_b32_e32 v136, v0
	s_mov_b32 s6, 0
	.p2align	6
.LBB126_992:                            ; =>This Inner Loop Header: Depth=1
	s_clause 0x3
	buffer_load_dword v142, v135, s[0:3], 0 offen offset:8
	buffer_load_dword v143, v135, s[0:3], 0 offen offset:12
	buffer_load_dword v144, v135, s[0:3], 0 offen
	buffer_load_dword v145, v135, s[0:3], 0 offen offset:4
	ds_read_b128 v[138:141], v134
	v_add_nc_u32_e32 v136, 1, v136
	v_add_nc_u32_e32 v134, 16, v134
	;; [unrolled: 1-line block ×3, first 2 shown]
	v_cmp_lt_u32_e32 vcc_lo, 14, v136
	s_or_b32 s6, vcc_lo, s6
	s_waitcnt vmcnt(2) lgkmcnt(0)
	v_mul_f64 v[146:147], v[140:141], v[142:143]
	v_mul_f64 v[142:143], v[138:139], v[142:143]
	s_waitcnt vmcnt(0)
	v_fma_f64 v[138:139], v[138:139], v[144:145], -v[146:147]
	v_fma_f64 v[140:141], v[140:141], v[144:145], v[142:143]
	v_add_f64 v[1:2], v[1:2], v[138:139]
	v_add_f64 v[3:4], v[3:4], v[140:141]
	s_andn2_b32 exec_lo, exec_lo, s6
	s_cbranch_execnz .LBB126_992
; %bb.993:
	s_or_b32 exec_lo, exec_lo, s6
.LBB126_994:
	s_or_b32 exec_lo, exec_lo, s5
	v_mov_b32_e32 v134, 0
	ds_read_b128 v[138:141], v134 offset:256
	s_waitcnt lgkmcnt(0)
	v_mul_f64 v[134:135], v[3:4], v[140:141]
	v_mul_f64 v[140:141], v[1:2], v[140:141]
	v_fma_f64 v[1:2], v[1:2], v[138:139], -v[134:135]
	v_fma_f64 v[3:4], v[3:4], v[138:139], v[140:141]
	buffer_store_dword v2, off, s[0:3], 0 offset:260
	buffer_store_dword v1, off, s[0:3], 0 offset:256
	;; [unrolled: 1-line block ×4, first 2 shown]
.LBB126_995:
	s_or_b32 exec_lo, exec_lo, s4
	v_mov_b32_e32 v4, s55
	s_mov_b32 s4, exec_lo
	s_clause 0x3
	buffer_load_dword v1, v4, s[0:3], 0 offen
	buffer_load_dword v2, v4, s[0:3], 0 offen offset:4
	buffer_load_dword v3, v4, s[0:3], 0 offen offset:8
	;; [unrolled: 1-line block ×3, first 2 shown]
	s_waitcnt vmcnt(0)
	ds_write_b128 v132, v[1:4]
	s_waitcnt lgkmcnt(0)
	s_waitcnt_vscnt null, 0x0
	s_barrier
	buffer_gl0_inv
	v_cmpx_gt_u32_e32 17, v0
	s_cbranch_execz .LBB126_1003
; %bb.996:
	ds_read_b128 v[1:4], v132
	v_cmp_ne_u32_e32 vcc_lo, 1, v133
	s_cbranch_vccnz .LBB126_998
; %bb.997:
	s_clause 0x3
	buffer_load_dword v134, v131, s[0:3], 0 offen offset:8
	buffer_load_dword v135, v131, s[0:3], 0 offen offset:12
	buffer_load_dword v138, v131, s[0:3], 0 offen
	buffer_load_dword v139, v131, s[0:3], 0 offen offset:4
	s_waitcnt vmcnt(2) lgkmcnt(0)
	v_mul_f64 v[140:141], v[3:4], v[134:135]
	v_mul_f64 v[134:135], v[1:2], v[134:135]
	s_waitcnt vmcnt(0)
	v_fma_f64 v[1:2], v[1:2], v[138:139], -v[140:141]
	v_fma_f64 v[3:4], v[3:4], v[138:139], v[134:135]
.LBB126_998:
	s_mov_b32 s5, exec_lo
	v_cmpx_ne_u32_e32 16, v0
	s_cbranch_execz .LBB126_1002
; %bb.999:
	v_or_b32_e32 v134, 0x400, v137
	v_add3_u32 v135, 0, v137, 16
	v_mov_b32_e32 v136, v0
	s_mov_b32 s6, 0
	.p2align	6
.LBB126_1000:                           ; =>This Inner Loop Header: Depth=1
	s_clause 0x3
	buffer_load_dword v142, v135, s[0:3], 0 offen offset:8
	buffer_load_dword v143, v135, s[0:3], 0 offen offset:12
	buffer_load_dword v144, v135, s[0:3], 0 offen
	buffer_load_dword v145, v135, s[0:3], 0 offen offset:4
	ds_read_b128 v[138:141], v134
	v_add_nc_u32_e32 v136, 1, v136
	v_add_nc_u32_e32 v134, 16, v134
	;; [unrolled: 1-line block ×3, first 2 shown]
	v_cmp_lt_u32_e32 vcc_lo, 15, v136
	s_or_b32 s6, vcc_lo, s6
	s_waitcnt vmcnt(2) lgkmcnt(0)
	v_mul_f64 v[146:147], v[140:141], v[142:143]
	v_mul_f64 v[142:143], v[138:139], v[142:143]
	s_waitcnt vmcnt(0)
	v_fma_f64 v[138:139], v[138:139], v[144:145], -v[146:147]
	v_fma_f64 v[140:141], v[140:141], v[144:145], v[142:143]
	v_add_f64 v[1:2], v[1:2], v[138:139]
	v_add_f64 v[3:4], v[3:4], v[140:141]
	s_andn2_b32 exec_lo, exec_lo, s6
	s_cbranch_execnz .LBB126_1000
; %bb.1001:
	s_or_b32 exec_lo, exec_lo, s6
.LBB126_1002:
	s_or_b32 exec_lo, exec_lo, s5
	v_mov_b32_e32 v134, 0
	ds_read_b128 v[138:141], v134 offset:272
	s_waitcnt lgkmcnt(0)
	v_mul_f64 v[134:135], v[3:4], v[140:141]
	v_mul_f64 v[140:141], v[1:2], v[140:141]
	v_fma_f64 v[1:2], v[1:2], v[138:139], -v[134:135]
	v_fma_f64 v[3:4], v[3:4], v[138:139], v[140:141]
	buffer_store_dword v2, off, s[0:3], 0 offset:276
	buffer_store_dword v1, off, s[0:3], 0 offset:272
	;; [unrolled: 1-line block ×4, first 2 shown]
.LBB126_1003:
	s_or_b32 exec_lo, exec_lo, s4
	v_mov_b32_e32 v4, s54
	s_mov_b32 s4, exec_lo
	s_clause 0x3
	buffer_load_dword v1, v4, s[0:3], 0 offen
	buffer_load_dword v2, v4, s[0:3], 0 offen offset:4
	buffer_load_dword v3, v4, s[0:3], 0 offen offset:8
	;; [unrolled: 1-line block ×3, first 2 shown]
	s_waitcnt vmcnt(0)
	ds_write_b128 v132, v[1:4]
	s_waitcnt lgkmcnt(0)
	s_waitcnt_vscnt null, 0x0
	s_barrier
	buffer_gl0_inv
	v_cmpx_gt_u32_e32 18, v0
	s_cbranch_execz .LBB126_1011
; %bb.1004:
	ds_read_b128 v[1:4], v132
	v_cmp_ne_u32_e32 vcc_lo, 1, v133
	s_cbranch_vccnz .LBB126_1006
; %bb.1005:
	s_clause 0x3
	buffer_load_dword v134, v131, s[0:3], 0 offen offset:8
	buffer_load_dword v135, v131, s[0:3], 0 offen offset:12
	buffer_load_dword v138, v131, s[0:3], 0 offen
	buffer_load_dword v139, v131, s[0:3], 0 offen offset:4
	s_waitcnt vmcnt(2) lgkmcnt(0)
	v_mul_f64 v[140:141], v[3:4], v[134:135]
	v_mul_f64 v[134:135], v[1:2], v[134:135]
	s_waitcnt vmcnt(0)
	v_fma_f64 v[1:2], v[1:2], v[138:139], -v[140:141]
	v_fma_f64 v[3:4], v[3:4], v[138:139], v[134:135]
.LBB126_1006:
	s_mov_b32 s5, exec_lo
	v_cmpx_ne_u32_e32 17, v0
	s_cbranch_execz .LBB126_1010
; %bb.1007:
	v_or_b32_e32 v134, 0x400, v137
	v_add3_u32 v135, 0, v137, 16
	v_mov_b32_e32 v136, v0
	s_mov_b32 s6, 0
	.p2align	6
.LBB126_1008:                           ; =>This Inner Loop Header: Depth=1
	s_clause 0x3
	buffer_load_dword v142, v135, s[0:3], 0 offen offset:8
	buffer_load_dword v143, v135, s[0:3], 0 offen offset:12
	buffer_load_dword v144, v135, s[0:3], 0 offen
	buffer_load_dword v145, v135, s[0:3], 0 offen offset:4
	ds_read_b128 v[138:141], v134
	v_add_nc_u32_e32 v136, 1, v136
	v_add_nc_u32_e32 v134, 16, v134
	;; [unrolled: 1-line block ×3, first 2 shown]
	v_cmp_lt_u32_e32 vcc_lo, 16, v136
	s_or_b32 s6, vcc_lo, s6
	s_waitcnt vmcnt(2) lgkmcnt(0)
	v_mul_f64 v[146:147], v[140:141], v[142:143]
	v_mul_f64 v[142:143], v[138:139], v[142:143]
	s_waitcnt vmcnt(0)
	v_fma_f64 v[138:139], v[138:139], v[144:145], -v[146:147]
	v_fma_f64 v[140:141], v[140:141], v[144:145], v[142:143]
	v_add_f64 v[1:2], v[1:2], v[138:139]
	v_add_f64 v[3:4], v[3:4], v[140:141]
	s_andn2_b32 exec_lo, exec_lo, s6
	s_cbranch_execnz .LBB126_1008
; %bb.1009:
	s_or_b32 exec_lo, exec_lo, s6
.LBB126_1010:
	s_or_b32 exec_lo, exec_lo, s5
	v_mov_b32_e32 v134, 0
	ds_read_b128 v[138:141], v134 offset:288
	s_waitcnt lgkmcnt(0)
	v_mul_f64 v[134:135], v[3:4], v[140:141]
	v_mul_f64 v[140:141], v[1:2], v[140:141]
	v_fma_f64 v[1:2], v[1:2], v[138:139], -v[134:135]
	v_fma_f64 v[3:4], v[3:4], v[138:139], v[140:141]
	buffer_store_dword v2, off, s[0:3], 0 offset:292
	buffer_store_dword v1, off, s[0:3], 0 offset:288
	;; [unrolled: 1-line block ×4, first 2 shown]
.LBB126_1011:
	s_or_b32 exec_lo, exec_lo, s4
	v_mov_b32_e32 v4, s53
	s_mov_b32 s4, exec_lo
	s_clause 0x3
	buffer_load_dword v1, v4, s[0:3], 0 offen
	buffer_load_dword v2, v4, s[0:3], 0 offen offset:4
	buffer_load_dword v3, v4, s[0:3], 0 offen offset:8
	;; [unrolled: 1-line block ×3, first 2 shown]
	s_waitcnt vmcnt(0)
	ds_write_b128 v132, v[1:4]
	s_waitcnt lgkmcnt(0)
	s_waitcnt_vscnt null, 0x0
	s_barrier
	buffer_gl0_inv
	v_cmpx_gt_u32_e32 19, v0
	s_cbranch_execz .LBB126_1019
; %bb.1012:
	ds_read_b128 v[1:4], v132
	v_cmp_ne_u32_e32 vcc_lo, 1, v133
	s_cbranch_vccnz .LBB126_1014
; %bb.1013:
	s_clause 0x3
	buffer_load_dword v134, v131, s[0:3], 0 offen offset:8
	buffer_load_dword v135, v131, s[0:3], 0 offen offset:12
	buffer_load_dword v138, v131, s[0:3], 0 offen
	buffer_load_dword v139, v131, s[0:3], 0 offen offset:4
	s_waitcnt vmcnt(2) lgkmcnt(0)
	v_mul_f64 v[140:141], v[3:4], v[134:135]
	v_mul_f64 v[134:135], v[1:2], v[134:135]
	s_waitcnt vmcnt(0)
	v_fma_f64 v[1:2], v[1:2], v[138:139], -v[140:141]
	v_fma_f64 v[3:4], v[3:4], v[138:139], v[134:135]
.LBB126_1014:
	s_mov_b32 s5, exec_lo
	v_cmpx_ne_u32_e32 18, v0
	s_cbranch_execz .LBB126_1018
; %bb.1015:
	v_or_b32_e32 v134, 0x400, v137
	v_add3_u32 v135, 0, v137, 16
	v_mov_b32_e32 v136, v0
	s_mov_b32 s6, 0
	.p2align	6
.LBB126_1016:                           ; =>This Inner Loop Header: Depth=1
	s_clause 0x3
	buffer_load_dword v142, v135, s[0:3], 0 offen offset:8
	buffer_load_dword v143, v135, s[0:3], 0 offen offset:12
	buffer_load_dword v144, v135, s[0:3], 0 offen
	buffer_load_dword v145, v135, s[0:3], 0 offen offset:4
	ds_read_b128 v[138:141], v134
	v_add_nc_u32_e32 v136, 1, v136
	v_add_nc_u32_e32 v134, 16, v134
	;; [unrolled: 1-line block ×3, first 2 shown]
	v_cmp_lt_u32_e32 vcc_lo, 17, v136
	s_or_b32 s6, vcc_lo, s6
	s_waitcnt vmcnt(2) lgkmcnt(0)
	v_mul_f64 v[146:147], v[140:141], v[142:143]
	v_mul_f64 v[142:143], v[138:139], v[142:143]
	s_waitcnt vmcnt(0)
	v_fma_f64 v[138:139], v[138:139], v[144:145], -v[146:147]
	v_fma_f64 v[140:141], v[140:141], v[144:145], v[142:143]
	v_add_f64 v[1:2], v[1:2], v[138:139]
	v_add_f64 v[3:4], v[3:4], v[140:141]
	s_andn2_b32 exec_lo, exec_lo, s6
	s_cbranch_execnz .LBB126_1016
; %bb.1017:
	s_or_b32 exec_lo, exec_lo, s6
.LBB126_1018:
	s_or_b32 exec_lo, exec_lo, s5
	v_mov_b32_e32 v134, 0
	ds_read_b128 v[138:141], v134 offset:304
	s_waitcnt lgkmcnt(0)
	v_mul_f64 v[134:135], v[3:4], v[140:141]
	v_mul_f64 v[140:141], v[1:2], v[140:141]
	v_fma_f64 v[1:2], v[1:2], v[138:139], -v[134:135]
	v_fma_f64 v[3:4], v[3:4], v[138:139], v[140:141]
	buffer_store_dword v2, off, s[0:3], 0 offset:308
	buffer_store_dword v1, off, s[0:3], 0 offset:304
	;; [unrolled: 1-line block ×4, first 2 shown]
.LBB126_1019:
	s_or_b32 exec_lo, exec_lo, s4
	v_mov_b32_e32 v4, s52
	s_mov_b32 s4, exec_lo
	s_clause 0x3
	buffer_load_dword v1, v4, s[0:3], 0 offen
	buffer_load_dword v2, v4, s[0:3], 0 offen offset:4
	buffer_load_dword v3, v4, s[0:3], 0 offen offset:8
	;; [unrolled: 1-line block ×3, first 2 shown]
	s_waitcnt vmcnt(0)
	ds_write_b128 v132, v[1:4]
	s_waitcnt lgkmcnt(0)
	s_waitcnt_vscnt null, 0x0
	s_barrier
	buffer_gl0_inv
	v_cmpx_gt_u32_e32 20, v0
	s_cbranch_execz .LBB126_1027
; %bb.1020:
	ds_read_b128 v[1:4], v132
	v_cmp_ne_u32_e32 vcc_lo, 1, v133
	s_cbranch_vccnz .LBB126_1022
; %bb.1021:
	s_clause 0x3
	buffer_load_dword v134, v131, s[0:3], 0 offen offset:8
	buffer_load_dword v135, v131, s[0:3], 0 offen offset:12
	buffer_load_dword v138, v131, s[0:3], 0 offen
	buffer_load_dword v139, v131, s[0:3], 0 offen offset:4
	s_waitcnt vmcnt(2) lgkmcnt(0)
	v_mul_f64 v[140:141], v[3:4], v[134:135]
	v_mul_f64 v[134:135], v[1:2], v[134:135]
	s_waitcnt vmcnt(0)
	v_fma_f64 v[1:2], v[1:2], v[138:139], -v[140:141]
	v_fma_f64 v[3:4], v[3:4], v[138:139], v[134:135]
.LBB126_1022:
	s_mov_b32 s5, exec_lo
	v_cmpx_ne_u32_e32 19, v0
	s_cbranch_execz .LBB126_1026
; %bb.1023:
	v_or_b32_e32 v134, 0x400, v137
	v_add3_u32 v135, 0, v137, 16
	v_mov_b32_e32 v136, v0
	s_mov_b32 s6, 0
	.p2align	6
.LBB126_1024:                           ; =>This Inner Loop Header: Depth=1
	s_clause 0x3
	buffer_load_dword v142, v135, s[0:3], 0 offen offset:8
	buffer_load_dword v143, v135, s[0:3], 0 offen offset:12
	buffer_load_dword v144, v135, s[0:3], 0 offen
	buffer_load_dword v145, v135, s[0:3], 0 offen offset:4
	ds_read_b128 v[138:141], v134
	v_add_nc_u32_e32 v136, 1, v136
	v_add_nc_u32_e32 v134, 16, v134
	;; [unrolled: 1-line block ×3, first 2 shown]
	v_cmp_lt_u32_e32 vcc_lo, 18, v136
	s_or_b32 s6, vcc_lo, s6
	s_waitcnt vmcnt(2) lgkmcnt(0)
	v_mul_f64 v[146:147], v[140:141], v[142:143]
	v_mul_f64 v[142:143], v[138:139], v[142:143]
	s_waitcnt vmcnt(0)
	v_fma_f64 v[138:139], v[138:139], v[144:145], -v[146:147]
	v_fma_f64 v[140:141], v[140:141], v[144:145], v[142:143]
	v_add_f64 v[1:2], v[1:2], v[138:139]
	v_add_f64 v[3:4], v[3:4], v[140:141]
	s_andn2_b32 exec_lo, exec_lo, s6
	s_cbranch_execnz .LBB126_1024
; %bb.1025:
	s_or_b32 exec_lo, exec_lo, s6
.LBB126_1026:
	s_or_b32 exec_lo, exec_lo, s5
	v_mov_b32_e32 v134, 0
	ds_read_b128 v[138:141], v134 offset:320
	s_waitcnt lgkmcnt(0)
	v_mul_f64 v[134:135], v[3:4], v[140:141]
	v_mul_f64 v[140:141], v[1:2], v[140:141]
	v_fma_f64 v[1:2], v[1:2], v[138:139], -v[134:135]
	v_fma_f64 v[3:4], v[3:4], v[138:139], v[140:141]
	buffer_store_dword v2, off, s[0:3], 0 offset:324
	buffer_store_dword v1, off, s[0:3], 0 offset:320
	;; [unrolled: 1-line block ×4, first 2 shown]
.LBB126_1027:
	s_or_b32 exec_lo, exec_lo, s4
	v_mov_b32_e32 v4, s51
	s_mov_b32 s4, exec_lo
	s_clause 0x3
	buffer_load_dword v1, v4, s[0:3], 0 offen
	buffer_load_dword v2, v4, s[0:3], 0 offen offset:4
	buffer_load_dword v3, v4, s[0:3], 0 offen offset:8
	;; [unrolled: 1-line block ×3, first 2 shown]
	s_waitcnt vmcnt(0)
	ds_write_b128 v132, v[1:4]
	s_waitcnt lgkmcnt(0)
	s_waitcnt_vscnt null, 0x0
	s_barrier
	buffer_gl0_inv
	v_cmpx_gt_u32_e32 21, v0
	s_cbranch_execz .LBB126_1035
; %bb.1028:
	ds_read_b128 v[1:4], v132
	v_cmp_ne_u32_e32 vcc_lo, 1, v133
	s_cbranch_vccnz .LBB126_1030
; %bb.1029:
	s_clause 0x3
	buffer_load_dword v134, v131, s[0:3], 0 offen offset:8
	buffer_load_dword v135, v131, s[0:3], 0 offen offset:12
	buffer_load_dword v138, v131, s[0:3], 0 offen
	buffer_load_dword v139, v131, s[0:3], 0 offen offset:4
	s_waitcnt vmcnt(2) lgkmcnt(0)
	v_mul_f64 v[140:141], v[3:4], v[134:135]
	v_mul_f64 v[134:135], v[1:2], v[134:135]
	s_waitcnt vmcnt(0)
	v_fma_f64 v[1:2], v[1:2], v[138:139], -v[140:141]
	v_fma_f64 v[3:4], v[3:4], v[138:139], v[134:135]
.LBB126_1030:
	s_mov_b32 s5, exec_lo
	v_cmpx_ne_u32_e32 20, v0
	s_cbranch_execz .LBB126_1034
; %bb.1031:
	v_or_b32_e32 v134, 0x400, v137
	v_add3_u32 v135, 0, v137, 16
	v_mov_b32_e32 v136, v0
	s_mov_b32 s6, 0
	.p2align	6
.LBB126_1032:                           ; =>This Inner Loop Header: Depth=1
	s_clause 0x3
	buffer_load_dword v142, v135, s[0:3], 0 offen offset:8
	buffer_load_dword v143, v135, s[0:3], 0 offen offset:12
	buffer_load_dword v144, v135, s[0:3], 0 offen
	buffer_load_dword v145, v135, s[0:3], 0 offen offset:4
	ds_read_b128 v[138:141], v134
	v_add_nc_u32_e32 v136, 1, v136
	v_add_nc_u32_e32 v134, 16, v134
	;; [unrolled: 1-line block ×3, first 2 shown]
	v_cmp_lt_u32_e32 vcc_lo, 19, v136
	s_or_b32 s6, vcc_lo, s6
	s_waitcnt vmcnt(2) lgkmcnt(0)
	v_mul_f64 v[146:147], v[140:141], v[142:143]
	v_mul_f64 v[142:143], v[138:139], v[142:143]
	s_waitcnt vmcnt(0)
	v_fma_f64 v[138:139], v[138:139], v[144:145], -v[146:147]
	v_fma_f64 v[140:141], v[140:141], v[144:145], v[142:143]
	v_add_f64 v[1:2], v[1:2], v[138:139]
	v_add_f64 v[3:4], v[3:4], v[140:141]
	s_andn2_b32 exec_lo, exec_lo, s6
	s_cbranch_execnz .LBB126_1032
; %bb.1033:
	s_or_b32 exec_lo, exec_lo, s6
.LBB126_1034:
	s_or_b32 exec_lo, exec_lo, s5
	v_mov_b32_e32 v134, 0
	ds_read_b128 v[138:141], v134 offset:336
	s_waitcnt lgkmcnt(0)
	v_mul_f64 v[134:135], v[3:4], v[140:141]
	v_mul_f64 v[140:141], v[1:2], v[140:141]
	v_fma_f64 v[1:2], v[1:2], v[138:139], -v[134:135]
	v_fma_f64 v[3:4], v[3:4], v[138:139], v[140:141]
	buffer_store_dword v2, off, s[0:3], 0 offset:340
	buffer_store_dword v1, off, s[0:3], 0 offset:336
	;; [unrolled: 1-line block ×4, first 2 shown]
.LBB126_1035:
	s_or_b32 exec_lo, exec_lo, s4
	v_mov_b32_e32 v4, s50
	s_mov_b32 s4, exec_lo
	s_clause 0x3
	buffer_load_dword v1, v4, s[0:3], 0 offen
	buffer_load_dword v2, v4, s[0:3], 0 offen offset:4
	buffer_load_dword v3, v4, s[0:3], 0 offen offset:8
	;; [unrolled: 1-line block ×3, first 2 shown]
	s_waitcnt vmcnt(0)
	ds_write_b128 v132, v[1:4]
	s_waitcnt lgkmcnt(0)
	s_waitcnt_vscnt null, 0x0
	s_barrier
	buffer_gl0_inv
	v_cmpx_gt_u32_e32 22, v0
	s_cbranch_execz .LBB126_1043
; %bb.1036:
	ds_read_b128 v[1:4], v132
	v_cmp_ne_u32_e32 vcc_lo, 1, v133
	s_cbranch_vccnz .LBB126_1038
; %bb.1037:
	s_clause 0x3
	buffer_load_dword v134, v131, s[0:3], 0 offen offset:8
	buffer_load_dword v135, v131, s[0:3], 0 offen offset:12
	buffer_load_dword v138, v131, s[0:3], 0 offen
	buffer_load_dword v139, v131, s[0:3], 0 offen offset:4
	s_waitcnt vmcnt(2) lgkmcnt(0)
	v_mul_f64 v[140:141], v[3:4], v[134:135]
	v_mul_f64 v[134:135], v[1:2], v[134:135]
	s_waitcnt vmcnt(0)
	v_fma_f64 v[1:2], v[1:2], v[138:139], -v[140:141]
	v_fma_f64 v[3:4], v[3:4], v[138:139], v[134:135]
.LBB126_1038:
	s_mov_b32 s5, exec_lo
	v_cmpx_ne_u32_e32 21, v0
	s_cbranch_execz .LBB126_1042
; %bb.1039:
	v_or_b32_e32 v134, 0x400, v137
	v_add3_u32 v135, 0, v137, 16
	v_mov_b32_e32 v136, v0
	s_mov_b32 s6, 0
	.p2align	6
.LBB126_1040:                           ; =>This Inner Loop Header: Depth=1
	s_clause 0x3
	buffer_load_dword v142, v135, s[0:3], 0 offen offset:8
	buffer_load_dword v143, v135, s[0:3], 0 offen offset:12
	buffer_load_dword v144, v135, s[0:3], 0 offen
	buffer_load_dword v145, v135, s[0:3], 0 offen offset:4
	ds_read_b128 v[138:141], v134
	v_add_nc_u32_e32 v136, 1, v136
	v_add_nc_u32_e32 v134, 16, v134
	;; [unrolled: 1-line block ×3, first 2 shown]
	v_cmp_lt_u32_e32 vcc_lo, 20, v136
	s_or_b32 s6, vcc_lo, s6
	s_waitcnt vmcnt(2) lgkmcnt(0)
	v_mul_f64 v[146:147], v[140:141], v[142:143]
	v_mul_f64 v[142:143], v[138:139], v[142:143]
	s_waitcnt vmcnt(0)
	v_fma_f64 v[138:139], v[138:139], v[144:145], -v[146:147]
	v_fma_f64 v[140:141], v[140:141], v[144:145], v[142:143]
	v_add_f64 v[1:2], v[1:2], v[138:139]
	v_add_f64 v[3:4], v[3:4], v[140:141]
	s_andn2_b32 exec_lo, exec_lo, s6
	s_cbranch_execnz .LBB126_1040
; %bb.1041:
	s_or_b32 exec_lo, exec_lo, s6
.LBB126_1042:
	s_or_b32 exec_lo, exec_lo, s5
	v_mov_b32_e32 v134, 0
	ds_read_b128 v[138:141], v134 offset:352
	s_waitcnt lgkmcnt(0)
	v_mul_f64 v[134:135], v[3:4], v[140:141]
	v_mul_f64 v[140:141], v[1:2], v[140:141]
	v_fma_f64 v[1:2], v[1:2], v[138:139], -v[134:135]
	v_fma_f64 v[3:4], v[3:4], v[138:139], v[140:141]
	buffer_store_dword v2, off, s[0:3], 0 offset:356
	buffer_store_dword v1, off, s[0:3], 0 offset:352
	;; [unrolled: 1-line block ×4, first 2 shown]
.LBB126_1043:
	s_or_b32 exec_lo, exec_lo, s4
	v_mov_b32_e32 v4, s49
	s_mov_b32 s4, exec_lo
	s_clause 0x3
	buffer_load_dword v1, v4, s[0:3], 0 offen
	buffer_load_dword v2, v4, s[0:3], 0 offen offset:4
	buffer_load_dword v3, v4, s[0:3], 0 offen offset:8
	;; [unrolled: 1-line block ×3, first 2 shown]
	s_waitcnt vmcnt(0)
	ds_write_b128 v132, v[1:4]
	s_waitcnt lgkmcnt(0)
	s_waitcnt_vscnt null, 0x0
	s_barrier
	buffer_gl0_inv
	v_cmpx_gt_u32_e32 23, v0
	s_cbranch_execz .LBB126_1051
; %bb.1044:
	ds_read_b128 v[1:4], v132
	v_cmp_ne_u32_e32 vcc_lo, 1, v133
	s_cbranch_vccnz .LBB126_1046
; %bb.1045:
	s_clause 0x3
	buffer_load_dword v134, v131, s[0:3], 0 offen offset:8
	buffer_load_dword v135, v131, s[0:3], 0 offen offset:12
	buffer_load_dword v138, v131, s[0:3], 0 offen
	buffer_load_dword v139, v131, s[0:3], 0 offen offset:4
	s_waitcnt vmcnt(2) lgkmcnt(0)
	v_mul_f64 v[140:141], v[3:4], v[134:135]
	v_mul_f64 v[134:135], v[1:2], v[134:135]
	s_waitcnt vmcnt(0)
	v_fma_f64 v[1:2], v[1:2], v[138:139], -v[140:141]
	v_fma_f64 v[3:4], v[3:4], v[138:139], v[134:135]
.LBB126_1046:
	s_mov_b32 s5, exec_lo
	v_cmpx_ne_u32_e32 22, v0
	s_cbranch_execz .LBB126_1050
; %bb.1047:
	v_or_b32_e32 v134, 0x400, v137
	v_add3_u32 v135, 0, v137, 16
	v_mov_b32_e32 v136, v0
	s_mov_b32 s6, 0
	.p2align	6
.LBB126_1048:                           ; =>This Inner Loop Header: Depth=1
	s_clause 0x3
	buffer_load_dword v142, v135, s[0:3], 0 offen offset:8
	buffer_load_dword v143, v135, s[0:3], 0 offen offset:12
	buffer_load_dword v144, v135, s[0:3], 0 offen
	buffer_load_dword v145, v135, s[0:3], 0 offen offset:4
	ds_read_b128 v[138:141], v134
	v_add_nc_u32_e32 v136, 1, v136
	v_add_nc_u32_e32 v134, 16, v134
	v_add_nc_u32_e32 v135, 16, v135
	v_cmp_lt_u32_e32 vcc_lo, 21, v136
	s_or_b32 s6, vcc_lo, s6
	s_waitcnt vmcnt(2) lgkmcnt(0)
	v_mul_f64 v[146:147], v[140:141], v[142:143]
	v_mul_f64 v[142:143], v[138:139], v[142:143]
	s_waitcnt vmcnt(0)
	v_fma_f64 v[138:139], v[138:139], v[144:145], -v[146:147]
	v_fma_f64 v[140:141], v[140:141], v[144:145], v[142:143]
	v_add_f64 v[1:2], v[1:2], v[138:139]
	v_add_f64 v[3:4], v[3:4], v[140:141]
	s_andn2_b32 exec_lo, exec_lo, s6
	s_cbranch_execnz .LBB126_1048
; %bb.1049:
	s_or_b32 exec_lo, exec_lo, s6
.LBB126_1050:
	s_or_b32 exec_lo, exec_lo, s5
	v_mov_b32_e32 v134, 0
	ds_read_b128 v[138:141], v134 offset:368
	s_waitcnt lgkmcnt(0)
	v_mul_f64 v[134:135], v[3:4], v[140:141]
	v_mul_f64 v[140:141], v[1:2], v[140:141]
	v_fma_f64 v[1:2], v[1:2], v[138:139], -v[134:135]
	v_fma_f64 v[3:4], v[3:4], v[138:139], v[140:141]
	buffer_store_dword v2, off, s[0:3], 0 offset:372
	buffer_store_dword v1, off, s[0:3], 0 offset:368
	;; [unrolled: 1-line block ×4, first 2 shown]
.LBB126_1051:
	s_or_b32 exec_lo, exec_lo, s4
	v_mov_b32_e32 v4, s48
	s_mov_b32 s4, exec_lo
	s_clause 0x3
	buffer_load_dword v1, v4, s[0:3], 0 offen
	buffer_load_dword v2, v4, s[0:3], 0 offen offset:4
	buffer_load_dword v3, v4, s[0:3], 0 offen offset:8
	;; [unrolled: 1-line block ×3, first 2 shown]
	s_waitcnt vmcnt(0)
	ds_write_b128 v132, v[1:4]
	s_waitcnt lgkmcnt(0)
	s_waitcnt_vscnt null, 0x0
	s_barrier
	buffer_gl0_inv
	v_cmpx_gt_u32_e32 24, v0
	s_cbranch_execz .LBB126_1059
; %bb.1052:
	ds_read_b128 v[1:4], v132
	v_cmp_ne_u32_e32 vcc_lo, 1, v133
	s_cbranch_vccnz .LBB126_1054
; %bb.1053:
	s_clause 0x3
	buffer_load_dword v134, v131, s[0:3], 0 offen offset:8
	buffer_load_dword v135, v131, s[0:3], 0 offen offset:12
	buffer_load_dword v138, v131, s[0:3], 0 offen
	buffer_load_dword v139, v131, s[0:3], 0 offen offset:4
	s_waitcnt vmcnt(2) lgkmcnt(0)
	v_mul_f64 v[140:141], v[3:4], v[134:135]
	v_mul_f64 v[134:135], v[1:2], v[134:135]
	s_waitcnt vmcnt(0)
	v_fma_f64 v[1:2], v[1:2], v[138:139], -v[140:141]
	v_fma_f64 v[3:4], v[3:4], v[138:139], v[134:135]
.LBB126_1054:
	s_mov_b32 s5, exec_lo
	v_cmpx_ne_u32_e32 23, v0
	s_cbranch_execz .LBB126_1058
; %bb.1055:
	v_or_b32_e32 v134, 0x400, v137
	v_add3_u32 v135, 0, v137, 16
	v_mov_b32_e32 v136, v0
	s_mov_b32 s6, 0
	.p2align	6
.LBB126_1056:                           ; =>This Inner Loop Header: Depth=1
	s_clause 0x3
	buffer_load_dword v142, v135, s[0:3], 0 offen offset:8
	buffer_load_dword v143, v135, s[0:3], 0 offen offset:12
	buffer_load_dword v144, v135, s[0:3], 0 offen
	buffer_load_dword v145, v135, s[0:3], 0 offen offset:4
	ds_read_b128 v[138:141], v134
	v_add_nc_u32_e32 v136, 1, v136
	v_add_nc_u32_e32 v134, 16, v134
	;; [unrolled: 1-line block ×3, first 2 shown]
	v_cmp_lt_u32_e32 vcc_lo, 22, v136
	s_or_b32 s6, vcc_lo, s6
	s_waitcnt vmcnt(2) lgkmcnt(0)
	v_mul_f64 v[146:147], v[140:141], v[142:143]
	v_mul_f64 v[142:143], v[138:139], v[142:143]
	s_waitcnt vmcnt(0)
	v_fma_f64 v[138:139], v[138:139], v[144:145], -v[146:147]
	v_fma_f64 v[140:141], v[140:141], v[144:145], v[142:143]
	v_add_f64 v[1:2], v[1:2], v[138:139]
	v_add_f64 v[3:4], v[3:4], v[140:141]
	s_andn2_b32 exec_lo, exec_lo, s6
	s_cbranch_execnz .LBB126_1056
; %bb.1057:
	s_or_b32 exec_lo, exec_lo, s6
.LBB126_1058:
	s_or_b32 exec_lo, exec_lo, s5
	v_mov_b32_e32 v134, 0
	ds_read_b128 v[138:141], v134 offset:384
	s_waitcnt lgkmcnt(0)
	v_mul_f64 v[134:135], v[3:4], v[140:141]
	v_mul_f64 v[140:141], v[1:2], v[140:141]
	v_fma_f64 v[1:2], v[1:2], v[138:139], -v[134:135]
	v_fma_f64 v[3:4], v[3:4], v[138:139], v[140:141]
	buffer_store_dword v2, off, s[0:3], 0 offset:388
	buffer_store_dword v1, off, s[0:3], 0 offset:384
	buffer_store_dword v4, off, s[0:3], 0 offset:396
	buffer_store_dword v3, off, s[0:3], 0 offset:392
.LBB126_1059:
	s_or_b32 exec_lo, exec_lo, s4
	v_mov_b32_e32 v4, s47
	s_mov_b32 s4, exec_lo
	s_clause 0x3
	buffer_load_dword v1, v4, s[0:3], 0 offen
	buffer_load_dword v2, v4, s[0:3], 0 offen offset:4
	buffer_load_dword v3, v4, s[0:3], 0 offen offset:8
	;; [unrolled: 1-line block ×3, first 2 shown]
	s_waitcnt vmcnt(0)
	ds_write_b128 v132, v[1:4]
	s_waitcnt lgkmcnt(0)
	s_waitcnt_vscnt null, 0x0
	s_barrier
	buffer_gl0_inv
	v_cmpx_gt_u32_e32 25, v0
	s_cbranch_execz .LBB126_1067
; %bb.1060:
	ds_read_b128 v[1:4], v132
	v_cmp_ne_u32_e32 vcc_lo, 1, v133
	s_cbranch_vccnz .LBB126_1062
; %bb.1061:
	s_clause 0x3
	buffer_load_dword v134, v131, s[0:3], 0 offen offset:8
	buffer_load_dword v135, v131, s[0:3], 0 offen offset:12
	buffer_load_dword v138, v131, s[0:3], 0 offen
	buffer_load_dword v139, v131, s[0:3], 0 offen offset:4
	s_waitcnt vmcnt(2) lgkmcnt(0)
	v_mul_f64 v[140:141], v[3:4], v[134:135]
	v_mul_f64 v[134:135], v[1:2], v[134:135]
	s_waitcnt vmcnt(0)
	v_fma_f64 v[1:2], v[1:2], v[138:139], -v[140:141]
	v_fma_f64 v[3:4], v[3:4], v[138:139], v[134:135]
.LBB126_1062:
	s_mov_b32 s5, exec_lo
	v_cmpx_ne_u32_e32 24, v0
	s_cbranch_execz .LBB126_1066
; %bb.1063:
	v_or_b32_e32 v134, 0x400, v137
	v_add3_u32 v135, 0, v137, 16
	v_mov_b32_e32 v136, v0
	s_mov_b32 s6, 0
	.p2align	6
.LBB126_1064:                           ; =>This Inner Loop Header: Depth=1
	s_clause 0x3
	buffer_load_dword v142, v135, s[0:3], 0 offen offset:8
	buffer_load_dword v143, v135, s[0:3], 0 offen offset:12
	buffer_load_dword v144, v135, s[0:3], 0 offen
	buffer_load_dword v145, v135, s[0:3], 0 offen offset:4
	ds_read_b128 v[138:141], v134
	v_add_nc_u32_e32 v136, 1, v136
	v_add_nc_u32_e32 v134, 16, v134
	;; [unrolled: 1-line block ×3, first 2 shown]
	v_cmp_lt_u32_e32 vcc_lo, 23, v136
	s_or_b32 s6, vcc_lo, s6
	s_waitcnt vmcnt(2) lgkmcnt(0)
	v_mul_f64 v[146:147], v[140:141], v[142:143]
	v_mul_f64 v[142:143], v[138:139], v[142:143]
	s_waitcnt vmcnt(0)
	v_fma_f64 v[138:139], v[138:139], v[144:145], -v[146:147]
	v_fma_f64 v[140:141], v[140:141], v[144:145], v[142:143]
	v_add_f64 v[1:2], v[1:2], v[138:139]
	v_add_f64 v[3:4], v[3:4], v[140:141]
	s_andn2_b32 exec_lo, exec_lo, s6
	s_cbranch_execnz .LBB126_1064
; %bb.1065:
	s_or_b32 exec_lo, exec_lo, s6
.LBB126_1066:
	s_or_b32 exec_lo, exec_lo, s5
	v_mov_b32_e32 v134, 0
	ds_read_b128 v[138:141], v134 offset:400
	s_waitcnt lgkmcnt(0)
	v_mul_f64 v[134:135], v[3:4], v[140:141]
	v_mul_f64 v[140:141], v[1:2], v[140:141]
	v_fma_f64 v[1:2], v[1:2], v[138:139], -v[134:135]
	v_fma_f64 v[3:4], v[3:4], v[138:139], v[140:141]
	buffer_store_dword v2, off, s[0:3], 0 offset:404
	buffer_store_dword v1, off, s[0:3], 0 offset:400
	;; [unrolled: 1-line block ×4, first 2 shown]
.LBB126_1067:
	s_or_b32 exec_lo, exec_lo, s4
	v_mov_b32_e32 v4, s46
	s_mov_b32 s4, exec_lo
	s_clause 0x3
	buffer_load_dword v1, v4, s[0:3], 0 offen
	buffer_load_dword v2, v4, s[0:3], 0 offen offset:4
	buffer_load_dword v3, v4, s[0:3], 0 offen offset:8
	;; [unrolled: 1-line block ×3, first 2 shown]
	s_waitcnt vmcnt(0)
	ds_write_b128 v132, v[1:4]
	s_waitcnt lgkmcnt(0)
	s_waitcnt_vscnt null, 0x0
	s_barrier
	buffer_gl0_inv
	v_cmpx_gt_u32_e32 26, v0
	s_cbranch_execz .LBB126_1075
; %bb.1068:
	ds_read_b128 v[1:4], v132
	v_cmp_ne_u32_e32 vcc_lo, 1, v133
	s_cbranch_vccnz .LBB126_1070
; %bb.1069:
	s_clause 0x3
	buffer_load_dword v134, v131, s[0:3], 0 offen offset:8
	buffer_load_dword v135, v131, s[0:3], 0 offen offset:12
	buffer_load_dword v138, v131, s[0:3], 0 offen
	buffer_load_dword v139, v131, s[0:3], 0 offen offset:4
	s_waitcnt vmcnt(2) lgkmcnt(0)
	v_mul_f64 v[140:141], v[3:4], v[134:135]
	v_mul_f64 v[134:135], v[1:2], v[134:135]
	s_waitcnt vmcnt(0)
	v_fma_f64 v[1:2], v[1:2], v[138:139], -v[140:141]
	v_fma_f64 v[3:4], v[3:4], v[138:139], v[134:135]
.LBB126_1070:
	s_mov_b32 s5, exec_lo
	v_cmpx_ne_u32_e32 25, v0
	s_cbranch_execz .LBB126_1074
; %bb.1071:
	v_or_b32_e32 v134, 0x400, v137
	v_add3_u32 v135, 0, v137, 16
	v_mov_b32_e32 v136, v0
	s_mov_b32 s6, 0
	.p2align	6
.LBB126_1072:                           ; =>This Inner Loop Header: Depth=1
	s_clause 0x3
	buffer_load_dword v142, v135, s[0:3], 0 offen offset:8
	buffer_load_dword v143, v135, s[0:3], 0 offen offset:12
	buffer_load_dword v144, v135, s[0:3], 0 offen
	buffer_load_dword v145, v135, s[0:3], 0 offen offset:4
	ds_read_b128 v[138:141], v134
	v_add_nc_u32_e32 v136, 1, v136
	v_add_nc_u32_e32 v134, 16, v134
	;; [unrolled: 1-line block ×3, first 2 shown]
	v_cmp_lt_u32_e32 vcc_lo, 24, v136
	s_or_b32 s6, vcc_lo, s6
	s_waitcnt vmcnt(2) lgkmcnt(0)
	v_mul_f64 v[146:147], v[140:141], v[142:143]
	v_mul_f64 v[142:143], v[138:139], v[142:143]
	s_waitcnt vmcnt(0)
	v_fma_f64 v[138:139], v[138:139], v[144:145], -v[146:147]
	v_fma_f64 v[140:141], v[140:141], v[144:145], v[142:143]
	v_add_f64 v[1:2], v[1:2], v[138:139]
	v_add_f64 v[3:4], v[3:4], v[140:141]
	s_andn2_b32 exec_lo, exec_lo, s6
	s_cbranch_execnz .LBB126_1072
; %bb.1073:
	s_or_b32 exec_lo, exec_lo, s6
.LBB126_1074:
	s_or_b32 exec_lo, exec_lo, s5
	v_mov_b32_e32 v134, 0
	ds_read_b128 v[138:141], v134 offset:416
	s_waitcnt lgkmcnt(0)
	v_mul_f64 v[134:135], v[3:4], v[140:141]
	v_mul_f64 v[140:141], v[1:2], v[140:141]
	v_fma_f64 v[1:2], v[1:2], v[138:139], -v[134:135]
	v_fma_f64 v[3:4], v[3:4], v[138:139], v[140:141]
	buffer_store_dword v2, off, s[0:3], 0 offset:420
	buffer_store_dword v1, off, s[0:3], 0 offset:416
	;; [unrolled: 1-line block ×4, first 2 shown]
.LBB126_1075:
	s_or_b32 exec_lo, exec_lo, s4
	v_mov_b32_e32 v4, s45
	s_mov_b32 s4, exec_lo
	s_clause 0x3
	buffer_load_dword v1, v4, s[0:3], 0 offen
	buffer_load_dword v2, v4, s[0:3], 0 offen offset:4
	buffer_load_dword v3, v4, s[0:3], 0 offen offset:8
	;; [unrolled: 1-line block ×3, first 2 shown]
	s_waitcnt vmcnt(0)
	ds_write_b128 v132, v[1:4]
	s_waitcnt lgkmcnt(0)
	s_waitcnt_vscnt null, 0x0
	s_barrier
	buffer_gl0_inv
	v_cmpx_gt_u32_e32 27, v0
	s_cbranch_execz .LBB126_1083
; %bb.1076:
	ds_read_b128 v[1:4], v132
	v_cmp_ne_u32_e32 vcc_lo, 1, v133
	s_cbranch_vccnz .LBB126_1078
; %bb.1077:
	s_clause 0x3
	buffer_load_dword v134, v131, s[0:3], 0 offen offset:8
	buffer_load_dword v135, v131, s[0:3], 0 offen offset:12
	buffer_load_dword v138, v131, s[0:3], 0 offen
	buffer_load_dword v139, v131, s[0:3], 0 offen offset:4
	s_waitcnt vmcnt(2) lgkmcnt(0)
	v_mul_f64 v[140:141], v[3:4], v[134:135]
	v_mul_f64 v[134:135], v[1:2], v[134:135]
	s_waitcnt vmcnt(0)
	v_fma_f64 v[1:2], v[1:2], v[138:139], -v[140:141]
	v_fma_f64 v[3:4], v[3:4], v[138:139], v[134:135]
.LBB126_1078:
	s_mov_b32 s5, exec_lo
	v_cmpx_ne_u32_e32 26, v0
	s_cbranch_execz .LBB126_1082
; %bb.1079:
	v_or_b32_e32 v134, 0x400, v137
	v_add3_u32 v135, 0, v137, 16
	v_mov_b32_e32 v136, v0
	s_mov_b32 s6, 0
	.p2align	6
.LBB126_1080:                           ; =>This Inner Loop Header: Depth=1
	s_clause 0x3
	buffer_load_dword v142, v135, s[0:3], 0 offen offset:8
	buffer_load_dword v143, v135, s[0:3], 0 offen offset:12
	buffer_load_dword v144, v135, s[0:3], 0 offen
	buffer_load_dword v145, v135, s[0:3], 0 offen offset:4
	ds_read_b128 v[138:141], v134
	v_add_nc_u32_e32 v136, 1, v136
	v_add_nc_u32_e32 v134, 16, v134
	;; [unrolled: 1-line block ×3, first 2 shown]
	v_cmp_lt_u32_e32 vcc_lo, 25, v136
	s_or_b32 s6, vcc_lo, s6
	s_waitcnt vmcnt(2) lgkmcnt(0)
	v_mul_f64 v[146:147], v[140:141], v[142:143]
	v_mul_f64 v[142:143], v[138:139], v[142:143]
	s_waitcnt vmcnt(0)
	v_fma_f64 v[138:139], v[138:139], v[144:145], -v[146:147]
	v_fma_f64 v[140:141], v[140:141], v[144:145], v[142:143]
	v_add_f64 v[1:2], v[1:2], v[138:139]
	v_add_f64 v[3:4], v[3:4], v[140:141]
	s_andn2_b32 exec_lo, exec_lo, s6
	s_cbranch_execnz .LBB126_1080
; %bb.1081:
	s_or_b32 exec_lo, exec_lo, s6
.LBB126_1082:
	s_or_b32 exec_lo, exec_lo, s5
	v_mov_b32_e32 v134, 0
	ds_read_b128 v[138:141], v134 offset:432
	s_waitcnt lgkmcnt(0)
	v_mul_f64 v[134:135], v[3:4], v[140:141]
	v_mul_f64 v[140:141], v[1:2], v[140:141]
	v_fma_f64 v[1:2], v[1:2], v[138:139], -v[134:135]
	v_fma_f64 v[3:4], v[3:4], v[138:139], v[140:141]
	buffer_store_dword v2, off, s[0:3], 0 offset:436
	buffer_store_dword v1, off, s[0:3], 0 offset:432
	;; [unrolled: 1-line block ×4, first 2 shown]
.LBB126_1083:
	s_or_b32 exec_lo, exec_lo, s4
	v_mov_b32_e32 v4, s44
	s_mov_b32 s4, exec_lo
	s_clause 0x3
	buffer_load_dword v1, v4, s[0:3], 0 offen
	buffer_load_dword v2, v4, s[0:3], 0 offen offset:4
	buffer_load_dword v3, v4, s[0:3], 0 offen offset:8
	;; [unrolled: 1-line block ×3, first 2 shown]
	s_waitcnt vmcnt(0)
	ds_write_b128 v132, v[1:4]
	s_waitcnt lgkmcnt(0)
	s_waitcnt_vscnt null, 0x0
	s_barrier
	buffer_gl0_inv
	v_cmpx_gt_u32_e32 28, v0
	s_cbranch_execz .LBB126_1091
; %bb.1084:
	ds_read_b128 v[1:4], v132
	v_cmp_ne_u32_e32 vcc_lo, 1, v133
	s_cbranch_vccnz .LBB126_1086
; %bb.1085:
	s_clause 0x3
	buffer_load_dword v134, v131, s[0:3], 0 offen offset:8
	buffer_load_dword v135, v131, s[0:3], 0 offen offset:12
	buffer_load_dword v138, v131, s[0:3], 0 offen
	buffer_load_dword v139, v131, s[0:3], 0 offen offset:4
	s_waitcnt vmcnt(2) lgkmcnt(0)
	v_mul_f64 v[140:141], v[3:4], v[134:135]
	v_mul_f64 v[134:135], v[1:2], v[134:135]
	s_waitcnt vmcnt(0)
	v_fma_f64 v[1:2], v[1:2], v[138:139], -v[140:141]
	v_fma_f64 v[3:4], v[3:4], v[138:139], v[134:135]
.LBB126_1086:
	s_mov_b32 s5, exec_lo
	v_cmpx_ne_u32_e32 27, v0
	s_cbranch_execz .LBB126_1090
; %bb.1087:
	v_or_b32_e32 v134, 0x400, v137
	v_add3_u32 v135, 0, v137, 16
	v_mov_b32_e32 v136, v0
	s_mov_b32 s6, 0
	.p2align	6
.LBB126_1088:                           ; =>This Inner Loop Header: Depth=1
	s_clause 0x3
	buffer_load_dword v142, v135, s[0:3], 0 offen offset:8
	buffer_load_dword v143, v135, s[0:3], 0 offen offset:12
	buffer_load_dword v144, v135, s[0:3], 0 offen
	buffer_load_dword v145, v135, s[0:3], 0 offen offset:4
	ds_read_b128 v[138:141], v134
	v_add_nc_u32_e32 v136, 1, v136
	v_add_nc_u32_e32 v134, 16, v134
	;; [unrolled: 1-line block ×3, first 2 shown]
	v_cmp_lt_u32_e32 vcc_lo, 26, v136
	s_or_b32 s6, vcc_lo, s6
	s_waitcnt vmcnt(2) lgkmcnt(0)
	v_mul_f64 v[146:147], v[140:141], v[142:143]
	v_mul_f64 v[142:143], v[138:139], v[142:143]
	s_waitcnt vmcnt(0)
	v_fma_f64 v[138:139], v[138:139], v[144:145], -v[146:147]
	v_fma_f64 v[140:141], v[140:141], v[144:145], v[142:143]
	v_add_f64 v[1:2], v[1:2], v[138:139]
	v_add_f64 v[3:4], v[3:4], v[140:141]
	s_andn2_b32 exec_lo, exec_lo, s6
	s_cbranch_execnz .LBB126_1088
; %bb.1089:
	s_or_b32 exec_lo, exec_lo, s6
.LBB126_1090:
	s_or_b32 exec_lo, exec_lo, s5
	v_mov_b32_e32 v134, 0
	ds_read_b128 v[138:141], v134 offset:448
	s_waitcnt lgkmcnt(0)
	v_mul_f64 v[134:135], v[3:4], v[140:141]
	v_mul_f64 v[140:141], v[1:2], v[140:141]
	v_fma_f64 v[1:2], v[1:2], v[138:139], -v[134:135]
	v_fma_f64 v[3:4], v[3:4], v[138:139], v[140:141]
	buffer_store_dword v2, off, s[0:3], 0 offset:452
	buffer_store_dword v1, off, s[0:3], 0 offset:448
	;; [unrolled: 1-line block ×4, first 2 shown]
.LBB126_1091:
	s_or_b32 exec_lo, exec_lo, s4
	v_mov_b32_e32 v4, s43
	s_mov_b32 s4, exec_lo
	s_clause 0x3
	buffer_load_dword v1, v4, s[0:3], 0 offen
	buffer_load_dword v2, v4, s[0:3], 0 offen offset:4
	buffer_load_dword v3, v4, s[0:3], 0 offen offset:8
	;; [unrolled: 1-line block ×3, first 2 shown]
	s_waitcnt vmcnt(0)
	ds_write_b128 v132, v[1:4]
	s_waitcnt lgkmcnt(0)
	s_waitcnt_vscnt null, 0x0
	s_barrier
	buffer_gl0_inv
	v_cmpx_gt_u32_e32 29, v0
	s_cbranch_execz .LBB126_1099
; %bb.1092:
	ds_read_b128 v[1:4], v132
	v_cmp_ne_u32_e32 vcc_lo, 1, v133
	s_cbranch_vccnz .LBB126_1094
; %bb.1093:
	s_clause 0x3
	buffer_load_dword v134, v131, s[0:3], 0 offen offset:8
	buffer_load_dword v135, v131, s[0:3], 0 offen offset:12
	buffer_load_dword v138, v131, s[0:3], 0 offen
	buffer_load_dword v139, v131, s[0:3], 0 offen offset:4
	s_waitcnt vmcnt(2) lgkmcnt(0)
	v_mul_f64 v[140:141], v[3:4], v[134:135]
	v_mul_f64 v[134:135], v[1:2], v[134:135]
	s_waitcnt vmcnt(0)
	v_fma_f64 v[1:2], v[1:2], v[138:139], -v[140:141]
	v_fma_f64 v[3:4], v[3:4], v[138:139], v[134:135]
.LBB126_1094:
	s_mov_b32 s5, exec_lo
	v_cmpx_ne_u32_e32 28, v0
	s_cbranch_execz .LBB126_1098
; %bb.1095:
	v_or_b32_e32 v134, 0x400, v137
	v_add3_u32 v135, 0, v137, 16
	v_mov_b32_e32 v136, v0
	s_mov_b32 s6, 0
	.p2align	6
.LBB126_1096:                           ; =>This Inner Loop Header: Depth=1
	s_clause 0x3
	buffer_load_dword v142, v135, s[0:3], 0 offen offset:8
	buffer_load_dword v143, v135, s[0:3], 0 offen offset:12
	buffer_load_dword v144, v135, s[0:3], 0 offen
	buffer_load_dword v145, v135, s[0:3], 0 offen offset:4
	ds_read_b128 v[138:141], v134
	v_add_nc_u32_e32 v136, 1, v136
	v_add_nc_u32_e32 v134, 16, v134
	;; [unrolled: 1-line block ×3, first 2 shown]
	v_cmp_lt_u32_e32 vcc_lo, 27, v136
	s_or_b32 s6, vcc_lo, s6
	s_waitcnt vmcnt(2) lgkmcnt(0)
	v_mul_f64 v[146:147], v[140:141], v[142:143]
	v_mul_f64 v[142:143], v[138:139], v[142:143]
	s_waitcnt vmcnt(0)
	v_fma_f64 v[138:139], v[138:139], v[144:145], -v[146:147]
	v_fma_f64 v[140:141], v[140:141], v[144:145], v[142:143]
	v_add_f64 v[1:2], v[1:2], v[138:139]
	v_add_f64 v[3:4], v[3:4], v[140:141]
	s_andn2_b32 exec_lo, exec_lo, s6
	s_cbranch_execnz .LBB126_1096
; %bb.1097:
	s_or_b32 exec_lo, exec_lo, s6
.LBB126_1098:
	s_or_b32 exec_lo, exec_lo, s5
	v_mov_b32_e32 v134, 0
	ds_read_b128 v[138:141], v134 offset:464
	s_waitcnt lgkmcnt(0)
	v_mul_f64 v[134:135], v[3:4], v[140:141]
	v_mul_f64 v[140:141], v[1:2], v[140:141]
	v_fma_f64 v[1:2], v[1:2], v[138:139], -v[134:135]
	v_fma_f64 v[3:4], v[3:4], v[138:139], v[140:141]
	buffer_store_dword v2, off, s[0:3], 0 offset:468
	buffer_store_dword v1, off, s[0:3], 0 offset:464
	;; [unrolled: 1-line block ×4, first 2 shown]
.LBB126_1099:
	s_or_b32 exec_lo, exec_lo, s4
	v_mov_b32_e32 v4, s42
	s_mov_b32 s4, exec_lo
	s_clause 0x3
	buffer_load_dword v1, v4, s[0:3], 0 offen
	buffer_load_dword v2, v4, s[0:3], 0 offen offset:4
	buffer_load_dword v3, v4, s[0:3], 0 offen offset:8
	;; [unrolled: 1-line block ×3, first 2 shown]
	s_waitcnt vmcnt(0)
	ds_write_b128 v132, v[1:4]
	s_waitcnt lgkmcnt(0)
	s_waitcnt_vscnt null, 0x0
	s_barrier
	buffer_gl0_inv
	v_cmpx_gt_u32_e32 30, v0
	s_cbranch_execz .LBB126_1107
; %bb.1100:
	ds_read_b128 v[1:4], v132
	v_cmp_ne_u32_e32 vcc_lo, 1, v133
	s_cbranch_vccnz .LBB126_1102
; %bb.1101:
	s_clause 0x3
	buffer_load_dword v134, v131, s[0:3], 0 offen offset:8
	buffer_load_dword v135, v131, s[0:3], 0 offen offset:12
	buffer_load_dword v138, v131, s[0:3], 0 offen
	buffer_load_dword v139, v131, s[0:3], 0 offen offset:4
	s_waitcnt vmcnt(2) lgkmcnt(0)
	v_mul_f64 v[140:141], v[3:4], v[134:135]
	v_mul_f64 v[134:135], v[1:2], v[134:135]
	s_waitcnt vmcnt(0)
	v_fma_f64 v[1:2], v[1:2], v[138:139], -v[140:141]
	v_fma_f64 v[3:4], v[3:4], v[138:139], v[134:135]
.LBB126_1102:
	s_mov_b32 s5, exec_lo
	v_cmpx_ne_u32_e32 29, v0
	s_cbranch_execz .LBB126_1106
; %bb.1103:
	v_or_b32_e32 v134, 0x400, v137
	v_add3_u32 v135, 0, v137, 16
	v_mov_b32_e32 v136, v0
	s_mov_b32 s6, 0
	.p2align	6
.LBB126_1104:                           ; =>This Inner Loop Header: Depth=1
	s_clause 0x3
	buffer_load_dword v142, v135, s[0:3], 0 offen offset:8
	buffer_load_dword v143, v135, s[0:3], 0 offen offset:12
	buffer_load_dword v144, v135, s[0:3], 0 offen
	buffer_load_dword v145, v135, s[0:3], 0 offen offset:4
	ds_read_b128 v[138:141], v134
	v_add_nc_u32_e32 v136, 1, v136
	v_add_nc_u32_e32 v134, 16, v134
	;; [unrolled: 1-line block ×3, first 2 shown]
	v_cmp_lt_u32_e32 vcc_lo, 28, v136
	s_or_b32 s6, vcc_lo, s6
	s_waitcnt vmcnt(2) lgkmcnt(0)
	v_mul_f64 v[146:147], v[140:141], v[142:143]
	v_mul_f64 v[142:143], v[138:139], v[142:143]
	s_waitcnt vmcnt(0)
	v_fma_f64 v[138:139], v[138:139], v[144:145], -v[146:147]
	v_fma_f64 v[140:141], v[140:141], v[144:145], v[142:143]
	v_add_f64 v[1:2], v[1:2], v[138:139]
	v_add_f64 v[3:4], v[3:4], v[140:141]
	s_andn2_b32 exec_lo, exec_lo, s6
	s_cbranch_execnz .LBB126_1104
; %bb.1105:
	s_or_b32 exec_lo, exec_lo, s6
.LBB126_1106:
	s_or_b32 exec_lo, exec_lo, s5
	v_mov_b32_e32 v134, 0
	ds_read_b128 v[138:141], v134 offset:480
	s_waitcnt lgkmcnt(0)
	v_mul_f64 v[134:135], v[3:4], v[140:141]
	v_mul_f64 v[140:141], v[1:2], v[140:141]
	v_fma_f64 v[1:2], v[1:2], v[138:139], -v[134:135]
	v_fma_f64 v[3:4], v[3:4], v[138:139], v[140:141]
	buffer_store_dword v2, off, s[0:3], 0 offset:484
	buffer_store_dword v1, off, s[0:3], 0 offset:480
	;; [unrolled: 1-line block ×4, first 2 shown]
.LBB126_1107:
	s_or_b32 exec_lo, exec_lo, s4
	v_mov_b32_e32 v4, s41
	s_mov_b32 s4, exec_lo
	s_clause 0x3
	buffer_load_dword v1, v4, s[0:3], 0 offen
	buffer_load_dword v2, v4, s[0:3], 0 offen offset:4
	buffer_load_dword v3, v4, s[0:3], 0 offen offset:8
	;; [unrolled: 1-line block ×3, first 2 shown]
	s_waitcnt vmcnt(0)
	ds_write_b128 v132, v[1:4]
	s_waitcnt lgkmcnt(0)
	s_waitcnt_vscnt null, 0x0
	s_barrier
	buffer_gl0_inv
	v_cmpx_gt_u32_e32 31, v0
	s_cbranch_execz .LBB126_1115
; %bb.1108:
	ds_read_b128 v[1:4], v132
	v_cmp_ne_u32_e32 vcc_lo, 1, v133
	s_cbranch_vccnz .LBB126_1110
; %bb.1109:
	s_clause 0x3
	buffer_load_dword v134, v131, s[0:3], 0 offen offset:8
	buffer_load_dword v135, v131, s[0:3], 0 offen offset:12
	buffer_load_dword v138, v131, s[0:3], 0 offen
	buffer_load_dword v139, v131, s[0:3], 0 offen offset:4
	s_waitcnt vmcnt(2) lgkmcnt(0)
	v_mul_f64 v[140:141], v[3:4], v[134:135]
	v_mul_f64 v[134:135], v[1:2], v[134:135]
	s_waitcnt vmcnt(0)
	v_fma_f64 v[1:2], v[1:2], v[138:139], -v[140:141]
	v_fma_f64 v[3:4], v[3:4], v[138:139], v[134:135]
.LBB126_1110:
	s_mov_b32 s5, exec_lo
	v_cmpx_ne_u32_e32 30, v0
	s_cbranch_execz .LBB126_1114
; %bb.1111:
	v_or_b32_e32 v134, 0x400, v137
	v_add3_u32 v135, 0, v137, 16
	v_mov_b32_e32 v136, v0
	s_mov_b32 s6, 0
	.p2align	6
.LBB126_1112:                           ; =>This Inner Loop Header: Depth=1
	s_clause 0x3
	buffer_load_dword v142, v135, s[0:3], 0 offen offset:8
	buffer_load_dword v143, v135, s[0:3], 0 offen offset:12
	buffer_load_dword v144, v135, s[0:3], 0 offen
	buffer_load_dword v145, v135, s[0:3], 0 offen offset:4
	ds_read_b128 v[138:141], v134
	v_add_nc_u32_e32 v136, 1, v136
	v_add_nc_u32_e32 v134, 16, v134
	;; [unrolled: 1-line block ×3, first 2 shown]
	v_cmp_lt_u32_e32 vcc_lo, 29, v136
	s_or_b32 s6, vcc_lo, s6
	s_waitcnt vmcnt(2) lgkmcnt(0)
	v_mul_f64 v[146:147], v[140:141], v[142:143]
	v_mul_f64 v[142:143], v[138:139], v[142:143]
	s_waitcnt vmcnt(0)
	v_fma_f64 v[138:139], v[138:139], v[144:145], -v[146:147]
	v_fma_f64 v[140:141], v[140:141], v[144:145], v[142:143]
	v_add_f64 v[1:2], v[1:2], v[138:139]
	v_add_f64 v[3:4], v[3:4], v[140:141]
	s_andn2_b32 exec_lo, exec_lo, s6
	s_cbranch_execnz .LBB126_1112
; %bb.1113:
	s_or_b32 exec_lo, exec_lo, s6
.LBB126_1114:
	s_or_b32 exec_lo, exec_lo, s5
	v_mov_b32_e32 v134, 0
	ds_read_b128 v[138:141], v134 offset:496
	s_waitcnt lgkmcnt(0)
	v_mul_f64 v[134:135], v[3:4], v[140:141]
	v_mul_f64 v[140:141], v[1:2], v[140:141]
	v_fma_f64 v[1:2], v[1:2], v[138:139], -v[134:135]
	v_fma_f64 v[3:4], v[3:4], v[138:139], v[140:141]
	buffer_store_dword v2, off, s[0:3], 0 offset:500
	buffer_store_dword v1, off, s[0:3], 0 offset:496
	;; [unrolled: 1-line block ×4, first 2 shown]
.LBB126_1115:
	s_or_b32 exec_lo, exec_lo, s4
	v_mov_b32_e32 v4, s40
	s_mov_b32 s4, exec_lo
	s_clause 0x3
	buffer_load_dword v1, v4, s[0:3], 0 offen
	buffer_load_dword v2, v4, s[0:3], 0 offen offset:4
	buffer_load_dword v3, v4, s[0:3], 0 offen offset:8
	;; [unrolled: 1-line block ×3, first 2 shown]
	s_waitcnt vmcnt(0)
	ds_write_b128 v132, v[1:4]
	s_waitcnt lgkmcnt(0)
	s_waitcnt_vscnt null, 0x0
	s_barrier
	buffer_gl0_inv
	v_cmpx_gt_u32_e32 32, v0
	s_cbranch_execz .LBB126_1123
; %bb.1116:
	ds_read_b128 v[1:4], v132
	v_cmp_ne_u32_e32 vcc_lo, 1, v133
	s_cbranch_vccnz .LBB126_1118
; %bb.1117:
	s_clause 0x3
	buffer_load_dword v134, v131, s[0:3], 0 offen offset:8
	buffer_load_dword v135, v131, s[0:3], 0 offen offset:12
	buffer_load_dword v138, v131, s[0:3], 0 offen
	buffer_load_dword v139, v131, s[0:3], 0 offen offset:4
	s_waitcnt vmcnt(2) lgkmcnt(0)
	v_mul_f64 v[140:141], v[3:4], v[134:135]
	v_mul_f64 v[134:135], v[1:2], v[134:135]
	s_waitcnt vmcnt(0)
	v_fma_f64 v[1:2], v[1:2], v[138:139], -v[140:141]
	v_fma_f64 v[3:4], v[3:4], v[138:139], v[134:135]
.LBB126_1118:
	s_mov_b32 s5, exec_lo
	v_cmpx_ne_u32_e32 31, v0
	s_cbranch_execz .LBB126_1122
; %bb.1119:
	v_or_b32_e32 v134, 0x400, v137
	v_add3_u32 v135, 0, v137, 16
	v_mov_b32_e32 v136, v0
	s_mov_b32 s6, 0
	.p2align	6
.LBB126_1120:                           ; =>This Inner Loop Header: Depth=1
	s_clause 0x3
	buffer_load_dword v142, v135, s[0:3], 0 offen offset:8
	buffer_load_dword v143, v135, s[0:3], 0 offen offset:12
	buffer_load_dword v144, v135, s[0:3], 0 offen
	buffer_load_dword v145, v135, s[0:3], 0 offen offset:4
	ds_read_b128 v[138:141], v134
	v_add_nc_u32_e32 v136, 1, v136
	v_add_nc_u32_e32 v134, 16, v134
	;; [unrolled: 1-line block ×3, first 2 shown]
	v_cmp_lt_u32_e32 vcc_lo, 30, v136
	s_or_b32 s6, vcc_lo, s6
	s_waitcnt vmcnt(2) lgkmcnt(0)
	v_mul_f64 v[146:147], v[140:141], v[142:143]
	v_mul_f64 v[142:143], v[138:139], v[142:143]
	s_waitcnt vmcnt(0)
	v_fma_f64 v[138:139], v[138:139], v[144:145], -v[146:147]
	v_fma_f64 v[140:141], v[140:141], v[144:145], v[142:143]
	v_add_f64 v[1:2], v[1:2], v[138:139]
	v_add_f64 v[3:4], v[3:4], v[140:141]
	s_andn2_b32 exec_lo, exec_lo, s6
	s_cbranch_execnz .LBB126_1120
; %bb.1121:
	s_or_b32 exec_lo, exec_lo, s6
.LBB126_1122:
	s_or_b32 exec_lo, exec_lo, s5
	v_mov_b32_e32 v134, 0
	ds_read_b128 v[138:141], v134 offset:512
	s_waitcnt lgkmcnt(0)
	v_mul_f64 v[134:135], v[3:4], v[140:141]
	v_mul_f64 v[140:141], v[1:2], v[140:141]
	v_fma_f64 v[1:2], v[1:2], v[138:139], -v[134:135]
	v_fma_f64 v[3:4], v[3:4], v[138:139], v[140:141]
	buffer_store_dword v2, off, s[0:3], 0 offset:516
	buffer_store_dword v1, off, s[0:3], 0 offset:512
	;; [unrolled: 1-line block ×4, first 2 shown]
.LBB126_1123:
	s_or_b32 exec_lo, exec_lo, s4
	v_mov_b32_e32 v4, s39
	s_mov_b32 s4, exec_lo
	s_clause 0x3
	buffer_load_dword v1, v4, s[0:3], 0 offen
	buffer_load_dword v2, v4, s[0:3], 0 offen offset:4
	buffer_load_dword v3, v4, s[0:3], 0 offen offset:8
	;; [unrolled: 1-line block ×3, first 2 shown]
	s_waitcnt vmcnt(0)
	ds_write_b128 v132, v[1:4]
	s_waitcnt lgkmcnt(0)
	s_waitcnt_vscnt null, 0x0
	s_barrier
	buffer_gl0_inv
	v_cmpx_gt_u32_e32 33, v0
	s_cbranch_execz .LBB126_1131
; %bb.1124:
	ds_read_b128 v[1:4], v132
	v_cmp_ne_u32_e32 vcc_lo, 1, v133
	s_cbranch_vccnz .LBB126_1126
; %bb.1125:
	s_clause 0x3
	buffer_load_dword v134, v131, s[0:3], 0 offen offset:8
	buffer_load_dword v135, v131, s[0:3], 0 offen offset:12
	buffer_load_dword v138, v131, s[0:3], 0 offen
	buffer_load_dword v139, v131, s[0:3], 0 offen offset:4
	s_waitcnt vmcnt(2) lgkmcnt(0)
	v_mul_f64 v[140:141], v[3:4], v[134:135]
	v_mul_f64 v[134:135], v[1:2], v[134:135]
	s_waitcnt vmcnt(0)
	v_fma_f64 v[1:2], v[1:2], v[138:139], -v[140:141]
	v_fma_f64 v[3:4], v[3:4], v[138:139], v[134:135]
.LBB126_1126:
	s_mov_b32 s5, exec_lo
	v_cmpx_ne_u32_e32 32, v0
	s_cbranch_execz .LBB126_1130
; %bb.1127:
	v_or_b32_e32 v134, 0x400, v137
	v_add3_u32 v135, 0, v137, 16
	v_mov_b32_e32 v136, v0
	s_mov_b32 s6, 0
	.p2align	6
.LBB126_1128:                           ; =>This Inner Loop Header: Depth=1
	s_clause 0x3
	buffer_load_dword v142, v135, s[0:3], 0 offen offset:8
	buffer_load_dword v143, v135, s[0:3], 0 offen offset:12
	buffer_load_dword v144, v135, s[0:3], 0 offen
	buffer_load_dword v145, v135, s[0:3], 0 offen offset:4
	ds_read_b128 v[138:141], v134
	v_add_nc_u32_e32 v136, 1, v136
	v_add_nc_u32_e32 v134, 16, v134
	;; [unrolled: 1-line block ×3, first 2 shown]
	v_cmp_lt_u32_e32 vcc_lo, 31, v136
	s_or_b32 s6, vcc_lo, s6
	s_waitcnt vmcnt(2) lgkmcnt(0)
	v_mul_f64 v[146:147], v[140:141], v[142:143]
	v_mul_f64 v[142:143], v[138:139], v[142:143]
	s_waitcnt vmcnt(0)
	v_fma_f64 v[138:139], v[138:139], v[144:145], -v[146:147]
	v_fma_f64 v[140:141], v[140:141], v[144:145], v[142:143]
	v_add_f64 v[1:2], v[1:2], v[138:139]
	v_add_f64 v[3:4], v[3:4], v[140:141]
	s_andn2_b32 exec_lo, exec_lo, s6
	s_cbranch_execnz .LBB126_1128
; %bb.1129:
	s_or_b32 exec_lo, exec_lo, s6
.LBB126_1130:
	s_or_b32 exec_lo, exec_lo, s5
	v_mov_b32_e32 v134, 0
	ds_read_b128 v[138:141], v134 offset:528
	s_waitcnt lgkmcnt(0)
	v_mul_f64 v[134:135], v[3:4], v[140:141]
	v_mul_f64 v[140:141], v[1:2], v[140:141]
	v_fma_f64 v[1:2], v[1:2], v[138:139], -v[134:135]
	v_fma_f64 v[3:4], v[3:4], v[138:139], v[140:141]
	buffer_store_dword v2, off, s[0:3], 0 offset:532
	buffer_store_dword v1, off, s[0:3], 0 offset:528
	;; [unrolled: 1-line block ×4, first 2 shown]
.LBB126_1131:
	s_or_b32 exec_lo, exec_lo, s4
	v_mov_b32_e32 v4, s38
	s_mov_b32 s4, exec_lo
	s_clause 0x3
	buffer_load_dword v1, v4, s[0:3], 0 offen
	buffer_load_dword v2, v4, s[0:3], 0 offen offset:4
	buffer_load_dword v3, v4, s[0:3], 0 offen offset:8
	;; [unrolled: 1-line block ×3, first 2 shown]
	s_waitcnt vmcnt(0)
	ds_write_b128 v132, v[1:4]
	s_waitcnt lgkmcnt(0)
	s_waitcnt_vscnt null, 0x0
	s_barrier
	buffer_gl0_inv
	v_cmpx_gt_u32_e32 34, v0
	s_cbranch_execz .LBB126_1139
; %bb.1132:
	ds_read_b128 v[1:4], v132
	v_cmp_ne_u32_e32 vcc_lo, 1, v133
	s_cbranch_vccnz .LBB126_1134
; %bb.1133:
	s_clause 0x3
	buffer_load_dword v134, v131, s[0:3], 0 offen offset:8
	buffer_load_dword v135, v131, s[0:3], 0 offen offset:12
	buffer_load_dword v138, v131, s[0:3], 0 offen
	buffer_load_dword v139, v131, s[0:3], 0 offen offset:4
	s_waitcnt vmcnt(2) lgkmcnt(0)
	v_mul_f64 v[140:141], v[3:4], v[134:135]
	v_mul_f64 v[134:135], v[1:2], v[134:135]
	s_waitcnt vmcnt(0)
	v_fma_f64 v[1:2], v[1:2], v[138:139], -v[140:141]
	v_fma_f64 v[3:4], v[3:4], v[138:139], v[134:135]
.LBB126_1134:
	s_mov_b32 s5, exec_lo
	v_cmpx_ne_u32_e32 33, v0
	s_cbranch_execz .LBB126_1138
; %bb.1135:
	v_or_b32_e32 v134, 0x400, v137
	v_add3_u32 v135, 0, v137, 16
	v_mov_b32_e32 v136, v0
	s_mov_b32 s6, 0
	.p2align	6
.LBB126_1136:                           ; =>This Inner Loop Header: Depth=1
	s_clause 0x3
	buffer_load_dword v142, v135, s[0:3], 0 offen offset:8
	buffer_load_dword v143, v135, s[0:3], 0 offen offset:12
	buffer_load_dword v144, v135, s[0:3], 0 offen
	buffer_load_dword v145, v135, s[0:3], 0 offen offset:4
	ds_read_b128 v[138:141], v134
	v_add_nc_u32_e32 v136, 1, v136
	v_add_nc_u32_e32 v134, 16, v134
	;; [unrolled: 1-line block ×3, first 2 shown]
	v_cmp_lt_u32_e32 vcc_lo, 32, v136
	s_or_b32 s6, vcc_lo, s6
	s_waitcnt vmcnt(2) lgkmcnt(0)
	v_mul_f64 v[146:147], v[140:141], v[142:143]
	v_mul_f64 v[142:143], v[138:139], v[142:143]
	s_waitcnt vmcnt(0)
	v_fma_f64 v[138:139], v[138:139], v[144:145], -v[146:147]
	v_fma_f64 v[140:141], v[140:141], v[144:145], v[142:143]
	v_add_f64 v[1:2], v[1:2], v[138:139]
	v_add_f64 v[3:4], v[3:4], v[140:141]
	s_andn2_b32 exec_lo, exec_lo, s6
	s_cbranch_execnz .LBB126_1136
; %bb.1137:
	s_or_b32 exec_lo, exec_lo, s6
.LBB126_1138:
	s_or_b32 exec_lo, exec_lo, s5
	v_mov_b32_e32 v134, 0
	ds_read_b128 v[138:141], v134 offset:544
	s_waitcnt lgkmcnt(0)
	v_mul_f64 v[134:135], v[3:4], v[140:141]
	v_mul_f64 v[140:141], v[1:2], v[140:141]
	v_fma_f64 v[1:2], v[1:2], v[138:139], -v[134:135]
	v_fma_f64 v[3:4], v[3:4], v[138:139], v[140:141]
	buffer_store_dword v2, off, s[0:3], 0 offset:548
	buffer_store_dword v1, off, s[0:3], 0 offset:544
	;; [unrolled: 1-line block ×4, first 2 shown]
.LBB126_1139:
	s_or_b32 exec_lo, exec_lo, s4
	v_mov_b32_e32 v4, s37
	s_mov_b32 s4, exec_lo
	s_clause 0x3
	buffer_load_dword v1, v4, s[0:3], 0 offen
	buffer_load_dword v2, v4, s[0:3], 0 offen offset:4
	buffer_load_dword v3, v4, s[0:3], 0 offen offset:8
	;; [unrolled: 1-line block ×3, first 2 shown]
	s_waitcnt vmcnt(0)
	ds_write_b128 v132, v[1:4]
	s_waitcnt lgkmcnt(0)
	s_waitcnt_vscnt null, 0x0
	s_barrier
	buffer_gl0_inv
	v_cmpx_gt_u32_e32 35, v0
	s_cbranch_execz .LBB126_1147
; %bb.1140:
	ds_read_b128 v[1:4], v132
	v_cmp_ne_u32_e32 vcc_lo, 1, v133
	s_cbranch_vccnz .LBB126_1142
; %bb.1141:
	s_clause 0x3
	buffer_load_dword v134, v131, s[0:3], 0 offen offset:8
	buffer_load_dword v135, v131, s[0:3], 0 offen offset:12
	buffer_load_dword v138, v131, s[0:3], 0 offen
	buffer_load_dword v139, v131, s[0:3], 0 offen offset:4
	s_waitcnt vmcnt(2) lgkmcnt(0)
	v_mul_f64 v[140:141], v[3:4], v[134:135]
	v_mul_f64 v[134:135], v[1:2], v[134:135]
	s_waitcnt vmcnt(0)
	v_fma_f64 v[1:2], v[1:2], v[138:139], -v[140:141]
	v_fma_f64 v[3:4], v[3:4], v[138:139], v[134:135]
.LBB126_1142:
	s_mov_b32 s5, exec_lo
	v_cmpx_ne_u32_e32 34, v0
	s_cbranch_execz .LBB126_1146
; %bb.1143:
	v_or_b32_e32 v134, 0x400, v137
	v_add3_u32 v135, 0, v137, 16
	v_mov_b32_e32 v136, v0
	s_mov_b32 s6, 0
	.p2align	6
.LBB126_1144:                           ; =>This Inner Loop Header: Depth=1
	s_clause 0x3
	buffer_load_dword v142, v135, s[0:3], 0 offen offset:8
	buffer_load_dword v143, v135, s[0:3], 0 offen offset:12
	buffer_load_dword v144, v135, s[0:3], 0 offen
	buffer_load_dword v145, v135, s[0:3], 0 offen offset:4
	ds_read_b128 v[138:141], v134
	v_add_nc_u32_e32 v136, 1, v136
	v_add_nc_u32_e32 v134, 16, v134
	;; [unrolled: 1-line block ×3, first 2 shown]
	v_cmp_lt_u32_e32 vcc_lo, 33, v136
	s_or_b32 s6, vcc_lo, s6
	s_waitcnt vmcnt(2) lgkmcnt(0)
	v_mul_f64 v[146:147], v[140:141], v[142:143]
	v_mul_f64 v[142:143], v[138:139], v[142:143]
	s_waitcnt vmcnt(0)
	v_fma_f64 v[138:139], v[138:139], v[144:145], -v[146:147]
	v_fma_f64 v[140:141], v[140:141], v[144:145], v[142:143]
	v_add_f64 v[1:2], v[1:2], v[138:139]
	v_add_f64 v[3:4], v[3:4], v[140:141]
	s_andn2_b32 exec_lo, exec_lo, s6
	s_cbranch_execnz .LBB126_1144
; %bb.1145:
	s_or_b32 exec_lo, exec_lo, s6
.LBB126_1146:
	s_or_b32 exec_lo, exec_lo, s5
	v_mov_b32_e32 v134, 0
	ds_read_b128 v[138:141], v134 offset:560
	s_waitcnt lgkmcnt(0)
	v_mul_f64 v[134:135], v[3:4], v[140:141]
	v_mul_f64 v[140:141], v[1:2], v[140:141]
	v_fma_f64 v[1:2], v[1:2], v[138:139], -v[134:135]
	v_fma_f64 v[3:4], v[3:4], v[138:139], v[140:141]
	buffer_store_dword v2, off, s[0:3], 0 offset:564
	buffer_store_dword v1, off, s[0:3], 0 offset:560
	;; [unrolled: 1-line block ×4, first 2 shown]
.LBB126_1147:
	s_or_b32 exec_lo, exec_lo, s4
	v_mov_b32_e32 v4, s36
	s_mov_b32 s4, exec_lo
	s_clause 0x3
	buffer_load_dword v1, v4, s[0:3], 0 offen
	buffer_load_dword v2, v4, s[0:3], 0 offen offset:4
	buffer_load_dword v3, v4, s[0:3], 0 offen offset:8
	;; [unrolled: 1-line block ×3, first 2 shown]
	s_waitcnt vmcnt(0)
	ds_write_b128 v132, v[1:4]
	s_waitcnt lgkmcnt(0)
	s_waitcnt_vscnt null, 0x0
	s_barrier
	buffer_gl0_inv
	v_cmpx_gt_u32_e32 36, v0
	s_cbranch_execz .LBB126_1155
; %bb.1148:
	ds_read_b128 v[1:4], v132
	v_cmp_ne_u32_e32 vcc_lo, 1, v133
	s_cbranch_vccnz .LBB126_1150
; %bb.1149:
	s_clause 0x3
	buffer_load_dword v134, v131, s[0:3], 0 offen offset:8
	buffer_load_dword v135, v131, s[0:3], 0 offen offset:12
	buffer_load_dword v138, v131, s[0:3], 0 offen
	buffer_load_dword v139, v131, s[0:3], 0 offen offset:4
	s_waitcnt vmcnt(2) lgkmcnt(0)
	v_mul_f64 v[140:141], v[3:4], v[134:135]
	v_mul_f64 v[134:135], v[1:2], v[134:135]
	s_waitcnt vmcnt(0)
	v_fma_f64 v[1:2], v[1:2], v[138:139], -v[140:141]
	v_fma_f64 v[3:4], v[3:4], v[138:139], v[134:135]
.LBB126_1150:
	s_mov_b32 s5, exec_lo
	v_cmpx_ne_u32_e32 35, v0
	s_cbranch_execz .LBB126_1154
; %bb.1151:
	v_or_b32_e32 v134, 0x400, v137
	v_add3_u32 v135, 0, v137, 16
	v_mov_b32_e32 v136, v0
	s_mov_b32 s6, 0
	.p2align	6
.LBB126_1152:                           ; =>This Inner Loop Header: Depth=1
	s_clause 0x3
	buffer_load_dword v142, v135, s[0:3], 0 offen offset:8
	buffer_load_dword v143, v135, s[0:3], 0 offen offset:12
	buffer_load_dword v144, v135, s[0:3], 0 offen
	buffer_load_dword v145, v135, s[0:3], 0 offen offset:4
	ds_read_b128 v[138:141], v134
	v_add_nc_u32_e32 v136, 1, v136
	v_add_nc_u32_e32 v134, 16, v134
	;; [unrolled: 1-line block ×3, first 2 shown]
	v_cmp_lt_u32_e32 vcc_lo, 34, v136
	s_or_b32 s6, vcc_lo, s6
	s_waitcnt vmcnt(2) lgkmcnt(0)
	v_mul_f64 v[146:147], v[140:141], v[142:143]
	v_mul_f64 v[142:143], v[138:139], v[142:143]
	s_waitcnt vmcnt(0)
	v_fma_f64 v[138:139], v[138:139], v[144:145], -v[146:147]
	v_fma_f64 v[140:141], v[140:141], v[144:145], v[142:143]
	v_add_f64 v[1:2], v[1:2], v[138:139]
	v_add_f64 v[3:4], v[3:4], v[140:141]
	s_andn2_b32 exec_lo, exec_lo, s6
	s_cbranch_execnz .LBB126_1152
; %bb.1153:
	s_or_b32 exec_lo, exec_lo, s6
.LBB126_1154:
	s_or_b32 exec_lo, exec_lo, s5
	v_mov_b32_e32 v134, 0
	ds_read_b128 v[138:141], v134 offset:576
	s_waitcnt lgkmcnt(0)
	v_mul_f64 v[134:135], v[3:4], v[140:141]
	v_mul_f64 v[140:141], v[1:2], v[140:141]
	v_fma_f64 v[1:2], v[1:2], v[138:139], -v[134:135]
	v_fma_f64 v[3:4], v[3:4], v[138:139], v[140:141]
	buffer_store_dword v2, off, s[0:3], 0 offset:580
	buffer_store_dword v1, off, s[0:3], 0 offset:576
	;; [unrolled: 1-line block ×4, first 2 shown]
.LBB126_1155:
	s_or_b32 exec_lo, exec_lo, s4
	v_mov_b32_e32 v4, s35
	s_mov_b32 s4, exec_lo
	s_clause 0x3
	buffer_load_dword v1, v4, s[0:3], 0 offen
	buffer_load_dword v2, v4, s[0:3], 0 offen offset:4
	buffer_load_dword v3, v4, s[0:3], 0 offen offset:8
	;; [unrolled: 1-line block ×3, first 2 shown]
	s_waitcnt vmcnt(0)
	ds_write_b128 v132, v[1:4]
	s_waitcnt lgkmcnt(0)
	s_waitcnt_vscnt null, 0x0
	s_barrier
	buffer_gl0_inv
	v_cmpx_gt_u32_e32 37, v0
	s_cbranch_execz .LBB126_1163
; %bb.1156:
	ds_read_b128 v[1:4], v132
	v_cmp_ne_u32_e32 vcc_lo, 1, v133
	s_cbranch_vccnz .LBB126_1158
; %bb.1157:
	s_clause 0x3
	buffer_load_dword v134, v131, s[0:3], 0 offen offset:8
	buffer_load_dword v135, v131, s[0:3], 0 offen offset:12
	buffer_load_dword v138, v131, s[0:3], 0 offen
	buffer_load_dword v139, v131, s[0:3], 0 offen offset:4
	s_waitcnt vmcnt(2) lgkmcnt(0)
	v_mul_f64 v[140:141], v[3:4], v[134:135]
	v_mul_f64 v[134:135], v[1:2], v[134:135]
	s_waitcnt vmcnt(0)
	v_fma_f64 v[1:2], v[1:2], v[138:139], -v[140:141]
	v_fma_f64 v[3:4], v[3:4], v[138:139], v[134:135]
.LBB126_1158:
	s_mov_b32 s5, exec_lo
	v_cmpx_ne_u32_e32 36, v0
	s_cbranch_execz .LBB126_1162
; %bb.1159:
	v_or_b32_e32 v134, 0x400, v137
	v_add3_u32 v135, 0, v137, 16
	v_mov_b32_e32 v136, v0
	s_mov_b32 s6, 0
	.p2align	6
.LBB126_1160:                           ; =>This Inner Loop Header: Depth=1
	s_clause 0x3
	buffer_load_dword v142, v135, s[0:3], 0 offen offset:8
	buffer_load_dword v143, v135, s[0:3], 0 offen offset:12
	buffer_load_dword v144, v135, s[0:3], 0 offen
	buffer_load_dword v145, v135, s[0:3], 0 offen offset:4
	ds_read_b128 v[138:141], v134
	v_add_nc_u32_e32 v136, 1, v136
	v_add_nc_u32_e32 v134, 16, v134
	;; [unrolled: 1-line block ×3, first 2 shown]
	v_cmp_lt_u32_e32 vcc_lo, 35, v136
	s_or_b32 s6, vcc_lo, s6
	s_waitcnt vmcnt(2) lgkmcnt(0)
	v_mul_f64 v[146:147], v[140:141], v[142:143]
	v_mul_f64 v[142:143], v[138:139], v[142:143]
	s_waitcnt vmcnt(0)
	v_fma_f64 v[138:139], v[138:139], v[144:145], -v[146:147]
	v_fma_f64 v[140:141], v[140:141], v[144:145], v[142:143]
	v_add_f64 v[1:2], v[1:2], v[138:139]
	v_add_f64 v[3:4], v[3:4], v[140:141]
	s_andn2_b32 exec_lo, exec_lo, s6
	s_cbranch_execnz .LBB126_1160
; %bb.1161:
	s_or_b32 exec_lo, exec_lo, s6
.LBB126_1162:
	s_or_b32 exec_lo, exec_lo, s5
	v_mov_b32_e32 v134, 0
	ds_read_b128 v[138:141], v134 offset:592
	s_waitcnt lgkmcnt(0)
	v_mul_f64 v[134:135], v[3:4], v[140:141]
	v_mul_f64 v[140:141], v[1:2], v[140:141]
	v_fma_f64 v[1:2], v[1:2], v[138:139], -v[134:135]
	v_fma_f64 v[3:4], v[3:4], v[138:139], v[140:141]
	buffer_store_dword v2, off, s[0:3], 0 offset:596
	buffer_store_dword v1, off, s[0:3], 0 offset:592
	;; [unrolled: 1-line block ×4, first 2 shown]
.LBB126_1163:
	s_or_b32 exec_lo, exec_lo, s4
	v_mov_b32_e32 v4, s34
	s_mov_b32 s4, exec_lo
	s_clause 0x3
	buffer_load_dword v1, v4, s[0:3], 0 offen
	buffer_load_dword v2, v4, s[0:3], 0 offen offset:4
	buffer_load_dword v3, v4, s[0:3], 0 offen offset:8
	;; [unrolled: 1-line block ×3, first 2 shown]
	s_waitcnt vmcnt(0)
	ds_write_b128 v132, v[1:4]
	s_waitcnt lgkmcnt(0)
	s_waitcnt_vscnt null, 0x0
	s_barrier
	buffer_gl0_inv
	v_cmpx_gt_u32_e32 38, v0
	s_cbranch_execz .LBB126_1171
; %bb.1164:
	ds_read_b128 v[1:4], v132
	v_cmp_ne_u32_e32 vcc_lo, 1, v133
	s_cbranch_vccnz .LBB126_1166
; %bb.1165:
	s_clause 0x3
	buffer_load_dword v134, v131, s[0:3], 0 offen offset:8
	buffer_load_dword v135, v131, s[0:3], 0 offen offset:12
	buffer_load_dword v138, v131, s[0:3], 0 offen
	buffer_load_dword v139, v131, s[0:3], 0 offen offset:4
	s_waitcnt vmcnt(2) lgkmcnt(0)
	v_mul_f64 v[140:141], v[3:4], v[134:135]
	v_mul_f64 v[134:135], v[1:2], v[134:135]
	s_waitcnt vmcnt(0)
	v_fma_f64 v[1:2], v[1:2], v[138:139], -v[140:141]
	v_fma_f64 v[3:4], v[3:4], v[138:139], v[134:135]
.LBB126_1166:
	s_mov_b32 s5, exec_lo
	v_cmpx_ne_u32_e32 37, v0
	s_cbranch_execz .LBB126_1170
; %bb.1167:
	v_or_b32_e32 v134, 0x400, v137
	v_add3_u32 v135, 0, v137, 16
	v_mov_b32_e32 v136, v0
	s_mov_b32 s6, 0
	.p2align	6
.LBB126_1168:                           ; =>This Inner Loop Header: Depth=1
	s_clause 0x3
	buffer_load_dword v142, v135, s[0:3], 0 offen offset:8
	buffer_load_dword v143, v135, s[0:3], 0 offen offset:12
	buffer_load_dword v144, v135, s[0:3], 0 offen
	buffer_load_dword v145, v135, s[0:3], 0 offen offset:4
	ds_read_b128 v[138:141], v134
	v_add_nc_u32_e32 v136, 1, v136
	v_add_nc_u32_e32 v134, 16, v134
	;; [unrolled: 1-line block ×3, first 2 shown]
	v_cmp_lt_u32_e32 vcc_lo, 36, v136
	s_or_b32 s6, vcc_lo, s6
	s_waitcnt vmcnt(2) lgkmcnt(0)
	v_mul_f64 v[146:147], v[140:141], v[142:143]
	v_mul_f64 v[142:143], v[138:139], v[142:143]
	s_waitcnt vmcnt(0)
	v_fma_f64 v[138:139], v[138:139], v[144:145], -v[146:147]
	v_fma_f64 v[140:141], v[140:141], v[144:145], v[142:143]
	v_add_f64 v[1:2], v[1:2], v[138:139]
	v_add_f64 v[3:4], v[3:4], v[140:141]
	s_andn2_b32 exec_lo, exec_lo, s6
	s_cbranch_execnz .LBB126_1168
; %bb.1169:
	s_or_b32 exec_lo, exec_lo, s6
.LBB126_1170:
	s_or_b32 exec_lo, exec_lo, s5
	v_mov_b32_e32 v134, 0
	ds_read_b128 v[138:141], v134 offset:608
	s_waitcnt lgkmcnt(0)
	v_mul_f64 v[134:135], v[3:4], v[140:141]
	v_mul_f64 v[140:141], v[1:2], v[140:141]
	v_fma_f64 v[1:2], v[1:2], v[138:139], -v[134:135]
	v_fma_f64 v[3:4], v[3:4], v[138:139], v[140:141]
	buffer_store_dword v2, off, s[0:3], 0 offset:612
	buffer_store_dword v1, off, s[0:3], 0 offset:608
	;; [unrolled: 1-line block ×4, first 2 shown]
.LBB126_1171:
	s_or_b32 exec_lo, exec_lo, s4
	v_mov_b32_e32 v4, s33
	s_mov_b32 s4, exec_lo
	s_clause 0x3
	buffer_load_dword v1, v4, s[0:3], 0 offen
	buffer_load_dword v2, v4, s[0:3], 0 offen offset:4
	buffer_load_dword v3, v4, s[0:3], 0 offen offset:8
	;; [unrolled: 1-line block ×3, first 2 shown]
	s_waitcnt vmcnt(0)
	ds_write_b128 v132, v[1:4]
	s_waitcnt lgkmcnt(0)
	s_waitcnt_vscnt null, 0x0
	s_barrier
	buffer_gl0_inv
	v_cmpx_gt_u32_e32 39, v0
	s_cbranch_execz .LBB126_1179
; %bb.1172:
	ds_read_b128 v[1:4], v132
	v_cmp_ne_u32_e32 vcc_lo, 1, v133
	s_cbranch_vccnz .LBB126_1174
; %bb.1173:
	s_clause 0x3
	buffer_load_dword v134, v131, s[0:3], 0 offen offset:8
	buffer_load_dword v135, v131, s[0:3], 0 offen offset:12
	buffer_load_dword v138, v131, s[0:3], 0 offen
	buffer_load_dword v139, v131, s[0:3], 0 offen offset:4
	s_waitcnt vmcnt(2) lgkmcnt(0)
	v_mul_f64 v[140:141], v[3:4], v[134:135]
	v_mul_f64 v[134:135], v[1:2], v[134:135]
	s_waitcnt vmcnt(0)
	v_fma_f64 v[1:2], v[1:2], v[138:139], -v[140:141]
	v_fma_f64 v[3:4], v[3:4], v[138:139], v[134:135]
.LBB126_1174:
	s_mov_b32 s5, exec_lo
	v_cmpx_ne_u32_e32 38, v0
	s_cbranch_execz .LBB126_1178
; %bb.1175:
	v_or_b32_e32 v134, 0x400, v137
	v_add3_u32 v135, 0, v137, 16
	v_mov_b32_e32 v136, v0
	s_mov_b32 s6, 0
	.p2align	6
.LBB126_1176:                           ; =>This Inner Loop Header: Depth=1
	s_clause 0x3
	buffer_load_dword v142, v135, s[0:3], 0 offen offset:8
	buffer_load_dword v143, v135, s[0:3], 0 offen offset:12
	buffer_load_dword v144, v135, s[0:3], 0 offen
	buffer_load_dword v145, v135, s[0:3], 0 offen offset:4
	ds_read_b128 v[138:141], v134
	v_add_nc_u32_e32 v136, 1, v136
	v_add_nc_u32_e32 v134, 16, v134
	;; [unrolled: 1-line block ×3, first 2 shown]
	v_cmp_lt_u32_e32 vcc_lo, 37, v136
	s_or_b32 s6, vcc_lo, s6
	s_waitcnt vmcnt(2) lgkmcnt(0)
	v_mul_f64 v[146:147], v[140:141], v[142:143]
	v_mul_f64 v[142:143], v[138:139], v[142:143]
	s_waitcnt vmcnt(0)
	v_fma_f64 v[138:139], v[138:139], v[144:145], -v[146:147]
	v_fma_f64 v[140:141], v[140:141], v[144:145], v[142:143]
	v_add_f64 v[1:2], v[1:2], v[138:139]
	v_add_f64 v[3:4], v[3:4], v[140:141]
	s_andn2_b32 exec_lo, exec_lo, s6
	s_cbranch_execnz .LBB126_1176
; %bb.1177:
	s_or_b32 exec_lo, exec_lo, s6
.LBB126_1178:
	s_or_b32 exec_lo, exec_lo, s5
	v_mov_b32_e32 v134, 0
	ds_read_b128 v[138:141], v134 offset:624
	s_waitcnt lgkmcnt(0)
	v_mul_f64 v[134:135], v[3:4], v[140:141]
	v_mul_f64 v[140:141], v[1:2], v[140:141]
	v_fma_f64 v[1:2], v[1:2], v[138:139], -v[134:135]
	v_fma_f64 v[3:4], v[3:4], v[138:139], v[140:141]
	buffer_store_dword v2, off, s[0:3], 0 offset:628
	buffer_store_dword v1, off, s[0:3], 0 offset:624
	;; [unrolled: 1-line block ×4, first 2 shown]
.LBB126_1179:
	s_or_b32 exec_lo, exec_lo, s4
	v_mov_b32_e32 v4, s31
	s_mov_b32 s4, exec_lo
	s_clause 0x3
	buffer_load_dword v1, v4, s[0:3], 0 offen
	buffer_load_dword v2, v4, s[0:3], 0 offen offset:4
	buffer_load_dword v3, v4, s[0:3], 0 offen offset:8
	;; [unrolled: 1-line block ×3, first 2 shown]
	s_waitcnt vmcnt(0)
	ds_write_b128 v132, v[1:4]
	s_waitcnt lgkmcnt(0)
	s_waitcnt_vscnt null, 0x0
	s_barrier
	buffer_gl0_inv
	v_cmpx_gt_u32_e32 40, v0
	s_cbranch_execz .LBB126_1187
; %bb.1180:
	ds_read_b128 v[1:4], v132
	v_cmp_ne_u32_e32 vcc_lo, 1, v133
	s_cbranch_vccnz .LBB126_1182
; %bb.1181:
	s_clause 0x3
	buffer_load_dword v134, v131, s[0:3], 0 offen offset:8
	buffer_load_dword v135, v131, s[0:3], 0 offen offset:12
	buffer_load_dword v138, v131, s[0:3], 0 offen
	buffer_load_dword v139, v131, s[0:3], 0 offen offset:4
	s_waitcnt vmcnt(2) lgkmcnt(0)
	v_mul_f64 v[140:141], v[3:4], v[134:135]
	v_mul_f64 v[134:135], v[1:2], v[134:135]
	s_waitcnt vmcnt(0)
	v_fma_f64 v[1:2], v[1:2], v[138:139], -v[140:141]
	v_fma_f64 v[3:4], v[3:4], v[138:139], v[134:135]
.LBB126_1182:
	s_mov_b32 s5, exec_lo
	v_cmpx_ne_u32_e32 39, v0
	s_cbranch_execz .LBB126_1186
; %bb.1183:
	v_or_b32_e32 v134, 0x400, v137
	v_add3_u32 v135, 0, v137, 16
	v_mov_b32_e32 v136, v0
	s_mov_b32 s6, 0
	.p2align	6
.LBB126_1184:                           ; =>This Inner Loop Header: Depth=1
	s_clause 0x3
	buffer_load_dword v142, v135, s[0:3], 0 offen offset:8
	buffer_load_dword v143, v135, s[0:3], 0 offen offset:12
	buffer_load_dword v144, v135, s[0:3], 0 offen
	buffer_load_dword v145, v135, s[0:3], 0 offen offset:4
	ds_read_b128 v[138:141], v134
	v_add_nc_u32_e32 v136, 1, v136
	v_add_nc_u32_e32 v134, 16, v134
	;; [unrolled: 1-line block ×3, first 2 shown]
	v_cmp_lt_u32_e32 vcc_lo, 38, v136
	s_or_b32 s6, vcc_lo, s6
	s_waitcnt vmcnt(2) lgkmcnt(0)
	v_mul_f64 v[146:147], v[140:141], v[142:143]
	v_mul_f64 v[142:143], v[138:139], v[142:143]
	s_waitcnt vmcnt(0)
	v_fma_f64 v[138:139], v[138:139], v[144:145], -v[146:147]
	v_fma_f64 v[140:141], v[140:141], v[144:145], v[142:143]
	v_add_f64 v[1:2], v[1:2], v[138:139]
	v_add_f64 v[3:4], v[3:4], v[140:141]
	s_andn2_b32 exec_lo, exec_lo, s6
	s_cbranch_execnz .LBB126_1184
; %bb.1185:
	s_or_b32 exec_lo, exec_lo, s6
.LBB126_1186:
	s_or_b32 exec_lo, exec_lo, s5
	v_mov_b32_e32 v134, 0
	ds_read_b128 v[138:141], v134 offset:640
	s_waitcnt lgkmcnt(0)
	v_mul_f64 v[134:135], v[3:4], v[140:141]
	v_mul_f64 v[140:141], v[1:2], v[140:141]
	v_fma_f64 v[1:2], v[1:2], v[138:139], -v[134:135]
	v_fma_f64 v[3:4], v[3:4], v[138:139], v[140:141]
	buffer_store_dword v2, off, s[0:3], 0 offset:644
	buffer_store_dword v1, off, s[0:3], 0 offset:640
	buffer_store_dword v4, off, s[0:3], 0 offset:652
	buffer_store_dword v3, off, s[0:3], 0 offset:648
.LBB126_1187:
	s_or_b32 exec_lo, exec_lo, s4
	v_mov_b32_e32 v4, s30
	s_mov_b32 s4, exec_lo
	s_clause 0x3
	buffer_load_dword v1, v4, s[0:3], 0 offen
	buffer_load_dword v2, v4, s[0:3], 0 offen offset:4
	buffer_load_dword v3, v4, s[0:3], 0 offen offset:8
	;; [unrolled: 1-line block ×3, first 2 shown]
	s_waitcnt vmcnt(0)
	ds_write_b128 v132, v[1:4]
	s_waitcnt lgkmcnt(0)
	s_waitcnt_vscnt null, 0x0
	s_barrier
	buffer_gl0_inv
	v_cmpx_gt_u32_e32 41, v0
	s_cbranch_execz .LBB126_1195
; %bb.1188:
	ds_read_b128 v[1:4], v132
	v_cmp_ne_u32_e32 vcc_lo, 1, v133
	s_cbranch_vccnz .LBB126_1190
; %bb.1189:
	s_clause 0x3
	buffer_load_dword v134, v131, s[0:3], 0 offen offset:8
	buffer_load_dword v135, v131, s[0:3], 0 offen offset:12
	buffer_load_dword v138, v131, s[0:3], 0 offen
	buffer_load_dword v139, v131, s[0:3], 0 offen offset:4
	s_waitcnt vmcnt(2) lgkmcnt(0)
	v_mul_f64 v[140:141], v[3:4], v[134:135]
	v_mul_f64 v[134:135], v[1:2], v[134:135]
	s_waitcnt vmcnt(0)
	v_fma_f64 v[1:2], v[1:2], v[138:139], -v[140:141]
	v_fma_f64 v[3:4], v[3:4], v[138:139], v[134:135]
.LBB126_1190:
	s_mov_b32 s5, exec_lo
	v_cmpx_ne_u32_e32 40, v0
	s_cbranch_execz .LBB126_1194
; %bb.1191:
	v_or_b32_e32 v134, 0x400, v137
	v_add3_u32 v135, 0, v137, 16
	v_mov_b32_e32 v136, v0
	s_mov_b32 s6, 0
	.p2align	6
.LBB126_1192:                           ; =>This Inner Loop Header: Depth=1
	s_clause 0x3
	buffer_load_dword v142, v135, s[0:3], 0 offen offset:8
	buffer_load_dword v143, v135, s[0:3], 0 offen offset:12
	buffer_load_dword v144, v135, s[0:3], 0 offen
	buffer_load_dword v145, v135, s[0:3], 0 offen offset:4
	ds_read_b128 v[138:141], v134
	v_add_nc_u32_e32 v136, 1, v136
	v_add_nc_u32_e32 v134, 16, v134
	;; [unrolled: 1-line block ×3, first 2 shown]
	v_cmp_lt_u32_e32 vcc_lo, 39, v136
	s_or_b32 s6, vcc_lo, s6
	s_waitcnt vmcnt(2) lgkmcnt(0)
	v_mul_f64 v[146:147], v[140:141], v[142:143]
	v_mul_f64 v[142:143], v[138:139], v[142:143]
	s_waitcnt vmcnt(0)
	v_fma_f64 v[138:139], v[138:139], v[144:145], -v[146:147]
	v_fma_f64 v[140:141], v[140:141], v[144:145], v[142:143]
	v_add_f64 v[1:2], v[1:2], v[138:139]
	v_add_f64 v[3:4], v[3:4], v[140:141]
	s_andn2_b32 exec_lo, exec_lo, s6
	s_cbranch_execnz .LBB126_1192
; %bb.1193:
	s_or_b32 exec_lo, exec_lo, s6
.LBB126_1194:
	s_or_b32 exec_lo, exec_lo, s5
	v_mov_b32_e32 v134, 0
	ds_read_b128 v[138:141], v134 offset:656
	s_waitcnt lgkmcnt(0)
	v_mul_f64 v[134:135], v[3:4], v[140:141]
	v_mul_f64 v[140:141], v[1:2], v[140:141]
	v_fma_f64 v[1:2], v[1:2], v[138:139], -v[134:135]
	v_fma_f64 v[3:4], v[3:4], v[138:139], v[140:141]
	buffer_store_dword v2, off, s[0:3], 0 offset:660
	buffer_store_dword v1, off, s[0:3], 0 offset:656
	;; [unrolled: 1-line block ×4, first 2 shown]
.LBB126_1195:
	s_or_b32 exec_lo, exec_lo, s4
	v_mov_b32_e32 v4, s29
	s_mov_b32 s4, exec_lo
	s_clause 0x3
	buffer_load_dword v1, v4, s[0:3], 0 offen
	buffer_load_dword v2, v4, s[0:3], 0 offen offset:4
	buffer_load_dword v3, v4, s[0:3], 0 offen offset:8
	;; [unrolled: 1-line block ×3, first 2 shown]
	s_waitcnt vmcnt(0)
	ds_write_b128 v132, v[1:4]
	s_waitcnt lgkmcnt(0)
	s_waitcnt_vscnt null, 0x0
	s_barrier
	buffer_gl0_inv
	v_cmpx_gt_u32_e32 42, v0
	s_cbranch_execz .LBB126_1203
; %bb.1196:
	ds_read_b128 v[1:4], v132
	v_cmp_ne_u32_e32 vcc_lo, 1, v133
	s_cbranch_vccnz .LBB126_1198
; %bb.1197:
	s_clause 0x3
	buffer_load_dword v134, v131, s[0:3], 0 offen offset:8
	buffer_load_dword v135, v131, s[0:3], 0 offen offset:12
	buffer_load_dword v138, v131, s[0:3], 0 offen
	buffer_load_dword v139, v131, s[0:3], 0 offen offset:4
	s_waitcnt vmcnt(2) lgkmcnt(0)
	v_mul_f64 v[140:141], v[3:4], v[134:135]
	v_mul_f64 v[134:135], v[1:2], v[134:135]
	s_waitcnt vmcnt(0)
	v_fma_f64 v[1:2], v[1:2], v[138:139], -v[140:141]
	v_fma_f64 v[3:4], v[3:4], v[138:139], v[134:135]
.LBB126_1198:
	s_mov_b32 s5, exec_lo
	v_cmpx_ne_u32_e32 41, v0
	s_cbranch_execz .LBB126_1202
; %bb.1199:
	v_or_b32_e32 v134, 0x400, v137
	v_add3_u32 v135, 0, v137, 16
	v_mov_b32_e32 v136, v0
	s_mov_b32 s6, 0
	.p2align	6
.LBB126_1200:                           ; =>This Inner Loop Header: Depth=1
	s_clause 0x3
	buffer_load_dword v142, v135, s[0:3], 0 offen offset:8
	buffer_load_dword v143, v135, s[0:3], 0 offen offset:12
	buffer_load_dword v144, v135, s[0:3], 0 offen
	buffer_load_dword v145, v135, s[0:3], 0 offen offset:4
	ds_read_b128 v[138:141], v134
	v_add_nc_u32_e32 v136, 1, v136
	v_add_nc_u32_e32 v134, 16, v134
	;; [unrolled: 1-line block ×3, first 2 shown]
	v_cmp_lt_u32_e32 vcc_lo, 40, v136
	s_or_b32 s6, vcc_lo, s6
	s_waitcnt vmcnt(2) lgkmcnt(0)
	v_mul_f64 v[146:147], v[140:141], v[142:143]
	v_mul_f64 v[142:143], v[138:139], v[142:143]
	s_waitcnt vmcnt(0)
	v_fma_f64 v[138:139], v[138:139], v[144:145], -v[146:147]
	v_fma_f64 v[140:141], v[140:141], v[144:145], v[142:143]
	v_add_f64 v[1:2], v[1:2], v[138:139]
	v_add_f64 v[3:4], v[3:4], v[140:141]
	s_andn2_b32 exec_lo, exec_lo, s6
	s_cbranch_execnz .LBB126_1200
; %bb.1201:
	s_or_b32 exec_lo, exec_lo, s6
.LBB126_1202:
	s_or_b32 exec_lo, exec_lo, s5
	v_mov_b32_e32 v134, 0
	ds_read_b128 v[138:141], v134 offset:672
	s_waitcnt lgkmcnt(0)
	v_mul_f64 v[134:135], v[3:4], v[140:141]
	v_mul_f64 v[140:141], v[1:2], v[140:141]
	v_fma_f64 v[1:2], v[1:2], v[138:139], -v[134:135]
	v_fma_f64 v[3:4], v[3:4], v[138:139], v[140:141]
	buffer_store_dword v2, off, s[0:3], 0 offset:676
	buffer_store_dword v1, off, s[0:3], 0 offset:672
	;; [unrolled: 1-line block ×4, first 2 shown]
.LBB126_1203:
	s_or_b32 exec_lo, exec_lo, s4
	v_mov_b32_e32 v4, s28
	s_mov_b32 s4, exec_lo
	s_clause 0x3
	buffer_load_dword v1, v4, s[0:3], 0 offen
	buffer_load_dword v2, v4, s[0:3], 0 offen offset:4
	buffer_load_dword v3, v4, s[0:3], 0 offen offset:8
	;; [unrolled: 1-line block ×3, first 2 shown]
	s_waitcnt vmcnt(0)
	ds_write_b128 v132, v[1:4]
	s_waitcnt lgkmcnt(0)
	s_waitcnt_vscnt null, 0x0
	s_barrier
	buffer_gl0_inv
	v_cmpx_gt_u32_e32 43, v0
	s_cbranch_execz .LBB126_1211
; %bb.1204:
	ds_read_b128 v[1:4], v132
	v_cmp_ne_u32_e32 vcc_lo, 1, v133
	s_cbranch_vccnz .LBB126_1206
; %bb.1205:
	s_clause 0x3
	buffer_load_dword v134, v131, s[0:3], 0 offen offset:8
	buffer_load_dword v135, v131, s[0:3], 0 offen offset:12
	buffer_load_dword v138, v131, s[0:3], 0 offen
	buffer_load_dword v139, v131, s[0:3], 0 offen offset:4
	s_waitcnt vmcnt(2) lgkmcnt(0)
	v_mul_f64 v[140:141], v[3:4], v[134:135]
	v_mul_f64 v[134:135], v[1:2], v[134:135]
	s_waitcnt vmcnt(0)
	v_fma_f64 v[1:2], v[1:2], v[138:139], -v[140:141]
	v_fma_f64 v[3:4], v[3:4], v[138:139], v[134:135]
.LBB126_1206:
	s_mov_b32 s5, exec_lo
	v_cmpx_ne_u32_e32 42, v0
	s_cbranch_execz .LBB126_1210
; %bb.1207:
	v_or_b32_e32 v134, 0x400, v137
	v_add3_u32 v135, 0, v137, 16
	v_mov_b32_e32 v136, v0
	s_mov_b32 s6, 0
	.p2align	6
.LBB126_1208:                           ; =>This Inner Loop Header: Depth=1
	s_clause 0x3
	buffer_load_dword v142, v135, s[0:3], 0 offen offset:8
	buffer_load_dword v143, v135, s[0:3], 0 offen offset:12
	buffer_load_dword v144, v135, s[0:3], 0 offen
	buffer_load_dword v145, v135, s[0:3], 0 offen offset:4
	ds_read_b128 v[138:141], v134
	v_add_nc_u32_e32 v136, 1, v136
	v_add_nc_u32_e32 v134, 16, v134
	;; [unrolled: 1-line block ×3, first 2 shown]
	v_cmp_lt_u32_e32 vcc_lo, 41, v136
	s_or_b32 s6, vcc_lo, s6
	s_waitcnt vmcnt(2) lgkmcnt(0)
	v_mul_f64 v[146:147], v[140:141], v[142:143]
	v_mul_f64 v[142:143], v[138:139], v[142:143]
	s_waitcnt vmcnt(0)
	v_fma_f64 v[138:139], v[138:139], v[144:145], -v[146:147]
	v_fma_f64 v[140:141], v[140:141], v[144:145], v[142:143]
	v_add_f64 v[1:2], v[1:2], v[138:139]
	v_add_f64 v[3:4], v[3:4], v[140:141]
	s_andn2_b32 exec_lo, exec_lo, s6
	s_cbranch_execnz .LBB126_1208
; %bb.1209:
	s_or_b32 exec_lo, exec_lo, s6
.LBB126_1210:
	s_or_b32 exec_lo, exec_lo, s5
	v_mov_b32_e32 v134, 0
	ds_read_b128 v[138:141], v134 offset:688
	s_waitcnt lgkmcnt(0)
	v_mul_f64 v[134:135], v[3:4], v[140:141]
	v_mul_f64 v[140:141], v[1:2], v[140:141]
	v_fma_f64 v[1:2], v[1:2], v[138:139], -v[134:135]
	v_fma_f64 v[3:4], v[3:4], v[138:139], v[140:141]
	buffer_store_dword v2, off, s[0:3], 0 offset:692
	buffer_store_dword v1, off, s[0:3], 0 offset:688
	;; [unrolled: 1-line block ×4, first 2 shown]
.LBB126_1211:
	s_or_b32 exec_lo, exec_lo, s4
	v_mov_b32_e32 v4, s27
	s_mov_b32 s4, exec_lo
	s_clause 0x3
	buffer_load_dword v1, v4, s[0:3], 0 offen
	buffer_load_dword v2, v4, s[0:3], 0 offen offset:4
	buffer_load_dword v3, v4, s[0:3], 0 offen offset:8
	;; [unrolled: 1-line block ×3, first 2 shown]
	s_waitcnt vmcnt(0)
	ds_write_b128 v132, v[1:4]
	s_waitcnt lgkmcnt(0)
	s_waitcnt_vscnt null, 0x0
	s_barrier
	buffer_gl0_inv
	v_cmpx_gt_u32_e32 44, v0
	s_cbranch_execz .LBB126_1219
; %bb.1212:
	ds_read_b128 v[1:4], v132
	v_cmp_ne_u32_e32 vcc_lo, 1, v133
	s_cbranch_vccnz .LBB126_1214
; %bb.1213:
	s_clause 0x3
	buffer_load_dword v134, v131, s[0:3], 0 offen offset:8
	buffer_load_dword v135, v131, s[0:3], 0 offen offset:12
	buffer_load_dword v138, v131, s[0:3], 0 offen
	buffer_load_dword v139, v131, s[0:3], 0 offen offset:4
	s_waitcnt vmcnt(2) lgkmcnt(0)
	v_mul_f64 v[140:141], v[3:4], v[134:135]
	v_mul_f64 v[134:135], v[1:2], v[134:135]
	s_waitcnt vmcnt(0)
	v_fma_f64 v[1:2], v[1:2], v[138:139], -v[140:141]
	v_fma_f64 v[3:4], v[3:4], v[138:139], v[134:135]
.LBB126_1214:
	s_mov_b32 s5, exec_lo
	v_cmpx_ne_u32_e32 43, v0
	s_cbranch_execz .LBB126_1218
; %bb.1215:
	v_or_b32_e32 v134, 0x400, v137
	v_add3_u32 v135, 0, v137, 16
	v_mov_b32_e32 v136, v0
	s_mov_b32 s6, 0
	.p2align	6
.LBB126_1216:                           ; =>This Inner Loop Header: Depth=1
	s_clause 0x3
	buffer_load_dword v142, v135, s[0:3], 0 offen offset:8
	buffer_load_dword v143, v135, s[0:3], 0 offen offset:12
	buffer_load_dword v144, v135, s[0:3], 0 offen
	buffer_load_dword v145, v135, s[0:3], 0 offen offset:4
	ds_read_b128 v[138:141], v134
	v_add_nc_u32_e32 v136, 1, v136
	v_add_nc_u32_e32 v134, 16, v134
	;; [unrolled: 1-line block ×3, first 2 shown]
	v_cmp_lt_u32_e32 vcc_lo, 42, v136
	s_or_b32 s6, vcc_lo, s6
	s_waitcnt vmcnt(2) lgkmcnt(0)
	v_mul_f64 v[146:147], v[140:141], v[142:143]
	v_mul_f64 v[142:143], v[138:139], v[142:143]
	s_waitcnt vmcnt(0)
	v_fma_f64 v[138:139], v[138:139], v[144:145], -v[146:147]
	v_fma_f64 v[140:141], v[140:141], v[144:145], v[142:143]
	v_add_f64 v[1:2], v[1:2], v[138:139]
	v_add_f64 v[3:4], v[3:4], v[140:141]
	s_andn2_b32 exec_lo, exec_lo, s6
	s_cbranch_execnz .LBB126_1216
; %bb.1217:
	s_or_b32 exec_lo, exec_lo, s6
.LBB126_1218:
	s_or_b32 exec_lo, exec_lo, s5
	v_mov_b32_e32 v134, 0
	ds_read_b128 v[138:141], v134 offset:704
	s_waitcnt lgkmcnt(0)
	v_mul_f64 v[134:135], v[3:4], v[140:141]
	v_mul_f64 v[140:141], v[1:2], v[140:141]
	v_fma_f64 v[1:2], v[1:2], v[138:139], -v[134:135]
	v_fma_f64 v[3:4], v[3:4], v[138:139], v[140:141]
	buffer_store_dword v2, off, s[0:3], 0 offset:708
	buffer_store_dword v1, off, s[0:3], 0 offset:704
	;; [unrolled: 1-line block ×4, first 2 shown]
.LBB126_1219:
	s_or_b32 exec_lo, exec_lo, s4
	v_mov_b32_e32 v4, s26
	s_mov_b32 s4, exec_lo
	s_clause 0x3
	buffer_load_dword v1, v4, s[0:3], 0 offen
	buffer_load_dword v2, v4, s[0:3], 0 offen offset:4
	buffer_load_dword v3, v4, s[0:3], 0 offen offset:8
	;; [unrolled: 1-line block ×3, first 2 shown]
	s_waitcnt vmcnt(0)
	ds_write_b128 v132, v[1:4]
	s_waitcnt lgkmcnt(0)
	s_waitcnt_vscnt null, 0x0
	s_barrier
	buffer_gl0_inv
	v_cmpx_gt_u32_e32 45, v0
	s_cbranch_execz .LBB126_1227
; %bb.1220:
	ds_read_b128 v[1:4], v132
	v_cmp_ne_u32_e32 vcc_lo, 1, v133
	s_cbranch_vccnz .LBB126_1222
; %bb.1221:
	s_clause 0x3
	buffer_load_dword v134, v131, s[0:3], 0 offen offset:8
	buffer_load_dword v135, v131, s[0:3], 0 offen offset:12
	buffer_load_dword v138, v131, s[0:3], 0 offen
	buffer_load_dword v139, v131, s[0:3], 0 offen offset:4
	s_waitcnt vmcnt(2) lgkmcnt(0)
	v_mul_f64 v[140:141], v[3:4], v[134:135]
	v_mul_f64 v[134:135], v[1:2], v[134:135]
	s_waitcnt vmcnt(0)
	v_fma_f64 v[1:2], v[1:2], v[138:139], -v[140:141]
	v_fma_f64 v[3:4], v[3:4], v[138:139], v[134:135]
.LBB126_1222:
	s_mov_b32 s5, exec_lo
	v_cmpx_ne_u32_e32 44, v0
	s_cbranch_execz .LBB126_1226
; %bb.1223:
	v_or_b32_e32 v134, 0x400, v137
	v_add3_u32 v135, 0, v137, 16
	v_mov_b32_e32 v136, v0
	s_mov_b32 s6, 0
	.p2align	6
.LBB126_1224:                           ; =>This Inner Loop Header: Depth=1
	s_clause 0x3
	buffer_load_dword v142, v135, s[0:3], 0 offen offset:8
	buffer_load_dword v143, v135, s[0:3], 0 offen offset:12
	buffer_load_dword v144, v135, s[0:3], 0 offen
	buffer_load_dword v145, v135, s[0:3], 0 offen offset:4
	ds_read_b128 v[138:141], v134
	v_add_nc_u32_e32 v136, 1, v136
	v_add_nc_u32_e32 v134, 16, v134
	;; [unrolled: 1-line block ×3, first 2 shown]
	v_cmp_lt_u32_e32 vcc_lo, 43, v136
	s_or_b32 s6, vcc_lo, s6
	s_waitcnt vmcnt(2) lgkmcnt(0)
	v_mul_f64 v[146:147], v[140:141], v[142:143]
	v_mul_f64 v[142:143], v[138:139], v[142:143]
	s_waitcnt vmcnt(0)
	v_fma_f64 v[138:139], v[138:139], v[144:145], -v[146:147]
	v_fma_f64 v[140:141], v[140:141], v[144:145], v[142:143]
	v_add_f64 v[1:2], v[1:2], v[138:139]
	v_add_f64 v[3:4], v[3:4], v[140:141]
	s_andn2_b32 exec_lo, exec_lo, s6
	s_cbranch_execnz .LBB126_1224
; %bb.1225:
	s_or_b32 exec_lo, exec_lo, s6
.LBB126_1226:
	s_or_b32 exec_lo, exec_lo, s5
	v_mov_b32_e32 v134, 0
	ds_read_b128 v[138:141], v134 offset:720
	s_waitcnt lgkmcnt(0)
	v_mul_f64 v[134:135], v[3:4], v[140:141]
	v_mul_f64 v[140:141], v[1:2], v[140:141]
	v_fma_f64 v[1:2], v[1:2], v[138:139], -v[134:135]
	v_fma_f64 v[3:4], v[3:4], v[138:139], v[140:141]
	buffer_store_dword v2, off, s[0:3], 0 offset:724
	buffer_store_dword v1, off, s[0:3], 0 offset:720
	;; [unrolled: 1-line block ×4, first 2 shown]
.LBB126_1227:
	s_or_b32 exec_lo, exec_lo, s4
	v_mov_b32_e32 v4, s25
	s_mov_b32 s4, exec_lo
	s_clause 0x3
	buffer_load_dword v1, v4, s[0:3], 0 offen
	buffer_load_dword v2, v4, s[0:3], 0 offen offset:4
	buffer_load_dword v3, v4, s[0:3], 0 offen offset:8
	buffer_load_dword v4, v4, s[0:3], 0 offen offset:12
	s_waitcnt vmcnt(0)
	ds_write_b128 v132, v[1:4]
	s_waitcnt lgkmcnt(0)
	s_waitcnt_vscnt null, 0x0
	s_barrier
	buffer_gl0_inv
	v_cmpx_gt_u32_e32 46, v0
	s_cbranch_execz .LBB126_1235
; %bb.1228:
	ds_read_b128 v[1:4], v132
	v_cmp_ne_u32_e32 vcc_lo, 1, v133
	s_cbranch_vccnz .LBB126_1230
; %bb.1229:
	s_clause 0x3
	buffer_load_dword v134, v131, s[0:3], 0 offen offset:8
	buffer_load_dword v135, v131, s[0:3], 0 offen offset:12
	buffer_load_dword v138, v131, s[0:3], 0 offen
	buffer_load_dword v139, v131, s[0:3], 0 offen offset:4
	s_waitcnt vmcnt(2) lgkmcnt(0)
	v_mul_f64 v[140:141], v[3:4], v[134:135]
	v_mul_f64 v[134:135], v[1:2], v[134:135]
	s_waitcnt vmcnt(0)
	v_fma_f64 v[1:2], v[1:2], v[138:139], -v[140:141]
	v_fma_f64 v[3:4], v[3:4], v[138:139], v[134:135]
.LBB126_1230:
	s_mov_b32 s5, exec_lo
	v_cmpx_ne_u32_e32 45, v0
	s_cbranch_execz .LBB126_1234
; %bb.1231:
	v_or_b32_e32 v134, 0x400, v137
	v_add3_u32 v135, 0, v137, 16
	v_mov_b32_e32 v136, v0
	s_mov_b32 s6, 0
	.p2align	6
.LBB126_1232:                           ; =>This Inner Loop Header: Depth=1
	s_clause 0x3
	buffer_load_dword v142, v135, s[0:3], 0 offen offset:8
	buffer_load_dword v143, v135, s[0:3], 0 offen offset:12
	buffer_load_dword v144, v135, s[0:3], 0 offen
	buffer_load_dword v145, v135, s[0:3], 0 offen offset:4
	ds_read_b128 v[138:141], v134
	v_add_nc_u32_e32 v136, 1, v136
	v_add_nc_u32_e32 v134, 16, v134
	;; [unrolled: 1-line block ×3, first 2 shown]
	v_cmp_lt_u32_e32 vcc_lo, 44, v136
	s_or_b32 s6, vcc_lo, s6
	s_waitcnt vmcnt(2) lgkmcnt(0)
	v_mul_f64 v[146:147], v[140:141], v[142:143]
	v_mul_f64 v[142:143], v[138:139], v[142:143]
	s_waitcnt vmcnt(0)
	v_fma_f64 v[138:139], v[138:139], v[144:145], -v[146:147]
	v_fma_f64 v[140:141], v[140:141], v[144:145], v[142:143]
	v_add_f64 v[1:2], v[1:2], v[138:139]
	v_add_f64 v[3:4], v[3:4], v[140:141]
	s_andn2_b32 exec_lo, exec_lo, s6
	s_cbranch_execnz .LBB126_1232
; %bb.1233:
	s_or_b32 exec_lo, exec_lo, s6
.LBB126_1234:
	s_or_b32 exec_lo, exec_lo, s5
	v_mov_b32_e32 v134, 0
	ds_read_b128 v[138:141], v134 offset:736
	s_waitcnt lgkmcnt(0)
	v_mul_f64 v[134:135], v[3:4], v[140:141]
	v_mul_f64 v[140:141], v[1:2], v[140:141]
	v_fma_f64 v[1:2], v[1:2], v[138:139], -v[134:135]
	v_fma_f64 v[3:4], v[3:4], v[138:139], v[140:141]
	buffer_store_dword v2, off, s[0:3], 0 offset:740
	buffer_store_dword v1, off, s[0:3], 0 offset:736
	;; [unrolled: 1-line block ×4, first 2 shown]
.LBB126_1235:
	s_or_b32 exec_lo, exec_lo, s4
	v_mov_b32_e32 v4, s24
	s_mov_b32 s4, exec_lo
	s_clause 0x3
	buffer_load_dword v1, v4, s[0:3], 0 offen
	buffer_load_dword v2, v4, s[0:3], 0 offen offset:4
	buffer_load_dword v3, v4, s[0:3], 0 offen offset:8
	;; [unrolled: 1-line block ×3, first 2 shown]
	s_waitcnt vmcnt(0)
	ds_write_b128 v132, v[1:4]
	s_waitcnt lgkmcnt(0)
	s_waitcnt_vscnt null, 0x0
	s_barrier
	buffer_gl0_inv
	v_cmpx_gt_u32_e32 47, v0
	s_cbranch_execz .LBB126_1243
; %bb.1236:
	ds_read_b128 v[1:4], v132
	v_cmp_ne_u32_e32 vcc_lo, 1, v133
	s_cbranch_vccnz .LBB126_1238
; %bb.1237:
	s_clause 0x3
	buffer_load_dword v134, v131, s[0:3], 0 offen offset:8
	buffer_load_dword v135, v131, s[0:3], 0 offen offset:12
	buffer_load_dword v138, v131, s[0:3], 0 offen
	buffer_load_dword v139, v131, s[0:3], 0 offen offset:4
	s_waitcnt vmcnt(2) lgkmcnt(0)
	v_mul_f64 v[140:141], v[3:4], v[134:135]
	v_mul_f64 v[134:135], v[1:2], v[134:135]
	s_waitcnt vmcnt(0)
	v_fma_f64 v[1:2], v[1:2], v[138:139], -v[140:141]
	v_fma_f64 v[3:4], v[3:4], v[138:139], v[134:135]
.LBB126_1238:
	s_mov_b32 s5, exec_lo
	v_cmpx_ne_u32_e32 46, v0
	s_cbranch_execz .LBB126_1242
; %bb.1239:
	v_or_b32_e32 v134, 0x400, v137
	v_add3_u32 v135, 0, v137, 16
	v_mov_b32_e32 v136, v0
	s_mov_b32 s6, 0
	.p2align	6
.LBB126_1240:                           ; =>This Inner Loop Header: Depth=1
	s_clause 0x3
	buffer_load_dword v142, v135, s[0:3], 0 offen offset:8
	buffer_load_dword v143, v135, s[0:3], 0 offen offset:12
	buffer_load_dword v144, v135, s[0:3], 0 offen
	buffer_load_dword v145, v135, s[0:3], 0 offen offset:4
	ds_read_b128 v[138:141], v134
	v_add_nc_u32_e32 v136, 1, v136
	v_add_nc_u32_e32 v134, 16, v134
	;; [unrolled: 1-line block ×3, first 2 shown]
	v_cmp_lt_u32_e32 vcc_lo, 45, v136
	s_or_b32 s6, vcc_lo, s6
	s_waitcnt vmcnt(2) lgkmcnt(0)
	v_mul_f64 v[146:147], v[140:141], v[142:143]
	v_mul_f64 v[142:143], v[138:139], v[142:143]
	s_waitcnt vmcnt(0)
	v_fma_f64 v[138:139], v[138:139], v[144:145], -v[146:147]
	v_fma_f64 v[140:141], v[140:141], v[144:145], v[142:143]
	v_add_f64 v[1:2], v[1:2], v[138:139]
	v_add_f64 v[3:4], v[3:4], v[140:141]
	s_andn2_b32 exec_lo, exec_lo, s6
	s_cbranch_execnz .LBB126_1240
; %bb.1241:
	s_or_b32 exec_lo, exec_lo, s6
.LBB126_1242:
	s_or_b32 exec_lo, exec_lo, s5
	v_mov_b32_e32 v134, 0
	ds_read_b128 v[138:141], v134 offset:752
	s_waitcnt lgkmcnt(0)
	v_mul_f64 v[134:135], v[3:4], v[140:141]
	v_mul_f64 v[140:141], v[1:2], v[140:141]
	v_fma_f64 v[1:2], v[1:2], v[138:139], -v[134:135]
	v_fma_f64 v[3:4], v[3:4], v[138:139], v[140:141]
	buffer_store_dword v2, off, s[0:3], 0 offset:756
	buffer_store_dword v1, off, s[0:3], 0 offset:752
	;; [unrolled: 1-line block ×4, first 2 shown]
.LBB126_1243:
	s_or_b32 exec_lo, exec_lo, s4
	v_mov_b32_e32 v4, s23
	s_mov_b32 s4, exec_lo
	s_clause 0x3
	buffer_load_dword v1, v4, s[0:3], 0 offen
	buffer_load_dword v2, v4, s[0:3], 0 offen offset:4
	buffer_load_dword v3, v4, s[0:3], 0 offen offset:8
	;; [unrolled: 1-line block ×3, first 2 shown]
	s_waitcnt vmcnt(0)
	ds_write_b128 v132, v[1:4]
	s_waitcnt lgkmcnt(0)
	s_waitcnt_vscnt null, 0x0
	s_barrier
	buffer_gl0_inv
	v_cmpx_gt_u32_e32 48, v0
	s_cbranch_execz .LBB126_1251
; %bb.1244:
	ds_read_b128 v[1:4], v132
	v_cmp_ne_u32_e32 vcc_lo, 1, v133
	s_cbranch_vccnz .LBB126_1246
; %bb.1245:
	s_clause 0x3
	buffer_load_dword v134, v131, s[0:3], 0 offen offset:8
	buffer_load_dword v135, v131, s[0:3], 0 offen offset:12
	buffer_load_dword v138, v131, s[0:3], 0 offen
	buffer_load_dword v139, v131, s[0:3], 0 offen offset:4
	s_waitcnt vmcnt(2) lgkmcnt(0)
	v_mul_f64 v[140:141], v[3:4], v[134:135]
	v_mul_f64 v[134:135], v[1:2], v[134:135]
	s_waitcnt vmcnt(0)
	v_fma_f64 v[1:2], v[1:2], v[138:139], -v[140:141]
	v_fma_f64 v[3:4], v[3:4], v[138:139], v[134:135]
.LBB126_1246:
	s_mov_b32 s5, exec_lo
	v_cmpx_ne_u32_e32 47, v0
	s_cbranch_execz .LBB126_1250
; %bb.1247:
	v_or_b32_e32 v134, 0x400, v137
	v_add3_u32 v135, 0, v137, 16
	v_mov_b32_e32 v136, v0
	s_mov_b32 s6, 0
	.p2align	6
.LBB126_1248:                           ; =>This Inner Loop Header: Depth=1
	s_clause 0x3
	buffer_load_dword v142, v135, s[0:3], 0 offen offset:8
	buffer_load_dword v143, v135, s[0:3], 0 offen offset:12
	buffer_load_dword v144, v135, s[0:3], 0 offen
	buffer_load_dword v145, v135, s[0:3], 0 offen offset:4
	ds_read_b128 v[138:141], v134
	v_add_nc_u32_e32 v136, 1, v136
	v_add_nc_u32_e32 v134, 16, v134
	;; [unrolled: 1-line block ×3, first 2 shown]
	v_cmp_lt_u32_e32 vcc_lo, 46, v136
	s_or_b32 s6, vcc_lo, s6
	s_waitcnt vmcnt(2) lgkmcnt(0)
	v_mul_f64 v[146:147], v[140:141], v[142:143]
	v_mul_f64 v[142:143], v[138:139], v[142:143]
	s_waitcnt vmcnt(0)
	v_fma_f64 v[138:139], v[138:139], v[144:145], -v[146:147]
	v_fma_f64 v[140:141], v[140:141], v[144:145], v[142:143]
	v_add_f64 v[1:2], v[1:2], v[138:139]
	v_add_f64 v[3:4], v[3:4], v[140:141]
	s_andn2_b32 exec_lo, exec_lo, s6
	s_cbranch_execnz .LBB126_1248
; %bb.1249:
	s_or_b32 exec_lo, exec_lo, s6
.LBB126_1250:
	s_or_b32 exec_lo, exec_lo, s5
	v_mov_b32_e32 v134, 0
	ds_read_b128 v[138:141], v134 offset:768
	s_waitcnt lgkmcnt(0)
	v_mul_f64 v[134:135], v[3:4], v[140:141]
	v_mul_f64 v[140:141], v[1:2], v[140:141]
	v_fma_f64 v[1:2], v[1:2], v[138:139], -v[134:135]
	v_fma_f64 v[3:4], v[3:4], v[138:139], v[140:141]
	buffer_store_dword v2, off, s[0:3], 0 offset:772
	buffer_store_dword v1, off, s[0:3], 0 offset:768
	;; [unrolled: 1-line block ×4, first 2 shown]
.LBB126_1251:
	s_or_b32 exec_lo, exec_lo, s4
	v_mov_b32_e32 v4, s22
	s_mov_b32 s4, exec_lo
	s_clause 0x3
	buffer_load_dword v1, v4, s[0:3], 0 offen
	buffer_load_dword v2, v4, s[0:3], 0 offen offset:4
	buffer_load_dword v3, v4, s[0:3], 0 offen offset:8
	;; [unrolled: 1-line block ×3, first 2 shown]
	s_waitcnt vmcnt(0)
	ds_write_b128 v132, v[1:4]
	s_waitcnt lgkmcnt(0)
	s_waitcnt_vscnt null, 0x0
	s_barrier
	buffer_gl0_inv
	v_cmpx_gt_u32_e32 49, v0
	s_cbranch_execz .LBB126_1259
; %bb.1252:
	ds_read_b128 v[1:4], v132
	v_cmp_ne_u32_e32 vcc_lo, 1, v133
	s_cbranch_vccnz .LBB126_1254
; %bb.1253:
	s_clause 0x3
	buffer_load_dword v134, v131, s[0:3], 0 offen offset:8
	buffer_load_dword v135, v131, s[0:3], 0 offen offset:12
	buffer_load_dword v138, v131, s[0:3], 0 offen
	buffer_load_dword v139, v131, s[0:3], 0 offen offset:4
	s_waitcnt vmcnt(2) lgkmcnt(0)
	v_mul_f64 v[140:141], v[3:4], v[134:135]
	v_mul_f64 v[134:135], v[1:2], v[134:135]
	s_waitcnt vmcnt(0)
	v_fma_f64 v[1:2], v[1:2], v[138:139], -v[140:141]
	v_fma_f64 v[3:4], v[3:4], v[138:139], v[134:135]
.LBB126_1254:
	s_mov_b32 s5, exec_lo
	v_cmpx_ne_u32_e32 48, v0
	s_cbranch_execz .LBB126_1258
; %bb.1255:
	v_or_b32_e32 v134, 0x400, v137
	v_add3_u32 v135, 0, v137, 16
	v_mov_b32_e32 v136, v0
	s_mov_b32 s6, 0
	.p2align	6
.LBB126_1256:                           ; =>This Inner Loop Header: Depth=1
	s_clause 0x3
	buffer_load_dword v142, v135, s[0:3], 0 offen offset:8
	buffer_load_dword v143, v135, s[0:3], 0 offen offset:12
	buffer_load_dword v144, v135, s[0:3], 0 offen
	buffer_load_dword v145, v135, s[0:3], 0 offen offset:4
	ds_read_b128 v[138:141], v134
	v_add_nc_u32_e32 v136, 1, v136
	v_add_nc_u32_e32 v134, 16, v134
	;; [unrolled: 1-line block ×3, first 2 shown]
	v_cmp_lt_u32_e32 vcc_lo, 47, v136
	s_or_b32 s6, vcc_lo, s6
	s_waitcnt vmcnt(2) lgkmcnt(0)
	v_mul_f64 v[146:147], v[140:141], v[142:143]
	v_mul_f64 v[142:143], v[138:139], v[142:143]
	s_waitcnt vmcnt(0)
	v_fma_f64 v[138:139], v[138:139], v[144:145], -v[146:147]
	v_fma_f64 v[140:141], v[140:141], v[144:145], v[142:143]
	v_add_f64 v[1:2], v[1:2], v[138:139]
	v_add_f64 v[3:4], v[3:4], v[140:141]
	s_andn2_b32 exec_lo, exec_lo, s6
	s_cbranch_execnz .LBB126_1256
; %bb.1257:
	s_or_b32 exec_lo, exec_lo, s6
.LBB126_1258:
	s_or_b32 exec_lo, exec_lo, s5
	v_mov_b32_e32 v134, 0
	ds_read_b128 v[138:141], v134 offset:784
	s_waitcnt lgkmcnt(0)
	v_mul_f64 v[134:135], v[3:4], v[140:141]
	v_mul_f64 v[140:141], v[1:2], v[140:141]
	v_fma_f64 v[1:2], v[1:2], v[138:139], -v[134:135]
	v_fma_f64 v[3:4], v[3:4], v[138:139], v[140:141]
	buffer_store_dword v2, off, s[0:3], 0 offset:788
	buffer_store_dword v1, off, s[0:3], 0 offset:784
	;; [unrolled: 1-line block ×4, first 2 shown]
.LBB126_1259:
	s_or_b32 exec_lo, exec_lo, s4
	v_mov_b32_e32 v4, s21
	s_mov_b32 s4, exec_lo
	s_clause 0x3
	buffer_load_dword v1, v4, s[0:3], 0 offen
	buffer_load_dword v2, v4, s[0:3], 0 offen offset:4
	buffer_load_dword v3, v4, s[0:3], 0 offen offset:8
	;; [unrolled: 1-line block ×3, first 2 shown]
	s_waitcnt vmcnt(0)
	ds_write_b128 v132, v[1:4]
	s_waitcnt lgkmcnt(0)
	s_waitcnt_vscnt null, 0x0
	s_barrier
	buffer_gl0_inv
	v_cmpx_gt_u32_e32 50, v0
	s_cbranch_execz .LBB126_1267
; %bb.1260:
	ds_read_b128 v[1:4], v132
	v_cmp_ne_u32_e32 vcc_lo, 1, v133
	s_cbranch_vccnz .LBB126_1262
; %bb.1261:
	s_clause 0x3
	buffer_load_dword v134, v131, s[0:3], 0 offen offset:8
	buffer_load_dword v135, v131, s[0:3], 0 offen offset:12
	buffer_load_dword v138, v131, s[0:3], 0 offen
	buffer_load_dword v139, v131, s[0:3], 0 offen offset:4
	s_waitcnt vmcnt(2) lgkmcnt(0)
	v_mul_f64 v[140:141], v[3:4], v[134:135]
	v_mul_f64 v[134:135], v[1:2], v[134:135]
	s_waitcnt vmcnt(0)
	v_fma_f64 v[1:2], v[1:2], v[138:139], -v[140:141]
	v_fma_f64 v[3:4], v[3:4], v[138:139], v[134:135]
.LBB126_1262:
	s_mov_b32 s5, exec_lo
	v_cmpx_ne_u32_e32 49, v0
	s_cbranch_execz .LBB126_1266
; %bb.1263:
	v_or_b32_e32 v134, 0x400, v137
	v_add3_u32 v135, 0, v137, 16
	v_mov_b32_e32 v136, v0
	s_mov_b32 s6, 0
	.p2align	6
.LBB126_1264:                           ; =>This Inner Loop Header: Depth=1
	s_clause 0x3
	buffer_load_dword v142, v135, s[0:3], 0 offen offset:8
	buffer_load_dword v143, v135, s[0:3], 0 offen offset:12
	buffer_load_dword v144, v135, s[0:3], 0 offen
	buffer_load_dword v145, v135, s[0:3], 0 offen offset:4
	ds_read_b128 v[138:141], v134
	v_add_nc_u32_e32 v136, 1, v136
	v_add_nc_u32_e32 v134, 16, v134
	;; [unrolled: 1-line block ×3, first 2 shown]
	v_cmp_lt_u32_e32 vcc_lo, 48, v136
	s_or_b32 s6, vcc_lo, s6
	s_waitcnt vmcnt(2) lgkmcnt(0)
	v_mul_f64 v[146:147], v[140:141], v[142:143]
	v_mul_f64 v[142:143], v[138:139], v[142:143]
	s_waitcnt vmcnt(0)
	v_fma_f64 v[138:139], v[138:139], v[144:145], -v[146:147]
	v_fma_f64 v[140:141], v[140:141], v[144:145], v[142:143]
	v_add_f64 v[1:2], v[1:2], v[138:139]
	v_add_f64 v[3:4], v[3:4], v[140:141]
	s_andn2_b32 exec_lo, exec_lo, s6
	s_cbranch_execnz .LBB126_1264
; %bb.1265:
	s_or_b32 exec_lo, exec_lo, s6
.LBB126_1266:
	s_or_b32 exec_lo, exec_lo, s5
	v_mov_b32_e32 v134, 0
	ds_read_b128 v[138:141], v134 offset:800
	s_waitcnt lgkmcnt(0)
	v_mul_f64 v[134:135], v[3:4], v[140:141]
	v_mul_f64 v[140:141], v[1:2], v[140:141]
	v_fma_f64 v[1:2], v[1:2], v[138:139], -v[134:135]
	v_fma_f64 v[3:4], v[3:4], v[138:139], v[140:141]
	buffer_store_dword v2, off, s[0:3], 0 offset:804
	buffer_store_dword v1, off, s[0:3], 0 offset:800
	;; [unrolled: 1-line block ×4, first 2 shown]
.LBB126_1267:
	s_or_b32 exec_lo, exec_lo, s4
	v_mov_b32_e32 v4, s20
	s_mov_b32 s4, exec_lo
	s_clause 0x3
	buffer_load_dword v1, v4, s[0:3], 0 offen
	buffer_load_dword v2, v4, s[0:3], 0 offen offset:4
	buffer_load_dword v3, v4, s[0:3], 0 offen offset:8
	;; [unrolled: 1-line block ×3, first 2 shown]
	s_waitcnt vmcnt(0)
	ds_write_b128 v132, v[1:4]
	s_waitcnt lgkmcnt(0)
	s_waitcnt_vscnt null, 0x0
	s_barrier
	buffer_gl0_inv
	v_cmpx_gt_u32_e32 51, v0
	s_cbranch_execz .LBB126_1275
; %bb.1268:
	ds_read_b128 v[1:4], v132
	v_cmp_ne_u32_e32 vcc_lo, 1, v133
	s_cbranch_vccnz .LBB126_1270
; %bb.1269:
	s_clause 0x3
	buffer_load_dword v134, v131, s[0:3], 0 offen offset:8
	buffer_load_dword v135, v131, s[0:3], 0 offen offset:12
	buffer_load_dword v138, v131, s[0:3], 0 offen
	buffer_load_dword v139, v131, s[0:3], 0 offen offset:4
	s_waitcnt vmcnt(2) lgkmcnt(0)
	v_mul_f64 v[140:141], v[3:4], v[134:135]
	v_mul_f64 v[134:135], v[1:2], v[134:135]
	s_waitcnt vmcnt(0)
	v_fma_f64 v[1:2], v[1:2], v[138:139], -v[140:141]
	v_fma_f64 v[3:4], v[3:4], v[138:139], v[134:135]
.LBB126_1270:
	s_mov_b32 s5, exec_lo
	v_cmpx_ne_u32_e32 50, v0
	s_cbranch_execz .LBB126_1274
; %bb.1271:
	v_or_b32_e32 v134, 0x400, v137
	v_add3_u32 v135, 0, v137, 16
	v_mov_b32_e32 v136, v0
	s_mov_b32 s6, 0
	.p2align	6
.LBB126_1272:                           ; =>This Inner Loop Header: Depth=1
	s_clause 0x3
	buffer_load_dword v142, v135, s[0:3], 0 offen offset:8
	buffer_load_dword v143, v135, s[0:3], 0 offen offset:12
	buffer_load_dword v144, v135, s[0:3], 0 offen
	buffer_load_dword v145, v135, s[0:3], 0 offen offset:4
	ds_read_b128 v[138:141], v134
	v_add_nc_u32_e32 v136, 1, v136
	v_add_nc_u32_e32 v134, 16, v134
	;; [unrolled: 1-line block ×3, first 2 shown]
	v_cmp_lt_u32_e32 vcc_lo, 49, v136
	s_or_b32 s6, vcc_lo, s6
	s_waitcnt vmcnt(2) lgkmcnt(0)
	v_mul_f64 v[146:147], v[140:141], v[142:143]
	v_mul_f64 v[142:143], v[138:139], v[142:143]
	s_waitcnt vmcnt(0)
	v_fma_f64 v[138:139], v[138:139], v[144:145], -v[146:147]
	v_fma_f64 v[140:141], v[140:141], v[144:145], v[142:143]
	v_add_f64 v[1:2], v[1:2], v[138:139]
	v_add_f64 v[3:4], v[3:4], v[140:141]
	s_andn2_b32 exec_lo, exec_lo, s6
	s_cbranch_execnz .LBB126_1272
; %bb.1273:
	s_or_b32 exec_lo, exec_lo, s6
.LBB126_1274:
	s_or_b32 exec_lo, exec_lo, s5
	v_mov_b32_e32 v134, 0
	ds_read_b128 v[138:141], v134 offset:816
	s_waitcnt lgkmcnt(0)
	v_mul_f64 v[134:135], v[3:4], v[140:141]
	v_mul_f64 v[140:141], v[1:2], v[140:141]
	v_fma_f64 v[1:2], v[1:2], v[138:139], -v[134:135]
	v_fma_f64 v[3:4], v[3:4], v[138:139], v[140:141]
	buffer_store_dword v2, off, s[0:3], 0 offset:820
	buffer_store_dword v1, off, s[0:3], 0 offset:816
	buffer_store_dword v4, off, s[0:3], 0 offset:828
	buffer_store_dword v3, off, s[0:3], 0 offset:824
.LBB126_1275:
	s_or_b32 exec_lo, exec_lo, s4
	v_mov_b32_e32 v4, s19
	s_mov_b32 s4, exec_lo
	s_clause 0x3
	buffer_load_dword v1, v4, s[0:3], 0 offen
	buffer_load_dword v2, v4, s[0:3], 0 offen offset:4
	buffer_load_dword v3, v4, s[0:3], 0 offen offset:8
	;; [unrolled: 1-line block ×3, first 2 shown]
	s_waitcnt vmcnt(0)
	ds_write_b128 v132, v[1:4]
	s_waitcnt lgkmcnt(0)
	s_waitcnt_vscnt null, 0x0
	s_barrier
	buffer_gl0_inv
	v_cmpx_gt_u32_e32 52, v0
	s_cbranch_execz .LBB126_1283
; %bb.1276:
	ds_read_b128 v[1:4], v132
	v_cmp_ne_u32_e32 vcc_lo, 1, v133
	s_cbranch_vccnz .LBB126_1278
; %bb.1277:
	s_clause 0x3
	buffer_load_dword v134, v131, s[0:3], 0 offen offset:8
	buffer_load_dword v135, v131, s[0:3], 0 offen offset:12
	buffer_load_dword v138, v131, s[0:3], 0 offen
	buffer_load_dword v139, v131, s[0:3], 0 offen offset:4
	s_waitcnt vmcnt(2) lgkmcnt(0)
	v_mul_f64 v[140:141], v[3:4], v[134:135]
	v_mul_f64 v[134:135], v[1:2], v[134:135]
	s_waitcnt vmcnt(0)
	v_fma_f64 v[1:2], v[1:2], v[138:139], -v[140:141]
	v_fma_f64 v[3:4], v[3:4], v[138:139], v[134:135]
.LBB126_1278:
	s_mov_b32 s5, exec_lo
	v_cmpx_ne_u32_e32 51, v0
	s_cbranch_execz .LBB126_1282
; %bb.1279:
	v_or_b32_e32 v134, 0x400, v137
	v_add3_u32 v135, 0, v137, 16
	v_mov_b32_e32 v136, v0
	s_mov_b32 s6, 0
	.p2align	6
.LBB126_1280:                           ; =>This Inner Loop Header: Depth=1
	s_clause 0x3
	buffer_load_dword v142, v135, s[0:3], 0 offen offset:8
	buffer_load_dword v143, v135, s[0:3], 0 offen offset:12
	buffer_load_dword v144, v135, s[0:3], 0 offen
	buffer_load_dword v145, v135, s[0:3], 0 offen offset:4
	ds_read_b128 v[138:141], v134
	v_add_nc_u32_e32 v136, 1, v136
	v_add_nc_u32_e32 v134, 16, v134
	v_add_nc_u32_e32 v135, 16, v135
	v_cmp_lt_u32_e32 vcc_lo, 50, v136
	s_or_b32 s6, vcc_lo, s6
	s_waitcnt vmcnt(2) lgkmcnt(0)
	v_mul_f64 v[146:147], v[140:141], v[142:143]
	v_mul_f64 v[142:143], v[138:139], v[142:143]
	s_waitcnt vmcnt(0)
	v_fma_f64 v[138:139], v[138:139], v[144:145], -v[146:147]
	v_fma_f64 v[140:141], v[140:141], v[144:145], v[142:143]
	v_add_f64 v[1:2], v[1:2], v[138:139]
	v_add_f64 v[3:4], v[3:4], v[140:141]
	s_andn2_b32 exec_lo, exec_lo, s6
	s_cbranch_execnz .LBB126_1280
; %bb.1281:
	s_or_b32 exec_lo, exec_lo, s6
.LBB126_1282:
	s_or_b32 exec_lo, exec_lo, s5
	v_mov_b32_e32 v134, 0
	ds_read_b128 v[138:141], v134 offset:832
	s_waitcnt lgkmcnt(0)
	v_mul_f64 v[134:135], v[3:4], v[140:141]
	v_mul_f64 v[140:141], v[1:2], v[140:141]
	v_fma_f64 v[1:2], v[1:2], v[138:139], -v[134:135]
	v_fma_f64 v[3:4], v[3:4], v[138:139], v[140:141]
	buffer_store_dword v2, off, s[0:3], 0 offset:836
	buffer_store_dword v1, off, s[0:3], 0 offset:832
	;; [unrolled: 1-line block ×4, first 2 shown]
.LBB126_1283:
	s_or_b32 exec_lo, exec_lo, s4
	v_mov_b32_e32 v4, s18
	s_mov_b32 s4, exec_lo
	s_clause 0x3
	buffer_load_dword v1, v4, s[0:3], 0 offen
	buffer_load_dword v2, v4, s[0:3], 0 offen offset:4
	buffer_load_dword v3, v4, s[0:3], 0 offen offset:8
	;; [unrolled: 1-line block ×3, first 2 shown]
	s_waitcnt vmcnt(0)
	ds_write_b128 v132, v[1:4]
	s_waitcnt lgkmcnt(0)
	s_waitcnt_vscnt null, 0x0
	s_barrier
	buffer_gl0_inv
	v_cmpx_gt_u32_e32 53, v0
	s_cbranch_execz .LBB126_1291
; %bb.1284:
	ds_read_b128 v[1:4], v132
	v_cmp_ne_u32_e32 vcc_lo, 1, v133
	s_cbranch_vccnz .LBB126_1286
; %bb.1285:
	s_clause 0x3
	buffer_load_dword v134, v131, s[0:3], 0 offen offset:8
	buffer_load_dword v135, v131, s[0:3], 0 offen offset:12
	buffer_load_dword v138, v131, s[0:3], 0 offen
	buffer_load_dword v139, v131, s[0:3], 0 offen offset:4
	s_waitcnt vmcnt(2) lgkmcnt(0)
	v_mul_f64 v[140:141], v[3:4], v[134:135]
	v_mul_f64 v[134:135], v[1:2], v[134:135]
	s_waitcnt vmcnt(0)
	v_fma_f64 v[1:2], v[1:2], v[138:139], -v[140:141]
	v_fma_f64 v[3:4], v[3:4], v[138:139], v[134:135]
.LBB126_1286:
	s_mov_b32 s5, exec_lo
	v_cmpx_ne_u32_e32 52, v0
	s_cbranch_execz .LBB126_1290
; %bb.1287:
	v_or_b32_e32 v134, 0x400, v137
	v_add3_u32 v135, 0, v137, 16
	v_mov_b32_e32 v136, v0
	s_mov_b32 s6, 0
	.p2align	6
.LBB126_1288:                           ; =>This Inner Loop Header: Depth=1
	s_clause 0x3
	buffer_load_dword v142, v135, s[0:3], 0 offen offset:8
	buffer_load_dword v143, v135, s[0:3], 0 offen offset:12
	buffer_load_dword v144, v135, s[0:3], 0 offen
	buffer_load_dword v145, v135, s[0:3], 0 offen offset:4
	ds_read_b128 v[138:141], v134
	v_add_nc_u32_e32 v136, 1, v136
	v_add_nc_u32_e32 v134, 16, v134
	;; [unrolled: 1-line block ×3, first 2 shown]
	v_cmp_lt_u32_e32 vcc_lo, 51, v136
	s_or_b32 s6, vcc_lo, s6
	s_waitcnt vmcnt(2) lgkmcnt(0)
	v_mul_f64 v[146:147], v[140:141], v[142:143]
	v_mul_f64 v[142:143], v[138:139], v[142:143]
	s_waitcnt vmcnt(0)
	v_fma_f64 v[138:139], v[138:139], v[144:145], -v[146:147]
	v_fma_f64 v[140:141], v[140:141], v[144:145], v[142:143]
	v_add_f64 v[1:2], v[1:2], v[138:139]
	v_add_f64 v[3:4], v[3:4], v[140:141]
	s_andn2_b32 exec_lo, exec_lo, s6
	s_cbranch_execnz .LBB126_1288
; %bb.1289:
	s_or_b32 exec_lo, exec_lo, s6
.LBB126_1290:
	s_or_b32 exec_lo, exec_lo, s5
	v_mov_b32_e32 v134, 0
	ds_read_b128 v[138:141], v134 offset:848
	s_waitcnt lgkmcnt(0)
	v_mul_f64 v[134:135], v[3:4], v[140:141]
	v_mul_f64 v[140:141], v[1:2], v[140:141]
	v_fma_f64 v[1:2], v[1:2], v[138:139], -v[134:135]
	v_fma_f64 v[3:4], v[3:4], v[138:139], v[140:141]
	buffer_store_dword v2, off, s[0:3], 0 offset:852
	buffer_store_dword v1, off, s[0:3], 0 offset:848
	;; [unrolled: 1-line block ×4, first 2 shown]
.LBB126_1291:
	s_or_b32 exec_lo, exec_lo, s4
	v_mov_b32_e32 v4, s17
	s_mov_b32 s4, exec_lo
	s_clause 0x3
	buffer_load_dword v1, v4, s[0:3], 0 offen
	buffer_load_dword v2, v4, s[0:3], 0 offen offset:4
	buffer_load_dword v3, v4, s[0:3], 0 offen offset:8
	;; [unrolled: 1-line block ×3, first 2 shown]
	s_waitcnt vmcnt(0)
	ds_write_b128 v132, v[1:4]
	s_waitcnt lgkmcnt(0)
	s_waitcnt_vscnt null, 0x0
	s_barrier
	buffer_gl0_inv
	v_cmpx_gt_u32_e32 54, v0
	s_cbranch_execz .LBB126_1299
; %bb.1292:
	ds_read_b128 v[1:4], v132
	v_cmp_ne_u32_e32 vcc_lo, 1, v133
	s_cbranch_vccnz .LBB126_1294
; %bb.1293:
	s_clause 0x3
	buffer_load_dword v134, v131, s[0:3], 0 offen offset:8
	buffer_load_dword v135, v131, s[0:3], 0 offen offset:12
	buffer_load_dword v138, v131, s[0:3], 0 offen
	buffer_load_dword v139, v131, s[0:3], 0 offen offset:4
	s_waitcnt vmcnt(2) lgkmcnt(0)
	v_mul_f64 v[140:141], v[3:4], v[134:135]
	v_mul_f64 v[134:135], v[1:2], v[134:135]
	s_waitcnt vmcnt(0)
	v_fma_f64 v[1:2], v[1:2], v[138:139], -v[140:141]
	v_fma_f64 v[3:4], v[3:4], v[138:139], v[134:135]
.LBB126_1294:
	s_mov_b32 s5, exec_lo
	v_cmpx_ne_u32_e32 53, v0
	s_cbranch_execz .LBB126_1298
; %bb.1295:
	v_or_b32_e32 v134, 0x400, v137
	v_add3_u32 v135, 0, v137, 16
	v_mov_b32_e32 v136, v0
	s_mov_b32 s6, 0
	.p2align	6
.LBB126_1296:                           ; =>This Inner Loop Header: Depth=1
	s_clause 0x3
	buffer_load_dword v142, v135, s[0:3], 0 offen offset:8
	buffer_load_dword v143, v135, s[0:3], 0 offen offset:12
	buffer_load_dword v144, v135, s[0:3], 0 offen
	buffer_load_dword v145, v135, s[0:3], 0 offen offset:4
	ds_read_b128 v[138:141], v134
	v_add_nc_u32_e32 v136, 1, v136
	v_add_nc_u32_e32 v134, 16, v134
	;; [unrolled: 1-line block ×3, first 2 shown]
	v_cmp_lt_u32_e32 vcc_lo, 52, v136
	s_or_b32 s6, vcc_lo, s6
	s_waitcnt vmcnt(2) lgkmcnt(0)
	v_mul_f64 v[146:147], v[140:141], v[142:143]
	v_mul_f64 v[142:143], v[138:139], v[142:143]
	s_waitcnt vmcnt(0)
	v_fma_f64 v[138:139], v[138:139], v[144:145], -v[146:147]
	v_fma_f64 v[140:141], v[140:141], v[144:145], v[142:143]
	v_add_f64 v[1:2], v[1:2], v[138:139]
	v_add_f64 v[3:4], v[3:4], v[140:141]
	s_andn2_b32 exec_lo, exec_lo, s6
	s_cbranch_execnz .LBB126_1296
; %bb.1297:
	s_or_b32 exec_lo, exec_lo, s6
.LBB126_1298:
	s_or_b32 exec_lo, exec_lo, s5
	v_mov_b32_e32 v134, 0
	ds_read_b128 v[138:141], v134 offset:864
	s_waitcnt lgkmcnt(0)
	v_mul_f64 v[134:135], v[3:4], v[140:141]
	v_mul_f64 v[140:141], v[1:2], v[140:141]
	v_fma_f64 v[1:2], v[1:2], v[138:139], -v[134:135]
	v_fma_f64 v[3:4], v[3:4], v[138:139], v[140:141]
	buffer_store_dword v2, off, s[0:3], 0 offset:868
	buffer_store_dword v1, off, s[0:3], 0 offset:864
	;; [unrolled: 1-line block ×4, first 2 shown]
.LBB126_1299:
	s_or_b32 exec_lo, exec_lo, s4
	v_mov_b32_e32 v4, s16
	s_mov_b32 s4, exec_lo
	s_clause 0x3
	buffer_load_dword v1, v4, s[0:3], 0 offen
	buffer_load_dword v2, v4, s[0:3], 0 offen offset:4
	buffer_load_dword v3, v4, s[0:3], 0 offen offset:8
	;; [unrolled: 1-line block ×3, first 2 shown]
	s_waitcnt vmcnt(0)
	ds_write_b128 v132, v[1:4]
	s_waitcnt lgkmcnt(0)
	s_waitcnt_vscnt null, 0x0
	s_barrier
	buffer_gl0_inv
	v_cmpx_gt_u32_e32 55, v0
	s_cbranch_execz .LBB126_1307
; %bb.1300:
	ds_read_b128 v[1:4], v132
	v_cmp_ne_u32_e32 vcc_lo, 1, v133
	s_cbranch_vccnz .LBB126_1302
; %bb.1301:
	s_clause 0x3
	buffer_load_dword v134, v131, s[0:3], 0 offen offset:8
	buffer_load_dword v135, v131, s[0:3], 0 offen offset:12
	buffer_load_dword v138, v131, s[0:3], 0 offen
	buffer_load_dword v139, v131, s[0:3], 0 offen offset:4
	s_waitcnt vmcnt(2) lgkmcnt(0)
	v_mul_f64 v[140:141], v[3:4], v[134:135]
	v_mul_f64 v[134:135], v[1:2], v[134:135]
	s_waitcnt vmcnt(0)
	v_fma_f64 v[1:2], v[1:2], v[138:139], -v[140:141]
	v_fma_f64 v[3:4], v[3:4], v[138:139], v[134:135]
.LBB126_1302:
	s_mov_b32 s5, exec_lo
	v_cmpx_ne_u32_e32 54, v0
	s_cbranch_execz .LBB126_1306
; %bb.1303:
	v_or_b32_e32 v134, 0x400, v137
	v_add3_u32 v135, 0, v137, 16
	v_mov_b32_e32 v136, v0
	s_mov_b32 s6, 0
	.p2align	6
.LBB126_1304:                           ; =>This Inner Loop Header: Depth=1
	s_clause 0x3
	buffer_load_dword v142, v135, s[0:3], 0 offen offset:8
	buffer_load_dword v143, v135, s[0:3], 0 offen offset:12
	buffer_load_dword v144, v135, s[0:3], 0 offen
	buffer_load_dword v145, v135, s[0:3], 0 offen offset:4
	ds_read_b128 v[138:141], v134
	v_add_nc_u32_e32 v136, 1, v136
	v_add_nc_u32_e32 v134, 16, v134
	;; [unrolled: 1-line block ×3, first 2 shown]
	v_cmp_lt_u32_e32 vcc_lo, 53, v136
	s_or_b32 s6, vcc_lo, s6
	s_waitcnt vmcnt(2) lgkmcnt(0)
	v_mul_f64 v[146:147], v[140:141], v[142:143]
	v_mul_f64 v[142:143], v[138:139], v[142:143]
	s_waitcnt vmcnt(0)
	v_fma_f64 v[138:139], v[138:139], v[144:145], -v[146:147]
	v_fma_f64 v[140:141], v[140:141], v[144:145], v[142:143]
	v_add_f64 v[1:2], v[1:2], v[138:139]
	v_add_f64 v[3:4], v[3:4], v[140:141]
	s_andn2_b32 exec_lo, exec_lo, s6
	s_cbranch_execnz .LBB126_1304
; %bb.1305:
	s_or_b32 exec_lo, exec_lo, s6
.LBB126_1306:
	s_or_b32 exec_lo, exec_lo, s5
	v_mov_b32_e32 v134, 0
	ds_read_b128 v[138:141], v134 offset:880
	s_waitcnt lgkmcnt(0)
	v_mul_f64 v[134:135], v[3:4], v[140:141]
	v_mul_f64 v[140:141], v[1:2], v[140:141]
	v_fma_f64 v[1:2], v[1:2], v[138:139], -v[134:135]
	v_fma_f64 v[3:4], v[3:4], v[138:139], v[140:141]
	buffer_store_dword v2, off, s[0:3], 0 offset:884
	buffer_store_dword v1, off, s[0:3], 0 offset:880
	;; [unrolled: 1-line block ×4, first 2 shown]
.LBB126_1307:
	s_or_b32 exec_lo, exec_lo, s4
	v_mov_b32_e32 v4, s15
	s_mov_b32 s4, exec_lo
	s_clause 0x3
	buffer_load_dword v1, v4, s[0:3], 0 offen
	buffer_load_dword v2, v4, s[0:3], 0 offen offset:4
	buffer_load_dword v3, v4, s[0:3], 0 offen offset:8
	;; [unrolled: 1-line block ×3, first 2 shown]
	s_waitcnt vmcnt(0)
	ds_write_b128 v132, v[1:4]
	s_waitcnt lgkmcnt(0)
	s_waitcnt_vscnt null, 0x0
	s_barrier
	buffer_gl0_inv
	v_cmpx_gt_u32_e32 56, v0
	s_cbranch_execz .LBB126_1315
; %bb.1308:
	ds_read_b128 v[1:4], v132
	v_cmp_ne_u32_e32 vcc_lo, 1, v133
	s_cbranch_vccnz .LBB126_1310
; %bb.1309:
	s_clause 0x3
	buffer_load_dword v134, v131, s[0:3], 0 offen offset:8
	buffer_load_dword v135, v131, s[0:3], 0 offen offset:12
	buffer_load_dword v138, v131, s[0:3], 0 offen
	buffer_load_dword v139, v131, s[0:3], 0 offen offset:4
	s_waitcnt vmcnt(2) lgkmcnt(0)
	v_mul_f64 v[140:141], v[3:4], v[134:135]
	v_mul_f64 v[134:135], v[1:2], v[134:135]
	s_waitcnt vmcnt(0)
	v_fma_f64 v[1:2], v[1:2], v[138:139], -v[140:141]
	v_fma_f64 v[3:4], v[3:4], v[138:139], v[134:135]
.LBB126_1310:
	s_mov_b32 s5, exec_lo
	v_cmpx_ne_u32_e32 55, v0
	s_cbranch_execz .LBB126_1314
; %bb.1311:
	v_or_b32_e32 v134, 0x400, v137
	v_add3_u32 v135, 0, v137, 16
	v_mov_b32_e32 v136, v0
	s_mov_b32 s6, 0
	.p2align	6
.LBB126_1312:                           ; =>This Inner Loop Header: Depth=1
	s_clause 0x3
	buffer_load_dword v142, v135, s[0:3], 0 offen offset:8
	buffer_load_dword v143, v135, s[0:3], 0 offen offset:12
	buffer_load_dword v144, v135, s[0:3], 0 offen
	buffer_load_dword v145, v135, s[0:3], 0 offen offset:4
	ds_read_b128 v[138:141], v134
	v_add_nc_u32_e32 v136, 1, v136
	v_add_nc_u32_e32 v134, 16, v134
	;; [unrolled: 1-line block ×3, first 2 shown]
	v_cmp_lt_u32_e32 vcc_lo, 54, v136
	s_or_b32 s6, vcc_lo, s6
	s_waitcnt vmcnt(2) lgkmcnt(0)
	v_mul_f64 v[146:147], v[140:141], v[142:143]
	v_mul_f64 v[142:143], v[138:139], v[142:143]
	s_waitcnt vmcnt(0)
	v_fma_f64 v[138:139], v[138:139], v[144:145], -v[146:147]
	v_fma_f64 v[140:141], v[140:141], v[144:145], v[142:143]
	v_add_f64 v[1:2], v[1:2], v[138:139]
	v_add_f64 v[3:4], v[3:4], v[140:141]
	s_andn2_b32 exec_lo, exec_lo, s6
	s_cbranch_execnz .LBB126_1312
; %bb.1313:
	s_or_b32 exec_lo, exec_lo, s6
.LBB126_1314:
	s_or_b32 exec_lo, exec_lo, s5
	v_mov_b32_e32 v134, 0
	ds_read_b128 v[138:141], v134 offset:896
	s_waitcnt lgkmcnt(0)
	v_mul_f64 v[134:135], v[3:4], v[140:141]
	v_mul_f64 v[140:141], v[1:2], v[140:141]
	v_fma_f64 v[1:2], v[1:2], v[138:139], -v[134:135]
	v_fma_f64 v[3:4], v[3:4], v[138:139], v[140:141]
	buffer_store_dword v2, off, s[0:3], 0 offset:900
	buffer_store_dword v1, off, s[0:3], 0 offset:896
	;; [unrolled: 1-line block ×4, first 2 shown]
.LBB126_1315:
	s_or_b32 exec_lo, exec_lo, s4
	v_mov_b32_e32 v4, s14
	s_mov_b32 s4, exec_lo
	s_clause 0x3
	buffer_load_dword v1, v4, s[0:3], 0 offen
	buffer_load_dword v2, v4, s[0:3], 0 offen offset:4
	buffer_load_dword v3, v4, s[0:3], 0 offen offset:8
	;; [unrolled: 1-line block ×3, first 2 shown]
	s_waitcnt vmcnt(0)
	ds_write_b128 v132, v[1:4]
	s_waitcnt lgkmcnt(0)
	s_waitcnt_vscnt null, 0x0
	s_barrier
	buffer_gl0_inv
	v_cmpx_gt_u32_e32 57, v0
	s_cbranch_execz .LBB126_1323
; %bb.1316:
	ds_read_b128 v[1:4], v132
	v_cmp_ne_u32_e32 vcc_lo, 1, v133
	s_cbranch_vccnz .LBB126_1318
; %bb.1317:
	s_clause 0x3
	buffer_load_dword v134, v131, s[0:3], 0 offen offset:8
	buffer_load_dword v135, v131, s[0:3], 0 offen offset:12
	buffer_load_dword v138, v131, s[0:3], 0 offen
	buffer_load_dword v139, v131, s[0:3], 0 offen offset:4
	s_waitcnt vmcnt(2) lgkmcnt(0)
	v_mul_f64 v[140:141], v[3:4], v[134:135]
	v_mul_f64 v[134:135], v[1:2], v[134:135]
	s_waitcnt vmcnt(0)
	v_fma_f64 v[1:2], v[1:2], v[138:139], -v[140:141]
	v_fma_f64 v[3:4], v[3:4], v[138:139], v[134:135]
.LBB126_1318:
	s_mov_b32 s5, exec_lo
	v_cmpx_ne_u32_e32 56, v0
	s_cbranch_execz .LBB126_1322
; %bb.1319:
	v_or_b32_e32 v134, 0x400, v137
	v_add3_u32 v135, 0, v137, 16
	v_mov_b32_e32 v136, v0
	s_mov_b32 s6, 0
	.p2align	6
.LBB126_1320:                           ; =>This Inner Loop Header: Depth=1
	s_clause 0x3
	buffer_load_dword v142, v135, s[0:3], 0 offen offset:8
	buffer_load_dword v143, v135, s[0:3], 0 offen offset:12
	buffer_load_dword v144, v135, s[0:3], 0 offen
	buffer_load_dword v145, v135, s[0:3], 0 offen offset:4
	ds_read_b128 v[138:141], v134
	v_add_nc_u32_e32 v136, 1, v136
	v_add_nc_u32_e32 v134, 16, v134
	;; [unrolled: 1-line block ×3, first 2 shown]
	v_cmp_lt_u32_e32 vcc_lo, 55, v136
	s_or_b32 s6, vcc_lo, s6
	s_waitcnt vmcnt(2) lgkmcnt(0)
	v_mul_f64 v[146:147], v[140:141], v[142:143]
	v_mul_f64 v[142:143], v[138:139], v[142:143]
	s_waitcnt vmcnt(0)
	v_fma_f64 v[138:139], v[138:139], v[144:145], -v[146:147]
	v_fma_f64 v[140:141], v[140:141], v[144:145], v[142:143]
	v_add_f64 v[1:2], v[1:2], v[138:139]
	v_add_f64 v[3:4], v[3:4], v[140:141]
	s_andn2_b32 exec_lo, exec_lo, s6
	s_cbranch_execnz .LBB126_1320
; %bb.1321:
	s_or_b32 exec_lo, exec_lo, s6
.LBB126_1322:
	s_or_b32 exec_lo, exec_lo, s5
	v_mov_b32_e32 v134, 0
	ds_read_b128 v[138:141], v134 offset:912
	s_waitcnt lgkmcnt(0)
	v_mul_f64 v[134:135], v[3:4], v[140:141]
	v_mul_f64 v[140:141], v[1:2], v[140:141]
	v_fma_f64 v[1:2], v[1:2], v[138:139], -v[134:135]
	v_fma_f64 v[3:4], v[3:4], v[138:139], v[140:141]
	buffer_store_dword v2, off, s[0:3], 0 offset:916
	buffer_store_dword v1, off, s[0:3], 0 offset:912
	;; [unrolled: 1-line block ×4, first 2 shown]
.LBB126_1323:
	s_or_b32 exec_lo, exec_lo, s4
	v_mov_b32_e32 v4, s13
	s_mov_b32 s4, exec_lo
	s_clause 0x3
	buffer_load_dword v1, v4, s[0:3], 0 offen
	buffer_load_dword v2, v4, s[0:3], 0 offen offset:4
	buffer_load_dword v3, v4, s[0:3], 0 offen offset:8
	;; [unrolled: 1-line block ×3, first 2 shown]
	s_waitcnt vmcnt(0)
	ds_write_b128 v132, v[1:4]
	s_waitcnt lgkmcnt(0)
	s_waitcnt_vscnt null, 0x0
	s_barrier
	buffer_gl0_inv
	v_cmpx_gt_u32_e32 58, v0
	s_cbranch_execz .LBB126_1331
; %bb.1324:
	ds_read_b128 v[1:4], v132
	v_cmp_ne_u32_e32 vcc_lo, 1, v133
	s_cbranch_vccnz .LBB126_1326
; %bb.1325:
	s_clause 0x3
	buffer_load_dword v134, v131, s[0:3], 0 offen offset:8
	buffer_load_dword v135, v131, s[0:3], 0 offen offset:12
	buffer_load_dword v138, v131, s[0:3], 0 offen
	buffer_load_dword v139, v131, s[0:3], 0 offen offset:4
	s_waitcnt vmcnt(2) lgkmcnt(0)
	v_mul_f64 v[140:141], v[3:4], v[134:135]
	v_mul_f64 v[134:135], v[1:2], v[134:135]
	s_waitcnt vmcnt(0)
	v_fma_f64 v[1:2], v[1:2], v[138:139], -v[140:141]
	v_fma_f64 v[3:4], v[3:4], v[138:139], v[134:135]
.LBB126_1326:
	s_mov_b32 s5, exec_lo
	v_cmpx_ne_u32_e32 57, v0
	s_cbranch_execz .LBB126_1330
; %bb.1327:
	v_or_b32_e32 v134, 0x400, v137
	v_add3_u32 v135, 0, v137, 16
	v_mov_b32_e32 v136, v0
	s_mov_b32 s6, 0
	.p2align	6
.LBB126_1328:                           ; =>This Inner Loop Header: Depth=1
	s_clause 0x3
	buffer_load_dword v142, v135, s[0:3], 0 offen offset:8
	buffer_load_dword v143, v135, s[0:3], 0 offen offset:12
	buffer_load_dword v144, v135, s[0:3], 0 offen
	buffer_load_dword v145, v135, s[0:3], 0 offen offset:4
	ds_read_b128 v[138:141], v134
	v_add_nc_u32_e32 v136, 1, v136
	v_add_nc_u32_e32 v134, 16, v134
	;; [unrolled: 1-line block ×3, first 2 shown]
	v_cmp_lt_u32_e32 vcc_lo, 56, v136
	s_or_b32 s6, vcc_lo, s6
	s_waitcnt vmcnt(2) lgkmcnt(0)
	v_mul_f64 v[146:147], v[140:141], v[142:143]
	v_mul_f64 v[142:143], v[138:139], v[142:143]
	s_waitcnt vmcnt(0)
	v_fma_f64 v[138:139], v[138:139], v[144:145], -v[146:147]
	v_fma_f64 v[140:141], v[140:141], v[144:145], v[142:143]
	v_add_f64 v[1:2], v[1:2], v[138:139]
	v_add_f64 v[3:4], v[3:4], v[140:141]
	s_andn2_b32 exec_lo, exec_lo, s6
	s_cbranch_execnz .LBB126_1328
; %bb.1329:
	s_or_b32 exec_lo, exec_lo, s6
.LBB126_1330:
	s_or_b32 exec_lo, exec_lo, s5
	v_mov_b32_e32 v134, 0
	ds_read_b128 v[138:141], v134 offset:928
	s_waitcnt lgkmcnt(0)
	v_mul_f64 v[134:135], v[3:4], v[140:141]
	v_mul_f64 v[140:141], v[1:2], v[140:141]
	v_fma_f64 v[1:2], v[1:2], v[138:139], -v[134:135]
	v_fma_f64 v[3:4], v[3:4], v[138:139], v[140:141]
	buffer_store_dword v2, off, s[0:3], 0 offset:932
	buffer_store_dword v1, off, s[0:3], 0 offset:928
	;; [unrolled: 1-line block ×4, first 2 shown]
.LBB126_1331:
	s_or_b32 exec_lo, exec_lo, s4
	v_mov_b32_e32 v4, s12
	s_mov_b32 s4, exec_lo
	s_clause 0x3
	buffer_load_dword v1, v4, s[0:3], 0 offen
	buffer_load_dword v2, v4, s[0:3], 0 offen offset:4
	buffer_load_dword v3, v4, s[0:3], 0 offen offset:8
	;; [unrolled: 1-line block ×3, first 2 shown]
	s_waitcnt vmcnt(0)
	ds_write_b128 v132, v[1:4]
	s_waitcnt lgkmcnt(0)
	s_waitcnt_vscnt null, 0x0
	s_barrier
	buffer_gl0_inv
	v_cmpx_gt_u32_e32 59, v0
	s_cbranch_execz .LBB126_1339
; %bb.1332:
	ds_read_b128 v[1:4], v132
	v_cmp_ne_u32_e32 vcc_lo, 1, v133
	s_cbranch_vccnz .LBB126_1334
; %bb.1333:
	s_clause 0x3
	buffer_load_dword v134, v131, s[0:3], 0 offen offset:8
	buffer_load_dword v135, v131, s[0:3], 0 offen offset:12
	buffer_load_dword v138, v131, s[0:3], 0 offen
	buffer_load_dword v139, v131, s[0:3], 0 offen offset:4
	s_waitcnt vmcnt(2) lgkmcnt(0)
	v_mul_f64 v[140:141], v[3:4], v[134:135]
	v_mul_f64 v[134:135], v[1:2], v[134:135]
	s_waitcnt vmcnt(0)
	v_fma_f64 v[1:2], v[1:2], v[138:139], -v[140:141]
	v_fma_f64 v[3:4], v[3:4], v[138:139], v[134:135]
.LBB126_1334:
	s_mov_b32 s5, exec_lo
	v_cmpx_ne_u32_e32 58, v0
	s_cbranch_execz .LBB126_1338
; %bb.1335:
	v_or_b32_e32 v134, 0x400, v137
	v_add3_u32 v135, 0, v137, 16
	v_mov_b32_e32 v136, v0
	s_mov_b32 s6, 0
	.p2align	6
.LBB126_1336:                           ; =>This Inner Loop Header: Depth=1
	s_clause 0x3
	buffer_load_dword v142, v135, s[0:3], 0 offen offset:8
	buffer_load_dword v143, v135, s[0:3], 0 offen offset:12
	buffer_load_dword v144, v135, s[0:3], 0 offen
	buffer_load_dword v145, v135, s[0:3], 0 offen offset:4
	ds_read_b128 v[138:141], v134
	v_add_nc_u32_e32 v136, 1, v136
	v_add_nc_u32_e32 v134, 16, v134
	v_add_nc_u32_e32 v135, 16, v135
	v_cmp_lt_u32_e32 vcc_lo, 57, v136
	s_or_b32 s6, vcc_lo, s6
	s_waitcnt vmcnt(2) lgkmcnt(0)
	v_mul_f64 v[146:147], v[140:141], v[142:143]
	v_mul_f64 v[142:143], v[138:139], v[142:143]
	s_waitcnt vmcnt(0)
	v_fma_f64 v[138:139], v[138:139], v[144:145], -v[146:147]
	v_fma_f64 v[140:141], v[140:141], v[144:145], v[142:143]
	v_add_f64 v[1:2], v[1:2], v[138:139]
	v_add_f64 v[3:4], v[3:4], v[140:141]
	s_andn2_b32 exec_lo, exec_lo, s6
	s_cbranch_execnz .LBB126_1336
; %bb.1337:
	s_or_b32 exec_lo, exec_lo, s6
.LBB126_1338:
	s_or_b32 exec_lo, exec_lo, s5
	v_mov_b32_e32 v134, 0
	ds_read_b128 v[138:141], v134 offset:944
	s_waitcnt lgkmcnt(0)
	v_mul_f64 v[134:135], v[3:4], v[140:141]
	v_mul_f64 v[140:141], v[1:2], v[140:141]
	v_fma_f64 v[1:2], v[1:2], v[138:139], -v[134:135]
	v_fma_f64 v[3:4], v[3:4], v[138:139], v[140:141]
	buffer_store_dword v2, off, s[0:3], 0 offset:948
	buffer_store_dword v1, off, s[0:3], 0 offset:944
	;; [unrolled: 1-line block ×4, first 2 shown]
.LBB126_1339:
	s_or_b32 exec_lo, exec_lo, s4
	v_mov_b32_e32 v4, s11
	s_mov_b32 s4, exec_lo
	s_clause 0x3
	buffer_load_dword v1, v4, s[0:3], 0 offen
	buffer_load_dword v2, v4, s[0:3], 0 offen offset:4
	buffer_load_dword v3, v4, s[0:3], 0 offen offset:8
	;; [unrolled: 1-line block ×3, first 2 shown]
	s_waitcnt vmcnt(0)
	ds_write_b128 v132, v[1:4]
	s_waitcnt lgkmcnt(0)
	s_waitcnt_vscnt null, 0x0
	s_barrier
	buffer_gl0_inv
	v_cmpx_gt_u32_e32 60, v0
	s_cbranch_execz .LBB126_1347
; %bb.1340:
	ds_read_b128 v[1:4], v132
	v_cmp_ne_u32_e32 vcc_lo, 1, v133
	s_cbranch_vccnz .LBB126_1342
; %bb.1341:
	s_clause 0x3
	buffer_load_dword v134, v131, s[0:3], 0 offen offset:8
	buffer_load_dword v135, v131, s[0:3], 0 offen offset:12
	buffer_load_dword v138, v131, s[0:3], 0 offen
	buffer_load_dword v139, v131, s[0:3], 0 offen offset:4
	s_waitcnt vmcnt(2) lgkmcnt(0)
	v_mul_f64 v[140:141], v[3:4], v[134:135]
	v_mul_f64 v[134:135], v[1:2], v[134:135]
	s_waitcnt vmcnt(0)
	v_fma_f64 v[1:2], v[1:2], v[138:139], -v[140:141]
	v_fma_f64 v[3:4], v[3:4], v[138:139], v[134:135]
.LBB126_1342:
	s_mov_b32 s5, exec_lo
	v_cmpx_ne_u32_e32 59, v0
	s_cbranch_execz .LBB126_1346
; %bb.1343:
	v_or_b32_e32 v134, 0x400, v137
	v_add3_u32 v135, 0, v137, 16
	v_mov_b32_e32 v136, v0
	s_mov_b32 s6, 0
	.p2align	6
.LBB126_1344:                           ; =>This Inner Loop Header: Depth=1
	s_clause 0x3
	buffer_load_dword v142, v135, s[0:3], 0 offen offset:8
	buffer_load_dword v143, v135, s[0:3], 0 offen offset:12
	buffer_load_dword v144, v135, s[0:3], 0 offen
	buffer_load_dword v145, v135, s[0:3], 0 offen offset:4
	ds_read_b128 v[138:141], v134
	v_add_nc_u32_e32 v136, 1, v136
	v_add_nc_u32_e32 v134, 16, v134
	;; [unrolled: 1-line block ×3, first 2 shown]
	v_cmp_lt_u32_e32 vcc_lo, 58, v136
	s_or_b32 s6, vcc_lo, s6
	s_waitcnt vmcnt(2) lgkmcnt(0)
	v_mul_f64 v[146:147], v[140:141], v[142:143]
	v_mul_f64 v[142:143], v[138:139], v[142:143]
	s_waitcnt vmcnt(0)
	v_fma_f64 v[138:139], v[138:139], v[144:145], -v[146:147]
	v_fma_f64 v[140:141], v[140:141], v[144:145], v[142:143]
	v_add_f64 v[1:2], v[1:2], v[138:139]
	v_add_f64 v[3:4], v[3:4], v[140:141]
	s_andn2_b32 exec_lo, exec_lo, s6
	s_cbranch_execnz .LBB126_1344
; %bb.1345:
	s_or_b32 exec_lo, exec_lo, s6
.LBB126_1346:
	s_or_b32 exec_lo, exec_lo, s5
	v_mov_b32_e32 v134, 0
	ds_read_b128 v[138:141], v134 offset:960
	s_waitcnt lgkmcnt(0)
	v_mul_f64 v[134:135], v[3:4], v[140:141]
	v_mul_f64 v[140:141], v[1:2], v[140:141]
	v_fma_f64 v[1:2], v[1:2], v[138:139], -v[134:135]
	v_fma_f64 v[3:4], v[3:4], v[138:139], v[140:141]
	buffer_store_dword v2, off, s[0:3], 0 offset:964
	buffer_store_dword v1, off, s[0:3], 0 offset:960
	;; [unrolled: 1-line block ×4, first 2 shown]
.LBB126_1347:
	s_or_b32 exec_lo, exec_lo, s4
	v_mov_b32_e32 v4, s10
	v_cmp_gt_u32_e64 s4, 61, v0
	s_clause 0x3
	buffer_load_dword v1, v4, s[0:3], 0 offen
	buffer_load_dword v2, v4, s[0:3], 0 offen offset:4
	buffer_load_dword v3, v4, s[0:3], 0 offen offset:8
	;; [unrolled: 1-line block ×3, first 2 shown]
	s_waitcnt vmcnt(0)
	ds_write_b128 v132, v[1:4]
	s_waitcnt lgkmcnt(0)
	s_waitcnt_vscnt null, 0x0
	s_barrier
	buffer_gl0_inv
	s_and_saveexec_b32 s5, s4
	s_cbranch_execz .LBB126_1355
; %bb.1348:
	ds_read_b128 v[1:4], v132
	v_cmp_ne_u32_e32 vcc_lo, 1, v133
	s_cbranch_vccnz .LBB126_1350
; %bb.1349:
	s_clause 0x3
	buffer_load_dword v134, v131, s[0:3], 0 offen offset:8
	buffer_load_dword v135, v131, s[0:3], 0 offen offset:12
	buffer_load_dword v138, v131, s[0:3], 0 offen
	buffer_load_dword v139, v131, s[0:3], 0 offen offset:4
	s_waitcnt vmcnt(2) lgkmcnt(0)
	v_mul_f64 v[140:141], v[3:4], v[134:135]
	v_mul_f64 v[134:135], v[1:2], v[134:135]
	s_waitcnt vmcnt(0)
	v_fma_f64 v[1:2], v[1:2], v[138:139], -v[140:141]
	v_fma_f64 v[3:4], v[3:4], v[138:139], v[134:135]
.LBB126_1350:
	s_mov_b32 s6, exec_lo
	v_cmpx_ne_u32_e32 60, v0
	s_cbranch_execz .LBB126_1354
; %bb.1351:
	v_or_b32_e32 v134, 0x400, v137
	v_add3_u32 v135, 0, v137, 16
	v_mov_b32_e32 v136, v0
	s_mov_b32 s7, 0
	.p2align	6
.LBB126_1352:                           ; =>This Inner Loop Header: Depth=1
	s_clause 0x3
	buffer_load_dword v142, v135, s[0:3], 0 offen offset:8
	buffer_load_dword v143, v135, s[0:3], 0 offen offset:12
	buffer_load_dword v144, v135, s[0:3], 0 offen
	buffer_load_dword v145, v135, s[0:3], 0 offen offset:4
	ds_read_b128 v[138:141], v134
	v_add_nc_u32_e32 v136, 1, v136
	v_add_nc_u32_e32 v134, 16, v134
	;; [unrolled: 1-line block ×3, first 2 shown]
	v_cmp_lt_u32_e32 vcc_lo, 59, v136
	s_or_b32 s7, vcc_lo, s7
	s_waitcnt vmcnt(2) lgkmcnt(0)
	v_mul_f64 v[146:147], v[140:141], v[142:143]
	v_mul_f64 v[142:143], v[138:139], v[142:143]
	s_waitcnt vmcnt(0)
	v_fma_f64 v[138:139], v[138:139], v[144:145], -v[146:147]
	v_fma_f64 v[140:141], v[140:141], v[144:145], v[142:143]
	v_add_f64 v[1:2], v[1:2], v[138:139]
	v_add_f64 v[3:4], v[3:4], v[140:141]
	s_andn2_b32 exec_lo, exec_lo, s7
	s_cbranch_execnz .LBB126_1352
; %bb.1353:
	s_or_b32 exec_lo, exec_lo, s7
.LBB126_1354:
	s_or_b32 exec_lo, exec_lo, s6
	v_mov_b32_e32 v134, 0
	ds_read_b128 v[138:141], v134 offset:976
	s_waitcnt lgkmcnt(0)
	v_mul_f64 v[134:135], v[3:4], v[140:141]
	v_mul_f64 v[140:141], v[1:2], v[140:141]
	v_fma_f64 v[1:2], v[1:2], v[138:139], -v[134:135]
	v_fma_f64 v[3:4], v[3:4], v[138:139], v[140:141]
	buffer_store_dword v2, off, s[0:3], 0 offset:980
	buffer_store_dword v1, off, s[0:3], 0 offset:976
	buffer_store_dword v4, off, s[0:3], 0 offset:988
	buffer_store_dword v3, off, s[0:3], 0 offset:984
.LBB126_1355:
	s_or_b32 exec_lo, exec_lo, s5
	v_mov_b32_e32 v4, s9
	s_mov_b32 s5, exec_lo
                                        ; implicit-def: $sgpr72
	s_clause 0x3
	buffer_load_dword v1, v4, s[0:3], 0 offen
	buffer_load_dword v2, v4, s[0:3], 0 offen offset:4
	buffer_load_dword v3, v4, s[0:3], 0 offen offset:8
	;; [unrolled: 1-line block ×3, first 2 shown]
	s_waitcnt vmcnt(0)
	ds_write_b128 v132, v[1:4]
	s_waitcnt lgkmcnt(0)
	s_waitcnt_vscnt null, 0x0
	s_barrier
	buffer_gl0_inv
                                        ; implicit-def: $vgpr1_vgpr2
	v_cmpx_ne_u32_e32 62, v0
	s_cbranch_execz .LBB126_1363
; %bb.1356:
	ds_read_b128 v[1:4], v132
	v_cmp_ne_u32_e32 vcc_lo, 1, v133
	s_cbranch_vccnz .LBB126_1358
; %bb.1357:
	s_clause 0x3
	buffer_load_dword v132, v131, s[0:3], 0 offen offset:8
	buffer_load_dword v133, v131, s[0:3], 0 offen offset:12
	buffer_load_dword v134, v131, s[0:3], 0 offen
	buffer_load_dword v135, v131, s[0:3], 0 offen offset:4
	s_waitcnt vmcnt(2) lgkmcnt(0)
	v_mul_f64 v[138:139], v[3:4], v[132:133]
	v_mul_f64 v[131:132], v[1:2], v[132:133]
	s_waitcnt vmcnt(0)
	v_fma_f64 v[1:2], v[1:2], v[134:135], -v[138:139]
	v_fma_f64 v[3:4], v[3:4], v[134:135], v[131:132]
.LBB126_1358:
	s_and_saveexec_b32 s6, s4
	s_cbranch_execz .LBB126_1362
; %bb.1359:
	v_or_b32_e32 v131, 0x400, v137
	v_add3_u32 v132, 0, v137, 16
	s_mov_b32 s4, 0
	.p2align	6
.LBB126_1360:                           ; =>This Inner Loop Header: Depth=1
	s_clause 0x3
	buffer_load_dword v137, v132, s[0:3], 0 offen offset:8
	buffer_load_dword v138, v132, s[0:3], 0 offen offset:12
	buffer_load_dword v139, v132, s[0:3], 0 offen
	buffer_load_dword v140, v132, s[0:3], 0 offen offset:4
	ds_read_b128 v[133:136], v131
	v_add_nc_u32_e32 v0, 1, v0
	v_add_nc_u32_e32 v131, 16, v131
	;; [unrolled: 1-line block ×3, first 2 shown]
	v_cmp_lt_u32_e32 vcc_lo, 60, v0
	s_or_b32 s4, vcc_lo, s4
	s_waitcnt vmcnt(2) lgkmcnt(0)
	v_mul_f64 v[141:142], v[135:136], v[137:138]
	v_mul_f64 v[137:138], v[133:134], v[137:138]
	s_waitcnt vmcnt(0)
	v_fma_f64 v[133:134], v[133:134], v[139:140], -v[141:142]
	v_fma_f64 v[135:136], v[135:136], v[139:140], v[137:138]
	v_add_f64 v[1:2], v[1:2], v[133:134]
	v_add_f64 v[3:4], v[3:4], v[135:136]
	s_andn2_b32 exec_lo, exec_lo, s4
	s_cbranch_execnz .LBB126_1360
; %bb.1361:
	s_or_b32 exec_lo, exec_lo, s4
.LBB126_1362:
	s_or_b32 exec_lo, exec_lo, s6
	v_mov_b32_e32 v0, 0
	s_movk_i32 s72, 0x3e8
	s_or_b32 s8, s8, exec_lo
	ds_read_b128 v[131:134], v0 offset:992
	s_waitcnt lgkmcnt(0)
	v_mul_f64 v[135:136], v[3:4], v[133:134]
	v_mul_f64 v[133:134], v[1:2], v[133:134]
	v_fma_f64 v[135:136], v[1:2], v[131:132], -v[135:136]
	v_fma_f64 v[1:2], v[3:4], v[131:132], v[133:134]
	buffer_store_dword v136, off, s[0:3], 0 offset:996
	buffer_store_dword v135, off, s[0:3], 0 offset:992
.LBB126_1363:
	s_or_b32 exec_lo, exec_lo, s5
.LBB126_1364:
	s_and_saveexec_b32 s4, s8
	s_cbranch_execz .LBB126_1366
; %bb.1365:
	v_mov_b32_e32 v0, s72
	buffer_store_dword v2, v0, s[0:3], 0 offen offset:4
	buffer_store_dword v1, v0, s[0:3], 0 offen
.LBB126_1366:
	s_or_b32 exec_lo, exec_lo, s4
	s_clause 0x3
	buffer_load_dword v0, off, s[0:3], 0
	buffer_load_dword v1, off, s[0:3], 0 offset:4
	buffer_load_dword v2, off, s[0:3], 0 offset:8
	;; [unrolled: 1-line block ×3, first 2 shown]
	v_mov_b32_e32 v4, s71
	s_waitcnt vmcnt(0)
	flat_store_dwordx4 v[5:6], v[0:3]
	s_clause 0x3
	buffer_load_dword v0, v4, s[0:3], 0 offen
	buffer_load_dword v1, v4, s[0:3], 0 offen offset:4
	buffer_load_dword v2, v4, s[0:3], 0 offen offset:8
	buffer_load_dword v3, v4, s[0:3], 0 offen offset:12
	v_mov_b32_e32 v4, s70
	s_waitcnt vmcnt(0)
	flat_store_dwordx4 v[59:60], v[0:3]
	s_clause 0x3
	buffer_load_dword v0, v4, s[0:3], 0 offen
	buffer_load_dword v1, v4, s[0:3], 0 offen offset:4
	buffer_load_dword v2, v4, s[0:3], 0 offen offset:8
	buffer_load_dword v3, v4, s[0:3], 0 offen offset:12
	;; [unrolled: 8-line block ×62, first 2 shown]
	s_waitcnt vmcnt(0)
	flat_store_dwordx4 v[129:130], v[0:3]
.LBB126_1367:
	s_endpgm
	.section	.rodata,"a",@progbits
	.p2align	6, 0x0
	.amdhsa_kernel _ZN9rocsolver6v33100L18trti2_kernel_smallILi63E19rocblas_complex_numIdEPKPS3_EEv13rocblas_fill_17rocblas_diagonal_T1_iil
		.amdhsa_group_segment_fixed_size 2016
		.amdhsa_private_segment_fixed_size 1024
		.amdhsa_kernarg_size 32
		.amdhsa_user_sgpr_count 6
		.amdhsa_user_sgpr_private_segment_buffer 1
		.amdhsa_user_sgpr_dispatch_ptr 0
		.amdhsa_user_sgpr_queue_ptr 0
		.amdhsa_user_sgpr_kernarg_segment_ptr 1
		.amdhsa_user_sgpr_dispatch_id 0
		.amdhsa_user_sgpr_flat_scratch_init 0
		.amdhsa_user_sgpr_private_segment_size 0
		.amdhsa_wavefront_size32 1
		.amdhsa_uses_dynamic_stack 0
		.amdhsa_system_sgpr_private_segment_wavefront_offset 1
		.amdhsa_system_sgpr_workgroup_id_x 1
		.amdhsa_system_sgpr_workgroup_id_y 0
		.amdhsa_system_sgpr_workgroup_id_z 0
		.amdhsa_system_sgpr_workgroup_info 0
		.amdhsa_system_vgpr_workitem_id 0
		.amdhsa_next_free_vgpr 189
		.amdhsa_next_free_sgpr 100
		.amdhsa_reserve_vcc 1
		.amdhsa_reserve_flat_scratch 0
		.amdhsa_float_round_mode_32 0
		.amdhsa_float_round_mode_16_64 0
		.amdhsa_float_denorm_mode_32 3
		.amdhsa_float_denorm_mode_16_64 3
		.amdhsa_dx10_clamp 1
		.amdhsa_ieee_mode 1
		.amdhsa_fp16_overflow 0
		.amdhsa_workgroup_processor_mode 1
		.amdhsa_memory_ordered 1
		.amdhsa_forward_progress 1
		.amdhsa_shared_vgpr_count 0
		.amdhsa_exception_fp_ieee_invalid_op 0
		.amdhsa_exception_fp_denorm_src 0
		.amdhsa_exception_fp_ieee_div_zero 0
		.amdhsa_exception_fp_ieee_overflow 0
		.amdhsa_exception_fp_ieee_underflow 0
		.amdhsa_exception_fp_ieee_inexact 0
		.amdhsa_exception_int_div_zero 0
	.end_amdhsa_kernel
	.section	.text._ZN9rocsolver6v33100L18trti2_kernel_smallILi63E19rocblas_complex_numIdEPKPS3_EEv13rocblas_fill_17rocblas_diagonal_T1_iil,"axG",@progbits,_ZN9rocsolver6v33100L18trti2_kernel_smallILi63E19rocblas_complex_numIdEPKPS3_EEv13rocblas_fill_17rocblas_diagonal_T1_iil,comdat
.Lfunc_end126:
	.size	_ZN9rocsolver6v33100L18trti2_kernel_smallILi63E19rocblas_complex_numIdEPKPS3_EEv13rocblas_fill_17rocblas_diagonal_T1_iil, .Lfunc_end126-_ZN9rocsolver6v33100L18trti2_kernel_smallILi63E19rocblas_complex_numIdEPKPS3_EEv13rocblas_fill_17rocblas_diagonal_T1_iil
                                        ; -- End function
	.set _ZN9rocsolver6v33100L18trti2_kernel_smallILi63E19rocblas_complex_numIdEPKPS3_EEv13rocblas_fill_17rocblas_diagonal_T1_iil.num_vgpr, 189
	.set _ZN9rocsolver6v33100L18trti2_kernel_smallILi63E19rocblas_complex_numIdEPKPS3_EEv13rocblas_fill_17rocblas_diagonal_T1_iil.num_agpr, 0
	.set _ZN9rocsolver6v33100L18trti2_kernel_smallILi63E19rocblas_complex_numIdEPKPS3_EEv13rocblas_fill_17rocblas_diagonal_T1_iil.numbered_sgpr, 100
	.set _ZN9rocsolver6v33100L18trti2_kernel_smallILi63E19rocblas_complex_numIdEPKPS3_EEv13rocblas_fill_17rocblas_diagonal_T1_iil.num_named_barrier, 0
	.set _ZN9rocsolver6v33100L18trti2_kernel_smallILi63E19rocblas_complex_numIdEPKPS3_EEv13rocblas_fill_17rocblas_diagonal_T1_iil.private_seg_size, 1024
	.set _ZN9rocsolver6v33100L18trti2_kernel_smallILi63E19rocblas_complex_numIdEPKPS3_EEv13rocblas_fill_17rocblas_diagonal_T1_iil.uses_vcc, 1
	.set _ZN9rocsolver6v33100L18trti2_kernel_smallILi63E19rocblas_complex_numIdEPKPS3_EEv13rocblas_fill_17rocblas_diagonal_T1_iil.uses_flat_scratch, 0
	.set _ZN9rocsolver6v33100L18trti2_kernel_smallILi63E19rocblas_complex_numIdEPKPS3_EEv13rocblas_fill_17rocblas_diagonal_T1_iil.has_dyn_sized_stack, 0
	.set _ZN9rocsolver6v33100L18trti2_kernel_smallILi63E19rocblas_complex_numIdEPKPS3_EEv13rocblas_fill_17rocblas_diagonal_T1_iil.has_recursion, 0
	.set _ZN9rocsolver6v33100L18trti2_kernel_smallILi63E19rocblas_complex_numIdEPKPS3_EEv13rocblas_fill_17rocblas_diagonal_T1_iil.has_indirect_call, 0
	.section	.AMDGPU.csdata,"",@progbits
; Kernel info:
; codeLenInByte = 118848
; TotalNumSgprs: 102
; NumVgprs: 189
; ScratchSize: 1024
; MemoryBound: 0
; FloatMode: 240
; IeeeMode: 1
; LDSByteSize: 2016 bytes/workgroup (compile time only)
; SGPRBlocks: 0
; VGPRBlocks: 23
; NumSGPRsForWavesPerEU: 102
; NumVGPRsForWavesPerEU: 189
; Occupancy: 5
; WaveLimiterHint : 1
; COMPUTE_PGM_RSRC2:SCRATCH_EN: 1
; COMPUTE_PGM_RSRC2:USER_SGPR: 6
; COMPUTE_PGM_RSRC2:TRAP_HANDLER: 0
; COMPUTE_PGM_RSRC2:TGID_X_EN: 1
; COMPUTE_PGM_RSRC2:TGID_Y_EN: 0
; COMPUTE_PGM_RSRC2:TGID_Z_EN: 0
; COMPUTE_PGM_RSRC2:TIDIG_COMP_CNT: 0
	.section	.text._ZN9rocsolver6v33100L18trti2_kernel_smallILi64E19rocblas_complex_numIdEPKPS3_EEv13rocblas_fill_17rocblas_diagonal_T1_iil,"axG",@progbits,_ZN9rocsolver6v33100L18trti2_kernel_smallILi64E19rocblas_complex_numIdEPKPS3_EEv13rocblas_fill_17rocblas_diagonal_T1_iil,comdat
	.globl	_ZN9rocsolver6v33100L18trti2_kernel_smallILi64E19rocblas_complex_numIdEPKPS3_EEv13rocblas_fill_17rocblas_diagonal_T1_iil ; -- Begin function _ZN9rocsolver6v33100L18trti2_kernel_smallILi64E19rocblas_complex_numIdEPKPS3_EEv13rocblas_fill_17rocblas_diagonal_T1_iil
	.p2align	8
	.type	_ZN9rocsolver6v33100L18trti2_kernel_smallILi64E19rocblas_complex_numIdEPKPS3_EEv13rocblas_fill_17rocblas_diagonal_T1_iil,@function
_ZN9rocsolver6v33100L18trti2_kernel_smallILi64E19rocblas_complex_numIdEPKPS3_EEv13rocblas_fill_17rocblas_diagonal_T1_iil: ; @_ZN9rocsolver6v33100L18trti2_kernel_smallILi64E19rocblas_complex_numIdEPKPS3_EEv13rocblas_fill_17rocblas_diagonal_T1_iil
; %bb.0:
	s_add_u32 s0, s0, s7
	s_addc_u32 s1, s1, 0
	s_mov_b32 s7, exec_lo
	v_cmpx_gt_u32_e32 64, v0
	s_cbranch_execz .LBB127_1389
; %bb.1:
	s_clause 0x1
	s_load_dwordx2 s[12:13], s[4:5], 0x10
	s_load_dwordx4 s[8:11], s[4:5], 0x0
	s_ashr_i32 s7, s6, 31
	v_lshlrev_b32_e32 v139, 4, v0
	s_lshl_b64 s[4:5], s[6:7], 3
	s_movk_i32 s14, 0xc0
	s_movk_i32 s15, 0xd0
	;; [unrolled: 1-line block ×15, first 2 shown]
	s_waitcnt lgkmcnt(0)
	s_ashr_i32 s7, s12, 31
	s_add_u32 s4, s10, s4
	s_addc_u32 s5, s11, s5
	s_mov_b32 s6, s12
	s_load_dwordx2 s[4:5], s[4:5], 0x0
	s_lshl_b64 s[6:7], s[6:7], 4
	v_add3_u32 v7, s13, s13, v0
	s_movk_i32 s10, 0x80
	s_movk_i32 s11, 0x90
	;; [unrolled: 1-line block ×4, first 2 shown]
	v_ashrrev_i32_e32 v8, 31, v7
	s_movk_i32 s30, 0x1c0
	s_movk_i32 s31, 0x1d0
	;; [unrolled: 1-line block ×4, first 2 shown]
	v_lshlrev_b64 v[8:9], 4, v[7:8]
	v_add_nc_u32_e32 v7, s13, v7
	s_movk_i32 s35, 0x200
	s_movk_i32 s36, 0x210
	;; [unrolled: 1-line block ×6, first 2 shown]
	s_waitcnt lgkmcnt(0)
	s_add_u32 s6, s4, s6
	s_addc_u32 s7, s5, s7
	v_add_co_u32 v5, s4, s6, v139
	v_add_co_ci_u32_e64 v6, null, s7, 0, s4
	s_mov_b32 s4, s13
	s_ashr_i32 s5, s13, 31
	s_movk_i32 s75, 0x260
	flat_load_dwordx4 v[1:4], v[5:6]
	s_lshl_b64 s[4:5], s[4:5], 4
	s_cmpk_lg_i32 s9, 0x84
	v_add_co_u32 v59, vcc_lo, v5, s4
	v_add_co_ci_u32_e64 v60, null, s5, v6, vcc_lo
	v_add_co_u32 v57, vcc_lo, s6, v8
	v_add_co_ci_u32_e64 v58, null, s7, v9, vcc_lo
	v_ashrrev_i32_e32 v8, 31, v7
	s_movk_i32 s4, 0x50
	s_movk_i32 s5, 0x60
	s_movk_i32 s76, 0x270
	s_movk_i32 s77, 0x280
	v_lshlrev_b64 v[8:9], 4, v[7:8]
	v_add_nc_u32_e32 v7, s13, v7
	s_movk_i32 s78, 0x290
	s_movk_i32 s79, 0x2a0
	s_movk_i32 s80, 0x2b0
	s_movk_i32 s81, 0x2c0
	v_add_co_u32 v55, vcc_lo, s6, v8
	v_add_co_ci_u32_e64 v56, null, s7, v9, vcc_lo
	v_ashrrev_i32_e32 v8, 31, v7
	s_movk_i32 s82, 0x2d0
	s_movk_i32 s83, 0x2e0
	s_movk_i32 s84, 0x2f0
	s_movk_i32 s85, 0x300
	v_lshlrev_b64 v[8:9], 4, v[7:8]
	v_add_nc_u32_e32 v7, s13, v7
	s_movk_i32 s86, 0x310
	s_movk_i32 s87, 0x320
	s_movk_i32 s88, 0x330
	s_movk_i32 s89, 0x340
	;; [unrolled: 13-line block ×3, first 2 shown]
	v_add_co_u32 v49, vcc_lo, s6, v8
	v_add_co_ci_u32_e64 v50, null, s7, v9, vcc_lo
	v_ashrrev_i32_e32 v8, 31, v7
	s_movk_i32 s98, 0x3d0
	s_movk_i32 s99, 0x3e0
	;; [unrolled: 1-line block ×3, first 2 shown]
	s_waitcnt vmcnt(0) lgkmcnt(0)
	buffer_store_dword v4, off, s[0:3], 0 offset:12
	buffer_store_dword v3, off, s[0:3], 0 offset:8
	;; [unrolled: 1-line block ×3, first 2 shown]
	buffer_store_dword v1, off, s[0:3], 0
	flat_load_dwordx4 v[1:4], v[59:60]
	v_lshlrev_b64 v[8:9], 4, v[7:8]
	v_add_nc_u32_e32 v7, s13, v7
	s_waitcnt vmcnt(0) lgkmcnt(0)
	buffer_store_dword v4, off, s[0:3], 0 offset:28
	buffer_store_dword v3, off, s[0:3], 0 offset:24
	buffer_store_dword v2, off, s[0:3], 0 offset:20
	buffer_store_dword v1, off, s[0:3], 0 offset:16
	flat_load_dwordx4 v[1:4], v[57:58]
	v_add_co_u32 v47, vcc_lo, s6, v8
	v_add_co_ci_u32_e64 v48, null, s7, v9, vcc_lo
	v_ashrrev_i32_e32 v8, 31, v7
	s_waitcnt vmcnt(0) lgkmcnt(0)
	buffer_store_dword v4, off, s[0:3], 0 offset:44
	buffer_store_dword v3, off, s[0:3], 0 offset:40
	buffer_store_dword v2, off, s[0:3], 0 offset:36
	buffer_store_dword v1, off, s[0:3], 0 offset:32
	flat_load_dwordx4 v[1:4], v[55:56]
	v_lshlrev_b64 v[8:9], 4, v[7:8]
	v_add_nc_u32_e32 v7, s13, v7
	s_waitcnt vmcnt(0) lgkmcnt(0)
	buffer_store_dword v4, off, s[0:3], 0 offset:60
	buffer_store_dword v3, off, s[0:3], 0 offset:56
	buffer_store_dword v2, off, s[0:3], 0 offset:52
	buffer_store_dword v1, off, s[0:3], 0 offset:48
	flat_load_dwordx4 v[1:4], v[53:54]
	v_add_co_u32 v45, vcc_lo, s6, v8
	v_add_co_ci_u32_e64 v46, null, s7, v9, vcc_lo
	v_ashrrev_i32_e32 v8, 31, v7
	s_waitcnt vmcnt(0) lgkmcnt(0)
	buffer_store_dword v4, off, s[0:3], 0 offset:76
	buffer_store_dword v3, off, s[0:3], 0 offset:72
	buffer_store_dword v2, off, s[0:3], 0 offset:68
	buffer_store_dword v1, off, s[0:3], 0 offset:64
	;; [unrolled: 17-line block ×4, first 2 shown]
	flat_load_dwordx4 v[1:4], v[41:42]
	v_lshlrev_b64 v[8:9], 4, v[7:8]
	v_add_nc_u32_e32 v7, s13, v7
	s_waitcnt vmcnt(0) lgkmcnt(0)
	buffer_store_dword v4, off, s[0:3], 0 offset:156
	buffer_store_dword v3, off, s[0:3], 0 offset:152
	;; [unrolled: 1-line block ×4, first 2 shown]
	v_add_co_u32 v39, vcc_lo, s6, v8
	v_add_co_ci_u32_e64 v40, null, s7, v9, vcc_lo
	v_ashrrev_i32_e32 v8, 31, v7
	flat_load_dwordx4 v[1:4], v[39:40]
	s_waitcnt vmcnt(0) lgkmcnt(0)
	buffer_store_dword v4, off, s[0:3], 0 offset:172
	buffer_store_dword v3, off, s[0:3], 0 offset:168
	buffer_store_dword v2, off, s[0:3], 0 offset:164
	buffer_store_dword v1, off, s[0:3], 0 offset:160
	v_lshlrev_b64 v[8:9], 4, v[7:8]
	v_add_nc_u32_e32 v7, s13, v7
	v_add_co_u32 v37, vcc_lo, s6, v8
	v_add_co_ci_u32_e64 v38, null, s7, v9, vcc_lo
	v_ashrrev_i32_e32 v8, 31, v7
	flat_load_dwordx4 v[1:4], v[37:38]
	s_waitcnt vmcnt(0) lgkmcnt(0)
	buffer_store_dword v4, off, s[0:3], 0 offset:188
	buffer_store_dword v3, off, s[0:3], 0 offset:184
	buffer_store_dword v2, off, s[0:3], 0 offset:180
	buffer_store_dword v1, off, s[0:3], 0 offset:176
	v_lshlrev_b64 v[8:9], 4, v[7:8]
	v_add_nc_u32_e32 v7, s13, v7
	;; [unrolled: 11-line block ×13, first 2 shown]
	v_add_co_u32 v11, vcc_lo, s6, v8
	v_add_co_ci_u32_e64 v12, null, s7, v9, vcc_lo
	v_ashrrev_i32_e32 v8, 31, v7
	v_add_nc_u32_e32 v33, s13, v7
	flat_load_dwordx4 v[1:4], v[11:12]
	s_waitcnt vmcnt(0) lgkmcnt(0)
	buffer_store_dword v4, off, s[0:3], 0 offset:380
	buffer_store_dword v3, off, s[0:3], 0 offset:376
	;; [unrolled: 1-line block ×4, first 2 shown]
	v_lshlrev_b64 v[9:10], 4, v[7:8]
	v_ashrrev_i32_e32 v34, 31, v33
	v_add_nc_u32_e32 v51, s13, v33
	v_add_co_u32 v9, vcc_lo, s6, v9
	v_add_co_ci_u32_e64 v10, null, s7, v10, vcc_lo
	v_lshlrev_b64 v[7:8], 4, v[33:34]
	v_ashrrev_i32_e32 v52, 31, v51
	v_add_nc_u32_e32 v61, s13, v51
	flat_load_dwordx4 v[1:4], v[9:10]
	s_waitcnt vmcnt(0) lgkmcnt(0)
	buffer_store_dword v4, off, s[0:3], 0 offset:396
	buffer_store_dword v3, off, s[0:3], 0 offset:392
	buffer_store_dword v2, off, s[0:3], 0 offset:388
	buffer_store_dword v1, off, s[0:3], 0 offset:384
	v_add_co_u32 v7, vcc_lo, s6, v7
	v_add_co_ci_u32_e64 v8, null, s7, v8, vcc_lo
	v_lshlrev_b64 v[33:34], 4, v[51:52]
	v_ashrrev_i32_e32 v62, 31, v61
	v_add_nc_u32_e32 v63, s13, v61
	flat_load_dwordx4 v[1:4], v[7:8]
	s_waitcnt vmcnt(0) lgkmcnt(0)
	buffer_store_dword v4, off, s[0:3], 0 offset:412
	buffer_store_dword v3, off, s[0:3], 0 offset:408
	buffer_store_dword v2, off, s[0:3], 0 offset:404
	buffer_store_dword v1, off, s[0:3], 0 offset:400
	;; [unrolled: 11-line block ×36, first 2 shown]
	v_add_co_u32 v125, vcc_lo, s6, v125
	v_add_co_ci_u32_e64 v126, null, s7, v126, vcc_lo
	v_lshlrev_b64 v[127:128], 4, v[129:130]
	v_ashrrev_i32_e32 v132, 31, v131
	flat_load_dwordx4 v[1:4], v[125:126]
	s_waitcnt vmcnt(0) lgkmcnt(0)
	buffer_store_dword v4, off, s[0:3], 0 offset:972
	buffer_store_dword v3, off, s[0:3], 0 offset:968
	;; [unrolled: 1-line block ×4, first 2 shown]
	v_add_co_u32 v127, vcc_lo, s6, v127
	v_add_co_ci_u32_e64 v128, null, s7, v128, vcc_lo
	v_lshlrev_b64 v[129:130], 4, v[131:132]
	v_add_nc_u32_e32 v131, s13, v131
	s_movk_i32 s13, 0xb0
	flat_load_dwordx4 v[1:4], v[127:128]
	s_waitcnt vmcnt(0) lgkmcnt(0)
	buffer_store_dword v4, off, s[0:3], 0 offset:988
	buffer_store_dword v3, off, s[0:3], 0 offset:984
	;; [unrolled: 1-line block ×4, first 2 shown]
	v_add_co_u32 v129, vcc_lo, s6, v129
	v_add_co_ci_u32_e64 v130, null, s7, v130, vcc_lo
	v_ashrrev_i32_e32 v132, 31, v131
	flat_load_dwordx4 v[1:4], v[129:130]
	s_waitcnt vmcnt(0) lgkmcnt(0)
	buffer_store_dword v4, off, s[0:3], 0 offset:1004
	buffer_store_dword v3, off, s[0:3], 0 offset:1000
	;; [unrolled: 1-line block ×4, first 2 shown]
	v_lshlrev_b64 v[131:132], 4, v[131:132]
	v_add_co_u32 v131, vcc_lo, s6, v131
	v_add_co_ci_u32_e64 v132, null, s7, v132, vcc_lo
	s_movk_i32 s6, 0x70
	s_cselect_b32 s7, -1, 0
	s_cmpk_eq_i32 s9, 0x84
	flat_load_dwordx4 v[1:4], v[131:132]
	s_waitcnt vmcnt(0) lgkmcnt(0)
	buffer_store_dword v4, off, s[0:3], 0 offset:1020
	buffer_store_dword v3, off, s[0:3], 0 offset:1016
	;; [unrolled: 1-line block ×4, first 2 shown]
	s_cbranch_scc1 .LBB127_7
; %bb.2:
	v_lshl_add_u32 v140, v0, 4, 0
                                        ; implicit-def: $vgpr135_vgpr136
                                        ; implicit-def: $vgpr3_vgpr4
	s_clause 0x3
	buffer_load_dword v133, v140, s[0:3], 0 offen
	buffer_load_dword v134, v140, s[0:3], 0 offen offset:4
	buffer_load_dword v137, v140, s[0:3], 0 offen offset:8
	buffer_load_dword v138, v140, s[0:3], 0 offen offset:12
	s_waitcnt vmcnt(0)
	v_cmp_ngt_f64_e64 s9, |v[133:134]|, |v[137:138]|
	s_and_saveexec_b32 s39, s9
	s_xor_b32 s9, exec_lo, s39
	s_cbranch_execz .LBB127_4
; %bb.3:
	v_div_scale_f64 v[1:2], null, v[137:138], v[137:138], v[133:134]
	v_div_scale_f64 v[141:142], vcc_lo, v[133:134], v[137:138], v[133:134]
	v_rcp_f64_e32 v[3:4], v[1:2]
	v_fma_f64 v[135:136], -v[1:2], v[3:4], 1.0
	v_fma_f64 v[3:4], v[3:4], v[135:136], v[3:4]
	v_fma_f64 v[135:136], -v[1:2], v[3:4], 1.0
	v_fma_f64 v[3:4], v[3:4], v[135:136], v[3:4]
	v_mul_f64 v[135:136], v[141:142], v[3:4]
	v_fma_f64 v[1:2], -v[1:2], v[135:136], v[141:142]
	v_div_fmas_f64 v[1:2], v[1:2], v[3:4], v[135:136]
	v_div_fixup_f64 v[1:2], v[1:2], v[137:138], v[133:134]
	v_fma_f64 v[3:4], v[133:134], v[1:2], v[137:138]
	v_div_scale_f64 v[133:134], null, v[3:4], v[3:4], 1.0
	v_div_scale_f64 v[141:142], vcc_lo, 1.0, v[3:4], 1.0
	v_rcp_f64_e32 v[135:136], v[133:134]
	v_fma_f64 v[137:138], -v[133:134], v[135:136], 1.0
	v_fma_f64 v[135:136], v[135:136], v[137:138], v[135:136]
	v_fma_f64 v[137:138], -v[133:134], v[135:136], 1.0
	v_fma_f64 v[135:136], v[135:136], v[137:138], v[135:136]
	v_mul_f64 v[137:138], v[141:142], v[135:136]
	v_fma_f64 v[133:134], -v[133:134], v[137:138], v[141:142]
	v_div_fmas_f64 v[133:134], v[133:134], v[135:136], v[137:138]
                                        ; implicit-def: $vgpr137_vgpr138
	v_div_fixup_f64 v[3:4], v[133:134], v[3:4], 1.0
                                        ; implicit-def: $vgpr133_vgpr134
	v_mul_f64 v[135:136], v[1:2], v[3:4]
	v_xor_b32_e32 v4, 0x80000000, v4
	v_xor_b32_e32 v2, 0x80000000, v136
	v_mov_b32_e32 v1, v135
.LBB127_4:
	s_andn2_saveexec_b32 s9, s9
	s_cbranch_execz .LBB127_6
; %bb.5:
	v_div_scale_f64 v[1:2], null, v[133:134], v[133:134], v[137:138]
	v_div_scale_f64 v[141:142], vcc_lo, v[137:138], v[133:134], v[137:138]
	v_rcp_f64_e32 v[3:4], v[1:2]
	v_fma_f64 v[135:136], -v[1:2], v[3:4], 1.0
	v_fma_f64 v[3:4], v[3:4], v[135:136], v[3:4]
	v_fma_f64 v[135:136], -v[1:2], v[3:4], 1.0
	v_fma_f64 v[3:4], v[3:4], v[135:136], v[3:4]
	v_mul_f64 v[135:136], v[141:142], v[3:4]
	v_fma_f64 v[1:2], -v[1:2], v[135:136], v[141:142]
	v_div_fmas_f64 v[1:2], v[1:2], v[3:4], v[135:136]
	v_div_fixup_f64 v[1:2], v[1:2], v[133:134], v[137:138]
	v_fma_f64 v[3:4], v[137:138], v[1:2], v[133:134]
	v_div_scale_f64 v[133:134], null, v[3:4], v[3:4], 1.0
	v_rcp_f64_e32 v[135:136], v[133:134]
	v_fma_f64 v[137:138], -v[133:134], v[135:136], 1.0
	v_fma_f64 v[135:136], v[135:136], v[137:138], v[135:136]
	v_fma_f64 v[137:138], -v[133:134], v[135:136], 1.0
	v_fma_f64 v[135:136], v[135:136], v[137:138], v[135:136]
	v_div_scale_f64 v[137:138], vcc_lo, 1.0, v[3:4], 1.0
	v_mul_f64 v[141:142], v[137:138], v[135:136]
	v_fma_f64 v[133:134], -v[133:134], v[141:142], v[137:138]
	v_div_fmas_f64 v[133:134], v[133:134], v[135:136], v[141:142]
	v_div_fixup_f64 v[135:136], v[133:134], v[3:4], 1.0
	v_mul_f64 v[3:4], v[1:2], -v[135:136]
	v_xor_b32_e32 v2, 0x80000000, v136
	v_mov_b32_e32 v1, v135
.LBB127_6:
	s_or_b32 exec_lo, exec_lo, s9
	buffer_store_dword v4, v140, s[0:3], 0 offen offset:12
	v_xor_b32_e32 v4, 0x80000000, v4
	buffer_store_dword v136, v140, s[0:3], 0 offen offset:4
	buffer_store_dword v135, v140, s[0:3], 0 offen
	buffer_store_dword v3, v140, s[0:3], 0 offen offset:8
	s_branch .LBB127_8
.LBB127_7:
	v_mov_b32_e32 v1, 0
	v_mov_b32_e32 v3, 0
	;; [unrolled: 1-line block ×4, first 2 shown]
.LBB127_8:
	v_or_b32_e32 v134, 0x400, v139
	v_mov_b32_e32 v133, v139
	s_mov_b32 s72, 16
	s_mov_b32 s71, 32
	;; [unrolled: 1-line block ×62, first 2 shown]
	s_cmpk_eq_i32 s8, 0x79
	ds_write_b128 v139, v[1:4]
	s_cbranch_scc1 .LBB127_874
; %bb.9:
	v_mov_b32_e32 v4, s10
	v_cmp_eq_u32_e64 s4, 63, v0
	s_clause 0x3
	buffer_load_dword v1, v4, s[0:3], 0 offen
	buffer_load_dword v2, v4, s[0:3], 0 offen offset:4
	buffer_load_dword v3, v4, s[0:3], 0 offen offset:8
	;; [unrolled: 1-line block ×3, first 2 shown]
	s_waitcnt vmcnt(0)
	ds_write_b128 v134, v[1:4]
	s_waitcnt lgkmcnt(0)
	s_waitcnt_vscnt null, 0x0
	s_barrier
	buffer_gl0_inv
	s_and_saveexec_b32 s5, s4
	s_cbranch_execz .LBB127_13
; %bb.10:
	ds_read_b128 v[1:4], v134
	s_andn2_b32 vcc_lo, exec_lo, s7
	s_cbranch_vccnz .LBB127_12
; %bb.11:
	s_clause 0x3
	buffer_load_dword v135, v133, s[0:3], 0 offen offset:8
	buffer_load_dword v136, v133, s[0:3], 0 offen offset:12
	buffer_load_dword v137, v133, s[0:3], 0 offen
	buffer_load_dword v138, v133, s[0:3], 0 offen offset:4
	s_waitcnt vmcnt(2) lgkmcnt(0)
	v_mul_f64 v[140:141], v[3:4], v[135:136]
	v_mul_f64 v[135:136], v[1:2], v[135:136]
	s_waitcnt vmcnt(0)
	v_fma_f64 v[1:2], v[1:2], v[137:138], -v[140:141]
	v_fma_f64 v[3:4], v[3:4], v[137:138], v[135:136]
.LBB127_12:
	v_mov_b32_e32 v135, 0
	ds_read_b128 v[135:138], v135 offset:992
	s_waitcnt lgkmcnt(0)
	v_mul_f64 v[140:141], v[3:4], v[137:138]
	v_mul_f64 v[137:138], v[1:2], v[137:138]
	v_fma_f64 v[1:2], v[1:2], v[135:136], -v[140:141]
	v_fma_f64 v[3:4], v[3:4], v[135:136], v[137:138]
	buffer_store_dword v2, off, s[0:3], 0 offset:996
	buffer_store_dword v1, off, s[0:3], 0 offset:992
	;; [unrolled: 1-line block ×4, first 2 shown]
.LBB127_13:
	s_or_b32 exec_lo, exec_lo, s5
	v_mov_b32_e32 v4, s11
	v_cmp_lt_u32_e64 s5, 61, v0
	s_clause 0x3
	buffer_load_dword v1, v4, s[0:3], 0 offen
	buffer_load_dword v2, v4, s[0:3], 0 offen offset:4
	buffer_load_dword v3, v4, s[0:3], 0 offen offset:8
	;; [unrolled: 1-line block ×3, first 2 shown]
	s_waitcnt vmcnt(0)
	ds_write_b128 v134, v[1:4]
	s_waitcnt lgkmcnt(0)
	s_waitcnt_vscnt null, 0x0
	s_barrier
	buffer_gl0_inv
	s_and_saveexec_b32 s6, s5
	s_cbranch_execz .LBB127_19
; %bb.14:
	ds_read_b128 v[1:4], v134
	s_andn2_b32 vcc_lo, exec_lo, s7
	s_cbranch_vccnz .LBB127_16
; %bb.15:
	s_clause 0x3
	buffer_load_dword v135, v133, s[0:3], 0 offen offset:8
	buffer_load_dword v136, v133, s[0:3], 0 offen offset:12
	buffer_load_dword v137, v133, s[0:3], 0 offen
	buffer_load_dword v138, v133, s[0:3], 0 offen offset:4
	s_waitcnt vmcnt(2) lgkmcnt(0)
	v_mul_f64 v[140:141], v[3:4], v[135:136]
	v_mul_f64 v[135:136], v[1:2], v[135:136]
	s_waitcnt vmcnt(0)
	v_fma_f64 v[1:2], v[1:2], v[137:138], -v[140:141]
	v_fma_f64 v[3:4], v[3:4], v[137:138], v[135:136]
.LBB127_16:
	s_and_saveexec_b32 s8, s4
	s_cbranch_execz .LBB127_18
; %bb.17:
	s_clause 0x3
	buffer_load_dword v140, off, s[0:3], 0 offset:1000
	buffer_load_dword v141, off, s[0:3], 0 offset:1004
	;; [unrolled: 1-line block ×4, first 2 shown]
	v_mov_b32_e32 v135, 0
	ds_read_b128 v[135:138], v135 offset:2016
	s_waitcnt vmcnt(2) lgkmcnt(0)
	v_mul_f64 v[144:145], v[135:136], v[140:141]
	v_mul_f64 v[140:141], v[137:138], v[140:141]
	s_waitcnt vmcnt(0)
	v_fma_f64 v[137:138], v[137:138], v[142:143], v[144:145]
	v_fma_f64 v[135:136], v[135:136], v[142:143], -v[140:141]
	v_add_f64 v[3:4], v[3:4], v[137:138]
	v_add_f64 v[1:2], v[1:2], v[135:136]
.LBB127_18:
	s_or_b32 exec_lo, exec_lo, s8
	v_mov_b32_e32 v135, 0
	ds_read_b128 v[135:138], v135 offset:976
	s_waitcnt lgkmcnt(0)
	v_mul_f64 v[140:141], v[3:4], v[137:138]
	v_mul_f64 v[137:138], v[1:2], v[137:138]
	v_fma_f64 v[1:2], v[1:2], v[135:136], -v[140:141]
	v_fma_f64 v[3:4], v[3:4], v[135:136], v[137:138]
	buffer_store_dword v2, off, s[0:3], 0 offset:980
	buffer_store_dword v1, off, s[0:3], 0 offset:976
	;; [unrolled: 1-line block ×4, first 2 shown]
.LBB127_19:
	s_or_b32 exec_lo, exec_lo, s6
	v_mov_b32_e32 v4, s12
	v_cmp_lt_u32_e64 s4, 60, v0
	s_clause 0x3
	buffer_load_dword v1, v4, s[0:3], 0 offen
	buffer_load_dword v2, v4, s[0:3], 0 offen offset:4
	buffer_load_dword v3, v4, s[0:3], 0 offen offset:8
	;; [unrolled: 1-line block ×3, first 2 shown]
	s_waitcnt vmcnt(0)
	ds_write_b128 v134, v[1:4]
	s_waitcnt lgkmcnt(0)
	s_waitcnt_vscnt null, 0x0
	s_barrier
	buffer_gl0_inv
	s_and_saveexec_b32 s6, s4
	s_cbranch_execz .LBB127_33
; %bb.20:
	ds_read_b128 v[1:4], v134
	s_andn2_b32 vcc_lo, exec_lo, s7
	s_cbranch_vccnz .LBB127_22
; %bb.21:
	s_clause 0x3
	buffer_load_dword v135, v133, s[0:3], 0 offen offset:8
	buffer_load_dword v136, v133, s[0:3], 0 offen offset:12
	buffer_load_dword v137, v133, s[0:3], 0 offen
	buffer_load_dword v138, v133, s[0:3], 0 offen offset:4
	s_waitcnt vmcnt(2) lgkmcnt(0)
	v_mul_f64 v[140:141], v[3:4], v[135:136]
	v_mul_f64 v[135:136], v[1:2], v[135:136]
	s_waitcnt vmcnt(0)
	v_fma_f64 v[1:2], v[1:2], v[137:138], -v[140:141]
	v_fma_f64 v[3:4], v[3:4], v[137:138], v[135:136]
.LBB127_22:
	s_and_saveexec_b32 s8, s5
	s_cbranch_execz .LBB127_32
; %bb.23:
	v_subrev_nc_u32_e32 v136, 62, v0
	v_mov_b32_e32 v137, 61
	v_subrev_nc_u32_e32 v135, 61, v0
	s_mov_b32 s5, exec_lo
	v_cmpx_lt_u32_e32 6, v136
	s_cbranch_execz .LBB127_27
; %bb.24:
	v_and_b32_e32 v136, -8, v135
	s_movk_i32 s74, 0x7d0
	s_mov_b32 s73, 0
	s_mov_b32 s75, s11
	;; [unrolled: 1-line block ×3, first 2 shown]
.LBB127_25:                             ; =>This Inner Loop Header: Depth=1
	v_mov_b32_e32 v140, s75
	v_mov_b32_e32 v186, s74
	s_add_i32 s77, s76, 8
	s_addk_i32 s76, 0x45
	v_cmp_eq_u32_e32 vcc_lo, s77, v136
	s_clause 0x1f
	buffer_load_dword v137, v140, s[0:3], 0 offen offset:8
	buffer_load_dword v138, v140, s[0:3], 0 offen offset:12
	buffer_load_dword v148, v140, s[0:3], 0 offen
	buffer_load_dword v149, v140, s[0:3], 0 offen offset:4
	buffer_load_dword v150, v140, s[0:3], 0 offen offset:24
	;; [unrolled: 1-line block ×29, first 2 shown]
	ds_read_b128 v[140:143], v186
	ds_read_b128 v[144:147], v186 offset:16
	s_addk_i32 s74, 0x80
	s_addk_i32 s75, 0x80
	s_or_b32 s73, vcc_lo, s73
	s_waitcnt vmcnt(30) lgkmcnt(1)
	v_mul_f64 v[178:179], v[142:143], v[137:138]
	v_mul_f64 v[137:138], v[140:141], v[137:138]
	s_waitcnt vmcnt(26) lgkmcnt(0)
	v_mul_f64 v[180:181], v[146:147], v[150:151]
	v_mul_f64 v[182:183], v[144:145], v[150:151]
	v_fma_f64 v[178:179], v[140:141], v[148:149], -v[178:179]
	v_fma_f64 v[137:138], v[142:143], v[148:149], v[137:138]
	ds_read_b128 v[140:143], v186 offset:32
	ds_read_b128 v[148:151], v186 offset:48
	s_waitcnt vmcnt(24)
	v_fma_f64 v[144:145], v[144:145], v[152:153], -v[180:181]
	v_fma_f64 v[146:147], v[146:147], v[152:153], v[182:183]
	s_waitcnt vmcnt(22) lgkmcnt(1)
	v_mul_f64 v[184:185], v[142:143], v[154:155]
	v_mul_f64 v[154:155], v[140:141], v[154:155]
	v_add_f64 v[1:2], v[1:2], v[178:179]
	v_add_f64 v[3:4], v[3:4], v[137:138]
	s_waitcnt vmcnt(18) lgkmcnt(0)
	v_mul_f64 v[137:138], v[150:151], v[158:159]
	v_mul_f64 v[152:153], v[148:149], v[158:159]
	v_fma_f64 v[158:159], v[140:141], v[156:157], -v[184:185]
	v_fma_f64 v[154:155], v[142:143], v[156:157], v[154:155]
	v_add_f64 v[144:145], v[1:2], v[144:145]
	v_add_f64 v[146:147], v[3:4], v[146:147]
	ds_read_b128 v[1:4], v186 offset:64
	ds_read_b128 v[140:143], v186 offset:80
	s_waitcnt vmcnt(16)
	v_fma_f64 v[137:138], v[148:149], v[160:161], -v[137:138]
	v_fma_f64 v[148:149], v[150:151], v[160:161], v[152:153]
	s_waitcnt vmcnt(12) lgkmcnt(1)
	v_mul_f64 v[156:157], v[3:4], v[162:163]
	v_mul_f64 v[162:163], v[1:2], v[162:163]
	v_add_f64 v[144:145], v[144:145], v[158:159]
	v_add_f64 v[146:147], v[146:147], v[154:155]
	s_waitcnt vmcnt(10) lgkmcnt(0)
	v_mul_f64 v[150:151], v[142:143], v[164:165]
	v_mul_f64 v[152:153], v[140:141], v[164:165]
	s_waitcnt vmcnt(8)
	v_fma_f64 v[154:155], v[1:2], v[168:169], -v[156:157]
	v_fma_f64 v[156:157], v[3:4], v[168:169], v[162:163]
	v_add_f64 v[137:138], v[144:145], v[137:138]
	v_add_f64 v[148:149], v[146:147], v[148:149]
	ds_read_b128 v[1:4], v186 offset:96
	ds_read_b128 v[144:147], v186 offset:112
	v_fma_f64 v[140:141], v[140:141], v[166:167], -v[150:151]
	v_fma_f64 v[142:143], v[142:143], v[166:167], v[152:153]
	s_waitcnt vmcnt(4) lgkmcnt(1)
	v_mul_f64 v[158:159], v[3:4], v[170:171]
	v_mul_f64 v[160:161], v[1:2], v[170:171]
	v_add_f64 v[137:138], v[137:138], v[154:155]
	v_add_f64 v[148:149], v[148:149], v[156:157]
	s_waitcnt vmcnt(2) lgkmcnt(0)
	v_mul_f64 v[150:151], v[146:147], v[172:173]
	v_mul_f64 v[152:153], v[144:145], v[172:173]
	s_waitcnt vmcnt(0)
	v_fma_f64 v[1:2], v[1:2], v[176:177], -v[158:159]
	v_fma_f64 v[3:4], v[3:4], v[176:177], v[160:161]
	v_add_f64 v[137:138], v[137:138], v[140:141]
	v_add_f64 v[140:141], v[148:149], v[142:143]
	v_fma_f64 v[142:143], v[144:145], v[174:175], -v[150:151]
	v_fma_f64 v[144:145], v[146:147], v[174:175], v[152:153]
	v_add_f64 v[1:2], v[137:138], v[1:2]
	v_add_f64 v[3:4], v[140:141], v[3:4]
	v_mov_b32_e32 v137, s76
	s_mov_b32 s76, s77
	v_add_f64 v[1:2], v[1:2], v[142:143]
	v_add_f64 v[3:4], v[3:4], v[144:145]
	s_andn2_b32 exec_lo, exec_lo, s73
	s_cbranch_execnz .LBB127_25
; %bb.26:
	s_or_b32 exec_lo, exec_lo, s73
.LBB127_27:
	s_or_b32 exec_lo, exec_lo, s5
	v_and_b32_e32 v135, 7, v135
	s_mov_b32 s73, 0
	s_mov_b32 s5, exec_lo
	v_cmpx_ne_u32_e32 0, v135
	s_cbranch_execz .LBB127_31
; %bb.28:
	v_lshlrev_b32_e32 v137, 4, v137
	v_add_nc_u32_e32 v136, 0x400, v137
	.p2align	6
.LBB127_29:                             ; =>This Inner Loop Header: Depth=1
	s_clause 0x3
	buffer_load_dword v144, v137, s[0:3], 0 offen offset:8
	buffer_load_dword v145, v137, s[0:3], 0 offen offset:12
	buffer_load_dword v146, v137, s[0:3], 0 offen
	buffer_load_dword v147, v137, s[0:3], 0 offen offset:4
	ds_read_b128 v[140:143], v136
	v_add_nc_u32_e32 v135, -1, v135
	v_add_nc_u32_e32 v136, 16, v136
	v_add_nc_u32_e32 v137, 16, v137
	v_cmp_eq_u32_e32 vcc_lo, 0, v135
	s_or_b32 s73, vcc_lo, s73
	s_waitcnt vmcnt(2) lgkmcnt(0)
	v_mul_f64 v[148:149], v[142:143], v[144:145]
	v_mul_f64 v[144:145], v[140:141], v[144:145]
	s_waitcnt vmcnt(0)
	v_fma_f64 v[140:141], v[140:141], v[146:147], -v[148:149]
	v_fma_f64 v[142:143], v[142:143], v[146:147], v[144:145]
	v_add_f64 v[1:2], v[1:2], v[140:141]
	v_add_f64 v[3:4], v[3:4], v[142:143]
	s_andn2_b32 exec_lo, exec_lo, s73
	s_cbranch_execnz .LBB127_29
; %bb.30:
	s_or_b32 exec_lo, exec_lo, s73
.LBB127_31:
	s_or_b32 exec_lo, exec_lo, s5
.LBB127_32:
	s_or_b32 exec_lo, exec_lo, s8
	v_mov_b32_e32 v135, 0
	ds_read_b128 v[135:138], v135 offset:960
	s_waitcnt lgkmcnt(0)
	v_mul_f64 v[140:141], v[3:4], v[137:138]
	v_mul_f64 v[137:138], v[1:2], v[137:138]
	v_fma_f64 v[1:2], v[1:2], v[135:136], -v[140:141]
	v_fma_f64 v[3:4], v[3:4], v[135:136], v[137:138]
	buffer_store_dword v2, off, s[0:3], 0 offset:964
	buffer_store_dword v1, off, s[0:3], 0 offset:960
	;; [unrolled: 1-line block ×4, first 2 shown]
.LBB127_33:
	s_or_b32 exec_lo, exec_lo, s6
	v_mov_b32_e32 v4, s13
	v_cmp_lt_u32_e64 s5, 59, v0
	s_clause 0x3
	buffer_load_dword v1, v4, s[0:3], 0 offen
	buffer_load_dword v2, v4, s[0:3], 0 offen offset:4
	buffer_load_dword v3, v4, s[0:3], 0 offen offset:8
	;; [unrolled: 1-line block ×3, first 2 shown]
	s_waitcnt vmcnt(0)
	ds_write_b128 v134, v[1:4]
	s_waitcnt lgkmcnt(0)
	s_waitcnt_vscnt null, 0x0
	s_barrier
	buffer_gl0_inv
	s_and_saveexec_b32 s6, s5
	s_cbranch_execz .LBB127_47
; %bb.34:
	ds_read_b128 v[1:4], v134
	s_andn2_b32 vcc_lo, exec_lo, s7
	s_cbranch_vccnz .LBB127_36
; %bb.35:
	s_clause 0x3
	buffer_load_dword v135, v133, s[0:3], 0 offen offset:8
	buffer_load_dword v136, v133, s[0:3], 0 offen offset:12
	buffer_load_dword v137, v133, s[0:3], 0 offen
	buffer_load_dword v138, v133, s[0:3], 0 offen offset:4
	s_waitcnt vmcnt(2) lgkmcnt(0)
	v_mul_f64 v[140:141], v[3:4], v[135:136]
	v_mul_f64 v[135:136], v[1:2], v[135:136]
	s_waitcnt vmcnt(0)
	v_fma_f64 v[1:2], v[1:2], v[137:138], -v[140:141]
	v_fma_f64 v[3:4], v[3:4], v[137:138], v[135:136]
.LBB127_36:
	s_and_saveexec_b32 s8, s4
	s_cbranch_execz .LBB127_46
; %bb.37:
	v_subrev_nc_u32_e32 v136, 61, v0
	v_mov_b32_e32 v137, 60
	v_subrev_nc_u32_e32 v135, 60, v0
	s_mov_b32 s4, exec_lo
	v_cmpx_lt_u32_e32 6, v136
	s_cbranch_execz .LBB127_41
; %bb.38:
	v_and_b32_e32 v136, -8, v135
	s_movk_i32 s74, 0x7c0
	s_mov_b32 s73, 0
	s_mov_b32 s75, s12
	;; [unrolled: 1-line block ×3, first 2 shown]
.LBB127_39:                             ; =>This Inner Loop Header: Depth=1
	v_mov_b32_e32 v140, s75
	v_mov_b32_e32 v186, s74
	s_add_i32 s77, s76, 8
	s_addk_i32 s76, 0x44
	v_cmp_eq_u32_e32 vcc_lo, s77, v136
	s_clause 0x1f
	buffer_load_dword v137, v140, s[0:3], 0 offen offset:8
	buffer_load_dword v138, v140, s[0:3], 0 offen offset:12
	buffer_load_dword v148, v140, s[0:3], 0 offen
	buffer_load_dword v149, v140, s[0:3], 0 offen offset:4
	buffer_load_dword v150, v140, s[0:3], 0 offen offset:24
	;; [unrolled: 1-line block ×29, first 2 shown]
	ds_read_b128 v[140:143], v186
	ds_read_b128 v[144:147], v186 offset:16
	s_addk_i32 s74, 0x80
	s_addk_i32 s75, 0x80
	s_or_b32 s73, vcc_lo, s73
	s_waitcnt vmcnt(30) lgkmcnt(1)
	v_mul_f64 v[178:179], v[142:143], v[137:138]
	v_mul_f64 v[137:138], v[140:141], v[137:138]
	s_waitcnt vmcnt(26) lgkmcnt(0)
	v_mul_f64 v[180:181], v[146:147], v[150:151]
	v_mul_f64 v[182:183], v[144:145], v[150:151]
	v_fma_f64 v[178:179], v[140:141], v[148:149], -v[178:179]
	v_fma_f64 v[137:138], v[142:143], v[148:149], v[137:138]
	ds_read_b128 v[140:143], v186 offset:32
	ds_read_b128 v[148:151], v186 offset:48
	s_waitcnt vmcnt(24)
	v_fma_f64 v[144:145], v[144:145], v[152:153], -v[180:181]
	v_fma_f64 v[146:147], v[146:147], v[152:153], v[182:183]
	s_waitcnt vmcnt(22) lgkmcnt(1)
	v_mul_f64 v[184:185], v[142:143], v[154:155]
	v_mul_f64 v[154:155], v[140:141], v[154:155]
	v_add_f64 v[1:2], v[1:2], v[178:179]
	v_add_f64 v[3:4], v[3:4], v[137:138]
	s_waitcnt vmcnt(18) lgkmcnt(0)
	v_mul_f64 v[137:138], v[150:151], v[158:159]
	v_mul_f64 v[152:153], v[148:149], v[158:159]
	v_fma_f64 v[158:159], v[140:141], v[156:157], -v[184:185]
	v_fma_f64 v[154:155], v[142:143], v[156:157], v[154:155]
	v_add_f64 v[144:145], v[1:2], v[144:145]
	v_add_f64 v[146:147], v[3:4], v[146:147]
	ds_read_b128 v[1:4], v186 offset:64
	ds_read_b128 v[140:143], v186 offset:80
	s_waitcnt vmcnt(16)
	v_fma_f64 v[137:138], v[148:149], v[160:161], -v[137:138]
	v_fma_f64 v[148:149], v[150:151], v[160:161], v[152:153]
	s_waitcnt vmcnt(12) lgkmcnt(1)
	v_mul_f64 v[156:157], v[3:4], v[162:163]
	v_mul_f64 v[162:163], v[1:2], v[162:163]
	v_add_f64 v[144:145], v[144:145], v[158:159]
	v_add_f64 v[146:147], v[146:147], v[154:155]
	s_waitcnt vmcnt(10) lgkmcnt(0)
	v_mul_f64 v[150:151], v[142:143], v[164:165]
	v_mul_f64 v[152:153], v[140:141], v[164:165]
	s_waitcnt vmcnt(8)
	v_fma_f64 v[154:155], v[1:2], v[168:169], -v[156:157]
	v_fma_f64 v[156:157], v[3:4], v[168:169], v[162:163]
	v_add_f64 v[137:138], v[144:145], v[137:138]
	v_add_f64 v[148:149], v[146:147], v[148:149]
	ds_read_b128 v[1:4], v186 offset:96
	ds_read_b128 v[144:147], v186 offset:112
	v_fma_f64 v[140:141], v[140:141], v[166:167], -v[150:151]
	v_fma_f64 v[142:143], v[142:143], v[166:167], v[152:153]
	s_waitcnt vmcnt(4) lgkmcnt(1)
	v_mul_f64 v[158:159], v[3:4], v[170:171]
	v_mul_f64 v[160:161], v[1:2], v[170:171]
	v_add_f64 v[137:138], v[137:138], v[154:155]
	v_add_f64 v[148:149], v[148:149], v[156:157]
	s_waitcnt vmcnt(2) lgkmcnt(0)
	v_mul_f64 v[150:151], v[146:147], v[172:173]
	v_mul_f64 v[152:153], v[144:145], v[172:173]
	s_waitcnt vmcnt(0)
	v_fma_f64 v[1:2], v[1:2], v[176:177], -v[158:159]
	v_fma_f64 v[3:4], v[3:4], v[176:177], v[160:161]
	v_add_f64 v[137:138], v[137:138], v[140:141]
	v_add_f64 v[140:141], v[148:149], v[142:143]
	v_fma_f64 v[142:143], v[144:145], v[174:175], -v[150:151]
	v_fma_f64 v[144:145], v[146:147], v[174:175], v[152:153]
	v_add_f64 v[1:2], v[137:138], v[1:2]
	v_add_f64 v[3:4], v[140:141], v[3:4]
	v_mov_b32_e32 v137, s76
	s_mov_b32 s76, s77
	v_add_f64 v[1:2], v[1:2], v[142:143]
	v_add_f64 v[3:4], v[3:4], v[144:145]
	s_andn2_b32 exec_lo, exec_lo, s73
	s_cbranch_execnz .LBB127_39
; %bb.40:
	s_or_b32 exec_lo, exec_lo, s73
.LBB127_41:
	s_or_b32 exec_lo, exec_lo, s4
	v_and_b32_e32 v135, 7, v135
	s_mov_b32 s73, 0
	s_mov_b32 s4, exec_lo
	v_cmpx_ne_u32_e32 0, v135
	s_cbranch_execz .LBB127_45
; %bb.42:
	v_lshlrev_b32_e32 v137, 4, v137
	v_add_nc_u32_e32 v136, 0x400, v137
	.p2align	6
.LBB127_43:                             ; =>This Inner Loop Header: Depth=1
	s_clause 0x3
	buffer_load_dword v144, v137, s[0:3], 0 offen offset:8
	buffer_load_dword v145, v137, s[0:3], 0 offen offset:12
	buffer_load_dword v146, v137, s[0:3], 0 offen
	buffer_load_dword v147, v137, s[0:3], 0 offen offset:4
	ds_read_b128 v[140:143], v136
	v_add_nc_u32_e32 v135, -1, v135
	v_add_nc_u32_e32 v136, 16, v136
	v_add_nc_u32_e32 v137, 16, v137
	v_cmp_eq_u32_e32 vcc_lo, 0, v135
	s_or_b32 s73, vcc_lo, s73
	s_waitcnt vmcnt(2) lgkmcnt(0)
	v_mul_f64 v[148:149], v[142:143], v[144:145]
	v_mul_f64 v[144:145], v[140:141], v[144:145]
	s_waitcnt vmcnt(0)
	v_fma_f64 v[140:141], v[140:141], v[146:147], -v[148:149]
	v_fma_f64 v[142:143], v[142:143], v[146:147], v[144:145]
	v_add_f64 v[1:2], v[1:2], v[140:141]
	v_add_f64 v[3:4], v[3:4], v[142:143]
	s_andn2_b32 exec_lo, exec_lo, s73
	s_cbranch_execnz .LBB127_43
; %bb.44:
	s_or_b32 exec_lo, exec_lo, s73
.LBB127_45:
	s_or_b32 exec_lo, exec_lo, s4
.LBB127_46:
	s_or_b32 exec_lo, exec_lo, s8
	v_mov_b32_e32 v135, 0
	ds_read_b128 v[135:138], v135 offset:944
	s_waitcnt lgkmcnt(0)
	v_mul_f64 v[140:141], v[3:4], v[137:138]
	v_mul_f64 v[137:138], v[1:2], v[137:138]
	v_fma_f64 v[1:2], v[1:2], v[135:136], -v[140:141]
	v_fma_f64 v[3:4], v[3:4], v[135:136], v[137:138]
	buffer_store_dword v2, off, s[0:3], 0 offset:948
	buffer_store_dword v1, off, s[0:3], 0 offset:944
	buffer_store_dword v4, off, s[0:3], 0 offset:956
	buffer_store_dword v3, off, s[0:3], 0 offset:952
.LBB127_47:
	s_or_b32 exec_lo, exec_lo, s6
	v_mov_b32_e32 v4, s14
	v_cmp_lt_u32_e64 s4, 58, v0
	s_clause 0x3
	buffer_load_dword v1, v4, s[0:3], 0 offen
	buffer_load_dword v2, v4, s[0:3], 0 offen offset:4
	buffer_load_dword v3, v4, s[0:3], 0 offen offset:8
	;; [unrolled: 1-line block ×3, first 2 shown]
	s_waitcnt vmcnt(0)
	ds_write_b128 v134, v[1:4]
	s_waitcnt lgkmcnt(0)
	s_waitcnt_vscnt null, 0x0
	s_barrier
	buffer_gl0_inv
	s_and_saveexec_b32 s6, s4
	s_cbranch_execz .LBB127_61
; %bb.48:
	ds_read_b128 v[1:4], v134
	s_andn2_b32 vcc_lo, exec_lo, s7
	s_cbranch_vccnz .LBB127_50
; %bb.49:
	s_clause 0x3
	buffer_load_dword v135, v133, s[0:3], 0 offen offset:8
	buffer_load_dword v136, v133, s[0:3], 0 offen offset:12
	buffer_load_dword v137, v133, s[0:3], 0 offen
	buffer_load_dword v138, v133, s[0:3], 0 offen offset:4
	s_waitcnt vmcnt(2) lgkmcnt(0)
	v_mul_f64 v[140:141], v[3:4], v[135:136]
	v_mul_f64 v[135:136], v[1:2], v[135:136]
	s_waitcnt vmcnt(0)
	v_fma_f64 v[1:2], v[1:2], v[137:138], -v[140:141]
	v_fma_f64 v[3:4], v[3:4], v[137:138], v[135:136]
.LBB127_50:
	s_and_saveexec_b32 s8, s5
	s_cbranch_execz .LBB127_60
; %bb.51:
	v_subrev_nc_u32_e32 v136, 60, v0
	v_mov_b32_e32 v137, 59
	v_subrev_nc_u32_e32 v135, 59, v0
	s_mov_b32 s5, exec_lo
	v_cmpx_lt_u32_e32 6, v136
	s_cbranch_execz .LBB127_55
; %bb.52:
	v_and_b32_e32 v136, -8, v135
	s_movk_i32 s74, 0x7b0
	s_mov_b32 s73, 0
	s_mov_b32 s75, s13
	;; [unrolled: 1-line block ×3, first 2 shown]
.LBB127_53:                             ; =>This Inner Loop Header: Depth=1
	v_mov_b32_e32 v140, s75
	v_mov_b32_e32 v186, s74
	s_add_i32 s77, s76, 8
	s_addk_i32 s76, 0x43
	v_cmp_eq_u32_e32 vcc_lo, s77, v136
	s_clause 0x1f
	buffer_load_dword v137, v140, s[0:3], 0 offen offset:8
	buffer_load_dword v138, v140, s[0:3], 0 offen offset:12
	buffer_load_dword v148, v140, s[0:3], 0 offen
	buffer_load_dword v149, v140, s[0:3], 0 offen offset:4
	buffer_load_dword v150, v140, s[0:3], 0 offen offset:24
	;; [unrolled: 1-line block ×29, first 2 shown]
	ds_read_b128 v[140:143], v186
	ds_read_b128 v[144:147], v186 offset:16
	s_addk_i32 s74, 0x80
	s_addk_i32 s75, 0x80
	s_or_b32 s73, vcc_lo, s73
	s_waitcnt vmcnt(30) lgkmcnt(1)
	v_mul_f64 v[178:179], v[142:143], v[137:138]
	v_mul_f64 v[137:138], v[140:141], v[137:138]
	s_waitcnt vmcnt(26) lgkmcnt(0)
	v_mul_f64 v[180:181], v[146:147], v[150:151]
	v_mul_f64 v[182:183], v[144:145], v[150:151]
	v_fma_f64 v[178:179], v[140:141], v[148:149], -v[178:179]
	v_fma_f64 v[137:138], v[142:143], v[148:149], v[137:138]
	ds_read_b128 v[140:143], v186 offset:32
	ds_read_b128 v[148:151], v186 offset:48
	s_waitcnt vmcnt(24)
	v_fma_f64 v[144:145], v[144:145], v[152:153], -v[180:181]
	v_fma_f64 v[146:147], v[146:147], v[152:153], v[182:183]
	s_waitcnt vmcnt(22) lgkmcnt(1)
	v_mul_f64 v[184:185], v[142:143], v[154:155]
	v_mul_f64 v[154:155], v[140:141], v[154:155]
	v_add_f64 v[1:2], v[1:2], v[178:179]
	v_add_f64 v[3:4], v[3:4], v[137:138]
	s_waitcnt vmcnt(18) lgkmcnt(0)
	v_mul_f64 v[137:138], v[150:151], v[158:159]
	v_mul_f64 v[152:153], v[148:149], v[158:159]
	v_fma_f64 v[158:159], v[140:141], v[156:157], -v[184:185]
	v_fma_f64 v[154:155], v[142:143], v[156:157], v[154:155]
	v_add_f64 v[144:145], v[1:2], v[144:145]
	v_add_f64 v[146:147], v[3:4], v[146:147]
	ds_read_b128 v[1:4], v186 offset:64
	ds_read_b128 v[140:143], v186 offset:80
	s_waitcnt vmcnt(16)
	v_fma_f64 v[137:138], v[148:149], v[160:161], -v[137:138]
	v_fma_f64 v[148:149], v[150:151], v[160:161], v[152:153]
	s_waitcnt vmcnt(12) lgkmcnt(1)
	v_mul_f64 v[156:157], v[3:4], v[162:163]
	v_mul_f64 v[162:163], v[1:2], v[162:163]
	v_add_f64 v[144:145], v[144:145], v[158:159]
	v_add_f64 v[146:147], v[146:147], v[154:155]
	s_waitcnt vmcnt(10) lgkmcnt(0)
	v_mul_f64 v[150:151], v[142:143], v[164:165]
	v_mul_f64 v[152:153], v[140:141], v[164:165]
	s_waitcnt vmcnt(8)
	v_fma_f64 v[154:155], v[1:2], v[168:169], -v[156:157]
	v_fma_f64 v[156:157], v[3:4], v[168:169], v[162:163]
	v_add_f64 v[137:138], v[144:145], v[137:138]
	v_add_f64 v[148:149], v[146:147], v[148:149]
	ds_read_b128 v[1:4], v186 offset:96
	ds_read_b128 v[144:147], v186 offset:112
	v_fma_f64 v[140:141], v[140:141], v[166:167], -v[150:151]
	v_fma_f64 v[142:143], v[142:143], v[166:167], v[152:153]
	s_waitcnt vmcnt(4) lgkmcnt(1)
	v_mul_f64 v[158:159], v[3:4], v[170:171]
	v_mul_f64 v[160:161], v[1:2], v[170:171]
	v_add_f64 v[137:138], v[137:138], v[154:155]
	v_add_f64 v[148:149], v[148:149], v[156:157]
	s_waitcnt vmcnt(2) lgkmcnt(0)
	v_mul_f64 v[150:151], v[146:147], v[172:173]
	v_mul_f64 v[152:153], v[144:145], v[172:173]
	s_waitcnt vmcnt(0)
	v_fma_f64 v[1:2], v[1:2], v[176:177], -v[158:159]
	v_fma_f64 v[3:4], v[3:4], v[176:177], v[160:161]
	v_add_f64 v[137:138], v[137:138], v[140:141]
	v_add_f64 v[140:141], v[148:149], v[142:143]
	v_fma_f64 v[142:143], v[144:145], v[174:175], -v[150:151]
	v_fma_f64 v[144:145], v[146:147], v[174:175], v[152:153]
	v_add_f64 v[1:2], v[137:138], v[1:2]
	v_add_f64 v[3:4], v[140:141], v[3:4]
	v_mov_b32_e32 v137, s76
	s_mov_b32 s76, s77
	v_add_f64 v[1:2], v[1:2], v[142:143]
	v_add_f64 v[3:4], v[3:4], v[144:145]
	s_andn2_b32 exec_lo, exec_lo, s73
	s_cbranch_execnz .LBB127_53
; %bb.54:
	s_or_b32 exec_lo, exec_lo, s73
.LBB127_55:
	s_or_b32 exec_lo, exec_lo, s5
	v_and_b32_e32 v135, 7, v135
	s_mov_b32 s73, 0
	s_mov_b32 s5, exec_lo
	v_cmpx_ne_u32_e32 0, v135
	s_cbranch_execz .LBB127_59
; %bb.56:
	v_lshlrev_b32_e32 v137, 4, v137
	v_add_nc_u32_e32 v136, 0x400, v137
	.p2align	6
.LBB127_57:                             ; =>This Inner Loop Header: Depth=1
	s_clause 0x3
	buffer_load_dword v144, v137, s[0:3], 0 offen offset:8
	buffer_load_dword v145, v137, s[0:3], 0 offen offset:12
	buffer_load_dword v146, v137, s[0:3], 0 offen
	buffer_load_dword v147, v137, s[0:3], 0 offen offset:4
	ds_read_b128 v[140:143], v136
	v_add_nc_u32_e32 v135, -1, v135
	v_add_nc_u32_e32 v136, 16, v136
	v_add_nc_u32_e32 v137, 16, v137
	v_cmp_eq_u32_e32 vcc_lo, 0, v135
	s_or_b32 s73, vcc_lo, s73
	s_waitcnt vmcnt(2) lgkmcnt(0)
	v_mul_f64 v[148:149], v[142:143], v[144:145]
	v_mul_f64 v[144:145], v[140:141], v[144:145]
	s_waitcnt vmcnt(0)
	v_fma_f64 v[140:141], v[140:141], v[146:147], -v[148:149]
	v_fma_f64 v[142:143], v[142:143], v[146:147], v[144:145]
	v_add_f64 v[1:2], v[1:2], v[140:141]
	v_add_f64 v[3:4], v[3:4], v[142:143]
	s_andn2_b32 exec_lo, exec_lo, s73
	s_cbranch_execnz .LBB127_57
; %bb.58:
	s_or_b32 exec_lo, exec_lo, s73
.LBB127_59:
	s_or_b32 exec_lo, exec_lo, s5
.LBB127_60:
	s_or_b32 exec_lo, exec_lo, s8
	v_mov_b32_e32 v135, 0
	ds_read_b128 v[135:138], v135 offset:928
	s_waitcnt lgkmcnt(0)
	v_mul_f64 v[140:141], v[3:4], v[137:138]
	v_mul_f64 v[137:138], v[1:2], v[137:138]
	v_fma_f64 v[1:2], v[1:2], v[135:136], -v[140:141]
	v_fma_f64 v[3:4], v[3:4], v[135:136], v[137:138]
	buffer_store_dword v2, off, s[0:3], 0 offset:932
	buffer_store_dword v1, off, s[0:3], 0 offset:928
	;; [unrolled: 1-line block ×4, first 2 shown]
.LBB127_61:
	s_or_b32 exec_lo, exec_lo, s6
	v_mov_b32_e32 v4, s15
	v_cmp_lt_u32_e64 s5, 57, v0
	s_clause 0x3
	buffer_load_dword v1, v4, s[0:3], 0 offen
	buffer_load_dword v2, v4, s[0:3], 0 offen offset:4
	buffer_load_dword v3, v4, s[0:3], 0 offen offset:8
	;; [unrolled: 1-line block ×3, first 2 shown]
	s_waitcnt vmcnt(0)
	ds_write_b128 v134, v[1:4]
	s_waitcnt lgkmcnt(0)
	s_waitcnt_vscnt null, 0x0
	s_barrier
	buffer_gl0_inv
	s_and_saveexec_b32 s6, s5
	s_cbranch_execz .LBB127_75
; %bb.62:
	ds_read_b128 v[1:4], v134
	s_andn2_b32 vcc_lo, exec_lo, s7
	s_cbranch_vccnz .LBB127_64
; %bb.63:
	s_clause 0x3
	buffer_load_dword v135, v133, s[0:3], 0 offen offset:8
	buffer_load_dword v136, v133, s[0:3], 0 offen offset:12
	buffer_load_dword v137, v133, s[0:3], 0 offen
	buffer_load_dword v138, v133, s[0:3], 0 offen offset:4
	s_waitcnt vmcnt(2) lgkmcnt(0)
	v_mul_f64 v[140:141], v[3:4], v[135:136]
	v_mul_f64 v[135:136], v[1:2], v[135:136]
	s_waitcnt vmcnt(0)
	v_fma_f64 v[1:2], v[1:2], v[137:138], -v[140:141]
	v_fma_f64 v[3:4], v[3:4], v[137:138], v[135:136]
.LBB127_64:
	s_and_saveexec_b32 s8, s4
	s_cbranch_execz .LBB127_74
; %bb.65:
	v_subrev_nc_u32_e32 v136, 59, v0
	v_mov_b32_e32 v137, 58
	v_subrev_nc_u32_e32 v135, 58, v0
	s_mov_b32 s4, exec_lo
	v_cmpx_lt_u32_e32 6, v136
	s_cbranch_execz .LBB127_69
; %bb.66:
	v_and_b32_e32 v136, -8, v135
	s_movk_i32 s74, 0x7a0
	s_mov_b32 s73, 0
	s_mov_b32 s75, s14
	;; [unrolled: 1-line block ×3, first 2 shown]
.LBB127_67:                             ; =>This Inner Loop Header: Depth=1
	v_mov_b32_e32 v140, s75
	v_mov_b32_e32 v186, s74
	s_add_i32 s77, s76, 8
	s_addk_i32 s76, 0x42
	v_cmp_eq_u32_e32 vcc_lo, s77, v136
	s_clause 0x1f
	buffer_load_dword v137, v140, s[0:3], 0 offen offset:8
	buffer_load_dword v138, v140, s[0:3], 0 offen offset:12
	buffer_load_dword v148, v140, s[0:3], 0 offen
	buffer_load_dword v149, v140, s[0:3], 0 offen offset:4
	buffer_load_dword v150, v140, s[0:3], 0 offen offset:24
	;; [unrolled: 1-line block ×29, first 2 shown]
	ds_read_b128 v[140:143], v186
	ds_read_b128 v[144:147], v186 offset:16
	s_addk_i32 s74, 0x80
	s_addk_i32 s75, 0x80
	s_or_b32 s73, vcc_lo, s73
	s_waitcnt vmcnt(30) lgkmcnt(1)
	v_mul_f64 v[178:179], v[142:143], v[137:138]
	v_mul_f64 v[137:138], v[140:141], v[137:138]
	s_waitcnt vmcnt(26) lgkmcnt(0)
	v_mul_f64 v[180:181], v[146:147], v[150:151]
	v_mul_f64 v[182:183], v[144:145], v[150:151]
	v_fma_f64 v[178:179], v[140:141], v[148:149], -v[178:179]
	v_fma_f64 v[137:138], v[142:143], v[148:149], v[137:138]
	ds_read_b128 v[140:143], v186 offset:32
	ds_read_b128 v[148:151], v186 offset:48
	s_waitcnt vmcnt(24)
	v_fma_f64 v[144:145], v[144:145], v[152:153], -v[180:181]
	v_fma_f64 v[146:147], v[146:147], v[152:153], v[182:183]
	s_waitcnt vmcnt(22) lgkmcnt(1)
	v_mul_f64 v[184:185], v[142:143], v[154:155]
	v_mul_f64 v[154:155], v[140:141], v[154:155]
	v_add_f64 v[1:2], v[1:2], v[178:179]
	v_add_f64 v[3:4], v[3:4], v[137:138]
	s_waitcnt vmcnt(18) lgkmcnt(0)
	v_mul_f64 v[137:138], v[150:151], v[158:159]
	v_mul_f64 v[152:153], v[148:149], v[158:159]
	v_fma_f64 v[158:159], v[140:141], v[156:157], -v[184:185]
	v_fma_f64 v[154:155], v[142:143], v[156:157], v[154:155]
	v_add_f64 v[144:145], v[1:2], v[144:145]
	v_add_f64 v[146:147], v[3:4], v[146:147]
	ds_read_b128 v[1:4], v186 offset:64
	ds_read_b128 v[140:143], v186 offset:80
	s_waitcnt vmcnt(16)
	v_fma_f64 v[137:138], v[148:149], v[160:161], -v[137:138]
	v_fma_f64 v[148:149], v[150:151], v[160:161], v[152:153]
	s_waitcnt vmcnt(12) lgkmcnt(1)
	v_mul_f64 v[156:157], v[3:4], v[162:163]
	v_mul_f64 v[162:163], v[1:2], v[162:163]
	v_add_f64 v[144:145], v[144:145], v[158:159]
	v_add_f64 v[146:147], v[146:147], v[154:155]
	s_waitcnt vmcnt(10) lgkmcnt(0)
	v_mul_f64 v[150:151], v[142:143], v[164:165]
	v_mul_f64 v[152:153], v[140:141], v[164:165]
	s_waitcnt vmcnt(8)
	v_fma_f64 v[154:155], v[1:2], v[168:169], -v[156:157]
	v_fma_f64 v[156:157], v[3:4], v[168:169], v[162:163]
	v_add_f64 v[137:138], v[144:145], v[137:138]
	v_add_f64 v[148:149], v[146:147], v[148:149]
	ds_read_b128 v[1:4], v186 offset:96
	ds_read_b128 v[144:147], v186 offset:112
	v_fma_f64 v[140:141], v[140:141], v[166:167], -v[150:151]
	v_fma_f64 v[142:143], v[142:143], v[166:167], v[152:153]
	s_waitcnt vmcnt(4) lgkmcnt(1)
	v_mul_f64 v[158:159], v[3:4], v[170:171]
	v_mul_f64 v[160:161], v[1:2], v[170:171]
	v_add_f64 v[137:138], v[137:138], v[154:155]
	v_add_f64 v[148:149], v[148:149], v[156:157]
	s_waitcnt vmcnt(2) lgkmcnt(0)
	v_mul_f64 v[150:151], v[146:147], v[172:173]
	v_mul_f64 v[152:153], v[144:145], v[172:173]
	s_waitcnt vmcnt(0)
	v_fma_f64 v[1:2], v[1:2], v[176:177], -v[158:159]
	v_fma_f64 v[3:4], v[3:4], v[176:177], v[160:161]
	v_add_f64 v[137:138], v[137:138], v[140:141]
	v_add_f64 v[140:141], v[148:149], v[142:143]
	v_fma_f64 v[142:143], v[144:145], v[174:175], -v[150:151]
	v_fma_f64 v[144:145], v[146:147], v[174:175], v[152:153]
	v_add_f64 v[1:2], v[137:138], v[1:2]
	v_add_f64 v[3:4], v[140:141], v[3:4]
	v_mov_b32_e32 v137, s76
	s_mov_b32 s76, s77
	v_add_f64 v[1:2], v[1:2], v[142:143]
	v_add_f64 v[3:4], v[3:4], v[144:145]
	s_andn2_b32 exec_lo, exec_lo, s73
	s_cbranch_execnz .LBB127_67
; %bb.68:
	s_or_b32 exec_lo, exec_lo, s73
.LBB127_69:
	s_or_b32 exec_lo, exec_lo, s4
	v_and_b32_e32 v135, 7, v135
	s_mov_b32 s73, 0
	s_mov_b32 s4, exec_lo
	v_cmpx_ne_u32_e32 0, v135
	s_cbranch_execz .LBB127_73
; %bb.70:
	v_lshlrev_b32_e32 v137, 4, v137
	v_add_nc_u32_e32 v136, 0x400, v137
	.p2align	6
.LBB127_71:                             ; =>This Inner Loop Header: Depth=1
	s_clause 0x3
	buffer_load_dword v144, v137, s[0:3], 0 offen offset:8
	buffer_load_dword v145, v137, s[0:3], 0 offen offset:12
	buffer_load_dword v146, v137, s[0:3], 0 offen
	buffer_load_dword v147, v137, s[0:3], 0 offen offset:4
	ds_read_b128 v[140:143], v136
	v_add_nc_u32_e32 v135, -1, v135
	v_add_nc_u32_e32 v136, 16, v136
	v_add_nc_u32_e32 v137, 16, v137
	v_cmp_eq_u32_e32 vcc_lo, 0, v135
	s_or_b32 s73, vcc_lo, s73
	s_waitcnt vmcnt(2) lgkmcnt(0)
	v_mul_f64 v[148:149], v[142:143], v[144:145]
	v_mul_f64 v[144:145], v[140:141], v[144:145]
	s_waitcnt vmcnt(0)
	v_fma_f64 v[140:141], v[140:141], v[146:147], -v[148:149]
	v_fma_f64 v[142:143], v[142:143], v[146:147], v[144:145]
	v_add_f64 v[1:2], v[1:2], v[140:141]
	v_add_f64 v[3:4], v[3:4], v[142:143]
	s_andn2_b32 exec_lo, exec_lo, s73
	s_cbranch_execnz .LBB127_71
; %bb.72:
	s_or_b32 exec_lo, exec_lo, s73
.LBB127_73:
	s_or_b32 exec_lo, exec_lo, s4
.LBB127_74:
	s_or_b32 exec_lo, exec_lo, s8
	v_mov_b32_e32 v135, 0
	ds_read_b128 v[135:138], v135 offset:912
	s_waitcnt lgkmcnt(0)
	v_mul_f64 v[140:141], v[3:4], v[137:138]
	v_mul_f64 v[137:138], v[1:2], v[137:138]
	v_fma_f64 v[1:2], v[1:2], v[135:136], -v[140:141]
	v_fma_f64 v[3:4], v[3:4], v[135:136], v[137:138]
	buffer_store_dword v2, off, s[0:3], 0 offset:916
	buffer_store_dword v1, off, s[0:3], 0 offset:912
	;; [unrolled: 1-line block ×4, first 2 shown]
.LBB127_75:
	s_or_b32 exec_lo, exec_lo, s6
	v_mov_b32_e32 v4, s16
	v_cmp_lt_u32_e64 s4, 56, v0
	s_clause 0x3
	buffer_load_dword v1, v4, s[0:3], 0 offen
	buffer_load_dword v2, v4, s[0:3], 0 offen offset:4
	buffer_load_dword v3, v4, s[0:3], 0 offen offset:8
	;; [unrolled: 1-line block ×3, first 2 shown]
	s_waitcnt vmcnt(0)
	ds_write_b128 v134, v[1:4]
	s_waitcnt lgkmcnt(0)
	s_waitcnt_vscnt null, 0x0
	s_barrier
	buffer_gl0_inv
	s_and_saveexec_b32 s6, s4
	s_cbranch_execz .LBB127_89
; %bb.76:
	ds_read_b128 v[1:4], v134
	s_andn2_b32 vcc_lo, exec_lo, s7
	s_cbranch_vccnz .LBB127_78
; %bb.77:
	s_clause 0x3
	buffer_load_dword v135, v133, s[0:3], 0 offen offset:8
	buffer_load_dword v136, v133, s[0:3], 0 offen offset:12
	buffer_load_dword v137, v133, s[0:3], 0 offen
	buffer_load_dword v138, v133, s[0:3], 0 offen offset:4
	s_waitcnt vmcnt(2) lgkmcnt(0)
	v_mul_f64 v[140:141], v[3:4], v[135:136]
	v_mul_f64 v[135:136], v[1:2], v[135:136]
	s_waitcnt vmcnt(0)
	v_fma_f64 v[1:2], v[1:2], v[137:138], -v[140:141]
	v_fma_f64 v[3:4], v[3:4], v[137:138], v[135:136]
.LBB127_78:
	s_and_saveexec_b32 s8, s5
	s_cbranch_execz .LBB127_88
; %bb.79:
	v_subrev_nc_u32_e32 v136, 58, v0
	v_mov_b32_e32 v137, 57
	v_subrev_nc_u32_e32 v135, 57, v0
	s_mov_b32 s5, exec_lo
	v_cmpx_lt_u32_e32 6, v136
	s_cbranch_execz .LBB127_83
; %bb.80:
	v_and_b32_e32 v136, -8, v135
	s_movk_i32 s74, 0x790
	s_mov_b32 s73, 0
	s_mov_b32 s75, s15
	;; [unrolled: 1-line block ×3, first 2 shown]
.LBB127_81:                             ; =>This Inner Loop Header: Depth=1
	v_mov_b32_e32 v140, s75
	v_mov_b32_e32 v186, s74
	s_add_i32 s77, s76, 8
	s_addk_i32 s76, 0x41
	v_cmp_eq_u32_e32 vcc_lo, s77, v136
	s_clause 0x1f
	buffer_load_dword v137, v140, s[0:3], 0 offen offset:8
	buffer_load_dword v138, v140, s[0:3], 0 offen offset:12
	buffer_load_dword v148, v140, s[0:3], 0 offen
	buffer_load_dword v149, v140, s[0:3], 0 offen offset:4
	buffer_load_dword v150, v140, s[0:3], 0 offen offset:24
	;; [unrolled: 1-line block ×29, first 2 shown]
	ds_read_b128 v[140:143], v186
	ds_read_b128 v[144:147], v186 offset:16
	s_addk_i32 s74, 0x80
	s_addk_i32 s75, 0x80
	s_or_b32 s73, vcc_lo, s73
	s_waitcnt vmcnt(30) lgkmcnt(1)
	v_mul_f64 v[178:179], v[142:143], v[137:138]
	v_mul_f64 v[137:138], v[140:141], v[137:138]
	s_waitcnt vmcnt(26) lgkmcnt(0)
	v_mul_f64 v[180:181], v[146:147], v[150:151]
	v_mul_f64 v[182:183], v[144:145], v[150:151]
	v_fma_f64 v[178:179], v[140:141], v[148:149], -v[178:179]
	v_fma_f64 v[137:138], v[142:143], v[148:149], v[137:138]
	ds_read_b128 v[140:143], v186 offset:32
	ds_read_b128 v[148:151], v186 offset:48
	s_waitcnt vmcnt(24)
	v_fma_f64 v[144:145], v[144:145], v[152:153], -v[180:181]
	v_fma_f64 v[146:147], v[146:147], v[152:153], v[182:183]
	s_waitcnt vmcnt(22) lgkmcnt(1)
	v_mul_f64 v[184:185], v[142:143], v[154:155]
	v_mul_f64 v[154:155], v[140:141], v[154:155]
	v_add_f64 v[1:2], v[1:2], v[178:179]
	v_add_f64 v[3:4], v[3:4], v[137:138]
	s_waitcnt vmcnt(18) lgkmcnt(0)
	v_mul_f64 v[137:138], v[150:151], v[158:159]
	v_mul_f64 v[152:153], v[148:149], v[158:159]
	v_fma_f64 v[158:159], v[140:141], v[156:157], -v[184:185]
	v_fma_f64 v[154:155], v[142:143], v[156:157], v[154:155]
	v_add_f64 v[144:145], v[1:2], v[144:145]
	v_add_f64 v[146:147], v[3:4], v[146:147]
	ds_read_b128 v[1:4], v186 offset:64
	ds_read_b128 v[140:143], v186 offset:80
	s_waitcnt vmcnt(16)
	v_fma_f64 v[137:138], v[148:149], v[160:161], -v[137:138]
	v_fma_f64 v[148:149], v[150:151], v[160:161], v[152:153]
	s_waitcnt vmcnt(12) lgkmcnt(1)
	v_mul_f64 v[156:157], v[3:4], v[162:163]
	v_mul_f64 v[162:163], v[1:2], v[162:163]
	v_add_f64 v[144:145], v[144:145], v[158:159]
	v_add_f64 v[146:147], v[146:147], v[154:155]
	s_waitcnt vmcnt(10) lgkmcnt(0)
	v_mul_f64 v[150:151], v[142:143], v[164:165]
	v_mul_f64 v[152:153], v[140:141], v[164:165]
	s_waitcnt vmcnt(8)
	v_fma_f64 v[154:155], v[1:2], v[168:169], -v[156:157]
	v_fma_f64 v[156:157], v[3:4], v[168:169], v[162:163]
	v_add_f64 v[137:138], v[144:145], v[137:138]
	v_add_f64 v[148:149], v[146:147], v[148:149]
	ds_read_b128 v[1:4], v186 offset:96
	ds_read_b128 v[144:147], v186 offset:112
	v_fma_f64 v[140:141], v[140:141], v[166:167], -v[150:151]
	v_fma_f64 v[142:143], v[142:143], v[166:167], v[152:153]
	s_waitcnt vmcnt(4) lgkmcnt(1)
	v_mul_f64 v[158:159], v[3:4], v[170:171]
	v_mul_f64 v[160:161], v[1:2], v[170:171]
	v_add_f64 v[137:138], v[137:138], v[154:155]
	v_add_f64 v[148:149], v[148:149], v[156:157]
	s_waitcnt vmcnt(2) lgkmcnt(0)
	v_mul_f64 v[150:151], v[146:147], v[172:173]
	v_mul_f64 v[152:153], v[144:145], v[172:173]
	s_waitcnt vmcnt(0)
	v_fma_f64 v[1:2], v[1:2], v[176:177], -v[158:159]
	v_fma_f64 v[3:4], v[3:4], v[176:177], v[160:161]
	v_add_f64 v[137:138], v[137:138], v[140:141]
	v_add_f64 v[140:141], v[148:149], v[142:143]
	v_fma_f64 v[142:143], v[144:145], v[174:175], -v[150:151]
	v_fma_f64 v[144:145], v[146:147], v[174:175], v[152:153]
	v_add_f64 v[1:2], v[137:138], v[1:2]
	v_add_f64 v[3:4], v[140:141], v[3:4]
	v_mov_b32_e32 v137, s76
	s_mov_b32 s76, s77
	v_add_f64 v[1:2], v[1:2], v[142:143]
	v_add_f64 v[3:4], v[3:4], v[144:145]
	s_andn2_b32 exec_lo, exec_lo, s73
	s_cbranch_execnz .LBB127_81
; %bb.82:
	s_or_b32 exec_lo, exec_lo, s73
.LBB127_83:
	s_or_b32 exec_lo, exec_lo, s5
	v_and_b32_e32 v135, 7, v135
	s_mov_b32 s73, 0
	s_mov_b32 s5, exec_lo
	v_cmpx_ne_u32_e32 0, v135
	s_cbranch_execz .LBB127_87
; %bb.84:
	v_lshlrev_b32_e32 v137, 4, v137
	v_add_nc_u32_e32 v136, 0x400, v137
	.p2align	6
.LBB127_85:                             ; =>This Inner Loop Header: Depth=1
	s_clause 0x3
	buffer_load_dword v144, v137, s[0:3], 0 offen offset:8
	buffer_load_dword v145, v137, s[0:3], 0 offen offset:12
	buffer_load_dword v146, v137, s[0:3], 0 offen
	buffer_load_dword v147, v137, s[0:3], 0 offen offset:4
	ds_read_b128 v[140:143], v136
	v_add_nc_u32_e32 v135, -1, v135
	v_add_nc_u32_e32 v136, 16, v136
	v_add_nc_u32_e32 v137, 16, v137
	v_cmp_eq_u32_e32 vcc_lo, 0, v135
	s_or_b32 s73, vcc_lo, s73
	s_waitcnt vmcnt(2) lgkmcnt(0)
	v_mul_f64 v[148:149], v[142:143], v[144:145]
	v_mul_f64 v[144:145], v[140:141], v[144:145]
	s_waitcnt vmcnt(0)
	v_fma_f64 v[140:141], v[140:141], v[146:147], -v[148:149]
	v_fma_f64 v[142:143], v[142:143], v[146:147], v[144:145]
	v_add_f64 v[1:2], v[1:2], v[140:141]
	v_add_f64 v[3:4], v[3:4], v[142:143]
	s_andn2_b32 exec_lo, exec_lo, s73
	s_cbranch_execnz .LBB127_85
; %bb.86:
	s_or_b32 exec_lo, exec_lo, s73
.LBB127_87:
	s_or_b32 exec_lo, exec_lo, s5
.LBB127_88:
	s_or_b32 exec_lo, exec_lo, s8
	v_mov_b32_e32 v135, 0
	ds_read_b128 v[135:138], v135 offset:896
	s_waitcnt lgkmcnt(0)
	v_mul_f64 v[140:141], v[3:4], v[137:138]
	v_mul_f64 v[137:138], v[1:2], v[137:138]
	v_fma_f64 v[1:2], v[1:2], v[135:136], -v[140:141]
	v_fma_f64 v[3:4], v[3:4], v[135:136], v[137:138]
	buffer_store_dword v2, off, s[0:3], 0 offset:900
	buffer_store_dword v1, off, s[0:3], 0 offset:896
	;; [unrolled: 1-line block ×4, first 2 shown]
.LBB127_89:
	s_or_b32 exec_lo, exec_lo, s6
	v_mov_b32_e32 v4, s17
	v_cmp_lt_u32_e64 s5, 55, v0
	s_clause 0x3
	buffer_load_dword v1, v4, s[0:3], 0 offen
	buffer_load_dword v2, v4, s[0:3], 0 offen offset:4
	buffer_load_dword v3, v4, s[0:3], 0 offen offset:8
	;; [unrolled: 1-line block ×3, first 2 shown]
	s_waitcnt vmcnt(0)
	ds_write_b128 v134, v[1:4]
	s_waitcnt lgkmcnt(0)
	s_waitcnt_vscnt null, 0x0
	s_barrier
	buffer_gl0_inv
	s_and_saveexec_b32 s6, s5
	s_cbranch_execz .LBB127_103
; %bb.90:
	ds_read_b128 v[1:4], v134
	s_andn2_b32 vcc_lo, exec_lo, s7
	s_cbranch_vccnz .LBB127_92
; %bb.91:
	s_clause 0x3
	buffer_load_dword v135, v133, s[0:3], 0 offen offset:8
	buffer_load_dword v136, v133, s[0:3], 0 offen offset:12
	buffer_load_dword v137, v133, s[0:3], 0 offen
	buffer_load_dword v138, v133, s[0:3], 0 offen offset:4
	s_waitcnt vmcnt(2) lgkmcnt(0)
	v_mul_f64 v[140:141], v[3:4], v[135:136]
	v_mul_f64 v[135:136], v[1:2], v[135:136]
	s_waitcnt vmcnt(0)
	v_fma_f64 v[1:2], v[1:2], v[137:138], -v[140:141]
	v_fma_f64 v[3:4], v[3:4], v[137:138], v[135:136]
.LBB127_92:
	s_and_saveexec_b32 s8, s4
	s_cbranch_execz .LBB127_102
; %bb.93:
	v_subrev_nc_u32_e32 v135, 57, v0
	v_cmp_lt_u32_e32 vcc_lo, 6, v135
	v_mov_b32_e32 v135, 56
	s_and_saveexec_b32 s4, vcc_lo
	s_cbranch_execz .LBB127_97
; %bb.94:
	v_and_b32_e32 v135, 56, v0
	s_mov_b32 s73, 56
	s_movk_i32 s75, 0x780
	s_mov_b32 s74, 0
	s_mov_b32 s76, s16
.LBB127_95:                             ; =>This Inner Loop Header: Depth=1
	v_mov_b32_e32 v138, s76
	s_add_i32 s73, s73, 8
	s_addk_i32 s76, 0x80
	v_cmp_eq_u32_e32 vcc_lo, s73, v135
	s_clause 0x1f
	buffer_load_dword v136, v138, s[0:3], 0 offen offset:8
	buffer_load_dword v137, v138, s[0:3], 0 offen offset:12
	buffer_load_dword v148, v138, s[0:3], 0 offen
	buffer_load_dword v149, v138, s[0:3], 0 offen offset:4
	buffer_load_dword v150, v138, s[0:3], 0 offen offset:24
	;; [unrolled: 1-line block ×29, first 2 shown]
	v_mov_b32_e32 v138, s75
	s_addk_i32 s75, 0x80
	s_or_b32 s74, vcc_lo, s74
	ds_read_b128 v[140:143], v138
	ds_read_b128 v[144:147], v138 offset:16
	s_waitcnt vmcnt(30) lgkmcnt(1)
	v_mul_f64 v[178:179], v[142:143], v[136:137]
	v_mul_f64 v[136:137], v[140:141], v[136:137]
	s_waitcnt vmcnt(26) lgkmcnt(0)
	v_mul_f64 v[180:181], v[146:147], v[150:151]
	v_mul_f64 v[182:183], v[144:145], v[150:151]
	v_fma_f64 v[178:179], v[140:141], v[148:149], -v[178:179]
	v_fma_f64 v[136:137], v[142:143], v[148:149], v[136:137]
	ds_read_b128 v[140:143], v138 offset:32
	ds_read_b128 v[148:151], v138 offset:48
	s_waitcnt vmcnt(24)
	v_fma_f64 v[144:145], v[144:145], v[152:153], -v[180:181]
	v_fma_f64 v[146:147], v[146:147], v[152:153], v[182:183]
	s_waitcnt vmcnt(22) lgkmcnt(1)
	v_mul_f64 v[184:185], v[142:143], v[154:155]
	v_mul_f64 v[154:155], v[140:141], v[154:155]
	v_add_f64 v[1:2], v[1:2], v[178:179]
	v_add_f64 v[3:4], v[3:4], v[136:137]
	s_waitcnt vmcnt(18) lgkmcnt(0)
	v_mul_f64 v[136:137], v[150:151], v[158:159]
	v_mul_f64 v[152:153], v[148:149], v[158:159]
	v_fma_f64 v[158:159], v[140:141], v[156:157], -v[184:185]
	v_fma_f64 v[154:155], v[142:143], v[156:157], v[154:155]
	v_add_f64 v[144:145], v[1:2], v[144:145]
	v_add_f64 v[146:147], v[3:4], v[146:147]
	ds_read_b128 v[1:4], v138 offset:64
	ds_read_b128 v[140:143], v138 offset:80
	s_waitcnt vmcnt(16)
	v_fma_f64 v[136:137], v[148:149], v[160:161], -v[136:137]
	v_fma_f64 v[148:149], v[150:151], v[160:161], v[152:153]
	s_waitcnt vmcnt(12) lgkmcnt(1)
	v_mul_f64 v[156:157], v[3:4], v[162:163]
	v_mul_f64 v[162:163], v[1:2], v[162:163]
	v_add_f64 v[144:145], v[144:145], v[158:159]
	v_add_f64 v[146:147], v[146:147], v[154:155]
	s_waitcnt vmcnt(10) lgkmcnt(0)
	v_mul_f64 v[150:151], v[142:143], v[164:165]
	v_mul_f64 v[152:153], v[140:141], v[164:165]
	s_waitcnt vmcnt(8)
	v_fma_f64 v[154:155], v[1:2], v[168:169], -v[156:157]
	v_fma_f64 v[156:157], v[3:4], v[168:169], v[162:163]
	v_add_f64 v[136:137], v[144:145], v[136:137]
	v_add_f64 v[148:149], v[146:147], v[148:149]
	ds_read_b128 v[1:4], v138 offset:96
	ds_read_b128 v[144:147], v138 offset:112
	v_fma_f64 v[140:141], v[140:141], v[166:167], -v[150:151]
	v_fma_f64 v[142:143], v[142:143], v[166:167], v[152:153]
	s_waitcnt vmcnt(4) lgkmcnt(1)
	v_mul_f64 v[158:159], v[3:4], v[170:171]
	v_mul_f64 v[160:161], v[1:2], v[170:171]
	v_add_f64 v[136:137], v[136:137], v[154:155]
	v_add_f64 v[148:149], v[148:149], v[156:157]
	s_waitcnt vmcnt(2) lgkmcnt(0)
	v_mul_f64 v[150:151], v[146:147], v[172:173]
	v_mul_f64 v[152:153], v[144:145], v[172:173]
	s_waitcnt vmcnt(0)
	v_fma_f64 v[1:2], v[1:2], v[176:177], -v[158:159]
	v_fma_f64 v[3:4], v[3:4], v[176:177], v[160:161]
	v_add_f64 v[136:137], v[136:137], v[140:141]
	v_add_f64 v[140:141], v[148:149], v[142:143]
	v_fma_f64 v[142:143], v[144:145], v[174:175], -v[150:151]
	v_fma_f64 v[144:145], v[146:147], v[174:175], v[152:153]
	v_add_f64 v[1:2], v[136:137], v[1:2]
	v_add_f64 v[3:4], v[140:141], v[3:4]
	;; [unrolled: 1-line block ×4, first 2 shown]
	s_andn2_b32 exec_lo, exec_lo, s74
	s_cbranch_execnz .LBB127_95
; %bb.96:
	s_or_b32 exec_lo, exec_lo, s74
.LBB127_97:
	s_or_b32 exec_lo, exec_lo, s4
	v_and_b32_e32 v136, 7, v0
	s_mov_b32 s73, 0
	s_mov_b32 s4, exec_lo
	v_cmpx_ne_u32_e32 0, v136
	s_cbranch_execz .LBB127_101
; %bb.98:
	v_lshlrev_b32_e32 v137, 4, v135
	v_or_b32_e32 v135, 0x400, v137
	.p2align	6
.LBB127_99:                             ; =>This Inner Loop Header: Depth=1
	s_clause 0x3
	buffer_load_dword v144, v137, s[0:3], 0 offen offset:8
	buffer_load_dword v145, v137, s[0:3], 0 offen offset:12
	buffer_load_dword v146, v137, s[0:3], 0 offen
	buffer_load_dword v147, v137, s[0:3], 0 offen offset:4
	ds_read_b128 v[140:143], v135
	v_add_nc_u32_e32 v136, -1, v136
	v_add_nc_u32_e32 v135, 16, v135
	v_add_nc_u32_e32 v137, 16, v137
	v_cmp_eq_u32_e32 vcc_lo, 0, v136
	s_or_b32 s73, vcc_lo, s73
	s_waitcnt vmcnt(2) lgkmcnt(0)
	v_mul_f64 v[148:149], v[142:143], v[144:145]
	v_mul_f64 v[144:145], v[140:141], v[144:145]
	s_waitcnt vmcnt(0)
	v_fma_f64 v[140:141], v[140:141], v[146:147], -v[148:149]
	v_fma_f64 v[142:143], v[142:143], v[146:147], v[144:145]
	v_add_f64 v[1:2], v[1:2], v[140:141]
	v_add_f64 v[3:4], v[3:4], v[142:143]
	s_andn2_b32 exec_lo, exec_lo, s73
	s_cbranch_execnz .LBB127_99
; %bb.100:
	s_or_b32 exec_lo, exec_lo, s73
.LBB127_101:
	s_or_b32 exec_lo, exec_lo, s4
.LBB127_102:
	s_or_b32 exec_lo, exec_lo, s8
	v_mov_b32_e32 v135, 0
	ds_read_b128 v[135:138], v135 offset:880
	s_waitcnt lgkmcnt(0)
	v_mul_f64 v[140:141], v[3:4], v[137:138]
	v_mul_f64 v[137:138], v[1:2], v[137:138]
	v_fma_f64 v[1:2], v[1:2], v[135:136], -v[140:141]
	v_fma_f64 v[3:4], v[3:4], v[135:136], v[137:138]
	buffer_store_dword v2, off, s[0:3], 0 offset:884
	buffer_store_dword v1, off, s[0:3], 0 offset:880
	;; [unrolled: 1-line block ×4, first 2 shown]
.LBB127_103:
	s_or_b32 exec_lo, exec_lo, s6
	v_mov_b32_e32 v4, s18
	v_cmp_lt_u32_e64 s4, 54, v0
	s_clause 0x3
	buffer_load_dword v1, v4, s[0:3], 0 offen
	buffer_load_dword v2, v4, s[0:3], 0 offen offset:4
	buffer_load_dword v3, v4, s[0:3], 0 offen offset:8
	;; [unrolled: 1-line block ×3, first 2 shown]
	s_waitcnt vmcnt(0)
	ds_write_b128 v134, v[1:4]
	s_waitcnt lgkmcnt(0)
	s_waitcnt_vscnt null, 0x0
	s_barrier
	buffer_gl0_inv
	s_and_saveexec_b32 s6, s4
	s_cbranch_execz .LBB127_117
; %bb.104:
	ds_read_b128 v[1:4], v134
	s_andn2_b32 vcc_lo, exec_lo, s7
	s_cbranch_vccnz .LBB127_106
; %bb.105:
	s_clause 0x3
	buffer_load_dword v135, v133, s[0:3], 0 offen offset:8
	buffer_load_dword v136, v133, s[0:3], 0 offen offset:12
	buffer_load_dword v137, v133, s[0:3], 0 offen
	buffer_load_dword v138, v133, s[0:3], 0 offen offset:4
	s_waitcnt vmcnt(2) lgkmcnt(0)
	v_mul_f64 v[140:141], v[3:4], v[135:136]
	v_mul_f64 v[135:136], v[1:2], v[135:136]
	s_waitcnt vmcnt(0)
	v_fma_f64 v[1:2], v[1:2], v[137:138], -v[140:141]
	v_fma_f64 v[3:4], v[3:4], v[137:138], v[135:136]
.LBB127_106:
	s_and_saveexec_b32 s8, s5
	s_cbranch_execz .LBB127_116
; %bb.107:
	v_subrev_nc_u32_e32 v136, 56, v0
	v_mov_b32_e32 v137, 55
	v_subrev_nc_u32_e32 v135, 55, v0
	s_mov_b32 s5, exec_lo
	v_cmpx_lt_u32_e32 6, v136
	s_cbranch_execz .LBB127_111
; %bb.108:
	v_and_b32_e32 v136, -8, v135
	s_movk_i32 s74, 0x770
	s_mov_b32 s73, 0
	s_mov_b32 s75, s17
	;; [unrolled: 1-line block ×3, first 2 shown]
.LBB127_109:                            ; =>This Inner Loop Header: Depth=1
	v_mov_b32_e32 v140, s75
	v_mov_b32_e32 v186, s74
	s_add_i32 s77, s76, 8
	s_add_i32 s76, s76, 63
	v_cmp_eq_u32_e32 vcc_lo, s77, v136
	s_clause 0x1f
	buffer_load_dword v137, v140, s[0:3], 0 offen offset:8
	buffer_load_dword v138, v140, s[0:3], 0 offen offset:12
	buffer_load_dword v148, v140, s[0:3], 0 offen
	buffer_load_dword v149, v140, s[0:3], 0 offen offset:4
	buffer_load_dword v150, v140, s[0:3], 0 offen offset:24
	;; [unrolled: 1-line block ×29, first 2 shown]
	ds_read_b128 v[140:143], v186
	ds_read_b128 v[144:147], v186 offset:16
	s_addk_i32 s74, 0x80
	s_addk_i32 s75, 0x80
	s_or_b32 s73, vcc_lo, s73
	s_waitcnt vmcnt(30) lgkmcnt(1)
	v_mul_f64 v[178:179], v[142:143], v[137:138]
	v_mul_f64 v[137:138], v[140:141], v[137:138]
	s_waitcnt vmcnt(26) lgkmcnt(0)
	v_mul_f64 v[180:181], v[146:147], v[150:151]
	v_mul_f64 v[182:183], v[144:145], v[150:151]
	v_fma_f64 v[178:179], v[140:141], v[148:149], -v[178:179]
	v_fma_f64 v[137:138], v[142:143], v[148:149], v[137:138]
	ds_read_b128 v[140:143], v186 offset:32
	ds_read_b128 v[148:151], v186 offset:48
	s_waitcnt vmcnt(24)
	v_fma_f64 v[144:145], v[144:145], v[152:153], -v[180:181]
	v_fma_f64 v[146:147], v[146:147], v[152:153], v[182:183]
	s_waitcnt vmcnt(22) lgkmcnt(1)
	v_mul_f64 v[184:185], v[142:143], v[154:155]
	v_mul_f64 v[154:155], v[140:141], v[154:155]
	v_add_f64 v[1:2], v[1:2], v[178:179]
	v_add_f64 v[3:4], v[3:4], v[137:138]
	s_waitcnt vmcnt(18) lgkmcnt(0)
	v_mul_f64 v[137:138], v[150:151], v[158:159]
	v_mul_f64 v[152:153], v[148:149], v[158:159]
	v_fma_f64 v[158:159], v[140:141], v[156:157], -v[184:185]
	v_fma_f64 v[154:155], v[142:143], v[156:157], v[154:155]
	v_add_f64 v[144:145], v[1:2], v[144:145]
	v_add_f64 v[146:147], v[3:4], v[146:147]
	ds_read_b128 v[1:4], v186 offset:64
	ds_read_b128 v[140:143], v186 offset:80
	s_waitcnt vmcnt(16)
	v_fma_f64 v[137:138], v[148:149], v[160:161], -v[137:138]
	v_fma_f64 v[148:149], v[150:151], v[160:161], v[152:153]
	s_waitcnt vmcnt(12) lgkmcnt(1)
	v_mul_f64 v[156:157], v[3:4], v[162:163]
	v_mul_f64 v[162:163], v[1:2], v[162:163]
	v_add_f64 v[144:145], v[144:145], v[158:159]
	v_add_f64 v[146:147], v[146:147], v[154:155]
	s_waitcnt vmcnt(10) lgkmcnt(0)
	v_mul_f64 v[150:151], v[142:143], v[164:165]
	v_mul_f64 v[152:153], v[140:141], v[164:165]
	s_waitcnt vmcnt(8)
	v_fma_f64 v[154:155], v[1:2], v[168:169], -v[156:157]
	v_fma_f64 v[156:157], v[3:4], v[168:169], v[162:163]
	v_add_f64 v[137:138], v[144:145], v[137:138]
	v_add_f64 v[148:149], v[146:147], v[148:149]
	ds_read_b128 v[1:4], v186 offset:96
	ds_read_b128 v[144:147], v186 offset:112
	v_fma_f64 v[140:141], v[140:141], v[166:167], -v[150:151]
	v_fma_f64 v[142:143], v[142:143], v[166:167], v[152:153]
	s_waitcnt vmcnt(4) lgkmcnt(1)
	v_mul_f64 v[158:159], v[3:4], v[170:171]
	v_mul_f64 v[160:161], v[1:2], v[170:171]
	v_add_f64 v[137:138], v[137:138], v[154:155]
	v_add_f64 v[148:149], v[148:149], v[156:157]
	s_waitcnt vmcnt(2) lgkmcnt(0)
	v_mul_f64 v[150:151], v[146:147], v[172:173]
	v_mul_f64 v[152:153], v[144:145], v[172:173]
	s_waitcnt vmcnt(0)
	v_fma_f64 v[1:2], v[1:2], v[176:177], -v[158:159]
	v_fma_f64 v[3:4], v[3:4], v[176:177], v[160:161]
	v_add_f64 v[137:138], v[137:138], v[140:141]
	v_add_f64 v[140:141], v[148:149], v[142:143]
	v_fma_f64 v[142:143], v[144:145], v[174:175], -v[150:151]
	v_fma_f64 v[144:145], v[146:147], v[174:175], v[152:153]
	v_add_f64 v[1:2], v[137:138], v[1:2]
	v_add_f64 v[3:4], v[140:141], v[3:4]
	v_mov_b32_e32 v137, s76
	s_mov_b32 s76, s77
	v_add_f64 v[1:2], v[1:2], v[142:143]
	v_add_f64 v[3:4], v[3:4], v[144:145]
	s_andn2_b32 exec_lo, exec_lo, s73
	s_cbranch_execnz .LBB127_109
; %bb.110:
	s_or_b32 exec_lo, exec_lo, s73
.LBB127_111:
	s_or_b32 exec_lo, exec_lo, s5
	v_and_b32_e32 v135, 7, v135
	s_mov_b32 s73, 0
	s_mov_b32 s5, exec_lo
	v_cmpx_ne_u32_e32 0, v135
	s_cbranch_execz .LBB127_115
; %bb.112:
	v_lshlrev_b32_e32 v137, 4, v137
	v_add_nc_u32_e32 v136, 0x400, v137
	.p2align	6
.LBB127_113:                            ; =>This Inner Loop Header: Depth=1
	s_clause 0x3
	buffer_load_dword v144, v137, s[0:3], 0 offen offset:8
	buffer_load_dword v145, v137, s[0:3], 0 offen offset:12
	buffer_load_dword v146, v137, s[0:3], 0 offen
	buffer_load_dword v147, v137, s[0:3], 0 offen offset:4
	ds_read_b128 v[140:143], v136
	v_add_nc_u32_e32 v135, -1, v135
	v_add_nc_u32_e32 v136, 16, v136
	v_add_nc_u32_e32 v137, 16, v137
	v_cmp_eq_u32_e32 vcc_lo, 0, v135
	s_or_b32 s73, vcc_lo, s73
	s_waitcnt vmcnt(2) lgkmcnt(0)
	v_mul_f64 v[148:149], v[142:143], v[144:145]
	v_mul_f64 v[144:145], v[140:141], v[144:145]
	s_waitcnt vmcnt(0)
	v_fma_f64 v[140:141], v[140:141], v[146:147], -v[148:149]
	v_fma_f64 v[142:143], v[142:143], v[146:147], v[144:145]
	v_add_f64 v[1:2], v[1:2], v[140:141]
	v_add_f64 v[3:4], v[3:4], v[142:143]
	s_andn2_b32 exec_lo, exec_lo, s73
	s_cbranch_execnz .LBB127_113
; %bb.114:
	s_or_b32 exec_lo, exec_lo, s73
.LBB127_115:
	s_or_b32 exec_lo, exec_lo, s5
.LBB127_116:
	s_or_b32 exec_lo, exec_lo, s8
	v_mov_b32_e32 v135, 0
	ds_read_b128 v[135:138], v135 offset:864
	s_waitcnt lgkmcnt(0)
	v_mul_f64 v[140:141], v[3:4], v[137:138]
	v_mul_f64 v[137:138], v[1:2], v[137:138]
	v_fma_f64 v[1:2], v[1:2], v[135:136], -v[140:141]
	v_fma_f64 v[3:4], v[3:4], v[135:136], v[137:138]
	buffer_store_dword v2, off, s[0:3], 0 offset:868
	buffer_store_dword v1, off, s[0:3], 0 offset:864
	;; [unrolled: 1-line block ×4, first 2 shown]
.LBB127_117:
	s_or_b32 exec_lo, exec_lo, s6
	v_mov_b32_e32 v4, s19
	v_cmp_lt_u32_e64 s5, 53, v0
	s_clause 0x3
	buffer_load_dword v1, v4, s[0:3], 0 offen
	buffer_load_dword v2, v4, s[0:3], 0 offen offset:4
	buffer_load_dword v3, v4, s[0:3], 0 offen offset:8
	;; [unrolled: 1-line block ×3, first 2 shown]
	s_waitcnt vmcnt(0)
	ds_write_b128 v134, v[1:4]
	s_waitcnt lgkmcnt(0)
	s_waitcnt_vscnt null, 0x0
	s_barrier
	buffer_gl0_inv
	s_and_saveexec_b32 s6, s5
	s_cbranch_execz .LBB127_131
; %bb.118:
	ds_read_b128 v[1:4], v134
	s_andn2_b32 vcc_lo, exec_lo, s7
	s_cbranch_vccnz .LBB127_120
; %bb.119:
	s_clause 0x3
	buffer_load_dword v135, v133, s[0:3], 0 offen offset:8
	buffer_load_dword v136, v133, s[0:3], 0 offen offset:12
	buffer_load_dword v137, v133, s[0:3], 0 offen
	buffer_load_dword v138, v133, s[0:3], 0 offen offset:4
	s_waitcnt vmcnt(2) lgkmcnt(0)
	v_mul_f64 v[140:141], v[3:4], v[135:136]
	v_mul_f64 v[135:136], v[1:2], v[135:136]
	s_waitcnt vmcnt(0)
	v_fma_f64 v[1:2], v[1:2], v[137:138], -v[140:141]
	v_fma_f64 v[3:4], v[3:4], v[137:138], v[135:136]
.LBB127_120:
	s_and_saveexec_b32 s8, s4
	s_cbranch_execz .LBB127_130
; %bb.121:
	v_subrev_nc_u32_e32 v136, 55, v0
	v_mov_b32_e32 v137, 54
	v_subrev_nc_u32_e32 v135, 54, v0
	s_mov_b32 s4, exec_lo
	v_cmpx_lt_u32_e32 6, v136
	s_cbranch_execz .LBB127_125
; %bb.122:
	v_and_b32_e32 v136, -8, v135
	s_movk_i32 s74, 0x760
	s_mov_b32 s73, 0
	s_mov_b32 s75, s18
	s_mov_b32 s76, 0
.LBB127_123:                            ; =>This Inner Loop Header: Depth=1
	v_mov_b32_e32 v140, s75
	v_mov_b32_e32 v186, s74
	s_add_i32 s77, s76, 8
	s_add_i32 s76, s76, 62
	v_cmp_eq_u32_e32 vcc_lo, s77, v136
	s_clause 0x1f
	buffer_load_dword v137, v140, s[0:3], 0 offen offset:8
	buffer_load_dword v138, v140, s[0:3], 0 offen offset:12
	buffer_load_dword v148, v140, s[0:3], 0 offen
	buffer_load_dword v149, v140, s[0:3], 0 offen offset:4
	buffer_load_dword v150, v140, s[0:3], 0 offen offset:24
	;; [unrolled: 1-line block ×29, first 2 shown]
	ds_read_b128 v[140:143], v186
	ds_read_b128 v[144:147], v186 offset:16
	s_addk_i32 s74, 0x80
	s_addk_i32 s75, 0x80
	s_or_b32 s73, vcc_lo, s73
	s_waitcnt vmcnt(30) lgkmcnt(1)
	v_mul_f64 v[178:179], v[142:143], v[137:138]
	v_mul_f64 v[137:138], v[140:141], v[137:138]
	s_waitcnt vmcnt(26) lgkmcnt(0)
	v_mul_f64 v[180:181], v[146:147], v[150:151]
	v_mul_f64 v[182:183], v[144:145], v[150:151]
	v_fma_f64 v[178:179], v[140:141], v[148:149], -v[178:179]
	v_fma_f64 v[137:138], v[142:143], v[148:149], v[137:138]
	ds_read_b128 v[140:143], v186 offset:32
	ds_read_b128 v[148:151], v186 offset:48
	s_waitcnt vmcnt(24)
	v_fma_f64 v[144:145], v[144:145], v[152:153], -v[180:181]
	v_fma_f64 v[146:147], v[146:147], v[152:153], v[182:183]
	s_waitcnt vmcnt(22) lgkmcnt(1)
	v_mul_f64 v[184:185], v[142:143], v[154:155]
	v_mul_f64 v[154:155], v[140:141], v[154:155]
	v_add_f64 v[1:2], v[1:2], v[178:179]
	v_add_f64 v[3:4], v[3:4], v[137:138]
	s_waitcnt vmcnt(18) lgkmcnt(0)
	v_mul_f64 v[137:138], v[150:151], v[158:159]
	v_mul_f64 v[152:153], v[148:149], v[158:159]
	v_fma_f64 v[158:159], v[140:141], v[156:157], -v[184:185]
	v_fma_f64 v[154:155], v[142:143], v[156:157], v[154:155]
	v_add_f64 v[144:145], v[1:2], v[144:145]
	v_add_f64 v[146:147], v[3:4], v[146:147]
	ds_read_b128 v[1:4], v186 offset:64
	ds_read_b128 v[140:143], v186 offset:80
	s_waitcnt vmcnt(16)
	v_fma_f64 v[137:138], v[148:149], v[160:161], -v[137:138]
	v_fma_f64 v[148:149], v[150:151], v[160:161], v[152:153]
	s_waitcnt vmcnt(12) lgkmcnt(1)
	v_mul_f64 v[156:157], v[3:4], v[162:163]
	v_mul_f64 v[162:163], v[1:2], v[162:163]
	v_add_f64 v[144:145], v[144:145], v[158:159]
	v_add_f64 v[146:147], v[146:147], v[154:155]
	s_waitcnt vmcnt(10) lgkmcnt(0)
	v_mul_f64 v[150:151], v[142:143], v[164:165]
	v_mul_f64 v[152:153], v[140:141], v[164:165]
	s_waitcnt vmcnt(8)
	v_fma_f64 v[154:155], v[1:2], v[168:169], -v[156:157]
	v_fma_f64 v[156:157], v[3:4], v[168:169], v[162:163]
	v_add_f64 v[137:138], v[144:145], v[137:138]
	v_add_f64 v[148:149], v[146:147], v[148:149]
	ds_read_b128 v[1:4], v186 offset:96
	ds_read_b128 v[144:147], v186 offset:112
	v_fma_f64 v[140:141], v[140:141], v[166:167], -v[150:151]
	v_fma_f64 v[142:143], v[142:143], v[166:167], v[152:153]
	s_waitcnt vmcnt(4) lgkmcnt(1)
	v_mul_f64 v[158:159], v[3:4], v[170:171]
	v_mul_f64 v[160:161], v[1:2], v[170:171]
	v_add_f64 v[137:138], v[137:138], v[154:155]
	v_add_f64 v[148:149], v[148:149], v[156:157]
	s_waitcnt vmcnt(2) lgkmcnt(0)
	v_mul_f64 v[150:151], v[146:147], v[172:173]
	v_mul_f64 v[152:153], v[144:145], v[172:173]
	s_waitcnt vmcnt(0)
	v_fma_f64 v[1:2], v[1:2], v[176:177], -v[158:159]
	v_fma_f64 v[3:4], v[3:4], v[176:177], v[160:161]
	v_add_f64 v[137:138], v[137:138], v[140:141]
	v_add_f64 v[140:141], v[148:149], v[142:143]
	v_fma_f64 v[142:143], v[144:145], v[174:175], -v[150:151]
	v_fma_f64 v[144:145], v[146:147], v[174:175], v[152:153]
	v_add_f64 v[1:2], v[137:138], v[1:2]
	v_add_f64 v[3:4], v[140:141], v[3:4]
	v_mov_b32_e32 v137, s76
	s_mov_b32 s76, s77
	v_add_f64 v[1:2], v[1:2], v[142:143]
	v_add_f64 v[3:4], v[3:4], v[144:145]
	s_andn2_b32 exec_lo, exec_lo, s73
	s_cbranch_execnz .LBB127_123
; %bb.124:
	s_or_b32 exec_lo, exec_lo, s73
.LBB127_125:
	s_or_b32 exec_lo, exec_lo, s4
	v_and_b32_e32 v135, 7, v135
	s_mov_b32 s73, 0
	s_mov_b32 s4, exec_lo
	v_cmpx_ne_u32_e32 0, v135
	s_cbranch_execz .LBB127_129
; %bb.126:
	v_lshlrev_b32_e32 v137, 4, v137
	v_add_nc_u32_e32 v136, 0x400, v137
	.p2align	6
.LBB127_127:                            ; =>This Inner Loop Header: Depth=1
	s_clause 0x3
	buffer_load_dword v144, v137, s[0:3], 0 offen offset:8
	buffer_load_dword v145, v137, s[0:3], 0 offen offset:12
	buffer_load_dword v146, v137, s[0:3], 0 offen
	buffer_load_dword v147, v137, s[0:3], 0 offen offset:4
	ds_read_b128 v[140:143], v136
	v_add_nc_u32_e32 v135, -1, v135
	v_add_nc_u32_e32 v136, 16, v136
	v_add_nc_u32_e32 v137, 16, v137
	v_cmp_eq_u32_e32 vcc_lo, 0, v135
	s_or_b32 s73, vcc_lo, s73
	s_waitcnt vmcnt(2) lgkmcnt(0)
	v_mul_f64 v[148:149], v[142:143], v[144:145]
	v_mul_f64 v[144:145], v[140:141], v[144:145]
	s_waitcnt vmcnt(0)
	v_fma_f64 v[140:141], v[140:141], v[146:147], -v[148:149]
	v_fma_f64 v[142:143], v[142:143], v[146:147], v[144:145]
	v_add_f64 v[1:2], v[1:2], v[140:141]
	v_add_f64 v[3:4], v[3:4], v[142:143]
	s_andn2_b32 exec_lo, exec_lo, s73
	s_cbranch_execnz .LBB127_127
; %bb.128:
	s_or_b32 exec_lo, exec_lo, s73
.LBB127_129:
	s_or_b32 exec_lo, exec_lo, s4
.LBB127_130:
	s_or_b32 exec_lo, exec_lo, s8
	v_mov_b32_e32 v135, 0
	ds_read_b128 v[135:138], v135 offset:848
	s_waitcnt lgkmcnt(0)
	v_mul_f64 v[140:141], v[3:4], v[137:138]
	v_mul_f64 v[137:138], v[1:2], v[137:138]
	v_fma_f64 v[1:2], v[1:2], v[135:136], -v[140:141]
	v_fma_f64 v[3:4], v[3:4], v[135:136], v[137:138]
	buffer_store_dword v2, off, s[0:3], 0 offset:852
	buffer_store_dword v1, off, s[0:3], 0 offset:848
	;; [unrolled: 1-line block ×4, first 2 shown]
.LBB127_131:
	s_or_b32 exec_lo, exec_lo, s6
	v_mov_b32_e32 v4, s20
	v_cmp_lt_u32_e64 s4, 52, v0
	s_clause 0x3
	buffer_load_dword v1, v4, s[0:3], 0 offen
	buffer_load_dword v2, v4, s[0:3], 0 offen offset:4
	buffer_load_dword v3, v4, s[0:3], 0 offen offset:8
	;; [unrolled: 1-line block ×3, first 2 shown]
	s_waitcnt vmcnt(0)
	ds_write_b128 v134, v[1:4]
	s_waitcnt lgkmcnt(0)
	s_waitcnt_vscnt null, 0x0
	s_barrier
	buffer_gl0_inv
	s_and_saveexec_b32 s6, s4
	s_cbranch_execz .LBB127_145
; %bb.132:
	ds_read_b128 v[1:4], v134
	s_andn2_b32 vcc_lo, exec_lo, s7
	s_cbranch_vccnz .LBB127_134
; %bb.133:
	s_clause 0x3
	buffer_load_dword v135, v133, s[0:3], 0 offen offset:8
	buffer_load_dword v136, v133, s[0:3], 0 offen offset:12
	buffer_load_dword v137, v133, s[0:3], 0 offen
	buffer_load_dword v138, v133, s[0:3], 0 offen offset:4
	s_waitcnt vmcnt(2) lgkmcnt(0)
	v_mul_f64 v[140:141], v[3:4], v[135:136]
	v_mul_f64 v[135:136], v[1:2], v[135:136]
	s_waitcnt vmcnt(0)
	v_fma_f64 v[1:2], v[1:2], v[137:138], -v[140:141]
	v_fma_f64 v[3:4], v[3:4], v[137:138], v[135:136]
.LBB127_134:
	s_and_saveexec_b32 s8, s5
	s_cbranch_execz .LBB127_144
; %bb.135:
	v_subrev_nc_u32_e32 v136, 54, v0
	v_mov_b32_e32 v137, 53
	v_subrev_nc_u32_e32 v135, 53, v0
	s_mov_b32 s5, exec_lo
	v_cmpx_lt_u32_e32 6, v136
	s_cbranch_execz .LBB127_139
; %bb.136:
	v_and_b32_e32 v136, -8, v135
	s_movk_i32 s74, 0x750
	s_mov_b32 s73, 0
	s_mov_b32 s75, s19
	s_mov_b32 s76, 0
.LBB127_137:                            ; =>This Inner Loop Header: Depth=1
	v_mov_b32_e32 v140, s75
	v_mov_b32_e32 v186, s74
	s_add_i32 s77, s76, 8
	s_add_i32 s76, s76, 61
	v_cmp_eq_u32_e32 vcc_lo, s77, v136
	s_clause 0x1f
	buffer_load_dword v137, v140, s[0:3], 0 offen offset:8
	buffer_load_dword v138, v140, s[0:3], 0 offen offset:12
	buffer_load_dword v148, v140, s[0:3], 0 offen
	buffer_load_dword v149, v140, s[0:3], 0 offen offset:4
	buffer_load_dword v150, v140, s[0:3], 0 offen offset:24
	;; [unrolled: 1-line block ×29, first 2 shown]
	ds_read_b128 v[140:143], v186
	ds_read_b128 v[144:147], v186 offset:16
	s_addk_i32 s74, 0x80
	s_addk_i32 s75, 0x80
	s_or_b32 s73, vcc_lo, s73
	s_waitcnt vmcnt(30) lgkmcnt(1)
	v_mul_f64 v[178:179], v[142:143], v[137:138]
	v_mul_f64 v[137:138], v[140:141], v[137:138]
	s_waitcnt vmcnt(26) lgkmcnt(0)
	v_mul_f64 v[180:181], v[146:147], v[150:151]
	v_mul_f64 v[182:183], v[144:145], v[150:151]
	v_fma_f64 v[178:179], v[140:141], v[148:149], -v[178:179]
	v_fma_f64 v[137:138], v[142:143], v[148:149], v[137:138]
	ds_read_b128 v[140:143], v186 offset:32
	ds_read_b128 v[148:151], v186 offset:48
	s_waitcnt vmcnt(24)
	v_fma_f64 v[144:145], v[144:145], v[152:153], -v[180:181]
	v_fma_f64 v[146:147], v[146:147], v[152:153], v[182:183]
	s_waitcnt vmcnt(22) lgkmcnt(1)
	v_mul_f64 v[184:185], v[142:143], v[154:155]
	v_mul_f64 v[154:155], v[140:141], v[154:155]
	v_add_f64 v[1:2], v[1:2], v[178:179]
	v_add_f64 v[3:4], v[3:4], v[137:138]
	s_waitcnt vmcnt(18) lgkmcnt(0)
	v_mul_f64 v[137:138], v[150:151], v[158:159]
	v_mul_f64 v[152:153], v[148:149], v[158:159]
	v_fma_f64 v[158:159], v[140:141], v[156:157], -v[184:185]
	v_fma_f64 v[154:155], v[142:143], v[156:157], v[154:155]
	v_add_f64 v[144:145], v[1:2], v[144:145]
	v_add_f64 v[146:147], v[3:4], v[146:147]
	ds_read_b128 v[1:4], v186 offset:64
	ds_read_b128 v[140:143], v186 offset:80
	s_waitcnt vmcnt(16)
	v_fma_f64 v[137:138], v[148:149], v[160:161], -v[137:138]
	v_fma_f64 v[148:149], v[150:151], v[160:161], v[152:153]
	s_waitcnt vmcnt(12) lgkmcnt(1)
	v_mul_f64 v[156:157], v[3:4], v[162:163]
	v_mul_f64 v[162:163], v[1:2], v[162:163]
	v_add_f64 v[144:145], v[144:145], v[158:159]
	v_add_f64 v[146:147], v[146:147], v[154:155]
	s_waitcnt vmcnt(10) lgkmcnt(0)
	v_mul_f64 v[150:151], v[142:143], v[164:165]
	v_mul_f64 v[152:153], v[140:141], v[164:165]
	s_waitcnt vmcnt(8)
	v_fma_f64 v[154:155], v[1:2], v[168:169], -v[156:157]
	v_fma_f64 v[156:157], v[3:4], v[168:169], v[162:163]
	v_add_f64 v[137:138], v[144:145], v[137:138]
	v_add_f64 v[148:149], v[146:147], v[148:149]
	ds_read_b128 v[1:4], v186 offset:96
	ds_read_b128 v[144:147], v186 offset:112
	v_fma_f64 v[140:141], v[140:141], v[166:167], -v[150:151]
	v_fma_f64 v[142:143], v[142:143], v[166:167], v[152:153]
	s_waitcnt vmcnt(4) lgkmcnt(1)
	v_mul_f64 v[158:159], v[3:4], v[170:171]
	v_mul_f64 v[160:161], v[1:2], v[170:171]
	v_add_f64 v[137:138], v[137:138], v[154:155]
	v_add_f64 v[148:149], v[148:149], v[156:157]
	s_waitcnt vmcnt(2) lgkmcnt(0)
	v_mul_f64 v[150:151], v[146:147], v[172:173]
	v_mul_f64 v[152:153], v[144:145], v[172:173]
	s_waitcnt vmcnt(0)
	v_fma_f64 v[1:2], v[1:2], v[176:177], -v[158:159]
	v_fma_f64 v[3:4], v[3:4], v[176:177], v[160:161]
	v_add_f64 v[137:138], v[137:138], v[140:141]
	v_add_f64 v[140:141], v[148:149], v[142:143]
	v_fma_f64 v[142:143], v[144:145], v[174:175], -v[150:151]
	v_fma_f64 v[144:145], v[146:147], v[174:175], v[152:153]
	v_add_f64 v[1:2], v[137:138], v[1:2]
	v_add_f64 v[3:4], v[140:141], v[3:4]
	v_mov_b32_e32 v137, s76
	s_mov_b32 s76, s77
	v_add_f64 v[1:2], v[1:2], v[142:143]
	v_add_f64 v[3:4], v[3:4], v[144:145]
	s_andn2_b32 exec_lo, exec_lo, s73
	s_cbranch_execnz .LBB127_137
; %bb.138:
	s_or_b32 exec_lo, exec_lo, s73
.LBB127_139:
	s_or_b32 exec_lo, exec_lo, s5
	v_and_b32_e32 v135, 7, v135
	s_mov_b32 s73, 0
	s_mov_b32 s5, exec_lo
	v_cmpx_ne_u32_e32 0, v135
	s_cbranch_execz .LBB127_143
; %bb.140:
	v_lshlrev_b32_e32 v137, 4, v137
	v_add_nc_u32_e32 v136, 0x400, v137
	.p2align	6
.LBB127_141:                            ; =>This Inner Loop Header: Depth=1
	s_clause 0x3
	buffer_load_dword v144, v137, s[0:3], 0 offen offset:8
	buffer_load_dword v145, v137, s[0:3], 0 offen offset:12
	buffer_load_dword v146, v137, s[0:3], 0 offen
	buffer_load_dword v147, v137, s[0:3], 0 offen offset:4
	ds_read_b128 v[140:143], v136
	v_add_nc_u32_e32 v135, -1, v135
	v_add_nc_u32_e32 v136, 16, v136
	v_add_nc_u32_e32 v137, 16, v137
	v_cmp_eq_u32_e32 vcc_lo, 0, v135
	s_or_b32 s73, vcc_lo, s73
	s_waitcnt vmcnt(2) lgkmcnt(0)
	v_mul_f64 v[148:149], v[142:143], v[144:145]
	v_mul_f64 v[144:145], v[140:141], v[144:145]
	s_waitcnt vmcnt(0)
	v_fma_f64 v[140:141], v[140:141], v[146:147], -v[148:149]
	v_fma_f64 v[142:143], v[142:143], v[146:147], v[144:145]
	v_add_f64 v[1:2], v[1:2], v[140:141]
	v_add_f64 v[3:4], v[3:4], v[142:143]
	s_andn2_b32 exec_lo, exec_lo, s73
	s_cbranch_execnz .LBB127_141
; %bb.142:
	s_or_b32 exec_lo, exec_lo, s73
.LBB127_143:
	s_or_b32 exec_lo, exec_lo, s5
.LBB127_144:
	s_or_b32 exec_lo, exec_lo, s8
	v_mov_b32_e32 v135, 0
	ds_read_b128 v[135:138], v135 offset:832
	s_waitcnt lgkmcnt(0)
	v_mul_f64 v[140:141], v[3:4], v[137:138]
	v_mul_f64 v[137:138], v[1:2], v[137:138]
	v_fma_f64 v[1:2], v[1:2], v[135:136], -v[140:141]
	v_fma_f64 v[3:4], v[3:4], v[135:136], v[137:138]
	buffer_store_dword v2, off, s[0:3], 0 offset:836
	buffer_store_dword v1, off, s[0:3], 0 offset:832
	;; [unrolled: 1-line block ×4, first 2 shown]
.LBB127_145:
	s_or_b32 exec_lo, exec_lo, s6
	v_mov_b32_e32 v4, s21
	v_cmp_lt_u32_e64 s5, 51, v0
	s_clause 0x3
	buffer_load_dword v1, v4, s[0:3], 0 offen
	buffer_load_dword v2, v4, s[0:3], 0 offen offset:4
	buffer_load_dword v3, v4, s[0:3], 0 offen offset:8
	buffer_load_dword v4, v4, s[0:3], 0 offen offset:12
	s_waitcnt vmcnt(0)
	ds_write_b128 v134, v[1:4]
	s_waitcnt lgkmcnt(0)
	s_waitcnt_vscnt null, 0x0
	s_barrier
	buffer_gl0_inv
	s_and_saveexec_b32 s6, s5
	s_cbranch_execz .LBB127_159
; %bb.146:
	ds_read_b128 v[1:4], v134
	s_andn2_b32 vcc_lo, exec_lo, s7
	s_cbranch_vccnz .LBB127_148
; %bb.147:
	s_clause 0x3
	buffer_load_dword v135, v133, s[0:3], 0 offen offset:8
	buffer_load_dword v136, v133, s[0:3], 0 offen offset:12
	buffer_load_dword v137, v133, s[0:3], 0 offen
	buffer_load_dword v138, v133, s[0:3], 0 offen offset:4
	s_waitcnt vmcnt(2) lgkmcnt(0)
	v_mul_f64 v[140:141], v[3:4], v[135:136]
	v_mul_f64 v[135:136], v[1:2], v[135:136]
	s_waitcnt vmcnt(0)
	v_fma_f64 v[1:2], v[1:2], v[137:138], -v[140:141]
	v_fma_f64 v[3:4], v[3:4], v[137:138], v[135:136]
.LBB127_148:
	s_and_saveexec_b32 s8, s4
	s_cbranch_execz .LBB127_158
; %bb.149:
	v_subrev_nc_u32_e32 v136, 53, v0
	v_mov_b32_e32 v137, 52
	v_subrev_nc_u32_e32 v135, 52, v0
	s_mov_b32 s4, exec_lo
	v_cmpx_lt_u32_e32 6, v136
	s_cbranch_execz .LBB127_153
; %bb.150:
	v_and_b32_e32 v136, -8, v135
	s_movk_i32 s74, 0x740
	s_mov_b32 s73, 0
	s_mov_b32 s75, s20
	;; [unrolled: 1-line block ×3, first 2 shown]
.LBB127_151:                            ; =>This Inner Loop Header: Depth=1
	v_mov_b32_e32 v140, s75
	v_mov_b32_e32 v186, s74
	s_add_i32 s77, s76, 8
	s_add_i32 s76, s76, 60
	v_cmp_eq_u32_e32 vcc_lo, s77, v136
	s_clause 0x1f
	buffer_load_dword v137, v140, s[0:3], 0 offen offset:8
	buffer_load_dword v138, v140, s[0:3], 0 offen offset:12
	buffer_load_dword v148, v140, s[0:3], 0 offen
	buffer_load_dword v149, v140, s[0:3], 0 offen offset:4
	buffer_load_dword v150, v140, s[0:3], 0 offen offset:24
	buffer_load_dword v151, v140, s[0:3], 0 offen offset:28
	buffer_load_dword v152, v140, s[0:3], 0 offen offset:16
	buffer_load_dword v153, v140, s[0:3], 0 offen offset:20
	buffer_load_dword v154, v140, s[0:3], 0 offen offset:40
	buffer_load_dword v155, v140, s[0:3], 0 offen offset:44
	buffer_load_dword v156, v140, s[0:3], 0 offen offset:32
	buffer_load_dword v157, v140, s[0:3], 0 offen offset:36
	buffer_load_dword v158, v140, s[0:3], 0 offen offset:56
	buffer_load_dword v159, v140, s[0:3], 0 offen offset:60
	buffer_load_dword v160, v140, s[0:3], 0 offen offset:48
	buffer_load_dword v161, v140, s[0:3], 0 offen offset:52
	buffer_load_dword v163, v140, s[0:3], 0 offen offset:76
	buffer_load_dword v164, v140, s[0:3], 0 offen offset:88
	buffer_load_dword v166, v140, s[0:3], 0 offen offset:80
	buffer_load_dword v162, v140, s[0:3], 0 offen offset:72
	buffer_load_dword v167, v140, s[0:3], 0 offen offset:84
	buffer_load_dword v165, v140, s[0:3], 0 offen offset:92
	buffer_load_dword v169, v140, s[0:3], 0 offen offset:68
	buffer_load_dword v168, v140, s[0:3], 0 offen offset:64
	buffer_load_dword v171, v140, s[0:3], 0 offen offset:108
	buffer_load_dword v172, v140, s[0:3], 0 offen offset:120
	buffer_load_dword v174, v140, s[0:3], 0 offen offset:112
	buffer_load_dword v170, v140, s[0:3], 0 offen offset:104
	buffer_load_dword v175, v140, s[0:3], 0 offen offset:116
	buffer_load_dword v173, v140, s[0:3], 0 offen offset:124
	buffer_load_dword v177, v140, s[0:3], 0 offen offset:100
	buffer_load_dword v176, v140, s[0:3], 0 offen offset:96
	ds_read_b128 v[140:143], v186
	ds_read_b128 v[144:147], v186 offset:16
	s_addk_i32 s74, 0x80
	s_addk_i32 s75, 0x80
	s_or_b32 s73, vcc_lo, s73
	s_waitcnt vmcnt(30) lgkmcnt(1)
	v_mul_f64 v[178:179], v[142:143], v[137:138]
	v_mul_f64 v[137:138], v[140:141], v[137:138]
	s_waitcnt vmcnt(26) lgkmcnt(0)
	v_mul_f64 v[180:181], v[146:147], v[150:151]
	v_mul_f64 v[182:183], v[144:145], v[150:151]
	v_fma_f64 v[178:179], v[140:141], v[148:149], -v[178:179]
	v_fma_f64 v[137:138], v[142:143], v[148:149], v[137:138]
	ds_read_b128 v[140:143], v186 offset:32
	ds_read_b128 v[148:151], v186 offset:48
	s_waitcnt vmcnt(24)
	v_fma_f64 v[144:145], v[144:145], v[152:153], -v[180:181]
	v_fma_f64 v[146:147], v[146:147], v[152:153], v[182:183]
	s_waitcnt vmcnt(22) lgkmcnt(1)
	v_mul_f64 v[184:185], v[142:143], v[154:155]
	v_mul_f64 v[154:155], v[140:141], v[154:155]
	v_add_f64 v[1:2], v[1:2], v[178:179]
	v_add_f64 v[3:4], v[3:4], v[137:138]
	s_waitcnt vmcnt(18) lgkmcnt(0)
	v_mul_f64 v[137:138], v[150:151], v[158:159]
	v_mul_f64 v[152:153], v[148:149], v[158:159]
	v_fma_f64 v[158:159], v[140:141], v[156:157], -v[184:185]
	v_fma_f64 v[154:155], v[142:143], v[156:157], v[154:155]
	v_add_f64 v[144:145], v[1:2], v[144:145]
	v_add_f64 v[146:147], v[3:4], v[146:147]
	ds_read_b128 v[1:4], v186 offset:64
	ds_read_b128 v[140:143], v186 offset:80
	s_waitcnt vmcnt(16)
	v_fma_f64 v[137:138], v[148:149], v[160:161], -v[137:138]
	v_fma_f64 v[148:149], v[150:151], v[160:161], v[152:153]
	s_waitcnt vmcnt(12) lgkmcnt(1)
	v_mul_f64 v[156:157], v[3:4], v[162:163]
	v_mul_f64 v[162:163], v[1:2], v[162:163]
	v_add_f64 v[144:145], v[144:145], v[158:159]
	v_add_f64 v[146:147], v[146:147], v[154:155]
	s_waitcnt vmcnt(10) lgkmcnt(0)
	v_mul_f64 v[150:151], v[142:143], v[164:165]
	v_mul_f64 v[152:153], v[140:141], v[164:165]
	s_waitcnt vmcnt(8)
	v_fma_f64 v[154:155], v[1:2], v[168:169], -v[156:157]
	v_fma_f64 v[156:157], v[3:4], v[168:169], v[162:163]
	v_add_f64 v[137:138], v[144:145], v[137:138]
	v_add_f64 v[148:149], v[146:147], v[148:149]
	ds_read_b128 v[1:4], v186 offset:96
	ds_read_b128 v[144:147], v186 offset:112
	v_fma_f64 v[140:141], v[140:141], v[166:167], -v[150:151]
	v_fma_f64 v[142:143], v[142:143], v[166:167], v[152:153]
	s_waitcnt vmcnt(4) lgkmcnt(1)
	v_mul_f64 v[158:159], v[3:4], v[170:171]
	v_mul_f64 v[160:161], v[1:2], v[170:171]
	v_add_f64 v[137:138], v[137:138], v[154:155]
	v_add_f64 v[148:149], v[148:149], v[156:157]
	s_waitcnt vmcnt(2) lgkmcnt(0)
	v_mul_f64 v[150:151], v[146:147], v[172:173]
	v_mul_f64 v[152:153], v[144:145], v[172:173]
	s_waitcnt vmcnt(0)
	v_fma_f64 v[1:2], v[1:2], v[176:177], -v[158:159]
	v_fma_f64 v[3:4], v[3:4], v[176:177], v[160:161]
	v_add_f64 v[137:138], v[137:138], v[140:141]
	v_add_f64 v[140:141], v[148:149], v[142:143]
	v_fma_f64 v[142:143], v[144:145], v[174:175], -v[150:151]
	v_fma_f64 v[144:145], v[146:147], v[174:175], v[152:153]
	v_add_f64 v[1:2], v[137:138], v[1:2]
	v_add_f64 v[3:4], v[140:141], v[3:4]
	v_mov_b32_e32 v137, s76
	s_mov_b32 s76, s77
	v_add_f64 v[1:2], v[1:2], v[142:143]
	v_add_f64 v[3:4], v[3:4], v[144:145]
	s_andn2_b32 exec_lo, exec_lo, s73
	s_cbranch_execnz .LBB127_151
; %bb.152:
	s_or_b32 exec_lo, exec_lo, s73
.LBB127_153:
	s_or_b32 exec_lo, exec_lo, s4
	v_and_b32_e32 v135, 7, v135
	s_mov_b32 s73, 0
	s_mov_b32 s4, exec_lo
	v_cmpx_ne_u32_e32 0, v135
	s_cbranch_execz .LBB127_157
; %bb.154:
	v_lshlrev_b32_e32 v137, 4, v137
	v_add_nc_u32_e32 v136, 0x400, v137
	.p2align	6
.LBB127_155:                            ; =>This Inner Loop Header: Depth=1
	s_clause 0x3
	buffer_load_dword v144, v137, s[0:3], 0 offen offset:8
	buffer_load_dword v145, v137, s[0:3], 0 offen offset:12
	buffer_load_dword v146, v137, s[0:3], 0 offen
	buffer_load_dword v147, v137, s[0:3], 0 offen offset:4
	ds_read_b128 v[140:143], v136
	v_add_nc_u32_e32 v135, -1, v135
	v_add_nc_u32_e32 v136, 16, v136
	v_add_nc_u32_e32 v137, 16, v137
	v_cmp_eq_u32_e32 vcc_lo, 0, v135
	s_or_b32 s73, vcc_lo, s73
	s_waitcnt vmcnt(2) lgkmcnt(0)
	v_mul_f64 v[148:149], v[142:143], v[144:145]
	v_mul_f64 v[144:145], v[140:141], v[144:145]
	s_waitcnt vmcnt(0)
	v_fma_f64 v[140:141], v[140:141], v[146:147], -v[148:149]
	v_fma_f64 v[142:143], v[142:143], v[146:147], v[144:145]
	v_add_f64 v[1:2], v[1:2], v[140:141]
	v_add_f64 v[3:4], v[3:4], v[142:143]
	s_andn2_b32 exec_lo, exec_lo, s73
	s_cbranch_execnz .LBB127_155
; %bb.156:
	s_or_b32 exec_lo, exec_lo, s73
.LBB127_157:
	s_or_b32 exec_lo, exec_lo, s4
.LBB127_158:
	s_or_b32 exec_lo, exec_lo, s8
	v_mov_b32_e32 v135, 0
	ds_read_b128 v[135:138], v135 offset:816
	s_waitcnt lgkmcnt(0)
	v_mul_f64 v[140:141], v[3:4], v[137:138]
	v_mul_f64 v[137:138], v[1:2], v[137:138]
	v_fma_f64 v[1:2], v[1:2], v[135:136], -v[140:141]
	v_fma_f64 v[3:4], v[3:4], v[135:136], v[137:138]
	buffer_store_dword v2, off, s[0:3], 0 offset:820
	buffer_store_dword v1, off, s[0:3], 0 offset:816
	buffer_store_dword v4, off, s[0:3], 0 offset:828
	buffer_store_dword v3, off, s[0:3], 0 offset:824
.LBB127_159:
	s_or_b32 exec_lo, exec_lo, s6
	v_mov_b32_e32 v4, s22
	v_cmp_lt_u32_e64 s4, 50, v0
	s_clause 0x3
	buffer_load_dword v1, v4, s[0:3], 0 offen
	buffer_load_dword v2, v4, s[0:3], 0 offen offset:4
	buffer_load_dword v3, v4, s[0:3], 0 offen offset:8
	;; [unrolled: 1-line block ×3, first 2 shown]
	s_waitcnt vmcnt(0)
	ds_write_b128 v134, v[1:4]
	s_waitcnt lgkmcnt(0)
	s_waitcnt_vscnt null, 0x0
	s_barrier
	buffer_gl0_inv
	s_and_saveexec_b32 s6, s4
	s_cbranch_execz .LBB127_173
; %bb.160:
	ds_read_b128 v[1:4], v134
	s_andn2_b32 vcc_lo, exec_lo, s7
	s_cbranch_vccnz .LBB127_162
; %bb.161:
	s_clause 0x3
	buffer_load_dword v135, v133, s[0:3], 0 offen offset:8
	buffer_load_dword v136, v133, s[0:3], 0 offen offset:12
	buffer_load_dword v137, v133, s[0:3], 0 offen
	buffer_load_dword v138, v133, s[0:3], 0 offen offset:4
	s_waitcnt vmcnt(2) lgkmcnt(0)
	v_mul_f64 v[140:141], v[3:4], v[135:136]
	v_mul_f64 v[135:136], v[1:2], v[135:136]
	s_waitcnt vmcnt(0)
	v_fma_f64 v[1:2], v[1:2], v[137:138], -v[140:141]
	v_fma_f64 v[3:4], v[3:4], v[137:138], v[135:136]
.LBB127_162:
	s_and_saveexec_b32 s8, s5
	s_cbranch_execz .LBB127_172
; %bb.163:
	v_subrev_nc_u32_e32 v136, 52, v0
	v_mov_b32_e32 v137, 51
	v_subrev_nc_u32_e32 v135, 51, v0
	s_mov_b32 s5, exec_lo
	v_cmpx_lt_u32_e32 6, v136
	s_cbranch_execz .LBB127_167
; %bb.164:
	v_and_b32_e32 v136, -8, v135
	s_movk_i32 s74, 0x730
	s_mov_b32 s73, 0
	s_mov_b32 s75, s21
	;; [unrolled: 1-line block ×3, first 2 shown]
.LBB127_165:                            ; =>This Inner Loop Header: Depth=1
	v_mov_b32_e32 v140, s75
	v_mov_b32_e32 v186, s74
	s_add_i32 s77, s76, 8
	s_add_i32 s76, s76, 59
	v_cmp_eq_u32_e32 vcc_lo, s77, v136
	s_clause 0x1f
	buffer_load_dword v137, v140, s[0:3], 0 offen offset:8
	buffer_load_dword v138, v140, s[0:3], 0 offen offset:12
	buffer_load_dword v148, v140, s[0:3], 0 offen
	buffer_load_dword v149, v140, s[0:3], 0 offen offset:4
	buffer_load_dword v150, v140, s[0:3], 0 offen offset:24
	;; [unrolled: 1-line block ×29, first 2 shown]
	ds_read_b128 v[140:143], v186
	ds_read_b128 v[144:147], v186 offset:16
	s_addk_i32 s74, 0x80
	s_addk_i32 s75, 0x80
	s_or_b32 s73, vcc_lo, s73
	s_waitcnt vmcnt(30) lgkmcnt(1)
	v_mul_f64 v[178:179], v[142:143], v[137:138]
	v_mul_f64 v[137:138], v[140:141], v[137:138]
	s_waitcnt vmcnt(26) lgkmcnt(0)
	v_mul_f64 v[180:181], v[146:147], v[150:151]
	v_mul_f64 v[182:183], v[144:145], v[150:151]
	v_fma_f64 v[178:179], v[140:141], v[148:149], -v[178:179]
	v_fma_f64 v[137:138], v[142:143], v[148:149], v[137:138]
	ds_read_b128 v[140:143], v186 offset:32
	ds_read_b128 v[148:151], v186 offset:48
	s_waitcnt vmcnt(24)
	v_fma_f64 v[144:145], v[144:145], v[152:153], -v[180:181]
	v_fma_f64 v[146:147], v[146:147], v[152:153], v[182:183]
	s_waitcnt vmcnt(22) lgkmcnt(1)
	v_mul_f64 v[184:185], v[142:143], v[154:155]
	v_mul_f64 v[154:155], v[140:141], v[154:155]
	v_add_f64 v[1:2], v[1:2], v[178:179]
	v_add_f64 v[3:4], v[3:4], v[137:138]
	s_waitcnt vmcnt(18) lgkmcnt(0)
	v_mul_f64 v[137:138], v[150:151], v[158:159]
	v_mul_f64 v[152:153], v[148:149], v[158:159]
	v_fma_f64 v[158:159], v[140:141], v[156:157], -v[184:185]
	v_fma_f64 v[154:155], v[142:143], v[156:157], v[154:155]
	v_add_f64 v[144:145], v[1:2], v[144:145]
	v_add_f64 v[146:147], v[3:4], v[146:147]
	ds_read_b128 v[1:4], v186 offset:64
	ds_read_b128 v[140:143], v186 offset:80
	s_waitcnt vmcnt(16)
	v_fma_f64 v[137:138], v[148:149], v[160:161], -v[137:138]
	v_fma_f64 v[148:149], v[150:151], v[160:161], v[152:153]
	s_waitcnt vmcnt(12) lgkmcnt(1)
	v_mul_f64 v[156:157], v[3:4], v[162:163]
	v_mul_f64 v[162:163], v[1:2], v[162:163]
	v_add_f64 v[144:145], v[144:145], v[158:159]
	v_add_f64 v[146:147], v[146:147], v[154:155]
	s_waitcnt vmcnt(10) lgkmcnt(0)
	v_mul_f64 v[150:151], v[142:143], v[164:165]
	v_mul_f64 v[152:153], v[140:141], v[164:165]
	s_waitcnt vmcnt(8)
	v_fma_f64 v[154:155], v[1:2], v[168:169], -v[156:157]
	v_fma_f64 v[156:157], v[3:4], v[168:169], v[162:163]
	v_add_f64 v[137:138], v[144:145], v[137:138]
	v_add_f64 v[148:149], v[146:147], v[148:149]
	ds_read_b128 v[1:4], v186 offset:96
	ds_read_b128 v[144:147], v186 offset:112
	v_fma_f64 v[140:141], v[140:141], v[166:167], -v[150:151]
	v_fma_f64 v[142:143], v[142:143], v[166:167], v[152:153]
	s_waitcnt vmcnt(4) lgkmcnt(1)
	v_mul_f64 v[158:159], v[3:4], v[170:171]
	v_mul_f64 v[160:161], v[1:2], v[170:171]
	v_add_f64 v[137:138], v[137:138], v[154:155]
	v_add_f64 v[148:149], v[148:149], v[156:157]
	s_waitcnt vmcnt(2) lgkmcnt(0)
	v_mul_f64 v[150:151], v[146:147], v[172:173]
	v_mul_f64 v[152:153], v[144:145], v[172:173]
	s_waitcnt vmcnt(0)
	v_fma_f64 v[1:2], v[1:2], v[176:177], -v[158:159]
	v_fma_f64 v[3:4], v[3:4], v[176:177], v[160:161]
	v_add_f64 v[137:138], v[137:138], v[140:141]
	v_add_f64 v[140:141], v[148:149], v[142:143]
	v_fma_f64 v[142:143], v[144:145], v[174:175], -v[150:151]
	v_fma_f64 v[144:145], v[146:147], v[174:175], v[152:153]
	v_add_f64 v[1:2], v[137:138], v[1:2]
	v_add_f64 v[3:4], v[140:141], v[3:4]
	v_mov_b32_e32 v137, s76
	s_mov_b32 s76, s77
	v_add_f64 v[1:2], v[1:2], v[142:143]
	v_add_f64 v[3:4], v[3:4], v[144:145]
	s_andn2_b32 exec_lo, exec_lo, s73
	s_cbranch_execnz .LBB127_165
; %bb.166:
	s_or_b32 exec_lo, exec_lo, s73
.LBB127_167:
	s_or_b32 exec_lo, exec_lo, s5
	v_and_b32_e32 v135, 7, v135
	s_mov_b32 s73, 0
	s_mov_b32 s5, exec_lo
	v_cmpx_ne_u32_e32 0, v135
	s_cbranch_execz .LBB127_171
; %bb.168:
	v_lshlrev_b32_e32 v137, 4, v137
	v_add_nc_u32_e32 v136, 0x400, v137
	.p2align	6
.LBB127_169:                            ; =>This Inner Loop Header: Depth=1
	s_clause 0x3
	buffer_load_dword v144, v137, s[0:3], 0 offen offset:8
	buffer_load_dword v145, v137, s[0:3], 0 offen offset:12
	buffer_load_dword v146, v137, s[0:3], 0 offen
	buffer_load_dword v147, v137, s[0:3], 0 offen offset:4
	ds_read_b128 v[140:143], v136
	v_add_nc_u32_e32 v135, -1, v135
	v_add_nc_u32_e32 v136, 16, v136
	v_add_nc_u32_e32 v137, 16, v137
	v_cmp_eq_u32_e32 vcc_lo, 0, v135
	s_or_b32 s73, vcc_lo, s73
	s_waitcnt vmcnt(2) lgkmcnt(0)
	v_mul_f64 v[148:149], v[142:143], v[144:145]
	v_mul_f64 v[144:145], v[140:141], v[144:145]
	s_waitcnt vmcnt(0)
	v_fma_f64 v[140:141], v[140:141], v[146:147], -v[148:149]
	v_fma_f64 v[142:143], v[142:143], v[146:147], v[144:145]
	v_add_f64 v[1:2], v[1:2], v[140:141]
	v_add_f64 v[3:4], v[3:4], v[142:143]
	s_andn2_b32 exec_lo, exec_lo, s73
	s_cbranch_execnz .LBB127_169
; %bb.170:
	s_or_b32 exec_lo, exec_lo, s73
.LBB127_171:
	s_or_b32 exec_lo, exec_lo, s5
.LBB127_172:
	s_or_b32 exec_lo, exec_lo, s8
	v_mov_b32_e32 v135, 0
	ds_read_b128 v[135:138], v135 offset:800
	s_waitcnt lgkmcnt(0)
	v_mul_f64 v[140:141], v[3:4], v[137:138]
	v_mul_f64 v[137:138], v[1:2], v[137:138]
	v_fma_f64 v[1:2], v[1:2], v[135:136], -v[140:141]
	v_fma_f64 v[3:4], v[3:4], v[135:136], v[137:138]
	buffer_store_dword v2, off, s[0:3], 0 offset:804
	buffer_store_dword v1, off, s[0:3], 0 offset:800
	;; [unrolled: 1-line block ×4, first 2 shown]
.LBB127_173:
	s_or_b32 exec_lo, exec_lo, s6
	v_mov_b32_e32 v4, s23
	v_cmp_lt_u32_e64 s5, 49, v0
	s_clause 0x3
	buffer_load_dword v1, v4, s[0:3], 0 offen
	buffer_load_dword v2, v4, s[0:3], 0 offen offset:4
	buffer_load_dword v3, v4, s[0:3], 0 offen offset:8
	buffer_load_dword v4, v4, s[0:3], 0 offen offset:12
	s_waitcnt vmcnt(0)
	ds_write_b128 v134, v[1:4]
	s_waitcnt lgkmcnt(0)
	s_waitcnt_vscnt null, 0x0
	s_barrier
	buffer_gl0_inv
	s_and_saveexec_b32 s6, s5
	s_cbranch_execz .LBB127_187
; %bb.174:
	ds_read_b128 v[1:4], v134
	s_andn2_b32 vcc_lo, exec_lo, s7
	s_cbranch_vccnz .LBB127_176
; %bb.175:
	s_clause 0x3
	buffer_load_dword v135, v133, s[0:3], 0 offen offset:8
	buffer_load_dword v136, v133, s[0:3], 0 offen offset:12
	buffer_load_dword v137, v133, s[0:3], 0 offen
	buffer_load_dword v138, v133, s[0:3], 0 offen offset:4
	s_waitcnt vmcnt(2) lgkmcnt(0)
	v_mul_f64 v[140:141], v[3:4], v[135:136]
	v_mul_f64 v[135:136], v[1:2], v[135:136]
	s_waitcnt vmcnt(0)
	v_fma_f64 v[1:2], v[1:2], v[137:138], -v[140:141]
	v_fma_f64 v[3:4], v[3:4], v[137:138], v[135:136]
.LBB127_176:
	s_and_saveexec_b32 s8, s4
	s_cbranch_execz .LBB127_186
; %bb.177:
	v_subrev_nc_u32_e32 v136, 51, v0
	v_mov_b32_e32 v137, 50
	v_subrev_nc_u32_e32 v135, 50, v0
	s_mov_b32 s4, exec_lo
	v_cmpx_lt_u32_e32 6, v136
	s_cbranch_execz .LBB127_181
; %bb.178:
	v_and_b32_e32 v136, -8, v135
	s_movk_i32 s74, 0x720
	s_mov_b32 s73, 0
	s_mov_b32 s75, s22
	;; [unrolled: 1-line block ×3, first 2 shown]
.LBB127_179:                            ; =>This Inner Loop Header: Depth=1
	v_mov_b32_e32 v140, s75
	v_mov_b32_e32 v186, s74
	s_add_i32 s77, s76, 8
	s_add_i32 s76, s76, 58
	v_cmp_eq_u32_e32 vcc_lo, s77, v136
	s_clause 0x1f
	buffer_load_dword v137, v140, s[0:3], 0 offen offset:8
	buffer_load_dword v138, v140, s[0:3], 0 offen offset:12
	buffer_load_dword v148, v140, s[0:3], 0 offen
	buffer_load_dword v149, v140, s[0:3], 0 offen offset:4
	buffer_load_dword v150, v140, s[0:3], 0 offen offset:24
	;; [unrolled: 1-line block ×29, first 2 shown]
	ds_read_b128 v[140:143], v186
	ds_read_b128 v[144:147], v186 offset:16
	s_addk_i32 s74, 0x80
	s_addk_i32 s75, 0x80
	s_or_b32 s73, vcc_lo, s73
	s_waitcnt vmcnt(30) lgkmcnt(1)
	v_mul_f64 v[178:179], v[142:143], v[137:138]
	v_mul_f64 v[137:138], v[140:141], v[137:138]
	s_waitcnt vmcnt(26) lgkmcnt(0)
	v_mul_f64 v[180:181], v[146:147], v[150:151]
	v_mul_f64 v[182:183], v[144:145], v[150:151]
	v_fma_f64 v[178:179], v[140:141], v[148:149], -v[178:179]
	v_fma_f64 v[137:138], v[142:143], v[148:149], v[137:138]
	ds_read_b128 v[140:143], v186 offset:32
	ds_read_b128 v[148:151], v186 offset:48
	s_waitcnt vmcnt(24)
	v_fma_f64 v[144:145], v[144:145], v[152:153], -v[180:181]
	v_fma_f64 v[146:147], v[146:147], v[152:153], v[182:183]
	s_waitcnt vmcnt(22) lgkmcnt(1)
	v_mul_f64 v[184:185], v[142:143], v[154:155]
	v_mul_f64 v[154:155], v[140:141], v[154:155]
	v_add_f64 v[1:2], v[1:2], v[178:179]
	v_add_f64 v[3:4], v[3:4], v[137:138]
	s_waitcnt vmcnt(18) lgkmcnt(0)
	v_mul_f64 v[137:138], v[150:151], v[158:159]
	v_mul_f64 v[152:153], v[148:149], v[158:159]
	v_fma_f64 v[158:159], v[140:141], v[156:157], -v[184:185]
	v_fma_f64 v[154:155], v[142:143], v[156:157], v[154:155]
	v_add_f64 v[144:145], v[1:2], v[144:145]
	v_add_f64 v[146:147], v[3:4], v[146:147]
	ds_read_b128 v[1:4], v186 offset:64
	ds_read_b128 v[140:143], v186 offset:80
	s_waitcnt vmcnt(16)
	v_fma_f64 v[137:138], v[148:149], v[160:161], -v[137:138]
	v_fma_f64 v[148:149], v[150:151], v[160:161], v[152:153]
	s_waitcnt vmcnt(12) lgkmcnt(1)
	v_mul_f64 v[156:157], v[3:4], v[162:163]
	v_mul_f64 v[162:163], v[1:2], v[162:163]
	v_add_f64 v[144:145], v[144:145], v[158:159]
	v_add_f64 v[146:147], v[146:147], v[154:155]
	s_waitcnt vmcnt(10) lgkmcnt(0)
	v_mul_f64 v[150:151], v[142:143], v[164:165]
	v_mul_f64 v[152:153], v[140:141], v[164:165]
	s_waitcnt vmcnt(8)
	v_fma_f64 v[154:155], v[1:2], v[168:169], -v[156:157]
	v_fma_f64 v[156:157], v[3:4], v[168:169], v[162:163]
	v_add_f64 v[137:138], v[144:145], v[137:138]
	v_add_f64 v[148:149], v[146:147], v[148:149]
	ds_read_b128 v[1:4], v186 offset:96
	ds_read_b128 v[144:147], v186 offset:112
	v_fma_f64 v[140:141], v[140:141], v[166:167], -v[150:151]
	v_fma_f64 v[142:143], v[142:143], v[166:167], v[152:153]
	s_waitcnt vmcnt(4) lgkmcnt(1)
	v_mul_f64 v[158:159], v[3:4], v[170:171]
	v_mul_f64 v[160:161], v[1:2], v[170:171]
	v_add_f64 v[137:138], v[137:138], v[154:155]
	v_add_f64 v[148:149], v[148:149], v[156:157]
	s_waitcnt vmcnt(2) lgkmcnt(0)
	v_mul_f64 v[150:151], v[146:147], v[172:173]
	v_mul_f64 v[152:153], v[144:145], v[172:173]
	s_waitcnt vmcnt(0)
	v_fma_f64 v[1:2], v[1:2], v[176:177], -v[158:159]
	v_fma_f64 v[3:4], v[3:4], v[176:177], v[160:161]
	v_add_f64 v[137:138], v[137:138], v[140:141]
	v_add_f64 v[140:141], v[148:149], v[142:143]
	v_fma_f64 v[142:143], v[144:145], v[174:175], -v[150:151]
	v_fma_f64 v[144:145], v[146:147], v[174:175], v[152:153]
	v_add_f64 v[1:2], v[137:138], v[1:2]
	v_add_f64 v[3:4], v[140:141], v[3:4]
	v_mov_b32_e32 v137, s76
	s_mov_b32 s76, s77
	v_add_f64 v[1:2], v[1:2], v[142:143]
	v_add_f64 v[3:4], v[3:4], v[144:145]
	s_andn2_b32 exec_lo, exec_lo, s73
	s_cbranch_execnz .LBB127_179
; %bb.180:
	s_or_b32 exec_lo, exec_lo, s73
.LBB127_181:
	s_or_b32 exec_lo, exec_lo, s4
	v_and_b32_e32 v135, 7, v135
	s_mov_b32 s73, 0
	s_mov_b32 s4, exec_lo
	v_cmpx_ne_u32_e32 0, v135
	s_cbranch_execz .LBB127_185
; %bb.182:
	v_lshlrev_b32_e32 v137, 4, v137
	v_add_nc_u32_e32 v136, 0x400, v137
	.p2align	6
.LBB127_183:                            ; =>This Inner Loop Header: Depth=1
	s_clause 0x3
	buffer_load_dword v144, v137, s[0:3], 0 offen offset:8
	buffer_load_dword v145, v137, s[0:3], 0 offen offset:12
	buffer_load_dword v146, v137, s[0:3], 0 offen
	buffer_load_dword v147, v137, s[0:3], 0 offen offset:4
	ds_read_b128 v[140:143], v136
	v_add_nc_u32_e32 v135, -1, v135
	v_add_nc_u32_e32 v136, 16, v136
	v_add_nc_u32_e32 v137, 16, v137
	v_cmp_eq_u32_e32 vcc_lo, 0, v135
	s_or_b32 s73, vcc_lo, s73
	s_waitcnt vmcnt(2) lgkmcnt(0)
	v_mul_f64 v[148:149], v[142:143], v[144:145]
	v_mul_f64 v[144:145], v[140:141], v[144:145]
	s_waitcnt vmcnt(0)
	v_fma_f64 v[140:141], v[140:141], v[146:147], -v[148:149]
	v_fma_f64 v[142:143], v[142:143], v[146:147], v[144:145]
	v_add_f64 v[1:2], v[1:2], v[140:141]
	v_add_f64 v[3:4], v[3:4], v[142:143]
	s_andn2_b32 exec_lo, exec_lo, s73
	s_cbranch_execnz .LBB127_183
; %bb.184:
	s_or_b32 exec_lo, exec_lo, s73
.LBB127_185:
	s_or_b32 exec_lo, exec_lo, s4
.LBB127_186:
	s_or_b32 exec_lo, exec_lo, s8
	v_mov_b32_e32 v135, 0
	ds_read_b128 v[135:138], v135 offset:784
	s_waitcnt lgkmcnt(0)
	v_mul_f64 v[140:141], v[3:4], v[137:138]
	v_mul_f64 v[137:138], v[1:2], v[137:138]
	v_fma_f64 v[1:2], v[1:2], v[135:136], -v[140:141]
	v_fma_f64 v[3:4], v[3:4], v[135:136], v[137:138]
	buffer_store_dword v2, off, s[0:3], 0 offset:788
	buffer_store_dword v1, off, s[0:3], 0 offset:784
	;; [unrolled: 1-line block ×4, first 2 shown]
.LBB127_187:
	s_or_b32 exec_lo, exec_lo, s6
	v_mov_b32_e32 v4, s24
	v_cmp_lt_u32_e64 s4, 48, v0
	s_clause 0x3
	buffer_load_dword v1, v4, s[0:3], 0 offen
	buffer_load_dword v2, v4, s[0:3], 0 offen offset:4
	buffer_load_dword v3, v4, s[0:3], 0 offen offset:8
	;; [unrolled: 1-line block ×3, first 2 shown]
	s_waitcnt vmcnt(0)
	ds_write_b128 v134, v[1:4]
	s_waitcnt lgkmcnt(0)
	s_waitcnt_vscnt null, 0x0
	s_barrier
	buffer_gl0_inv
	s_and_saveexec_b32 s6, s4
	s_cbranch_execz .LBB127_201
; %bb.188:
	ds_read_b128 v[1:4], v134
	s_andn2_b32 vcc_lo, exec_lo, s7
	s_cbranch_vccnz .LBB127_190
; %bb.189:
	s_clause 0x3
	buffer_load_dword v135, v133, s[0:3], 0 offen offset:8
	buffer_load_dword v136, v133, s[0:3], 0 offen offset:12
	buffer_load_dword v137, v133, s[0:3], 0 offen
	buffer_load_dword v138, v133, s[0:3], 0 offen offset:4
	s_waitcnt vmcnt(2) lgkmcnt(0)
	v_mul_f64 v[140:141], v[3:4], v[135:136]
	v_mul_f64 v[135:136], v[1:2], v[135:136]
	s_waitcnt vmcnt(0)
	v_fma_f64 v[1:2], v[1:2], v[137:138], -v[140:141]
	v_fma_f64 v[3:4], v[3:4], v[137:138], v[135:136]
.LBB127_190:
	s_and_saveexec_b32 s8, s5
	s_cbranch_execz .LBB127_200
; %bb.191:
	v_subrev_nc_u32_e32 v136, 50, v0
	v_mov_b32_e32 v137, 49
	v_subrev_nc_u32_e32 v135, 49, v0
	s_mov_b32 s5, exec_lo
	v_cmpx_lt_u32_e32 6, v136
	s_cbranch_execz .LBB127_195
; %bb.192:
	v_and_b32_e32 v136, -8, v135
	s_movk_i32 s74, 0x710
	s_mov_b32 s73, 0
	s_mov_b32 s75, s23
	;; [unrolled: 1-line block ×3, first 2 shown]
.LBB127_193:                            ; =>This Inner Loop Header: Depth=1
	v_mov_b32_e32 v140, s75
	v_mov_b32_e32 v186, s74
	s_add_i32 s77, s76, 8
	s_add_i32 s76, s76, 57
	v_cmp_eq_u32_e32 vcc_lo, s77, v136
	s_clause 0x1f
	buffer_load_dword v137, v140, s[0:3], 0 offen offset:8
	buffer_load_dword v138, v140, s[0:3], 0 offen offset:12
	buffer_load_dword v148, v140, s[0:3], 0 offen
	buffer_load_dword v149, v140, s[0:3], 0 offen offset:4
	buffer_load_dword v150, v140, s[0:3], 0 offen offset:24
	;; [unrolled: 1-line block ×29, first 2 shown]
	ds_read_b128 v[140:143], v186
	ds_read_b128 v[144:147], v186 offset:16
	s_addk_i32 s74, 0x80
	s_addk_i32 s75, 0x80
	s_or_b32 s73, vcc_lo, s73
	s_waitcnt vmcnt(30) lgkmcnt(1)
	v_mul_f64 v[178:179], v[142:143], v[137:138]
	v_mul_f64 v[137:138], v[140:141], v[137:138]
	s_waitcnt vmcnt(26) lgkmcnt(0)
	v_mul_f64 v[180:181], v[146:147], v[150:151]
	v_mul_f64 v[182:183], v[144:145], v[150:151]
	v_fma_f64 v[178:179], v[140:141], v[148:149], -v[178:179]
	v_fma_f64 v[137:138], v[142:143], v[148:149], v[137:138]
	ds_read_b128 v[140:143], v186 offset:32
	ds_read_b128 v[148:151], v186 offset:48
	s_waitcnt vmcnt(24)
	v_fma_f64 v[144:145], v[144:145], v[152:153], -v[180:181]
	v_fma_f64 v[146:147], v[146:147], v[152:153], v[182:183]
	s_waitcnt vmcnt(22) lgkmcnt(1)
	v_mul_f64 v[184:185], v[142:143], v[154:155]
	v_mul_f64 v[154:155], v[140:141], v[154:155]
	v_add_f64 v[1:2], v[1:2], v[178:179]
	v_add_f64 v[3:4], v[3:4], v[137:138]
	s_waitcnt vmcnt(18) lgkmcnt(0)
	v_mul_f64 v[137:138], v[150:151], v[158:159]
	v_mul_f64 v[152:153], v[148:149], v[158:159]
	v_fma_f64 v[158:159], v[140:141], v[156:157], -v[184:185]
	v_fma_f64 v[154:155], v[142:143], v[156:157], v[154:155]
	v_add_f64 v[144:145], v[1:2], v[144:145]
	v_add_f64 v[146:147], v[3:4], v[146:147]
	ds_read_b128 v[1:4], v186 offset:64
	ds_read_b128 v[140:143], v186 offset:80
	s_waitcnt vmcnt(16)
	v_fma_f64 v[137:138], v[148:149], v[160:161], -v[137:138]
	v_fma_f64 v[148:149], v[150:151], v[160:161], v[152:153]
	s_waitcnt vmcnt(12) lgkmcnt(1)
	v_mul_f64 v[156:157], v[3:4], v[162:163]
	v_mul_f64 v[162:163], v[1:2], v[162:163]
	v_add_f64 v[144:145], v[144:145], v[158:159]
	v_add_f64 v[146:147], v[146:147], v[154:155]
	s_waitcnt vmcnt(10) lgkmcnt(0)
	v_mul_f64 v[150:151], v[142:143], v[164:165]
	v_mul_f64 v[152:153], v[140:141], v[164:165]
	s_waitcnt vmcnt(8)
	v_fma_f64 v[154:155], v[1:2], v[168:169], -v[156:157]
	v_fma_f64 v[156:157], v[3:4], v[168:169], v[162:163]
	v_add_f64 v[137:138], v[144:145], v[137:138]
	v_add_f64 v[148:149], v[146:147], v[148:149]
	ds_read_b128 v[1:4], v186 offset:96
	ds_read_b128 v[144:147], v186 offset:112
	v_fma_f64 v[140:141], v[140:141], v[166:167], -v[150:151]
	v_fma_f64 v[142:143], v[142:143], v[166:167], v[152:153]
	s_waitcnt vmcnt(4) lgkmcnt(1)
	v_mul_f64 v[158:159], v[3:4], v[170:171]
	v_mul_f64 v[160:161], v[1:2], v[170:171]
	v_add_f64 v[137:138], v[137:138], v[154:155]
	v_add_f64 v[148:149], v[148:149], v[156:157]
	s_waitcnt vmcnt(2) lgkmcnt(0)
	v_mul_f64 v[150:151], v[146:147], v[172:173]
	v_mul_f64 v[152:153], v[144:145], v[172:173]
	s_waitcnt vmcnt(0)
	v_fma_f64 v[1:2], v[1:2], v[176:177], -v[158:159]
	v_fma_f64 v[3:4], v[3:4], v[176:177], v[160:161]
	v_add_f64 v[137:138], v[137:138], v[140:141]
	v_add_f64 v[140:141], v[148:149], v[142:143]
	v_fma_f64 v[142:143], v[144:145], v[174:175], -v[150:151]
	v_fma_f64 v[144:145], v[146:147], v[174:175], v[152:153]
	v_add_f64 v[1:2], v[137:138], v[1:2]
	v_add_f64 v[3:4], v[140:141], v[3:4]
	v_mov_b32_e32 v137, s76
	s_mov_b32 s76, s77
	v_add_f64 v[1:2], v[1:2], v[142:143]
	v_add_f64 v[3:4], v[3:4], v[144:145]
	s_andn2_b32 exec_lo, exec_lo, s73
	s_cbranch_execnz .LBB127_193
; %bb.194:
	s_or_b32 exec_lo, exec_lo, s73
.LBB127_195:
	s_or_b32 exec_lo, exec_lo, s5
	v_and_b32_e32 v135, 7, v135
	s_mov_b32 s73, 0
	s_mov_b32 s5, exec_lo
	v_cmpx_ne_u32_e32 0, v135
	s_cbranch_execz .LBB127_199
; %bb.196:
	v_lshlrev_b32_e32 v137, 4, v137
	v_add_nc_u32_e32 v136, 0x400, v137
	.p2align	6
.LBB127_197:                            ; =>This Inner Loop Header: Depth=1
	s_clause 0x3
	buffer_load_dword v144, v137, s[0:3], 0 offen offset:8
	buffer_load_dword v145, v137, s[0:3], 0 offen offset:12
	buffer_load_dword v146, v137, s[0:3], 0 offen
	buffer_load_dword v147, v137, s[0:3], 0 offen offset:4
	ds_read_b128 v[140:143], v136
	v_add_nc_u32_e32 v135, -1, v135
	v_add_nc_u32_e32 v136, 16, v136
	v_add_nc_u32_e32 v137, 16, v137
	v_cmp_eq_u32_e32 vcc_lo, 0, v135
	s_or_b32 s73, vcc_lo, s73
	s_waitcnt vmcnt(2) lgkmcnt(0)
	v_mul_f64 v[148:149], v[142:143], v[144:145]
	v_mul_f64 v[144:145], v[140:141], v[144:145]
	s_waitcnt vmcnt(0)
	v_fma_f64 v[140:141], v[140:141], v[146:147], -v[148:149]
	v_fma_f64 v[142:143], v[142:143], v[146:147], v[144:145]
	v_add_f64 v[1:2], v[1:2], v[140:141]
	v_add_f64 v[3:4], v[3:4], v[142:143]
	s_andn2_b32 exec_lo, exec_lo, s73
	s_cbranch_execnz .LBB127_197
; %bb.198:
	s_or_b32 exec_lo, exec_lo, s73
.LBB127_199:
	s_or_b32 exec_lo, exec_lo, s5
.LBB127_200:
	s_or_b32 exec_lo, exec_lo, s8
	v_mov_b32_e32 v135, 0
	ds_read_b128 v[135:138], v135 offset:768
	s_waitcnt lgkmcnt(0)
	v_mul_f64 v[140:141], v[3:4], v[137:138]
	v_mul_f64 v[137:138], v[1:2], v[137:138]
	v_fma_f64 v[1:2], v[1:2], v[135:136], -v[140:141]
	v_fma_f64 v[3:4], v[3:4], v[135:136], v[137:138]
	buffer_store_dword v2, off, s[0:3], 0 offset:772
	buffer_store_dword v1, off, s[0:3], 0 offset:768
	;; [unrolled: 1-line block ×4, first 2 shown]
.LBB127_201:
	s_or_b32 exec_lo, exec_lo, s6
	v_mov_b32_e32 v4, s25
	v_cmp_lt_u32_e64 s5, 47, v0
	s_clause 0x3
	buffer_load_dword v1, v4, s[0:3], 0 offen
	buffer_load_dword v2, v4, s[0:3], 0 offen offset:4
	buffer_load_dword v3, v4, s[0:3], 0 offen offset:8
	;; [unrolled: 1-line block ×3, first 2 shown]
	s_waitcnt vmcnt(0)
	ds_write_b128 v134, v[1:4]
	s_waitcnt lgkmcnt(0)
	s_waitcnt_vscnt null, 0x0
	s_barrier
	buffer_gl0_inv
	s_and_saveexec_b32 s6, s5
	s_cbranch_execz .LBB127_215
; %bb.202:
	ds_read_b128 v[1:4], v134
	s_andn2_b32 vcc_lo, exec_lo, s7
	s_cbranch_vccnz .LBB127_204
; %bb.203:
	s_clause 0x3
	buffer_load_dword v135, v133, s[0:3], 0 offen offset:8
	buffer_load_dword v136, v133, s[0:3], 0 offen offset:12
	buffer_load_dword v137, v133, s[0:3], 0 offen
	buffer_load_dword v138, v133, s[0:3], 0 offen offset:4
	s_waitcnt vmcnt(2) lgkmcnt(0)
	v_mul_f64 v[140:141], v[3:4], v[135:136]
	v_mul_f64 v[135:136], v[1:2], v[135:136]
	s_waitcnt vmcnt(0)
	v_fma_f64 v[1:2], v[1:2], v[137:138], -v[140:141]
	v_fma_f64 v[3:4], v[3:4], v[137:138], v[135:136]
.LBB127_204:
	s_and_saveexec_b32 s8, s4
	s_cbranch_execz .LBB127_214
; %bb.205:
	v_subrev_nc_u32_e32 v135, 49, v0
	v_cmp_lt_u32_e32 vcc_lo, 6, v135
	v_mov_b32_e32 v135, 48
	s_and_saveexec_b32 s4, vcc_lo
	s_cbranch_execz .LBB127_209
; %bb.206:
	v_and_b32_e32 v135, 56, v0
	s_mov_b32 s73, 48
	s_movk_i32 s75, 0x700
	s_mov_b32 s74, 0
	s_mov_b32 s76, s24
.LBB127_207:                            ; =>This Inner Loop Header: Depth=1
	v_mov_b32_e32 v138, s76
	s_add_i32 s73, s73, 8
	s_addk_i32 s76, 0x80
	v_cmp_eq_u32_e32 vcc_lo, s73, v135
	s_clause 0x1f
	buffer_load_dword v136, v138, s[0:3], 0 offen offset:8
	buffer_load_dword v137, v138, s[0:3], 0 offen offset:12
	buffer_load_dword v148, v138, s[0:3], 0 offen
	buffer_load_dword v149, v138, s[0:3], 0 offen offset:4
	buffer_load_dword v150, v138, s[0:3], 0 offen offset:24
	;; [unrolled: 1-line block ×29, first 2 shown]
	v_mov_b32_e32 v138, s75
	s_addk_i32 s75, 0x80
	s_or_b32 s74, vcc_lo, s74
	ds_read_b128 v[140:143], v138
	ds_read_b128 v[144:147], v138 offset:16
	s_waitcnt vmcnt(30) lgkmcnt(1)
	v_mul_f64 v[178:179], v[142:143], v[136:137]
	v_mul_f64 v[136:137], v[140:141], v[136:137]
	s_waitcnt vmcnt(26) lgkmcnt(0)
	v_mul_f64 v[180:181], v[146:147], v[150:151]
	v_mul_f64 v[182:183], v[144:145], v[150:151]
	v_fma_f64 v[178:179], v[140:141], v[148:149], -v[178:179]
	v_fma_f64 v[136:137], v[142:143], v[148:149], v[136:137]
	ds_read_b128 v[140:143], v138 offset:32
	ds_read_b128 v[148:151], v138 offset:48
	s_waitcnt vmcnt(24)
	v_fma_f64 v[144:145], v[144:145], v[152:153], -v[180:181]
	v_fma_f64 v[146:147], v[146:147], v[152:153], v[182:183]
	s_waitcnt vmcnt(22) lgkmcnt(1)
	v_mul_f64 v[184:185], v[142:143], v[154:155]
	v_mul_f64 v[154:155], v[140:141], v[154:155]
	v_add_f64 v[1:2], v[1:2], v[178:179]
	v_add_f64 v[3:4], v[3:4], v[136:137]
	s_waitcnt vmcnt(18) lgkmcnt(0)
	v_mul_f64 v[136:137], v[150:151], v[158:159]
	v_mul_f64 v[152:153], v[148:149], v[158:159]
	v_fma_f64 v[158:159], v[140:141], v[156:157], -v[184:185]
	v_fma_f64 v[154:155], v[142:143], v[156:157], v[154:155]
	v_add_f64 v[144:145], v[1:2], v[144:145]
	v_add_f64 v[146:147], v[3:4], v[146:147]
	ds_read_b128 v[1:4], v138 offset:64
	ds_read_b128 v[140:143], v138 offset:80
	s_waitcnt vmcnt(16)
	v_fma_f64 v[136:137], v[148:149], v[160:161], -v[136:137]
	v_fma_f64 v[148:149], v[150:151], v[160:161], v[152:153]
	s_waitcnt vmcnt(12) lgkmcnt(1)
	v_mul_f64 v[156:157], v[3:4], v[162:163]
	v_mul_f64 v[162:163], v[1:2], v[162:163]
	v_add_f64 v[144:145], v[144:145], v[158:159]
	v_add_f64 v[146:147], v[146:147], v[154:155]
	s_waitcnt vmcnt(10) lgkmcnt(0)
	v_mul_f64 v[150:151], v[142:143], v[164:165]
	v_mul_f64 v[152:153], v[140:141], v[164:165]
	s_waitcnt vmcnt(8)
	v_fma_f64 v[154:155], v[1:2], v[168:169], -v[156:157]
	v_fma_f64 v[156:157], v[3:4], v[168:169], v[162:163]
	v_add_f64 v[136:137], v[144:145], v[136:137]
	v_add_f64 v[148:149], v[146:147], v[148:149]
	ds_read_b128 v[1:4], v138 offset:96
	ds_read_b128 v[144:147], v138 offset:112
	v_fma_f64 v[140:141], v[140:141], v[166:167], -v[150:151]
	v_fma_f64 v[142:143], v[142:143], v[166:167], v[152:153]
	s_waitcnt vmcnt(4) lgkmcnt(1)
	v_mul_f64 v[158:159], v[3:4], v[170:171]
	v_mul_f64 v[160:161], v[1:2], v[170:171]
	v_add_f64 v[136:137], v[136:137], v[154:155]
	v_add_f64 v[148:149], v[148:149], v[156:157]
	s_waitcnt vmcnt(2) lgkmcnt(0)
	v_mul_f64 v[150:151], v[146:147], v[172:173]
	v_mul_f64 v[152:153], v[144:145], v[172:173]
	s_waitcnt vmcnt(0)
	v_fma_f64 v[1:2], v[1:2], v[176:177], -v[158:159]
	v_fma_f64 v[3:4], v[3:4], v[176:177], v[160:161]
	v_add_f64 v[136:137], v[136:137], v[140:141]
	v_add_f64 v[140:141], v[148:149], v[142:143]
	v_fma_f64 v[142:143], v[144:145], v[174:175], -v[150:151]
	v_fma_f64 v[144:145], v[146:147], v[174:175], v[152:153]
	v_add_f64 v[1:2], v[136:137], v[1:2]
	v_add_f64 v[3:4], v[140:141], v[3:4]
	;; [unrolled: 1-line block ×4, first 2 shown]
	s_andn2_b32 exec_lo, exec_lo, s74
	s_cbranch_execnz .LBB127_207
; %bb.208:
	s_or_b32 exec_lo, exec_lo, s74
.LBB127_209:
	s_or_b32 exec_lo, exec_lo, s4
	v_and_b32_e32 v136, 7, v0
	s_mov_b32 s73, 0
	s_mov_b32 s4, exec_lo
	v_cmpx_ne_u32_e32 0, v136
	s_cbranch_execz .LBB127_213
; %bb.210:
	v_lshlrev_b32_e32 v137, 4, v135
	v_or_b32_e32 v135, 0x400, v137
	.p2align	6
.LBB127_211:                            ; =>This Inner Loop Header: Depth=1
	s_clause 0x3
	buffer_load_dword v144, v137, s[0:3], 0 offen offset:8
	buffer_load_dword v145, v137, s[0:3], 0 offen offset:12
	buffer_load_dword v146, v137, s[0:3], 0 offen
	buffer_load_dword v147, v137, s[0:3], 0 offen offset:4
	ds_read_b128 v[140:143], v135
	v_add_nc_u32_e32 v136, -1, v136
	v_add_nc_u32_e32 v135, 16, v135
	v_add_nc_u32_e32 v137, 16, v137
	v_cmp_eq_u32_e32 vcc_lo, 0, v136
	s_or_b32 s73, vcc_lo, s73
	s_waitcnt vmcnt(2) lgkmcnt(0)
	v_mul_f64 v[148:149], v[142:143], v[144:145]
	v_mul_f64 v[144:145], v[140:141], v[144:145]
	s_waitcnt vmcnt(0)
	v_fma_f64 v[140:141], v[140:141], v[146:147], -v[148:149]
	v_fma_f64 v[142:143], v[142:143], v[146:147], v[144:145]
	v_add_f64 v[1:2], v[1:2], v[140:141]
	v_add_f64 v[3:4], v[3:4], v[142:143]
	s_andn2_b32 exec_lo, exec_lo, s73
	s_cbranch_execnz .LBB127_211
; %bb.212:
	s_or_b32 exec_lo, exec_lo, s73
.LBB127_213:
	s_or_b32 exec_lo, exec_lo, s4
.LBB127_214:
	s_or_b32 exec_lo, exec_lo, s8
	v_mov_b32_e32 v135, 0
	ds_read_b128 v[135:138], v135 offset:752
	s_waitcnt lgkmcnt(0)
	v_mul_f64 v[140:141], v[3:4], v[137:138]
	v_mul_f64 v[137:138], v[1:2], v[137:138]
	v_fma_f64 v[1:2], v[1:2], v[135:136], -v[140:141]
	v_fma_f64 v[3:4], v[3:4], v[135:136], v[137:138]
	buffer_store_dword v2, off, s[0:3], 0 offset:756
	buffer_store_dword v1, off, s[0:3], 0 offset:752
	;; [unrolled: 1-line block ×4, first 2 shown]
.LBB127_215:
	s_or_b32 exec_lo, exec_lo, s6
	v_mov_b32_e32 v4, s26
	v_cmp_lt_u32_e64 s4, 46, v0
	s_clause 0x3
	buffer_load_dword v1, v4, s[0:3], 0 offen
	buffer_load_dword v2, v4, s[0:3], 0 offen offset:4
	buffer_load_dword v3, v4, s[0:3], 0 offen offset:8
	;; [unrolled: 1-line block ×3, first 2 shown]
	s_waitcnt vmcnt(0)
	ds_write_b128 v134, v[1:4]
	s_waitcnt lgkmcnt(0)
	s_waitcnt_vscnt null, 0x0
	s_barrier
	buffer_gl0_inv
	s_and_saveexec_b32 s6, s4
	s_cbranch_execz .LBB127_229
; %bb.216:
	ds_read_b128 v[1:4], v134
	s_andn2_b32 vcc_lo, exec_lo, s7
	s_cbranch_vccnz .LBB127_218
; %bb.217:
	s_clause 0x3
	buffer_load_dword v135, v133, s[0:3], 0 offen offset:8
	buffer_load_dword v136, v133, s[0:3], 0 offen offset:12
	buffer_load_dword v137, v133, s[0:3], 0 offen
	buffer_load_dword v138, v133, s[0:3], 0 offen offset:4
	s_waitcnt vmcnt(2) lgkmcnt(0)
	v_mul_f64 v[140:141], v[3:4], v[135:136]
	v_mul_f64 v[135:136], v[1:2], v[135:136]
	s_waitcnt vmcnt(0)
	v_fma_f64 v[1:2], v[1:2], v[137:138], -v[140:141]
	v_fma_f64 v[3:4], v[3:4], v[137:138], v[135:136]
.LBB127_218:
	s_and_saveexec_b32 s8, s5
	s_cbranch_execz .LBB127_228
; %bb.219:
	v_subrev_nc_u32_e32 v136, 48, v0
	v_mov_b32_e32 v137, 47
	v_subrev_nc_u32_e32 v135, 47, v0
	s_mov_b32 s5, exec_lo
	v_cmpx_lt_u32_e32 6, v136
	s_cbranch_execz .LBB127_223
; %bb.220:
	v_and_b32_e32 v136, -8, v135
	s_movk_i32 s74, 0x6f0
	s_mov_b32 s73, 0
	s_mov_b32 s75, s25
	;; [unrolled: 1-line block ×3, first 2 shown]
.LBB127_221:                            ; =>This Inner Loop Header: Depth=1
	v_mov_b32_e32 v140, s75
	v_mov_b32_e32 v186, s74
	s_add_i32 s77, s76, 8
	s_add_i32 s76, s76, 55
	v_cmp_eq_u32_e32 vcc_lo, s77, v136
	s_clause 0x1f
	buffer_load_dword v137, v140, s[0:3], 0 offen offset:8
	buffer_load_dword v138, v140, s[0:3], 0 offen offset:12
	buffer_load_dword v148, v140, s[0:3], 0 offen
	buffer_load_dword v149, v140, s[0:3], 0 offen offset:4
	buffer_load_dword v150, v140, s[0:3], 0 offen offset:24
	;; [unrolled: 1-line block ×29, first 2 shown]
	ds_read_b128 v[140:143], v186
	ds_read_b128 v[144:147], v186 offset:16
	s_addk_i32 s74, 0x80
	s_addk_i32 s75, 0x80
	s_or_b32 s73, vcc_lo, s73
	s_waitcnt vmcnt(30) lgkmcnt(1)
	v_mul_f64 v[178:179], v[142:143], v[137:138]
	v_mul_f64 v[137:138], v[140:141], v[137:138]
	s_waitcnt vmcnt(26) lgkmcnt(0)
	v_mul_f64 v[180:181], v[146:147], v[150:151]
	v_mul_f64 v[182:183], v[144:145], v[150:151]
	v_fma_f64 v[178:179], v[140:141], v[148:149], -v[178:179]
	v_fma_f64 v[137:138], v[142:143], v[148:149], v[137:138]
	ds_read_b128 v[140:143], v186 offset:32
	ds_read_b128 v[148:151], v186 offset:48
	s_waitcnt vmcnt(24)
	v_fma_f64 v[144:145], v[144:145], v[152:153], -v[180:181]
	v_fma_f64 v[146:147], v[146:147], v[152:153], v[182:183]
	s_waitcnt vmcnt(22) lgkmcnt(1)
	v_mul_f64 v[184:185], v[142:143], v[154:155]
	v_mul_f64 v[154:155], v[140:141], v[154:155]
	v_add_f64 v[1:2], v[1:2], v[178:179]
	v_add_f64 v[3:4], v[3:4], v[137:138]
	s_waitcnt vmcnt(18) lgkmcnt(0)
	v_mul_f64 v[137:138], v[150:151], v[158:159]
	v_mul_f64 v[152:153], v[148:149], v[158:159]
	v_fma_f64 v[158:159], v[140:141], v[156:157], -v[184:185]
	v_fma_f64 v[154:155], v[142:143], v[156:157], v[154:155]
	v_add_f64 v[144:145], v[1:2], v[144:145]
	v_add_f64 v[146:147], v[3:4], v[146:147]
	ds_read_b128 v[1:4], v186 offset:64
	ds_read_b128 v[140:143], v186 offset:80
	s_waitcnt vmcnt(16)
	v_fma_f64 v[137:138], v[148:149], v[160:161], -v[137:138]
	v_fma_f64 v[148:149], v[150:151], v[160:161], v[152:153]
	s_waitcnt vmcnt(12) lgkmcnt(1)
	v_mul_f64 v[156:157], v[3:4], v[162:163]
	v_mul_f64 v[162:163], v[1:2], v[162:163]
	v_add_f64 v[144:145], v[144:145], v[158:159]
	v_add_f64 v[146:147], v[146:147], v[154:155]
	s_waitcnt vmcnt(10) lgkmcnt(0)
	v_mul_f64 v[150:151], v[142:143], v[164:165]
	v_mul_f64 v[152:153], v[140:141], v[164:165]
	s_waitcnt vmcnt(8)
	v_fma_f64 v[154:155], v[1:2], v[168:169], -v[156:157]
	v_fma_f64 v[156:157], v[3:4], v[168:169], v[162:163]
	v_add_f64 v[137:138], v[144:145], v[137:138]
	v_add_f64 v[148:149], v[146:147], v[148:149]
	ds_read_b128 v[1:4], v186 offset:96
	ds_read_b128 v[144:147], v186 offset:112
	v_fma_f64 v[140:141], v[140:141], v[166:167], -v[150:151]
	v_fma_f64 v[142:143], v[142:143], v[166:167], v[152:153]
	s_waitcnt vmcnt(4) lgkmcnt(1)
	v_mul_f64 v[158:159], v[3:4], v[170:171]
	v_mul_f64 v[160:161], v[1:2], v[170:171]
	v_add_f64 v[137:138], v[137:138], v[154:155]
	v_add_f64 v[148:149], v[148:149], v[156:157]
	s_waitcnt vmcnt(2) lgkmcnt(0)
	v_mul_f64 v[150:151], v[146:147], v[172:173]
	v_mul_f64 v[152:153], v[144:145], v[172:173]
	s_waitcnt vmcnt(0)
	v_fma_f64 v[1:2], v[1:2], v[176:177], -v[158:159]
	v_fma_f64 v[3:4], v[3:4], v[176:177], v[160:161]
	v_add_f64 v[137:138], v[137:138], v[140:141]
	v_add_f64 v[140:141], v[148:149], v[142:143]
	v_fma_f64 v[142:143], v[144:145], v[174:175], -v[150:151]
	v_fma_f64 v[144:145], v[146:147], v[174:175], v[152:153]
	v_add_f64 v[1:2], v[137:138], v[1:2]
	v_add_f64 v[3:4], v[140:141], v[3:4]
	v_mov_b32_e32 v137, s76
	s_mov_b32 s76, s77
	v_add_f64 v[1:2], v[1:2], v[142:143]
	v_add_f64 v[3:4], v[3:4], v[144:145]
	s_andn2_b32 exec_lo, exec_lo, s73
	s_cbranch_execnz .LBB127_221
; %bb.222:
	s_or_b32 exec_lo, exec_lo, s73
.LBB127_223:
	s_or_b32 exec_lo, exec_lo, s5
	v_and_b32_e32 v135, 7, v135
	s_mov_b32 s73, 0
	s_mov_b32 s5, exec_lo
	v_cmpx_ne_u32_e32 0, v135
	s_cbranch_execz .LBB127_227
; %bb.224:
	v_lshlrev_b32_e32 v137, 4, v137
	v_add_nc_u32_e32 v136, 0x400, v137
	.p2align	6
.LBB127_225:                            ; =>This Inner Loop Header: Depth=1
	s_clause 0x3
	buffer_load_dword v144, v137, s[0:3], 0 offen offset:8
	buffer_load_dword v145, v137, s[0:3], 0 offen offset:12
	buffer_load_dword v146, v137, s[0:3], 0 offen
	buffer_load_dword v147, v137, s[0:3], 0 offen offset:4
	ds_read_b128 v[140:143], v136
	v_add_nc_u32_e32 v135, -1, v135
	v_add_nc_u32_e32 v136, 16, v136
	v_add_nc_u32_e32 v137, 16, v137
	v_cmp_eq_u32_e32 vcc_lo, 0, v135
	s_or_b32 s73, vcc_lo, s73
	s_waitcnt vmcnt(2) lgkmcnt(0)
	v_mul_f64 v[148:149], v[142:143], v[144:145]
	v_mul_f64 v[144:145], v[140:141], v[144:145]
	s_waitcnt vmcnt(0)
	v_fma_f64 v[140:141], v[140:141], v[146:147], -v[148:149]
	v_fma_f64 v[142:143], v[142:143], v[146:147], v[144:145]
	v_add_f64 v[1:2], v[1:2], v[140:141]
	v_add_f64 v[3:4], v[3:4], v[142:143]
	s_andn2_b32 exec_lo, exec_lo, s73
	s_cbranch_execnz .LBB127_225
; %bb.226:
	s_or_b32 exec_lo, exec_lo, s73
.LBB127_227:
	s_or_b32 exec_lo, exec_lo, s5
.LBB127_228:
	s_or_b32 exec_lo, exec_lo, s8
	v_mov_b32_e32 v135, 0
	ds_read_b128 v[135:138], v135 offset:736
	s_waitcnt lgkmcnt(0)
	v_mul_f64 v[140:141], v[3:4], v[137:138]
	v_mul_f64 v[137:138], v[1:2], v[137:138]
	v_fma_f64 v[1:2], v[1:2], v[135:136], -v[140:141]
	v_fma_f64 v[3:4], v[3:4], v[135:136], v[137:138]
	buffer_store_dword v2, off, s[0:3], 0 offset:740
	buffer_store_dword v1, off, s[0:3], 0 offset:736
	buffer_store_dword v4, off, s[0:3], 0 offset:748
	buffer_store_dword v3, off, s[0:3], 0 offset:744
.LBB127_229:
	s_or_b32 exec_lo, exec_lo, s6
	v_mov_b32_e32 v4, s27
	v_cmp_lt_u32_e64 s5, 45, v0
	s_clause 0x3
	buffer_load_dword v1, v4, s[0:3], 0 offen
	buffer_load_dword v2, v4, s[0:3], 0 offen offset:4
	buffer_load_dword v3, v4, s[0:3], 0 offen offset:8
	;; [unrolled: 1-line block ×3, first 2 shown]
	s_waitcnt vmcnt(0)
	ds_write_b128 v134, v[1:4]
	s_waitcnt lgkmcnt(0)
	s_waitcnt_vscnt null, 0x0
	s_barrier
	buffer_gl0_inv
	s_and_saveexec_b32 s6, s5
	s_cbranch_execz .LBB127_243
; %bb.230:
	ds_read_b128 v[1:4], v134
	s_andn2_b32 vcc_lo, exec_lo, s7
	s_cbranch_vccnz .LBB127_232
; %bb.231:
	s_clause 0x3
	buffer_load_dword v135, v133, s[0:3], 0 offen offset:8
	buffer_load_dword v136, v133, s[0:3], 0 offen offset:12
	buffer_load_dword v137, v133, s[0:3], 0 offen
	buffer_load_dword v138, v133, s[0:3], 0 offen offset:4
	s_waitcnt vmcnt(2) lgkmcnt(0)
	v_mul_f64 v[140:141], v[3:4], v[135:136]
	v_mul_f64 v[135:136], v[1:2], v[135:136]
	s_waitcnt vmcnt(0)
	v_fma_f64 v[1:2], v[1:2], v[137:138], -v[140:141]
	v_fma_f64 v[3:4], v[3:4], v[137:138], v[135:136]
.LBB127_232:
	s_and_saveexec_b32 s8, s4
	s_cbranch_execz .LBB127_242
; %bb.233:
	v_subrev_nc_u32_e32 v136, 47, v0
	v_mov_b32_e32 v137, 46
	v_subrev_nc_u32_e32 v135, 46, v0
	s_mov_b32 s4, exec_lo
	v_cmpx_lt_u32_e32 6, v136
	s_cbranch_execz .LBB127_237
; %bb.234:
	v_and_b32_e32 v136, -8, v135
	s_movk_i32 s74, 0x6e0
	s_mov_b32 s73, 0
	s_mov_b32 s75, s26
	;; [unrolled: 1-line block ×3, first 2 shown]
.LBB127_235:                            ; =>This Inner Loop Header: Depth=1
	v_mov_b32_e32 v140, s75
	v_mov_b32_e32 v186, s74
	s_add_i32 s77, s76, 8
	s_add_i32 s76, s76, 54
	v_cmp_eq_u32_e32 vcc_lo, s77, v136
	s_clause 0x1f
	buffer_load_dword v137, v140, s[0:3], 0 offen offset:8
	buffer_load_dword v138, v140, s[0:3], 0 offen offset:12
	buffer_load_dword v148, v140, s[0:3], 0 offen
	buffer_load_dword v149, v140, s[0:3], 0 offen offset:4
	buffer_load_dword v150, v140, s[0:3], 0 offen offset:24
	;; [unrolled: 1-line block ×29, first 2 shown]
	ds_read_b128 v[140:143], v186
	ds_read_b128 v[144:147], v186 offset:16
	s_addk_i32 s74, 0x80
	s_addk_i32 s75, 0x80
	s_or_b32 s73, vcc_lo, s73
	s_waitcnt vmcnt(30) lgkmcnt(1)
	v_mul_f64 v[178:179], v[142:143], v[137:138]
	v_mul_f64 v[137:138], v[140:141], v[137:138]
	s_waitcnt vmcnt(26) lgkmcnt(0)
	v_mul_f64 v[180:181], v[146:147], v[150:151]
	v_mul_f64 v[182:183], v[144:145], v[150:151]
	v_fma_f64 v[178:179], v[140:141], v[148:149], -v[178:179]
	v_fma_f64 v[137:138], v[142:143], v[148:149], v[137:138]
	ds_read_b128 v[140:143], v186 offset:32
	ds_read_b128 v[148:151], v186 offset:48
	s_waitcnt vmcnt(24)
	v_fma_f64 v[144:145], v[144:145], v[152:153], -v[180:181]
	v_fma_f64 v[146:147], v[146:147], v[152:153], v[182:183]
	s_waitcnt vmcnt(22) lgkmcnt(1)
	v_mul_f64 v[184:185], v[142:143], v[154:155]
	v_mul_f64 v[154:155], v[140:141], v[154:155]
	v_add_f64 v[1:2], v[1:2], v[178:179]
	v_add_f64 v[3:4], v[3:4], v[137:138]
	s_waitcnt vmcnt(18) lgkmcnt(0)
	v_mul_f64 v[137:138], v[150:151], v[158:159]
	v_mul_f64 v[152:153], v[148:149], v[158:159]
	v_fma_f64 v[158:159], v[140:141], v[156:157], -v[184:185]
	v_fma_f64 v[154:155], v[142:143], v[156:157], v[154:155]
	v_add_f64 v[144:145], v[1:2], v[144:145]
	v_add_f64 v[146:147], v[3:4], v[146:147]
	ds_read_b128 v[1:4], v186 offset:64
	ds_read_b128 v[140:143], v186 offset:80
	s_waitcnt vmcnt(16)
	v_fma_f64 v[137:138], v[148:149], v[160:161], -v[137:138]
	v_fma_f64 v[148:149], v[150:151], v[160:161], v[152:153]
	s_waitcnt vmcnt(12) lgkmcnt(1)
	v_mul_f64 v[156:157], v[3:4], v[162:163]
	v_mul_f64 v[162:163], v[1:2], v[162:163]
	v_add_f64 v[144:145], v[144:145], v[158:159]
	v_add_f64 v[146:147], v[146:147], v[154:155]
	s_waitcnt vmcnt(10) lgkmcnt(0)
	v_mul_f64 v[150:151], v[142:143], v[164:165]
	v_mul_f64 v[152:153], v[140:141], v[164:165]
	s_waitcnt vmcnt(8)
	v_fma_f64 v[154:155], v[1:2], v[168:169], -v[156:157]
	v_fma_f64 v[156:157], v[3:4], v[168:169], v[162:163]
	v_add_f64 v[137:138], v[144:145], v[137:138]
	v_add_f64 v[148:149], v[146:147], v[148:149]
	ds_read_b128 v[1:4], v186 offset:96
	ds_read_b128 v[144:147], v186 offset:112
	v_fma_f64 v[140:141], v[140:141], v[166:167], -v[150:151]
	v_fma_f64 v[142:143], v[142:143], v[166:167], v[152:153]
	s_waitcnt vmcnt(4) lgkmcnt(1)
	v_mul_f64 v[158:159], v[3:4], v[170:171]
	v_mul_f64 v[160:161], v[1:2], v[170:171]
	v_add_f64 v[137:138], v[137:138], v[154:155]
	v_add_f64 v[148:149], v[148:149], v[156:157]
	s_waitcnt vmcnt(2) lgkmcnt(0)
	v_mul_f64 v[150:151], v[146:147], v[172:173]
	v_mul_f64 v[152:153], v[144:145], v[172:173]
	s_waitcnt vmcnt(0)
	v_fma_f64 v[1:2], v[1:2], v[176:177], -v[158:159]
	v_fma_f64 v[3:4], v[3:4], v[176:177], v[160:161]
	v_add_f64 v[137:138], v[137:138], v[140:141]
	v_add_f64 v[140:141], v[148:149], v[142:143]
	v_fma_f64 v[142:143], v[144:145], v[174:175], -v[150:151]
	v_fma_f64 v[144:145], v[146:147], v[174:175], v[152:153]
	v_add_f64 v[1:2], v[137:138], v[1:2]
	v_add_f64 v[3:4], v[140:141], v[3:4]
	v_mov_b32_e32 v137, s76
	s_mov_b32 s76, s77
	v_add_f64 v[1:2], v[1:2], v[142:143]
	v_add_f64 v[3:4], v[3:4], v[144:145]
	s_andn2_b32 exec_lo, exec_lo, s73
	s_cbranch_execnz .LBB127_235
; %bb.236:
	s_or_b32 exec_lo, exec_lo, s73
.LBB127_237:
	s_or_b32 exec_lo, exec_lo, s4
	v_and_b32_e32 v135, 7, v135
	s_mov_b32 s73, 0
	s_mov_b32 s4, exec_lo
	v_cmpx_ne_u32_e32 0, v135
	s_cbranch_execz .LBB127_241
; %bb.238:
	v_lshlrev_b32_e32 v137, 4, v137
	v_add_nc_u32_e32 v136, 0x400, v137
	.p2align	6
.LBB127_239:                            ; =>This Inner Loop Header: Depth=1
	s_clause 0x3
	buffer_load_dword v144, v137, s[0:3], 0 offen offset:8
	buffer_load_dword v145, v137, s[0:3], 0 offen offset:12
	buffer_load_dword v146, v137, s[0:3], 0 offen
	buffer_load_dword v147, v137, s[0:3], 0 offen offset:4
	ds_read_b128 v[140:143], v136
	v_add_nc_u32_e32 v135, -1, v135
	v_add_nc_u32_e32 v136, 16, v136
	v_add_nc_u32_e32 v137, 16, v137
	v_cmp_eq_u32_e32 vcc_lo, 0, v135
	s_or_b32 s73, vcc_lo, s73
	s_waitcnt vmcnt(2) lgkmcnt(0)
	v_mul_f64 v[148:149], v[142:143], v[144:145]
	v_mul_f64 v[144:145], v[140:141], v[144:145]
	s_waitcnt vmcnt(0)
	v_fma_f64 v[140:141], v[140:141], v[146:147], -v[148:149]
	v_fma_f64 v[142:143], v[142:143], v[146:147], v[144:145]
	v_add_f64 v[1:2], v[1:2], v[140:141]
	v_add_f64 v[3:4], v[3:4], v[142:143]
	s_andn2_b32 exec_lo, exec_lo, s73
	s_cbranch_execnz .LBB127_239
; %bb.240:
	s_or_b32 exec_lo, exec_lo, s73
.LBB127_241:
	s_or_b32 exec_lo, exec_lo, s4
.LBB127_242:
	s_or_b32 exec_lo, exec_lo, s8
	v_mov_b32_e32 v135, 0
	ds_read_b128 v[135:138], v135 offset:720
	s_waitcnt lgkmcnt(0)
	v_mul_f64 v[140:141], v[3:4], v[137:138]
	v_mul_f64 v[137:138], v[1:2], v[137:138]
	v_fma_f64 v[1:2], v[1:2], v[135:136], -v[140:141]
	v_fma_f64 v[3:4], v[3:4], v[135:136], v[137:138]
	buffer_store_dword v2, off, s[0:3], 0 offset:724
	buffer_store_dword v1, off, s[0:3], 0 offset:720
	;; [unrolled: 1-line block ×4, first 2 shown]
.LBB127_243:
	s_or_b32 exec_lo, exec_lo, s6
	v_mov_b32_e32 v4, s28
	v_cmp_lt_u32_e64 s4, 44, v0
	s_clause 0x3
	buffer_load_dword v1, v4, s[0:3], 0 offen
	buffer_load_dword v2, v4, s[0:3], 0 offen offset:4
	buffer_load_dword v3, v4, s[0:3], 0 offen offset:8
	;; [unrolled: 1-line block ×3, first 2 shown]
	s_waitcnt vmcnt(0)
	ds_write_b128 v134, v[1:4]
	s_waitcnt lgkmcnt(0)
	s_waitcnt_vscnt null, 0x0
	s_barrier
	buffer_gl0_inv
	s_and_saveexec_b32 s6, s4
	s_cbranch_execz .LBB127_257
; %bb.244:
	ds_read_b128 v[1:4], v134
	s_andn2_b32 vcc_lo, exec_lo, s7
	s_cbranch_vccnz .LBB127_246
; %bb.245:
	s_clause 0x3
	buffer_load_dword v135, v133, s[0:3], 0 offen offset:8
	buffer_load_dword v136, v133, s[0:3], 0 offen offset:12
	buffer_load_dword v137, v133, s[0:3], 0 offen
	buffer_load_dword v138, v133, s[0:3], 0 offen offset:4
	s_waitcnt vmcnt(2) lgkmcnt(0)
	v_mul_f64 v[140:141], v[3:4], v[135:136]
	v_mul_f64 v[135:136], v[1:2], v[135:136]
	s_waitcnt vmcnt(0)
	v_fma_f64 v[1:2], v[1:2], v[137:138], -v[140:141]
	v_fma_f64 v[3:4], v[3:4], v[137:138], v[135:136]
.LBB127_246:
	s_and_saveexec_b32 s8, s5
	s_cbranch_execz .LBB127_256
; %bb.247:
	v_subrev_nc_u32_e32 v136, 46, v0
	v_mov_b32_e32 v137, 45
	v_subrev_nc_u32_e32 v135, 45, v0
	s_mov_b32 s5, exec_lo
	v_cmpx_lt_u32_e32 6, v136
	s_cbranch_execz .LBB127_251
; %bb.248:
	v_and_b32_e32 v136, -8, v135
	s_movk_i32 s74, 0x6d0
	s_mov_b32 s73, 0
	s_mov_b32 s75, s27
	;; [unrolled: 1-line block ×3, first 2 shown]
.LBB127_249:                            ; =>This Inner Loop Header: Depth=1
	v_mov_b32_e32 v140, s75
	v_mov_b32_e32 v186, s74
	s_add_i32 s77, s76, 8
	s_add_i32 s76, s76, 53
	v_cmp_eq_u32_e32 vcc_lo, s77, v136
	s_clause 0x1f
	buffer_load_dword v137, v140, s[0:3], 0 offen offset:8
	buffer_load_dword v138, v140, s[0:3], 0 offen offset:12
	buffer_load_dword v148, v140, s[0:3], 0 offen
	buffer_load_dword v149, v140, s[0:3], 0 offen offset:4
	buffer_load_dword v150, v140, s[0:3], 0 offen offset:24
	buffer_load_dword v151, v140, s[0:3], 0 offen offset:28
	buffer_load_dword v152, v140, s[0:3], 0 offen offset:16
	buffer_load_dword v153, v140, s[0:3], 0 offen offset:20
	buffer_load_dword v154, v140, s[0:3], 0 offen offset:40
	buffer_load_dword v155, v140, s[0:3], 0 offen offset:44
	buffer_load_dword v156, v140, s[0:3], 0 offen offset:32
	buffer_load_dword v157, v140, s[0:3], 0 offen offset:36
	buffer_load_dword v158, v140, s[0:3], 0 offen offset:56
	buffer_load_dword v159, v140, s[0:3], 0 offen offset:60
	buffer_load_dword v160, v140, s[0:3], 0 offen offset:48
	buffer_load_dword v161, v140, s[0:3], 0 offen offset:52
	buffer_load_dword v163, v140, s[0:3], 0 offen offset:76
	buffer_load_dword v164, v140, s[0:3], 0 offen offset:88
	buffer_load_dword v166, v140, s[0:3], 0 offen offset:80
	buffer_load_dword v162, v140, s[0:3], 0 offen offset:72
	buffer_load_dword v167, v140, s[0:3], 0 offen offset:84
	buffer_load_dword v165, v140, s[0:3], 0 offen offset:92
	buffer_load_dword v169, v140, s[0:3], 0 offen offset:68
	buffer_load_dword v168, v140, s[0:3], 0 offen offset:64
	buffer_load_dword v171, v140, s[0:3], 0 offen offset:108
	buffer_load_dword v172, v140, s[0:3], 0 offen offset:120
	buffer_load_dword v174, v140, s[0:3], 0 offen offset:112
	buffer_load_dword v170, v140, s[0:3], 0 offen offset:104
	buffer_load_dword v175, v140, s[0:3], 0 offen offset:116
	buffer_load_dword v173, v140, s[0:3], 0 offen offset:124
	buffer_load_dword v177, v140, s[0:3], 0 offen offset:100
	buffer_load_dword v176, v140, s[0:3], 0 offen offset:96
	ds_read_b128 v[140:143], v186
	ds_read_b128 v[144:147], v186 offset:16
	s_addk_i32 s74, 0x80
	s_addk_i32 s75, 0x80
	s_or_b32 s73, vcc_lo, s73
	s_waitcnt vmcnt(30) lgkmcnt(1)
	v_mul_f64 v[178:179], v[142:143], v[137:138]
	v_mul_f64 v[137:138], v[140:141], v[137:138]
	s_waitcnt vmcnt(26) lgkmcnt(0)
	v_mul_f64 v[180:181], v[146:147], v[150:151]
	v_mul_f64 v[182:183], v[144:145], v[150:151]
	v_fma_f64 v[178:179], v[140:141], v[148:149], -v[178:179]
	v_fma_f64 v[137:138], v[142:143], v[148:149], v[137:138]
	ds_read_b128 v[140:143], v186 offset:32
	ds_read_b128 v[148:151], v186 offset:48
	s_waitcnt vmcnt(24)
	v_fma_f64 v[144:145], v[144:145], v[152:153], -v[180:181]
	v_fma_f64 v[146:147], v[146:147], v[152:153], v[182:183]
	s_waitcnt vmcnt(22) lgkmcnt(1)
	v_mul_f64 v[184:185], v[142:143], v[154:155]
	v_mul_f64 v[154:155], v[140:141], v[154:155]
	v_add_f64 v[1:2], v[1:2], v[178:179]
	v_add_f64 v[3:4], v[3:4], v[137:138]
	s_waitcnt vmcnt(18) lgkmcnt(0)
	v_mul_f64 v[137:138], v[150:151], v[158:159]
	v_mul_f64 v[152:153], v[148:149], v[158:159]
	v_fma_f64 v[158:159], v[140:141], v[156:157], -v[184:185]
	v_fma_f64 v[154:155], v[142:143], v[156:157], v[154:155]
	v_add_f64 v[144:145], v[1:2], v[144:145]
	v_add_f64 v[146:147], v[3:4], v[146:147]
	ds_read_b128 v[1:4], v186 offset:64
	ds_read_b128 v[140:143], v186 offset:80
	s_waitcnt vmcnt(16)
	v_fma_f64 v[137:138], v[148:149], v[160:161], -v[137:138]
	v_fma_f64 v[148:149], v[150:151], v[160:161], v[152:153]
	s_waitcnt vmcnt(12) lgkmcnt(1)
	v_mul_f64 v[156:157], v[3:4], v[162:163]
	v_mul_f64 v[162:163], v[1:2], v[162:163]
	v_add_f64 v[144:145], v[144:145], v[158:159]
	v_add_f64 v[146:147], v[146:147], v[154:155]
	s_waitcnt vmcnt(10) lgkmcnt(0)
	v_mul_f64 v[150:151], v[142:143], v[164:165]
	v_mul_f64 v[152:153], v[140:141], v[164:165]
	s_waitcnt vmcnt(8)
	v_fma_f64 v[154:155], v[1:2], v[168:169], -v[156:157]
	v_fma_f64 v[156:157], v[3:4], v[168:169], v[162:163]
	v_add_f64 v[137:138], v[144:145], v[137:138]
	v_add_f64 v[148:149], v[146:147], v[148:149]
	ds_read_b128 v[1:4], v186 offset:96
	ds_read_b128 v[144:147], v186 offset:112
	v_fma_f64 v[140:141], v[140:141], v[166:167], -v[150:151]
	v_fma_f64 v[142:143], v[142:143], v[166:167], v[152:153]
	s_waitcnt vmcnt(4) lgkmcnt(1)
	v_mul_f64 v[158:159], v[3:4], v[170:171]
	v_mul_f64 v[160:161], v[1:2], v[170:171]
	v_add_f64 v[137:138], v[137:138], v[154:155]
	v_add_f64 v[148:149], v[148:149], v[156:157]
	s_waitcnt vmcnt(2) lgkmcnt(0)
	v_mul_f64 v[150:151], v[146:147], v[172:173]
	v_mul_f64 v[152:153], v[144:145], v[172:173]
	s_waitcnt vmcnt(0)
	v_fma_f64 v[1:2], v[1:2], v[176:177], -v[158:159]
	v_fma_f64 v[3:4], v[3:4], v[176:177], v[160:161]
	v_add_f64 v[137:138], v[137:138], v[140:141]
	v_add_f64 v[140:141], v[148:149], v[142:143]
	v_fma_f64 v[142:143], v[144:145], v[174:175], -v[150:151]
	v_fma_f64 v[144:145], v[146:147], v[174:175], v[152:153]
	v_add_f64 v[1:2], v[137:138], v[1:2]
	v_add_f64 v[3:4], v[140:141], v[3:4]
	v_mov_b32_e32 v137, s76
	s_mov_b32 s76, s77
	v_add_f64 v[1:2], v[1:2], v[142:143]
	v_add_f64 v[3:4], v[3:4], v[144:145]
	s_andn2_b32 exec_lo, exec_lo, s73
	s_cbranch_execnz .LBB127_249
; %bb.250:
	s_or_b32 exec_lo, exec_lo, s73
.LBB127_251:
	s_or_b32 exec_lo, exec_lo, s5
	v_and_b32_e32 v135, 7, v135
	s_mov_b32 s73, 0
	s_mov_b32 s5, exec_lo
	v_cmpx_ne_u32_e32 0, v135
	s_cbranch_execz .LBB127_255
; %bb.252:
	v_lshlrev_b32_e32 v137, 4, v137
	v_add_nc_u32_e32 v136, 0x400, v137
	.p2align	6
.LBB127_253:                            ; =>This Inner Loop Header: Depth=1
	s_clause 0x3
	buffer_load_dword v144, v137, s[0:3], 0 offen offset:8
	buffer_load_dword v145, v137, s[0:3], 0 offen offset:12
	buffer_load_dword v146, v137, s[0:3], 0 offen
	buffer_load_dword v147, v137, s[0:3], 0 offen offset:4
	ds_read_b128 v[140:143], v136
	v_add_nc_u32_e32 v135, -1, v135
	v_add_nc_u32_e32 v136, 16, v136
	v_add_nc_u32_e32 v137, 16, v137
	v_cmp_eq_u32_e32 vcc_lo, 0, v135
	s_or_b32 s73, vcc_lo, s73
	s_waitcnt vmcnt(2) lgkmcnt(0)
	v_mul_f64 v[148:149], v[142:143], v[144:145]
	v_mul_f64 v[144:145], v[140:141], v[144:145]
	s_waitcnt vmcnt(0)
	v_fma_f64 v[140:141], v[140:141], v[146:147], -v[148:149]
	v_fma_f64 v[142:143], v[142:143], v[146:147], v[144:145]
	v_add_f64 v[1:2], v[1:2], v[140:141]
	v_add_f64 v[3:4], v[3:4], v[142:143]
	s_andn2_b32 exec_lo, exec_lo, s73
	s_cbranch_execnz .LBB127_253
; %bb.254:
	s_or_b32 exec_lo, exec_lo, s73
.LBB127_255:
	s_or_b32 exec_lo, exec_lo, s5
.LBB127_256:
	s_or_b32 exec_lo, exec_lo, s8
	v_mov_b32_e32 v135, 0
	ds_read_b128 v[135:138], v135 offset:704
	s_waitcnt lgkmcnt(0)
	v_mul_f64 v[140:141], v[3:4], v[137:138]
	v_mul_f64 v[137:138], v[1:2], v[137:138]
	v_fma_f64 v[1:2], v[1:2], v[135:136], -v[140:141]
	v_fma_f64 v[3:4], v[3:4], v[135:136], v[137:138]
	buffer_store_dword v2, off, s[0:3], 0 offset:708
	buffer_store_dword v1, off, s[0:3], 0 offset:704
	;; [unrolled: 1-line block ×4, first 2 shown]
.LBB127_257:
	s_or_b32 exec_lo, exec_lo, s6
	v_mov_b32_e32 v4, s29
	v_cmp_lt_u32_e64 s5, 43, v0
	s_clause 0x3
	buffer_load_dword v1, v4, s[0:3], 0 offen
	buffer_load_dword v2, v4, s[0:3], 0 offen offset:4
	buffer_load_dword v3, v4, s[0:3], 0 offen offset:8
	;; [unrolled: 1-line block ×3, first 2 shown]
	s_waitcnt vmcnt(0)
	ds_write_b128 v134, v[1:4]
	s_waitcnt lgkmcnt(0)
	s_waitcnt_vscnt null, 0x0
	s_barrier
	buffer_gl0_inv
	s_and_saveexec_b32 s6, s5
	s_cbranch_execz .LBB127_271
; %bb.258:
	ds_read_b128 v[1:4], v134
	s_andn2_b32 vcc_lo, exec_lo, s7
	s_cbranch_vccnz .LBB127_260
; %bb.259:
	s_clause 0x3
	buffer_load_dword v135, v133, s[0:3], 0 offen offset:8
	buffer_load_dword v136, v133, s[0:3], 0 offen offset:12
	buffer_load_dword v137, v133, s[0:3], 0 offen
	buffer_load_dword v138, v133, s[0:3], 0 offen offset:4
	s_waitcnt vmcnt(2) lgkmcnt(0)
	v_mul_f64 v[140:141], v[3:4], v[135:136]
	v_mul_f64 v[135:136], v[1:2], v[135:136]
	s_waitcnt vmcnt(0)
	v_fma_f64 v[1:2], v[1:2], v[137:138], -v[140:141]
	v_fma_f64 v[3:4], v[3:4], v[137:138], v[135:136]
.LBB127_260:
	s_and_saveexec_b32 s8, s4
	s_cbranch_execz .LBB127_270
; %bb.261:
	v_subrev_nc_u32_e32 v136, 45, v0
	v_mov_b32_e32 v137, 44
	v_subrev_nc_u32_e32 v135, 44, v0
	s_mov_b32 s4, exec_lo
	v_cmpx_lt_u32_e32 6, v136
	s_cbranch_execz .LBB127_265
; %bb.262:
	v_and_b32_e32 v136, -8, v135
	s_movk_i32 s74, 0x6c0
	s_mov_b32 s73, 0
	s_mov_b32 s75, s28
	s_mov_b32 s76, 0
.LBB127_263:                            ; =>This Inner Loop Header: Depth=1
	v_mov_b32_e32 v140, s75
	v_mov_b32_e32 v186, s74
	s_add_i32 s77, s76, 8
	s_add_i32 s76, s76, 52
	v_cmp_eq_u32_e32 vcc_lo, s77, v136
	s_clause 0x1f
	buffer_load_dword v137, v140, s[0:3], 0 offen offset:8
	buffer_load_dword v138, v140, s[0:3], 0 offen offset:12
	buffer_load_dword v148, v140, s[0:3], 0 offen
	buffer_load_dword v149, v140, s[0:3], 0 offen offset:4
	buffer_load_dword v150, v140, s[0:3], 0 offen offset:24
	;; [unrolled: 1-line block ×29, first 2 shown]
	ds_read_b128 v[140:143], v186
	ds_read_b128 v[144:147], v186 offset:16
	s_addk_i32 s74, 0x80
	s_addk_i32 s75, 0x80
	s_or_b32 s73, vcc_lo, s73
	s_waitcnt vmcnt(30) lgkmcnt(1)
	v_mul_f64 v[178:179], v[142:143], v[137:138]
	v_mul_f64 v[137:138], v[140:141], v[137:138]
	s_waitcnt vmcnt(26) lgkmcnt(0)
	v_mul_f64 v[180:181], v[146:147], v[150:151]
	v_mul_f64 v[182:183], v[144:145], v[150:151]
	v_fma_f64 v[178:179], v[140:141], v[148:149], -v[178:179]
	v_fma_f64 v[137:138], v[142:143], v[148:149], v[137:138]
	ds_read_b128 v[140:143], v186 offset:32
	ds_read_b128 v[148:151], v186 offset:48
	s_waitcnt vmcnt(24)
	v_fma_f64 v[144:145], v[144:145], v[152:153], -v[180:181]
	v_fma_f64 v[146:147], v[146:147], v[152:153], v[182:183]
	s_waitcnt vmcnt(22) lgkmcnt(1)
	v_mul_f64 v[184:185], v[142:143], v[154:155]
	v_mul_f64 v[154:155], v[140:141], v[154:155]
	v_add_f64 v[1:2], v[1:2], v[178:179]
	v_add_f64 v[3:4], v[3:4], v[137:138]
	s_waitcnt vmcnt(18) lgkmcnt(0)
	v_mul_f64 v[137:138], v[150:151], v[158:159]
	v_mul_f64 v[152:153], v[148:149], v[158:159]
	v_fma_f64 v[158:159], v[140:141], v[156:157], -v[184:185]
	v_fma_f64 v[154:155], v[142:143], v[156:157], v[154:155]
	v_add_f64 v[144:145], v[1:2], v[144:145]
	v_add_f64 v[146:147], v[3:4], v[146:147]
	ds_read_b128 v[1:4], v186 offset:64
	ds_read_b128 v[140:143], v186 offset:80
	s_waitcnt vmcnt(16)
	v_fma_f64 v[137:138], v[148:149], v[160:161], -v[137:138]
	v_fma_f64 v[148:149], v[150:151], v[160:161], v[152:153]
	s_waitcnt vmcnt(12) lgkmcnt(1)
	v_mul_f64 v[156:157], v[3:4], v[162:163]
	v_mul_f64 v[162:163], v[1:2], v[162:163]
	v_add_f64 v[144:145], v[144:145], v[158:159]
	v_add_f64 v[146:147], v[146:147], v[154:155]
	s_waitcnt vmcnt(10) lgkmcnt(0)
	v_mul_f64 v[150:151], v[142:143], v[164:165]
	v_mul_f64 v[152:153], v[140:141], v[164:165]
	s_waitcnt vmcnt(8)
	v_fma_f64 v[154:155], v[1:2], v[168:169], -v[156:157]
	v_fma_f64 v[156:157], v[3:4], v[168:169], v[162:163]
	v_add_f64 v[137:138], v[144:145], v[137:138]
	v_add_f64 v[148:149], v[146:147], v[148:149]
	ds_read_b128 v[1:4], v186 offset:96
	ds_read_b128 v[144:147], v186 offset:112
	v_fma_f64 v[140:141], v[140:141], v[166:167], -v[150:151]
	v_fma_f64 v[142:143], v[142:143], v[166:167], v[152:153]
	s_waitcnt vmcnt(4) lgkmcnt(1)
	v_mul_f64 v[158:159], v[3:4], v[170:171]
	v_mul_f64 v[160:161], v[1:2], v[170:171]
	v_add_f64 v[137:138], v[137:138], v[154:155]
	v_add_f64 v[148:149], v[148:149], v[156:157]
	s_waitcnt vmcnt(2) lgkmcnt(0)
	v_mul_f64 v[150:151], v[146:147], v[172:173]
	v_mul_f64 v[152:153], v[144:145], v[172:173]
	s_waitcnt vmcnt(0)
	v_fma_f64 v[1:2], v[1:2], v[176:177], -v[158:159]
	v_fma_f64 v[3:4], v[3:4], v[176:177], v[160:161]
	v_add_f64 v[137:138], v[137:138], v[140:141]
	v_add_f64 v[140:141], v[148:149], v[142:143]
	v_fma_f64 v[142:143], v[144:145], v[174:175], -v[150:151]
	v_fma_f64 v[144:145], v[146:147], v[174:175], v[152:153]
	v_add_f64 v[1:2], v[137:138], v[1:2]
	v_add_f64 v[3:4], v[140:141], v[3:4]
	v_mov_b32_e32 v137, s76
	s_mov_b32 s76, s77
	v_add_f64 v[1:2], v[1:2], v[142:143]
	v_add_f64 v[3:4], v[3:4], v[144:145]
	s_andn2_b32 exec_lo, exec_lo, s73
	s_cbranch_execnz .LBB127_263
; %bb.264:
	s_or_b32 exec_lo, exec_lo, s73
.LBB127_265:
	s_or_b32 exec_lo, exec_lo, s4
	v_and_b32_e32 v135, 7, v135
	s_mov_b32 s73, 0
	s_mov_b32 s4, exec_lo
	v_cmpx_ne_u32_e32 0, v135
	s_cbranch_execz .LBB127_269
; %bb.266:
	v_lshlrev_b32_e32 v137, 4, v137
	v_add_nc_u32_e32 v136, 0x400, v137
	.p2align	6
.LBB127_267:                            ; =>This Inner Loop Header: Depth=1
	s_clause 0x3
	buffer_load_dword v144, v137, s[0:3], 0 offen offset:8
	buffer_load_dword v145, v137, s[0:3], 0 offen offset:12
	buffer_load_dword v146, v137, s[0:3], 0 offen
	buffer_load_dword v147, v137, s[0:3], 0 offen offset:4
	ds_read_b128 v[140:143], v136
	v_add_nc_u32_e32 v135, -1, v135
	v_add_nc_u32_e32 v136, 16, v136
	v_add_nc_u32_e32 v137, 16, v137
	v_cmp_eq_u32_e32 vcc_lo, 0, v135
	s_or_b32 s73, vcc_lo, s73
	s_waitcnt vmcnt(2) lgkmcnt(0)
	v_mul_f64 v[148:149], v[142:143], v[144:145]
	v_mul_f64 v[144:145], v[140:141], v[144:145]
	s_waitcnt vmcnt(0)
	v_fma_f64 v[140:141], v[140:141], v[146:147], -v[148:149]
	v_fma_f64 v[142:143], v[142:143], v[146:147], v[144:145]
	v_add_f64 v[1:2], v[1:2], v[140:141]
	v_add_f64 v[3:4], v[3:4], v[142:143]
	s_andn2_b32 exec_lo, exec_lo, s73
	s_cbranch_execnz .LBB127_267
; %bb.268:
	s_or_b32 exec_lo, exec_lo, s73
.LBB127_269:
	s_or_b32 exec_lo, exec_lo, s4
.LBB127_270:
	s_or_b32 exec_lo, exec_lo, s8
	v_mov_b32_e32 v135, 0
	ds_read_b128 v[135:138], v135 offset:688
	s_waitcnt lgkmcnt(0)
	v_mul_f64 v[140:141], v[3:4], v[137:138]
	v_mul_f64 v[137:138], v[1:2], v[137:138]
	v_fma_f64 v[1:2], v[1:2], v[135:136], -v[140:141]
	v_fma_f64 v[3:4], v[3:4], v[135:136], v[137:138]
	buffer_store_dword v2, off, s[0:3], 0 offset:692
	buffer_store_dword v1, off, s[0:3], 0 offset:688
	;; [unrolled: 1-line block ×4, first 2 shown]
.LBB127_271:
	s_or_b32 exec_lo, exec_lo, s6
	v_mov_b32_e32 v4, s30
	v_cmp_lt_u32_e64 s4, 42, v0
	s_clause 0x3
	buffer_load_dword v1, v4, s[0:3], 0 offen
	buffer_load_dword v2, v4, s[0:3], 0 offen offset:4
	buffer_load_dword v3, v4, s[0:3], 0 offen offset:8
	;; [unrolled: 1-line block ×3, first 2 shown]
	s_waitcnt vmcnt(0)
	ds_write_b128 v134, v[1:4]
	s_waitcnt lgkmcnt(0)
	s_waitcnt_vscnt null, 0x0
	s_barrier
	buffer_gl0_inv
	s_and_saveexec_b32 s6, s4
	s_cbranch_execz .LBB127_285
; %bb.272:
	ds_read_b128 v[1:4], v134
	s_andn2_b32 vcc_lo, exec_lo, s7
	s_cbranch_vccnz .LBB127_274
; %bb.273:
	s_clause 0x3
	buffer_load_dword v135, v133, s[0:3], 0 offen offset:8
	buffer_load_dword v136, v133, s[0:3], 0 offen offset:12
	buffer_load_dword v137, v133, s[0:3], 0 offen
	buffer_load_dword v138, v133, s[0:3], 0 offen offset:4
	s_waitcnt vmcnt(2) lgkmcnt(0)
	v_mul_f64 v[140:141], v[3:4], v[135:136]
	v_mul_f64 v[135:136], v[1:2], v[135:136]
	s_waitcnt vmcnt(0)
	v_fma_f64 v[1:2], v[1:2], v[137:138], -v[140:141]
	v_fma_f64 v[3:4], v[3:4], v[137:138], v[135:136]
.LBB127_274:
	s_and_saveexec_b32 s8, s5
	s_cbranch_execz .LBB127_284
; %bb.275:
	v_subrev_nc_u32_e32 v136, 44, v0
	v_mov_b32_e32 v137, 43
	v_subrev_nc_u32_e32 v135, 43, v0
	s_mov_b32 s5, exec_lo
	v_cmpx_lt_u32_e32 6, v136
	s_cbranch_execz .LBB127_279
; %bb.276:
	v_and_b32_e32 v136, -8, v135
	s_movk_i32 s74, 0x6b0
	s_mov_b32 s73, 0
	s_mov_b32 s75, s29
	;; [unrolled: 1-line block ×3, first 2 shown]
.LBB127_277:                            ; =>This Inner Loop Header: Depth=1
	v_mov_b32_e32 v140, s75
	v_mov_b32_e32 v186, s74
	s_add_i32 s77, s76, 8
	s_add_i32 s76, s76, 51
	v_cmp_eq_u32_e32 vcc_lo, s77, v136
	s_clause 0x1f
	buffer_load_dword v137, v140, s[0:3], 0 offen offset:8
	buffer_load_dword v138, v140, s[0:3], 0 offen offset:12
	buffer_load_dword v148, v140, s[0:3], 0 offen
	buffer_load_dword v149, v140, s[0:3], 0 offen offset:4
	buffer_load_dword v150, v140, s[0:3], 0 offen offset:24
	;; [unrolled: 1-line block ×29, first 2 shown]
	ds_read_b128 v[140:143], v186
	ds_read_b128 v[144:147], v186 offset:16
	s_addk_i32 s74, 0x80
	s_addk_i32 s75, 0x80
	s_or_b32 s73, vcc_lo, s73
	s_waitcnt vmcnt(30) lgkmcnt(1)
	v_mul_f64 v[178:179], v[142:143], v[137:138]
	v_mul_f64 v[137:138], v[140:141], v[137:138]
	s_waitcnt vmcnt(26) lgkmcnt(0)
	v_mul_f64 v[180:181], v[146:147], v[150:151]
	v_mul_f64 v[182:183], v[144:145], v[150:151]
	v_fma_f64 v[178:179], v[140:141], v[148:149], -v[178:179]
	v_fma_f64 v[137:138], v[142:143], v[148:149], v[137:138]
	ds_read_b128 v[140:143], v186 offset:32
	ds_read_b128 v[148:151], v186 offset:48
	s_waitcnt vmcnt(24)
	v_fma_f64 v[144:145], v[144:145], v[152:153], -v[180:181]
	v_fma_f64 v[146:147], v[146:147], v[152:153], v[182:183]
	s_waitcnt vmcnt(22) lgkmcnt(1)
	v_mul_f64 v[184:185], v[142:143], v[154:155]
	v_mul_f64 v[154:155], v[140:141], v[154:155]
	v_add_f64 v[1:2], v[1:2], v[178:179]
	v_add_f64 v[3:4], v[3:4], v[137:138]
	s_waitcnt vmcnt(18) lgkmcnt(0)
	v_mul_f64 v[137:138], v[150:151], v[158:159]
	v_mul_f64 v[152:153], v[148:149], v[158:159]
	v_fma_f64 v[158:159], v[140:141], v[156:157], -v[184:185]
	v_fma_f64 v[154:155], v[142:143], v[156:157], v[154:155]
	v_add_f64 v[144:145], v[1:2], v[144:145]
	v_add_f64 v[146:147], v[3:4], v[146:147]
	ds_read_b128 v[1:4], v186 offset:64
	ds_read_b128 v[140:143], v186 offset:80
	s_waitcnt vmcnt(16)
	v_fma_f64 v[137:138], v[148:149], v[160:161], -v[137:138]
	v_fma_f64 v[148:149], v[150:151], v[160:161], v[152:153]
	s_waitcnt vmcnt(12) lgkmcnt(1)
	v_mul_f64 v[156:157], v[3:4], v[162:163]
	v_mul_f64 v[162:163], v[1:2], v[162:163]
	v_add_f64 v[144:145], v[144:145], v[158:159]
	v_add_f64 v[146:147], v[146:147], v[154:155]
	s_waitcnt vmcnt(10) lgkmcnt(0)
	v_mul_f64 v[150:151], v[142:143], v[164:165]
	v_mul_f64 v[152:153], v[140:141], v[164:165]
	s_waitcnt vmcnt(8)
	v_fma_f64 v[154:155], v[1:2], v[168:169], -v[156:157]
	v_fma_f64 v[156:157], v[3:4], v[168:169], v[162:163]
	v_add_f64 v[137:138], v[144:145], v[137:138]
	v_add_f64 v[148:149], v[146:147], v[148:149]
	ds_read_b128 v[1:4], v186 offset:96
	ds_read_b128 v[144:147], v186 offset:112
	v_fma_f64 v[140:141], v[140:141], v[166:167], -v[150:151]
	v_fma_f64 v[142:143], v[142:143], v[166:167], v[152:153]
	s_waitcnt vmcnt(4) lgkmcnt(1)
	v_mul_f64 v[158:159], v[3:4], v[170:171]
	v_mul_f64 v[160:161], v[1:2], v[170:171]
	v_add_f64 v[137:138], v[137:138], v[154:155]
	v_add_f64 v[148:149], v[148:149], v[156:157]
	s_waitcnt vmcnt(2) lgkmcnt(0)
	v_mul_f64 v[150:151], v[146:147], v[172:173]
	v_mul_f64 v[152:153], v[144:145], v[172:173]
	s_waitcnt vmcnt(0)
	v_fma_f64 v[1:2], v[1:2], v[176:177], -v[158:159]
	v_fma_f64 v[3:4], v[3:4], v[176:177], v[160:161]
	v_add_f64 v[137:138], v[137:138], v[140:141]
	v_add_f64 v[140:141], v[148:149], v[142:143]
	v_fma_f64 v[142:143], v[144:145], v[174:175], -v[150:151]
	v_fma_f64 v[144:145], v[146:147], v[174:175], v[152:153]
	v_add_f64 v[1:2], v[137:138], v[1:2]
	v_add_f64 v[3:4], v[140:141], v[3:4]
	v_mov_b32_e32 v137, s76
	s_mov_b32 s76, s77
	v_add_f64 v[1:2], v[1:2], v[142:143]
	v_add_f64 v[3:4], v[3:4], v[144:145]
	s_andn2_b32 exec_lo, exec_lo, s73
	s_cbranch_execnz .LBB127_277
; %bb.278:
	s_or_b32 exec_lo, exec_lo, s73
.LBB127_279:
	s_or_b32 exec_lo, exec_lo, s5
	v_and_b32_e32 v135, 7, v135
	s_mov_b32 s73, 0
	s_mov_b32 s5, exec_lo
	v_cmpx_ne_u32_e32 0, v135
	s_cbranch_execz .LBB127_283
; %bb.280:
	v_lshlrev_b32_e32 v137, 4, v137
	v_add_nc_u32_e32 v136, 0x400, v137
	.p2align	6
.LBB127_281:                            ; =>This Inner Loop Header: Depth=1
	s_clause 0x3
	buffer_load_dword v144, v137, s[0:3], 0 offen offset:8
	buffer_load_dword v145, v137, s[0:3], 0 offen offset:12
	buffer_load_dword v146, v137, s[0:3], 0 offen
	buffer_load_dword v147, v137, s[0:3], 0 offen offset:4
	ds_read_b128 v[140:143], v136
	v_add_nc_u32_e32 v135, -1, v135
	v_add_nc_u32_e32 v136, 16, v136
	v_add_nc_u32_e32 v137, 16, v137
	v_cmp_eq_u32_e32 vcc_lo, 0, v135
	s_or_b32 s73, vcc_lo, s73
	s_waitcnt vmcnt(2) lgkmcnt(0)
	v_mul_f64 v[148:149], v[142:143], v[144:145]
	v_mul_f64 v[144:145], v[140:141], v[144:145]
	s_waitcnt vmcnt(0)
	v_fma_f64 v[140:141], v[140:141], v[146:147], -v[148:149]
	v_fma_f64 v[142:143], v[142:143], v[146:147], v[144:145]
	v_add_f64 v[1:2], v[1:2], v[140:141]
	v_add_f64 v[3:4], v[3:4], v[142:143]
	s_andn2_b32 exec_lo, exec_lo, s73
	s_cbranch_execnz .LBB127_281
; %bb.282:
	s_or_b32 exec_lo, exec_lo, s73
.LBB127_283:
	s_or_b32 exec_lo, exec_lo, s5
.LBB127_284:
	s_or_b32 exec_lo, exec_lo, s8
	v_mov_b32_e32 v135, 0
	ds_read_b128 v[135:138], v135 offset:672
	s_waitcnt lgkmcnt(0)
	v_mul_f64 v[140:141], v[3:4], v[137:138]
	v_mul_f64 v[137:138], v[1:2], v[137:138]
	v_fma_f64 v[1:2], v[1:2], v[135:136], -v[140:141]
	v_fma_f64 v[3:4], v[3:4], v[135:136], v[137:138]
	buffer_store_dword v2, off, s[0:3], 0 offset:676
	buffer_store_dword v1, off, s[0:3], 0 offset:672
	;; [unrolled: 1-line block ×4, first 2 shown]
.LBB127_285:
	s_or_b32 exec_lo, exec_lo, s6
	v_mov_b32_e32 v4, s31
	v_cmp_lt_u32_e64 s5, 41, v0
	s_clause 0x3
	buffer_load_dword v1, v4, s[0:3], 0 offen
	buffer_load_dword v2, v4, s[0:3], 0 offen offset:4
	buffer_load_dword v3, v4, s[0:3], 0 offen offset:8
	buffer_load_dword v4, v4, s[0:3], 0 offen offset:12
	s_waitcnt vmcnt(0)
	ds_write_b128 v134, v[1:4]
	s_waitcnt lgkmcnt(0)
	s_waitcnt_vscnt null, 0x0
	s_barrier
	buffer_gl0_inv
	s_and_saveexec_b32 s6, s5
	s_cbranch_execz .LBB127_299
; %bb.286:
	ds_read_b128 v[1:4], v134
	s_andn2_b32 vcc_lo, exec_lo, s7
	s_cbranch_vccnz .LBB127_288
; %bb.287:
	s_clause 0x3
	buffer_load_dword v135, v133, s[0:3], 0 offen offset:8
	buffer_load_dword v136, v133, s[0:3], 0 offen offset:12
	buffer_load_dword v137, v133, s[0:3], 0 offen
	buffer_load_dword v138, v133, s[0:3], 0 offen offset:4
	s_waitcnt vmcnt(2) lgkmcnt(0)
	v_mul_f64 v[140:141], v[3:4], v[135:136]
	v_mul_f64 v[135:136], v[1:2], v[135:136]
	s_waitcnt vmcnt(0)
	v_fma_f64 v[1:2], v[1:2], v[137:138], -v[140:141]
	v_fma_f64 v[3:4], v[3:4], v[137:138], v[135:136]
.LBB127_288:
	s_and_saveexec_b32 s8, s4
	s_cbranch_execz .LBB127_298
; %bb.289:
	v_subrev_nc_u32_e32 v136, 43, v0
	v_mov_b32_e32 v137, 42
	v_subrev_nc_u32_e32 v135, 42, v0
	s_mov_b32 s4, exec_lo
	v_cmpx_lt_u32_e32 6, v136
	s_cbranch_execz .LBB127_293
; %bb.290:
	v_and_b32_e32 v136, -8, v135
	s_movk_i32 s74, 0x6a0
	s_mov_b32 s73, 0
	s_mov_b32 s75, s30
	;; [unrolled: 1-line block ×3, first 2 shown]
.LBB127_291:                            ; =>This Inner Loop Header: Depth=1
	v_mov_b32_e32 v140, s75
	v_mov_b32_e32 v186, s74
	s_add_i32 s77, s76, 8
	s_add_i32 s76, s76, 50
	v_cmp_eq_u32_e32 vcc_lo, s77, v136
	s_clause 0x1f
	buffer_load_dword v137, v140, s[0:3], 0 offen offset:8
	buffer_load_dword v138, v140, s[0:3], 0 offen offset:12
	buffer_load_dword v148, v140, s[0:3], 0 offen
	buffer_load_dword v149, v140, s[0:3], 0 offen offset:4
	buffer_load_dword v150, v140, s[0:3], 0 offen offset:24
	buffer_load_dword v151, v140, s[0:3], 0 offen offset:28
	buffer_load_dword v152, v140, s[0:3], 0 offen offset:16
	buffer_load_dword v153, v140, s[0:3], 0 offen offset:20
	buffer_load_dword v154, v140, s[0:3], 0 offen offset:40
	buffer_load_dword v155, v140, s[0:3], 0 offen offset:44
	buffer_load_dword v156, v140, s[0:3], 0 offen offset:32
	buffer_load_dword v157, v140, s[0:3], 0 offen offset:36
	buffer_load_dword v158, v140, s[0:3], 0 offen offset:56
	buffer_load_dword v159, v140, s[0:3], 0 offen offset:60
	buffer_load_dword v160, v140, s[0:3], 0 offen offset:48
	buffer_load_dword v161, v140, s[0:3], 0 offen offset:52
	buffer_load_dword v163, v140, s[0:3], 0 offen offset:76
	buffer_load_dword v164, v140, s[0:3], 0 offen offset:88
	buffer_load_dword v166, v140, s[0:3], 0 offen offset:80
	buffer_load_dword v162, v140, s[0:3], 0 offen offset:72
	buffer_load_dword v167, v140, s[0:3], 0 offen offset:84
	buffer_load_dword v165, v140, s[0:3], 0 offen offset:92
	buffer_load_dword v169, v140, s[0:3], 0 offen offset:68
	buffer_load_dword v168, v140, s[0:3], 0 offen offset:64
	buffer_load_dword v171, v140, s[0:3], 0 offen offset:108
	buffer_load_dword v172, v140, s[0:3], 0 offen offset:120
	buffer_load_dword v174, v140, s[0:3], 0 offen offset:112
	buffer_load_dword v170, v140, s[0:3], 0 offen offset:104
	buffer_load_dword v175, v140, s[0:3], 0 offen offset:116
	buffer_load_dword v173, v140, s[0:3], 0 offen offset:124
	buffer_load_dword v177, v140, s[0:3], 0 offen offset:100
	buffer_load_dword v176, v140, s[0:3], 0 offen offset:96
	ds_read_b128 v[140:143], v186
	ds_read_b128 v[144:147], v186 offset:16
	s_addk_i32 s74, 0x80
	s_addk_i32 s75, 0x80
	s_or_b32 s73, vcc_lo, s73
	s_waitcnt vmcnt(30) lgkmcnt(1)
	v_mul_f64 v[178:179], v[142:143], v[137:138]
	v_mul_f64 v[137:138], v[140:141], v[137:138]
	s_waitcnt vmcnt(26) lgkmcnt(0)
	v_mul_f64 v[180:181], v[146:147], v[150:151]
	v_mul_f64 v[182:183], v[144:145], v[150:151]
	v_fma_f64 v[178:179], v[140:141], v[148:149], -v[178:179]
	v_fma_f64 v[137:138], v[142:143], v[148:149], v[137:138]
	ds_read_b128 v[140:143], v186 offset:32
	ds_read_b128 v[148:151], v186 offset:48
	s_waitcnt vmcnt(24)
	v_fma_f64 v[144:145], v[144:145], v[152:153], -v[180:181]
	v_fma_f64 v[146:147], v[146:147], v[152:153], v[182:183]
	s_waitcnt vmcnt(22) lgkmcnt(1)
	v_mul_f64 v[184:185], v[142:143], v[154:155]
	v_mul_f64 v[154:155], v[140:141], v[154:155]
	v_add_f64 v[1:2], v[1:2], v[178:179]
	v_add_f64 v[3:4], v[3:4], v[137:138]
	s_waitcnt vmcnt(18) lgkmcnt(0)
	v_mul_f64 v[137:138], v[150:151], v[158:159]
	v_mul_f64 v[152:153], v[148:149], v[158:159]
	v_fma_f64 v[158:159], v[140:141], v[156:157], -v[184:185]
	v_fma_f64 v[154:155], v[142:143], v[156:157], v[154:155]
	v_add_f64 v[144:145], v[1:2], v[144:145]
	v_add_f64 v[146:147], v[3:4], v[146:147]
	ds_read_b128 v[1:4], v186 offset:64
	ds_read_b128 v[140:143], v186 offset:80
	s_waitcnt vmcnt(16)
	v_fma_f64 v[137:138], v[148:149], v[160:161], -v[137:138]
	v_fma_f64 v[148:149], v[150:151], v[160:161], v[152:153]
	s_waitcnt vmcnt(12) lgkmcnt(1)
	v_mul_f64 v[156:157], v[3:4], v[162:163]
	v_mul_f64 v[162:163], v[1:2], v[162:163]
	v_add_f64 v[144:145], v[144:145], v[158:159]
	v_add_f64 v[146:147], v[146:147], v[154:155]
	s_waitcnt vmcnt(10) lgkmcnt(0)
	v_mul_f64 v[150:151], v[142:143], v[164:165]
	v_mul_f64 v[152:153], v[140:141], v[164:165]
	s_waitcnt vmcnt(8)
	v_fma_f64 v[154:155], v[1:2], v[168:169], -v[156:157]
	v_fma_f64 v[156:157], v[3:4], v[168:169], v[162:163]
	v_add_f64 v[137:138], v[144:145], v[137:138]
	v_add_f64 v[148:149], v[146:147], v[148:149]
	ds_read_b128 v[1:4], v186 offset:96
	ds_read_b128 v[144:147], v186 offset:112
	v_fma_f64 v[140:141], v[140:141], v[166:167], -v[150:151]
	v_fma_f64 v[142:143], v[142:143], v[166:167], v[152:153]
	s_waitcnt vmcnt(4) lgkmcnt(1)
	v_mul_f64 v[158:159], v[3:4], v[170:171]
	v_mul_f64 v[160:161], v[1:2], v[170:171]
	v_add_f64 v[137:138], v[137:138], v[154:155]
	v_add_f64 v[148:149], v[148:149], v[156:157]
	s_waitcnt vmcnt(2) lgkmcnt(0)
	v_mul_f64 v[150:151], v[146:147], v[172:173]
	v_mul_f64 v[152:153], v[144:145], v[172:173]
	s_waitcnt vmcnt(0)
	v_fma_f64 v[1:2], v[1:2], v[176:177], -v[158:159]
	v_fma_f64 v[3:4], v[3:4], v[176:177], v[160:161]
	v_add_f64 v[137:138], v[137:138], v[140:141]
	v_add_f64 v[140:141], v[148:149], v[142:143]
	v_fma_f64 v[142:143], v[144:145], v[174:175], -v[150:151]
	v_fma_f64 v[144:145], v[146:147], v[174:175], v[152:153]
	v_add_f64 v[1:2], v[137:138], v[1:2]
	v_add_f64 v[3:4], v[140:141], v[3:4]
	v_mov_b32_e32 v137, s76
	s_mov_b32 s76, s77
	v_add_f64 v[1:2], v[1:2], v[142:143]
	v_add_f64 v[3:4], v[3:4], v[144:145]
	s_andn2_b32 exec_lo, exec_lo, s73
	s_cbranch_execnz .LBB127_291
; %bb.292:
	s_or_b32 exec_lo, exec_lo, s73
.LBB127_293:
	s_or_b32 exec_lo, exec_lo, s4
	v_and_b32_e32 v135, 7, v135
	s_mov_b32 s73, 0
	s_mov_b32 s4, exec_lo
	v_cmpx_ne_u32_e32 0, v135
	s_cbranch_execz .LBB127_297
; %bb.294:
	v_lshlrev_b32_e32 v137, 4, v137
	v_add_nc_u32_e32 v136, 0x400, v137
	.p2align	6
.LBB127_295:                            ; =>This Inner Loop Header: Depth=1
	s_clause 0x3
	buffer_load_dword v144, v137, s[0:3], 0 offen offset:8
	buffer_load_dword v145, v137, s[0:3], 0 offen offset:12
	buffer_load_dword v146, v137, s[0:3], 0 offen
	buffer_load_dword v147, v137, s[0:3], 0 offen offset:4
	ds_read_b128 v[140:143], v136
	v_add_nc_u32_e32 v135, -1, v135
	v_add_nc_u32_e32 v136, 16, v136
	v_add_nc_u32_e32 v137, 16, v137
	v_cmp_eq_u32_e32 vcc_lo, 0, v135
	s_or_b32 s73, vcc_lo, s73
	s_waitcnt vmcnt(2) lgkmcnt(0)
	v_mul_f64 v[148:149], v[142:143], v[144:145]
	v_mul_f64 v[144:145], v[140:141], v[144:145]
	s_waitcnt vmcnt(0)
	v_fma_f64 v[140:141], v[140:141], v[146:147], -v[148:149]
	v_fma_f64 v[142:143], v[142:143], v[146:147], v[144:145]
	v_add_f64 v[1:2], v[1:2], v[140:141]
	v_add_f64 v[3:4], v[3:4], v[142:143]
	s_andn2_b32 exec_lo, exec_lo, s73
	s_cbranch_execnz .LBB127_295
; %bb.296:
	s_or_b32 exec_lo, exec_lo, s73
.LBB127_297:
	s_or_b32 exec_lo, exec_lo, s4
.LBB127_298:
	s_or_b32 exec_lo, exec_lo, s8
	v_mov_b32_e32 v135, 0
	ds_read_b128 v[135:138], v135 offset:656
	s_waitcnt lgkmcnt(0)
	v_mul_f64 v[140:141], v[3:4], v[137:138]
	v_mul_f64 v[137:138], v[1:2], v[137:138]
	v_fma_f64 v[1:2], v[1:2], v[135:136], -v[140:141]
	v_fma_f64 v[3:4], v[3:4], v[135:136], v[137:138]
	buffer_store_dword v2, off, s[0:3], 0 offset:660
	buffer_store_dword v1, off, s[0:3], 0 offset:656
	;; [unrolled: 1-line block ×4, first 2 shown]
.LBB127_299:
	s_or_b32 exec_lo, exec_lo, s6
	v_mov_b32_e32 v4, s33
	v_cmp_lt_u32_e64 s4, 40, v0
	s_clause 0x3
	buffer_load_dword v1, v4, s[0:3], 0 offen
	buffer_load_dword v2, v4, s[0:3], 0 offen offset:4
	buffer_load_dword v3, v4, s[0:3], 0 offen offset:8
	;; [unrolled: 1-line block ×3, first 2 shown]
	s_waitcnt vmcnt(0)
	ds_write_b128 v134, v[1:4]
	s_waitcnt lgkmcnt(0)
	s_waitcnt_vscnt null, 0x0
	s_barrier
	buffer_gl0_inv
	s_and_saveexec_b32 s6, s4
	s_cbranch_execz .LBB127_313
; %bb.300:
	ds_read_b128 v[1:4], v134
	s_andn2_b32 vcc_lo, exec_lo, s7
	s_cbranch_vccnz .LBB127_302
; %bb.301:
	s_clause 0x3
	buffer_load_dword v135, v133, s[0:3], 0 offen offset:8
	buffer_load_dword v136, v133, s[0:3], 0 offen offset:12
	buffer_load_dword v137, v133, s[0:3], 0 offen
	buffer_load_dword v138, v133, s[0:3], 0 offen offset:4
	s_waitcnt vmcnt(2) lgkmcnt(0)
	v_mul_f64 v[140:141], v[3:4], v[135:136]
	v_mul_f64 v[135:136], v[1:2], v[135:136]
	s_waitcnt vmcnt(0)
	v_fma_f64 v[1:2], v[1:2], v[137:138], -v[140:141]
	v_fma_f64 v[3:4], v[3:4], v[137:138], v[135:136]
.LBB127_302:
	s_and_saveexec_b32 s8, s5
	s_cbranch_execz .LBB127_312
; %bb.303:
	v_subrev_nc_u32_e32 v136, 42, v0
	v_mov_b32_e32 v137, 41
	v_subrev_nc_u32_e32 v135, 41, v0
	s_mov_b32 s5, exec_lo
	v_cmpx_lt_u32_e32 6, v136
	s_cbranch_execz .LBB127_307
; %bb.304:
	v_and_b32_e32 v136, -8, v135
	s_movk_i32 s74, 0x690
	s_mov_b32 s73, 0
	s_mov_b32 s75, s31
	s_mov_b32 s76, 0
.LBB127_305:                            ; =>This Inner Loop Header: Depth=1
	v_mov_b32_e32 v140, s75
	v_mov_b32_e32 v186, s74
	s_add_i32 s77, s76, 8
	s_add_i32 s76, s76, 49
	v_cmp_eq_u32_e32 vcc_lo, s77, v136
	s_clause 0x1f
	buffer_load_dword v137, v140, s[0:3], 0 offen offset:8
	buffer_load_dword v138, v140, s[0:3], 0 offen offset:12
	buffer_load_dword v148, v140, s[0:3], 0 offen
	buffer_load_dword v149, v140, s[0:3], 0 offen offset:4
	buffer_load_dword v150, v140, s[0:3], 0 offen offset:24
	;; [unrolled: 1-line block ×29, first 2 shown]
	ds_read_b128 v[140:143], v186
	ds_read_b128 v[144:147], v186 offset:16
	s_addk_i32 s74, 0x80
	s_addk_i32 s75, 0x80
	s_or_b32 s73, vcc_lo, s73
	s_waitcnt vmcnt(30) lgkmcnt(1)
	v_mul_f64 v[178:179], v[142:143], v[137:138]
	v_mul_f64 v[137:138], v[140:141], v[137:138]
	s_waitcnt vmcnt(26) lgkmcnt(0)
	v_mul_f64 v[180:181], v[146:147], v[150:151]
	v_mul_f64 v[182:183], v[144:145], v[150:151]
	v_fma_f64 v[178:179], v[140:141], v[148:149], -v[178:179]
	v_fma_f64 v[137:138], v[142:143], v[148:149], v[137:138]
	ds_read_b128 v[140:143], v186 offset:32
	ds_read_b128 v[148:151], v186 offset:48
	s_waitcnt vmcnt(24)
	v_fma_f64 v[144:145], v[144:145], v[152:153], -v[180:181]
	v_fma_f64 v[146:147], v[146:147], v[152:153], v[182:183]
	s_waitcnt vmcnt(22) lgkmcnt(1)
	v_mul_f64 v[184:185], v[142:143], v[154:155]
	v_mul_f64 v[154:155], v[140:141], v[154:155]
	v_add_f64 v[1:2], v[1:2], v[178:179]
	v_add_f64 v[3:4], v[3:4], v[137:138]
	s_waitcnt vmcnt(18) lgkmcnt(0)
	v_mul_f64 v[137:138], v[150:151], v[158:159]
	v_mul_f64 v[152:153], v[148:149], v[158:159]
	v_fma_f64 v[158:159], v[140:141], v[156:157], -v[184:185]
	v_fma_f64 v[154:155], v[142:143], v[156:157], v[154:155]
	v_add_f64 v[144:145], v[1:2], v[144:145]
	v_add_f64 v[146:147], v[3:4], v[146:147]
	ds_read_b128 v[1:4], v186 offset:64
	ds_read_b128 v[140:143], v186 offset:80
	s_waitcnt vmcnt(16)
	v_fma_f64 v[137:138], v[148:149], v[160:161], -v[137:138]
	v_fma_f64 v[148:149], v[150:151], v[160:161], v[152:153]
	s_waitcnt vmcnt(12) lgkmcnt(1)
	v_mul_f64 v[156:157], v[3:4], v[162:163]
	v_mul_f64 v[162:163], v[1:2], v[162:163]
	v_add_f64 v[144:145], v[144:145], v[158:159]
	v_add_f64 v[146:147], v[146:147], v[154:155]
	s_waitcnt vmcnt(10) lgkmcnt(0)
	v_mul_f64 v[150:151], v[142:143], v[164:165]
	v_mul_f64 v[152:153], v[140:141], v[164:165]
	s_waitcnt vmcnt(8)
	v_fma_f64 v[154:155], v[1:2], v[168:169], -v[156:157]
	v_fma_f64 v[156:157], v[3:4], v[168:169], v[162:163]
	v_add_f64 v[137:138], v[144:145], v[137:138]
	v_add_f64 v[148:149], v[146:147], v[148:149]
	ds_read_b128 v[1:4], v186 offset:96
	ds_read_b128 v[144:147], v186 offset:112
	v_fma_f64 v[140:141], v[140:141], v[166:167], -v[150:151]
	v_fma_f64 v[142:143], v[142:143], v[166:167], v[152:153]
	s_waitcnt vmcnt(4) lgkmcnt(1)
	v_mul_f64 v[158:159], v[3:4], v[170:171]
	v_mul_f64 v[160:161], v[1:2], v[170:171]
	v_add_f64 v[137:138], v[137:138], v[154:155]
	v_add_f64 v[148:149], v[148:149], v[156:157]
	s_waitcnt vmcnt(2) lgkmcnt(0)
	v_mul_f64 v[150:151], v[146:147], v[172:173]
	v_mul_f64 v[152:153], v[144:145], v[172:173]
	s_waitcnt vmcnt(0)
	v_fma_f64 v[1:2], v[1:2], v[176:177], -v[158:159]
	v_fma_f64 v[3:4], v[3:4], v[176:177], v[160:161]
	v_add_f64 v[137:138], v[137:138], v[140:141]
	v_add_f64 v[140:141], v[148:149], v[142:143]
	v_fma_f64 v[142:143], v[144:145], v[174:175], -v[150:151]
	v_fma_f64 v[144:145], v[146:147], v[174:175], v[152:153]
	v_add_f64 v[1:2], v[137:138], v[1:2]
	v_add_f64 v[3:4], v[140:141], v[3:4]
	v_mov_b32_e32 v137, s76
	s_mov_b32 s76, s77
	v_add_f64 v[1:2], v[1:2], v[142:143]
	v_add_f64 v[3:4], v[3:4], v[144:145]
	s_andn2_b32 exec_lo, exec_lo, s73
	s_cbranch_execnz .LBB127_305
; %bb.306:
	s_or_b32 exec_lo, exec_lo, s73
.LBB127_307:
	s_or_b32 exec_lo, exec_lo, s5
	v_and_b32_e32 v135, 7, v135
	s_mov_b32 s73, 0
	s_mov_b32 s5, exec_lo
	v_cmpx_ne_u32_e32 0, v135
	s_cbranch_execz .LBB127_311
; %bb.308:
	v_lshlrev_b32_e32 v137, 4, v137
	v_add_nc_u32_e32 v136, 0x400, v137
	.p2align	6
.LBB127_309:                            ; =>This Inner Loop Header: Depth=1
	s_clause 0x3
	buffer_load_dword v144, v137, s[0:3], 0 offen offset:8
	buffer_load_dword v145, v137, s[0:3], 0 offen offset:12
	buffer_load_dword v146, v137, s[0:3], 0 offen
	buffer_load_dword v147, v137, s[0:3], 0 offen offset:4
	ds_read_b128 v[140:143], v136
	v_add_nc_u32_e32 v135, -1, v135
	v_add_nc_u32_e32 v136, 16, v136
	v_add_nc_u32_e32 v137, 16, v137
	v_cmp_eq_u32_e32 vcc_lo, 0, v135
	s_or_b32 s73, vcc_lo, s73
	s_waitcnt vmcnt(2) lgkmcnt(0)
	v_mul_f64 v[148:149], v[142:143], v[144:145]
	v_mul_f64 v[144:145], v[140:141], v[144:145]
	s_waitcnt vmcnt(0)
	v_fma_f64 v[140:141], v[140:141], v[146:147], -v[148:149]
	v_fma_f64 v[142:143], v[142:143], v[146:147], v[144:145]
	v_add_f64 v[1:2], v[1:2], v[140:141]
	v_add_f64 v[3:4], v[3:4], v[142:143]
	s_andn2_b32 exec_lo, exec_lo, s73
	s_cbranch_execnz .LBB127_309
; %bb.310:
	s_or_b32 exec_lo, exec_lo, s73
.LBB127_311:
	s_or_b32 exec_lo, exec_lo, s5
.LBB127_312:
	s_or_b32 exec_lo, exec_lo, s8
	v_mov_b32_e32 v135, 0
	ds_read_b128 v[135:138], v135 offset:640
	s_waitcnt lgkmcnt(0)
	v_mul_f64 v[140:141], v[3:4], v[137:138]
	v_mul_f64 v[137:138], v[1:2], v[137:138]
	v_fma_f64 v[1:2], v[1:2], v[135:136], -v[140:141]
	v_fma_f64 v[3:4], v[3:4], v[135:136], v[137:138]
	buffer_store_dword v2, off, s[0:3], 0 offset:644
	buffer_store_dword v1, off, s[0:3], 0 offset:640
	;; [unrolled: 1-line block ×4, first 2 shown]
.LBB127_313:
	s_or_b32 exec_lo, exec_lo, s6
	v_mov_b32_e32 v4, s34
	v_cmp_lt_u32_e64 s5, 39, v0
	s_clause 0x3
	buffer_load_dword v1, v4, s[0:3], 0 offen
	buffer_load_dword v2, v4, s[0:3], 0 offen offset:4
	buffer_load_dword v3, v4, s[0:3], 0 offen offset:8
	;; [unrolled: 1-line block ×3, first 2 shown]
	s_waitcnt vmcnt(0)
	ds_write_b128 v134, v[1:4]
	s_waitcnt lgkmcnt(0)
	s_waitcnt_vscnt null, 0x0
	s_barrier
	buffer_gl0_inv
	s_and_saveexec_b32 s6, s5
	s_cbranch_execz .LBB127_327
; %bb.314:
	ds_read_b128 v[1:4], v134
	s_andn2_b32 vcc_lo, exec_lo, s7
	s_cbranch_vccnz .LBB127_316
; %bb.315:
	s_clause 0x3
	buffer_load_dword v135, v133, s[0:3], 0 offen offset:8
	buffer_load_dword v136, v133, s[0:3], 0 offen offset:12
	buffer_load_dword v137, v133, s[0:3], 0 offen
	buffer_load_dword v138, v133, s[0:3], 0 offen offset:4
	s_waitcnt vmcnt(2) lgkmcnt(0)
	v_mul_f64 v[140:141], v[3:4], v[135:136]
	v_mul_f64 v[135:136], v[1:2], v[135:136]
	s_waitcnt vmcnt(0)
	v_fma_f64 v[1:2], v[1:2], v[137:138], -v[140:141]
	v_fma_f64 v[3:4], v[3:4], v[137:138], v[135:136]
.LBB127_316:
	s_and_saveexec_b32 s8, s4
	s_cbranch_execz .LBB127_326
; %bb.317:
	v_subrev_nc_u32_e32 v135, 41, v0
	v_cmp_lt_u32_e32 vcc_lo, 6, v135
	v_mov_b32_e32 v135, 40
	s_and_saveexec_b32 s4, vcc_lo
	s_cbranch_execz .LBB127_321
; %bb.318:
	v_and_b32_e32 v135, 56, v0
	s_mov_b32 s73, 40
	s_movk_i32 s75, 0x680
	s_mov_b32 s74, 0
	s_mov_b32 s76, s33
.LBB127_319:                            ; =>This Inner Loop Header: Depth=1
	v_mov_b32_e32 v138, s76
	s_add_i32 s73, s73, 8
	s_addk_i32 s76, 0x80
	v_cmp_eq_u32_e32 vcc_lo, s73, v135
	s_clause 0x1f
	buffer_load_dword v136, v138, s[0:3], 0 offen offset:8
	buffer_load_dword v137, v138, s[0:3], 0 offen offset:12
	buffer_load_dword v148, v138, s[0:3], 0 offen
	buffer_load_dword v149, v138, s[0:3], 0 offen offset:4
	buffer_load_dword v150, v138, s[0:3], 0 offen offset:24
	;; [unrolled: 1-line block ×29, first 2 shown]
	v_mov_b32_e32 v138, s75
	s_addk_i32 s75, 0x80
	s_or_b32 s74, vcc_lo, s74
	ds_read_b128 v[140:143], v138
	ds_read_b128 v[144:147], v138 offset:16
	s_waitcnt vmcnt(30) lgkmcnt(1)
	v_mul_f64 v[178:179], v[142:143], v[136:137]
	v_mul_f64 v[136:137], v[140:141], v[136:137]
	s_waitcnt vmcnt(26) lgkmcnt(0)
	v_mul_f64 v[180:181], v[146:147], v[150:151]
	v_mul_f64 v[182:183], v[144:145], v[150:151]
	v_fma_f64 v[178:179], v[140:141], v[148:149], -v[178:179]
	v_fma_f64 v[136:137], v[142:143], v[148:149], v[136:137]
	ds_read_b128 v[140:143], v138 offset:32
	ds_read_b128 v[148:151], v138 offset:48
	s_waitcnt vmcnt(24)
	v_fma_f64 v[144:145], v[144:145], v[152:153], -v[180:181]
	v_fma_f64 v[146:147], v[146:147], v[152:153], v[182:183]
	s_waitcnt vmcnt(22) lgkmcnt(1)
	v_mul_f64 v[184:185], v[142:143], v[154:155]
	v_mul_f64 v[154:155], v[140:141], v[154:155]
	v_add_f64 v[1:2], v[1:2], v[178:179]
	v_add_f64 v[3:4], v[3:4], v[136:137]
	s_waitcnt vmcnt(18) lgkmcnt(0)
	v_mul_f64 v[136:137], v[150:151], v[158:159]
	v_mul_f64 v[152:153], v[148:149], v[158:159]
	v_fma_f64 v[158:159], v[140:141], v[156:157], -v[184:185]
	v_fma_f64 v[154:155], v[142:143], v[156:157], v[154:155]
	v_add_f64 v[144:145], v[1:2], v[144:145]
	v_add_f64 v[146:147], v[3:4], v[146:147]
	ds_read_b128 v[1:4], v138 offset:64
	ds_read_b128 v[140:143], v138 offset:80
	s_waitcnt vmcnt(16)
	v_fma_f64 v[136:137], v[148:149], v[160:161], -v[136:137]
	v_fma_f64 v[148:149], v[150:151], v[160:161], v[152:153]
	s_waitcnt vmcnt(12) lgkmcnt(1)
	v_mul_f64 v[156:157], v[3:4], v[162:163]
	v_mul_f64 v[162:163], v[1:2], v[162:163]
	v_add_f64 v[144:145], v[144:145], v[158:159]
	v_add_f64 v[146:147], v[146:147], v[154:155]
	s_waitcnt vmcnt(10) lgkmcnt(0)
	v_mul_f64 v[150:151], v[142:143], v[164:165]
	v_mul_f64 v[152:153], v[140:141], v[164:165]
	s_waitcnt vmcnt(8)
	v_fma_f64 v[154:155], v[1:2], v[168:169], -v[156:157]
	v_fma_f64 v[156:157], v[3:4], v[168:169], v[162:163]
	v_add_f64 v[136:137], v[144:145], v[136:137]
	v_add_f64 v[148:149], v[146:147], v[148:149]
	ds_read_b128 v[1:4], v138 offset:96
	ds_read_b128 v[144:147], v138 offset:112
	v_fma_f64 v[140:141], v[140:141], v[166:167], -v[150:151]
	v_fma_f64 v[142:143], v[142:143], v[166:167], v[152:153]
	s_waitcnt vmcnt(4) lgkmcnt(1)
	v_mul_f64 v[158:159], v[3:4], v[170:171]
	v_mul_f64 v[160:161], v[1:2], v[170:171]
	v_add_f64 v[136:137], v[136:137], v[154:155]
	v_add_f64 v[148:149], v[148:149], v[156:157]
	s_waitcnt vmcnt(2) lgkmcnt(0)
	v_mul_f64 v[150:151], v[146:147], v[172:173]
	v_mul_f64 v[152:153], v[144:145], v[172:173]
	s_waitcnt vmcnt(0)
	v_fma_f64 v[1:2], v[1:2], v[176:177], -v[158:159]
	v_fma_f64 v[3:4], v[3:4], v[176:177], v[160:161]
	v_add_f64 v[136:137], v[136:137], v[140:141]
	v_add_f64 v[140:141], v[148:149], v[142:143]
	v_fma_f64 v[142:143], v[144:145], v[174:175], -v[150:151]
	v_fma_f64 v[144:145], v[146:147], v[174:175], v[152:153]
	v_add_f64 v[1:2], v[136:137], v[1:2]
	v_add_f64 v[3:4], v[140:141], v[3:4]
	;; [unrolled: 1-line block ×4, first 2 shown]
	s_andn2_b32 exec_lo, exec_lo, s74
	s_cbranch_execnz .LBB127_319
; %bb.320:
	s_or_b32 exec_lo, exec_lo, s74
.LBB127_321:
	s_or_b32 exec_lo, exec_lo, s4
	v_and_b32_e32 v136, 7, v0
	s_mov_b32 s73, 0
	s_mov_b32 s4, exec_lo
	v_cmpx_ne_u32_e32 0, v136
	s_cbranch_execz .LBB127_325
; %bb.322:
	v_lshlrev_b32_e32 v137, 4, v135
	v_or_b32_e32 v135, 0x400, v137
	.p2align	6
.LBB127_323:                            ; =>This Inner Loop Header: Depth=1
	s_clause 0x3
	buffer_load_dword v144, v137, s[0:3], 0 offen offset:8
	buffer_load_dword v145, v137, s[0:3], 0 offen offset:12
	buffer_load_dword v146, v137, s[0:3], 0 offen
	buffer_load_dword v147, v137, s[0:3], 0 offen offset:4
	ds_read_b128 v[140:143], v135
	v_add_nc_u32_e32 v136, -1, v136
	v_add_nc_u32_e32 v135, 16, v135
	v_add_nc_u32_e32 v137, 16, v137
	v_cmp_eq_u32_e32 vcc_lo, 0, v136
	s_or_b32 s73, vcc_lo, s73
	s_waitcnt vmcnt(2) lgkmcnt(0)
	v_mul_f64 v[148:149], v[142:143], v[144:145]
	v_mul_f64 v[144:145], v[140:141], v[144:145]
	s_waitcnt vmcnt(0)
	v_fma_f64 v[140:141], v[140:141], v[146:147], -v[148:149]
	v_fma_f64 v[142:143], v[142:143], v[146:147], v[144:145]
	v_add_f64 v[1:2], v[1:2], v[140:141]
	v_add_f64 v[3:4], v[3:4], v[142:143]
	s_andn2_b32 exec_lo, exec_lo, s73
	s_cbranch_execnz .LBB127_323
; %bb.324:
	s_or_b32 exec_lo, exec_lo, s73
.LBB127_325:
	s_or_b32 exec_lo, exec_lo, s4
.LBB127_326:
	s_or_b32 exec_lo, exec_lo, s8
	v_mov_b32_e32 v135, 0
	ds_read_b128 v[135:138], v135 offset:624
	s_waitcnt lgkmcnt(0)
	v_mul_f64 v[140:141], v[3:4], v[137:138]
	v_mul_f64 v[137:138], v[1:2], v[137:138]
	v_fma_f64 v[1:2], v[1:2], v[135:136], -v[140:141]
	v_fma_f64 v[3:4], v[3:4], v[135:136], v[137:138]
	buffer_store_dword v2, off, s[0:3], 0 offset:628
	buffer_store_dword v1, off, s[0:3], 0 offset:624
	buffer_store_dword v4, off, s[0:3], 0 offset:636
	buffer_store_dword v3, off, s[0:3], 0 offset:632
.LBB127_327:
	s_or_b32 exec_lo, exec_lo, s6
	v_mov_b32_e32 v4, s35
	v_cmp_lt_u32_e64 s4, 38, v0
	s_clause 0x3
	buffer_load_dword v1, v4, s[0:3], 0 offen
	buffer_load_dword v2, v4, s[0:3], 0 offen offset:4
	buffer_load_dword v3, v4, s[0:3], 0 offen offset:8
	;; [unrolled: 1-line block ×3, first 2 shown]
	s_waitcnt vmcnt(0)
	ds_write_b128 v134, v[1:4]
	s_waitcnt lgkmcnt(0)
	s_waitcnt_vscnt null, 0x0
	s_barrier
	buffer_gl0_inv
	s_and_saveexec_b32 s6, s4
	s_cbranch_execz .LBB127_341
; %bb.328:
	ds_read_b128 v[1:4], v134
	s_andn2_b32 vcc_lo, exec_lo, s7
	s_cbranch_vccnz .LBB127_330
; %bb.329:
	s_clause 0x3
	buffer_load_dword v135, v133, s[0:3], 0 offen offset:8
	buffer_load_dword v136, v133, s[0:3], 0 offen offset:12
	buffer_load_dword v137, v133, s[0:3], 0 offen
	buffer_load_dword v138, v133, s[0:3], 0 offen offset:4
	s_waitcnt vmcnt(2) lgkmcnt(0)
	v_mul_f64 v[140:141], v[3:4], v[135:136]
	v_mul_f64 v[135:136], v[1:2], v[135:136]
	s_waitcnt vmcnt(0)
	v_fma_f64 v[1:2], v[1:2], v[137:138], -v[140:141]
	v_fma_f64 v[3:4], v[3:4], v[137:138], v[135:136]
.LBB127_330:
	s_and_saveexec_b32 s8, s5
	s_cbranch_execz .LBB127_340
; %bb.331:
	v_subrev_nc_u32_e32 v136, 40, v0
	v_mov_b32_e32 v137, 39
	v_subrev_nc_u32_e32 v135, 39, v0
	s_mov_b32 s5, exec_lo
	v_cmpx_lt_u32_e32 6, v136
	s_cbranch_execz .LBB127_335
; %bb.332:
	v_and_b32_e32 v136, -8, v135
	s_movk_i32 s74, 0x670
	s_mov_b32 s73, 0
	s_mov_b32 s75, s34
	;; [unrolled: 1-line block ×3, first 2 shown]
.LBB127_333:                            ; =>This Inner Loop Header: Depth=1
	v_mov_b32_e32 v140, s75
	v_mov_b32_e32 v186, s74
	s_add_i32 s77, s76, 8
	s_add_i32 s76, s76, 47
	v_cmp_eq_u32_e32 vcc_lo, s77, v136
	s_clause 0x1f
	buffer_load_dword v137, v140, s[0:3], 0 offen offset:8
	buffer_load_dword v138, v140, s[0:3], 0 offen offset:12
	buffer_load_dword v148, v140, s[0:3], 0 offen
	buffer_load_dword v149, v140, s[0:3], 0 offen offset:4
	buffer_load_dword v150, v140, s[0:3], 0 offen offset:24
	;; [unrolled: 1-line block ×29, first 2 shown]
	ds_read_b128 v[140:143], v186
	ds_read_b128 v[144:147], v186 offset:16
	s_addk_i32 s74, 0x80
	s_addk_i32 s75, 0x80
	s_or_b32 s73, vcc_lo, s73
	s_waitcnt vmcnt(30) lgkmcnt(1)
	v_mul_f64 v[178:179], v[142:143], v[137:138]
	v_mul_f64 v[137:138], v[140:141], v[137:138]
	s_waitcnt vmcnt(26) lgkmcnt(0)
	v_mul_f64 v[180:181], v[146:147], v[150:151]
	v_mul_f64 v[182:183], v[144:145], v[150:151]
	v_fma_f64 v[178:179], v[140:141], v[148:149], -v[178:179]
	v_fma_f64 v[137:138], v[142:143], v[148:149], v[137:138]
	ds_read_b128 v[140:143], v186 offset:32
	ds_read_b128 v[148:151], v186 offset:48
	s_waitcnt vmcnt(24)
	v_fma_f64 v[144:145], v[144:145], v[152:153], -v[180:181]
	v_fma_f64 v[146:147], v[146:147], v[152:153], v[182:183]
	s_waitcnt vmcnt(22) lgkmcnt(1)
	v_mul_f64 v[184:185], v[142:143], v[154:155]
	v_mul_f64 v[154:155], v[140:141], v[154:155]
	v_add_f64 v[1:2], v[1:2], v[178:179]
	v_add_f64 v[3:4], v[3:4], v[137:138]
	s_waitcnt vmcnt(18) lgkmcnt(0)
	v_mul_f64 v[137:138], v[150:151], v[158:159]
	v_mul_f64 v[152:153], v[148:149], v[158:159]
	v_fma_f64 v[158:159], v[140:141], v[156:157], -v[184:185]
	v_fma_f64 v[154:155], v[142:143], v[156:157], v[154:155]
	v_add_f64 v[144:145], v[1:2], v[144:145]
	v_add_f64 v[146:147], v[3:4], v[146:147]
	ds_read_b128 v[1:4], v186 offset:64
	ds_read_b128 v[140:143], v186 offset:80
	s_waitcnt vmcnt(16)
	v_fma_f64 v[137:138], v[148:149], v[160:161], -v[137:138]
	v_fma_f64 v[148:149], v[150:151], v[160:161], v[152:153]
	s_waitcnt vmcnt(12) lgkmcnt(1)
	v_mul_f64 v[156:157], v[3:4], v[162:163]
	v_mul_f64 v[162:163], v[1:2], v[162:163]
	v_add_f64 v[144:145], v[144:145], v[158:159]
	v_add_f64 v[146:147], v[146:147], v[154:155]
	s_waitcnt vmcnt(10) lgkmcnt(0)
	v_mul_f64 v[150:151], v[142:143], v[164:165]
	v_mul_f64 v[152:153], v[140:141], v[164:165]
	s_waitcnt vmcnt(8)
	v_fma_f64 v[154:155], v[1:2], v[168:169], -v[156:157]
	v_fma_f64 v[156:157], v[3:4], v[168:169], v[162:163]
	v_add_f64 v[137:138], v[144:145], v[137:138]
	v_add_f64 v[148:149], v[146:147], v[148:149]
	ds_read_b128 v[1:4], v186 offset:96
	ds_read_b128 v[144:147], v186 offset:112
	v_fma_f64 v[140:141], v[140:141], v[166:167], -v[150:151]
	v_fma_f64 v[142:143], v[142:143], v[166:167], v[152:153]
	s_waitcnt vmcnt(4) lgkmcnt(1)
	v_mul_f64 v[158:159], v[3:4], v[170:171]
	v_mul_f64 v[160:161], v[1:2], v[170:171]
	v_add_f64 v[137:138], v[137:138], v[154:155]
	v_add_f64 v[148:149], v[148:149], v[156:157]
	s_waitcnt vmcnt(2) lgkmcnt(0)
	v_mul_f64 v[150:151], v[146:147], v[172:173]
	v_mul_f64 v[152:153], v[144:145], v[172:173]
	s_waitcnt vmcnt(0)
	v_fma_f64 v[1:2], v[1:2], v[176:177], -v[158:159]
	v_fma_f64 v[3:4], v[3:4], v[176:177], v[160:161]
	v_add_f64 v[137:138], v[137:138], v[140:141]
	v_add_f64 v[140:141], v[148:149], v[142:143]
	v_fma_f64 v[142:143], v[144:145], v[174:175], -v[150:151]
	v_fma_f64 v[144:145], v[146:147], v[174:175], v[152:153]
	v_add_f64 v[1:2], v[137:138], v[1:2]
	v_add_f64 v[3:4], v[140:141], v[3:4]
	v_mov_b32_e32 v137, s76
	s_mov_b32 s76, s77
	v_add_f64 v[1:2], v[1:2], v[142:143]
	v_add_f64 v[3:4], v[3:4], v[144:145]
	s_andn2_b32 exec_lo, exec_lo, s73
	s_cbranch_execnz .LBB127_333
; %bb.334:
	s_or_b32 exec_lo, exec_lo, s73
.LBB127_335:
	s_or_b32 exec_lo, exec_lo, s5
	v_and_b32_e32 v135, 7, v135
	s_mov_b32 s73, 0
	s_mov_b32 s5, exec_lo
	v_cmpx_ne_u32_e32 0, v135
	s_cbranch_execz .LBB127_339
; %bb.336:
	v_lshlrev_b32_e32 v137, 4, v137
	v_add_nc_u32_e32 v136, 0x400, v137
	.p2align	6
.LBB127_337:                            ; =>This Inner Loop Header: Depth=1
	s_clause 0x3
	buffer_load_dword v144, v137, s[0:3], 0 offen offset:8
	buffer_load_dword v145, v137, s[0:3], 0 offen offset:12
	buffer_load_dword v146, v137, s[0:3], 0 offen
	buffer_load_dword v147, v137, s[0:3], 0 offen offset:4
	ds_read_b128 v[140:143], v136
	v_add_nc_u32_e32 v135, -1, v135
	v_add_nc_u32_e32 v136, 16, v136
	v_add_nc_u32_e32 v137, 16, v137
	v_cmp_eq_u32_e32 vcc_lo, 0, v135
	s_or_b32 s73, vcc_lo, s73
	s_waitcnt vmcnt(2) lgkmcnt(0)
	v_mul_f64 v[148:149], v[142:143], v[144:145]
	v_mul_f64 v[144:145], v[140:141], v[144:145]
	s_waitcnt vmcnt(0)
	v_fma_f64 v[140:141], v[140:141], v[146:147], -v[148:149]
	v_fma_f64 v[142:143], v[142:143], v[146:147], v[144:145]
	v_add_f64 v[1:2], v[1:2], v[140:141]
	v_add_f64 v[3:4], v[3:4], v[142:143]
	s_andn2_b32 exec_lo, exec_lo, s73
	s_cbranch_execnz .LBB127_337
; %bb.338:
	s_or_b32 exec_lo, exec_lo, s73
.LBB127_339:
	s_or_b32 exec_lo, exec_lo, s5
.LBB127_340:
	s_or_b32 exec_lo, exec_lo, s8
	v_mov_b32_e32 v135, 0
	ds_read_b128 v[135:138], v135 offset:608
	s_waitcnt lgkmcnt(0)
	v_mul_f64 v[140:141], v[3:4], v[137:138]
	v_mul_f64 v[137:138], v[1:2], v[137:138]
	v_fma_f64 v[1:2], v[1:2], v[135:136], -v[140:141]
	v_fma_f64 v[3:4], v[3:4], v[135:136], v[137:138]
	buffer_store_dword v2, off, s[0:3], 0 offset:612
	buffer_store_dword v1, off, s[0:3], 0 offset:608
	;; [unrolled: 1-line block ×4, first 2 shown]
.LBB127_341:
	s_or_b32 exec_lo, exec_lo, s6
	v_mov_b32_e32 v4, s36
	v_cmp_lt_u32_e64 s5, 37, v0
	s_clause 0x3
	buffer_load_dword v1, v4, s[0:3], 0 offen
	buffer_load_dword v2, v4, s[0:3], 0 offen offset:4
	buffer_load_dword v3, v4, s[0:3], 0 offen offset:8
	;; [unrolled: 1-line block ×3, first 2 shown]
	s_waitcnt vmcnt(0)
	ds_write_b128 v134, v[1:4]
	s_waitcnt lgkmcnt(0)
	s_waitcnt_vscnt null, 0x0
	s_barrier
	buffer_gl0_inv
	s_and_saveexec_b32 s6, s5
	s_cbranch_execz .LBB127_355
; %bb.342:
	ds_read_b128 v[1:4], v134
	s_andn2_b32 vcc_lo, exec_lo, s7
	s_cbranch_vccnz .LBB127_344
; %bb.343:
	s_clause 0x3
	buffer_load_dword v135, v133, s[0:3], 0 offen offset:8
	buffer_load_dword v136, v133, s[0:3], 0 offen offset:12
	buffer_load_dword v137, v133, s[0:3], 0 offen
	buffer_load_dword v138, v133, s[0:3], 0 offen offset:4
	s_waitcnt vmcnt(2) lgkmcnt(0)
	v_mul_f64 v[140:141], v[3:4], v[135:136]
	v_mul_f64 v[135:136], v[1:2], v[135:136]
	s_waitcnt vmcnt(0)
	v_fma_f64 v[1:2], v[1:2], v[137:138], -v[140:141]
	v_fma_f64 v[3:4], v[3:4], v[137:138], v[135:136]
.LBB127_344:
	s_and_saveexec_b32 s8, s4
	s_cbranch_execz .LBB127_354
; %bb.345:
	v_subrev_nc_u32_e32 v136, 39, v0
	v_mov_b32_e32 v137, 38
	v_subrev_nc_u32_e32 v135, 38, v0
	s_mov_b32 s4, exec_lo
	v_cmpx_lt_u32_e32 6, v136
	s_cbranch_execz .LBB127_349
; %bb.346:
	v_and_b32_e32 v136, -8, v135
	s_movk_i32 s74, 0x660
	s_mov_b32 s73, 0
	s_mov_b32 s75, s35
	;; [unrolled: 1-line block ×3, first 2 shown]
.LBB127_347:                            ; =>This Inner Loop Header: Depth=1
	v_mov_b32_e32 v140, s75
	v_mov_b32_e32 v186, s74
	s_add_i32 s77, s76, 8
	s_add_i32 s76, s76, 46
	v_cmp_eq_u32_e32 vcc_lo, s77, v136
	s_clause 0x1f
	buffer_load_dword v137, v140, s[0:3], 0 offen offset:8
	buffer_load_dword v138, v140, s[0:3], 0 offen offset:12
	buffer_load_dword v148, v140, s[0:3], 0 offen
	buffer_load_dword v149, v140, s[0:3], 0 offen offset:4
	buffer_load_dword v150, v140, s[0:3], 0 offen offset:24
	buffer_load_dword v151, v140, s[0:3], 0 offen offset:28
	buffer_load_dword v152, v140, s[0:3], 0 offen offset:16
	buffer_load_dword v153, v140, s[0:3], 0 offen offset:20
	buffer_load_dword v154, v140, s[0:3], 0 offen offset:40
	buffer_load_dword v155, v140, s[0:3], 0 offen offset:44
	buffer_load_dword v156, v140, s[0:3], 0 offen offset:32
	buffer_load_dword v157, v140, s[0:3], 0 offen offset:36
	buffer_load_dword v158, v140, s[0:3], 0 offen offset:56
	buffer_load_dword v159, v140, s[0:3], 0 offen offset:60
	buffer_load_dword v160, v140, s[0:3], 0 offen offset:48
	buffer_load_dword v161, v140, s[0:3], 0 offen offset:52
	buffer_load_dword v163, v140, s[0:3], 0 offen offset:76
	buffer_load_dword v164, v140, s[0:3], 0 offen offset:88
	buffer_load_dword v166, v140, s[0:3], 0 offen offset:80
	buffer_load_dword v162, v140, s[0:3], 0 offen offset:72
	buffer_load_dword v167, v140, s[0:3], 0 offen offset:84
	buffer_load_dword v165, v140, s[0:3], 0 offen offset:92
	buffer_load_dword v169, v140, s[0:3], 0 offen offset:68
	buffer_load_dword v168, v140, s[0:3], 0 offen offset:64
	buffer_load_dword v171, v140, s[0:3], 0 offen offset:108
	buffer_load_dword v172, v140, s[0:3], 0 offen offset:120
	buffer_load_dword v174, v140, s[0:3], 0 offen offset:112
	buffer_load_dword v170, v140, s[0:3], 0 offen offset:104
	buffer_load_dword v175, v140, s[0:3], 0 offen offset:116
	buffer_load_dword v173, v140, s[0:3], 0 offen offset:124
	buffer_load_dword v177, v140, s[0:3], 0 offen offset:100
	buffer_load_dword v176, v140, s[0:3], 0 offen offset:96
	ds_read_b128 v[140:143], v186
	ds_read_b128 v[144:147], v186 offset:16
	s_addk_i32 s74, 0x80
	s_addk_i32 s75, 0x80
	s_or_b32 s73, vcc_lo, s73
	s_waitcnt vmcnt(30) lgkmcnt(1)
	v_mul_f64 v[178:179], v[142:143], v[137:138]
	v_mul_f64 v[137:138], v[140:141], v[137:138]
	s_waitcnt vmcnt(26) lgkmcnt(0)
	v_mul_f64 v[180:181], v[146:147], v[150:151]
	v_mul_f64 v[182:183], v[144:145], v[150:151]
	v_fma_f64 v[178:179], v[140:141], v[148:149], -v[178:179]
	v_fma_f64 v[137:138], v[142:143], v[148:149], v[137:138]
	ds_read_b128 v[140:143], v186 offset:32
	ds_read_b128 v[148:151], v186 offset:48
	s_waitcnt vmcnt(24)
	v_fma_f64 v[144:145], v[144:145], v[152:153], -v[180:181]
	v_fma_f64 v[146:147], v[146:147], v[152:153], v[182:183]
	s_waitcnt vmcnt(22) lgkmcnt(1)
	v_mul_f64 v[184:185], v[142:143], v[154:155]
	v_mul_f64 v[154:155], v[140:141], v[154:155]
	v_add_f64 v[1:2], v[1:2], v[178:179]
	v_add_f64 v[3:4], v[3:4], v[137:138]
	s_waitcnt vmcnt(18) lgkmcnt(0)
	v_mul_f64 v[137:138], v[150:151], v[158:159]
	v_mul_f64 v[152:153], v[148:149], v[158:159]
	v_fma_f64 v[158:159], v[140:141], v[156:157], -v[184:185]
	v_fma_f64 v[154:155], v[142:143], v[156:157], v[154:155]
	v_add_f64 v[144:145], v[1:2], v[144:145]
	v_add_f64 v[146:147], v[3:4], v[146:147]
	ds_read_b128 v[1:4], v186 offset:64
	ds_read_b128 v[140:143], v186 offset:80
	s_waitcnt vmcnt(16)
	v_fma_f64 v[137:138], v[148:149], v[160:161], -v[137:138]
	v_fma_f64 v[148:149], v[150:151], v[160:161], v[152:153]
	s_waitcnt vmcnt(12) lgkmcnt(1)
	v_mul_f64 v[156:157], v[3:4], v[162:163]
	v_mul_f64 v[162:163], v[1:2], v[162:163]
	v_add_f64 v[144:145], v[144:145], v[158:159]
	v_add_f64 v[146:147], v[146:147], v[154:155]
	s_waitcnt vmcnt(10) lgkmcnt(0)
	v_mul_f64 v[150:151], v[142:143], v[164:165]
	v_mul_f64 v[152:153], v[140:141], v[164:165]
	s_waitcnt vmcnt(8)
	v_fma_f64 v[154:155], v[1:2], v[168:169], -v[156:157]
	v_fma_f64 v[156:157], v[3:4], v[168:169], v[162:163]
	v_add_f64 v[137:138], v[144:145], v[137:138]
	v_add_f64 v[148:149], v[146:147], v[148:149]
	ds_read_b128 v[1:4], v186 offset:96
	ds_read_b128 v[144:147], v186 offset:112
	v_fma_f64 v[140:141], v[140:141], v[166:167], -v[150:151]
	v_fma_f64 v[142:143], v[142:143], v[166:167], v[152:153]
	s_waitcnt vmcnt(4) lgkmcnt(1)
	v_mul_f64 v[158:159], v[3:4], v[170:171]
	v_mul_f64 v[160:161], v[1:2], v[170:171]
	v_add_f64 v[137:138], v[137:138], v[154:155]
	v_add_f64 v[148:149], v[148:149], v[156:157]
	s_waitcnt vmcnt(2) lgkmcnt(0)
	v_mul_f64 v[150:151], v[146:147], v[172:173]
	v_mul_f64 v[152:153], v[144:145], v[172:173]
	s_waitcnt vmcnt(0)
	v_fma_f64 v[1:2], v[1:2], v[176:177], -v[158:159]
	v_fma_f64 v[3:4], v[3:4], v[176:177], v[160:161]
	v_add_f64 v[137:138], v[137:138], v[140:141]
	v_add_f64 v[140:141], v[148:149], v[142:143]
	v_fma_f64 v[142:143], v[144:145], v[174:175], -v[150:151]
	v_fma_f64 v[144:145], v[146:147], v[174:175], v[152:153]
	v_add_f64 v[1:2], v[137:138], v[1:2]
	v_add_f64 v[3:4], v[140:141], v[3:4]
	v_mov_b32_e32 v137, s76
	s_mov_b32 s76, s77
	v_add_f64 v[1:2], v[1:2], v[142:143]
	v_add_f64 v[3:4], v[3:4], v[144:145]
	s_andn2_b32 exec_lo, exec_lo, s73
	s_cbranch_execnz .LBB127_347
; %bb.348:
	s_or_b32 exec_lo, exec_lo, s73
.LBB127_349:
	s_or_b32 exec_lo, exec_lo, s4
	v_and_b32_e32 v135, 7, v135
	s_mov_b32 s73, 0
	s_mov_b32 s4, exec_lo
	v_cmpx_ne_u32_e32 0, v135
	s_cbranch_execz .LBB127_353
; %bb.350:
	v_lshlrev_b32_e32 v137, 4, v137
	v_add_nc_u32_e32 v136, 0x400, v137
	.p2align	6
.LBB127_351:                            ; =>This Inner Loop Header: Depth=1
	s_clause 0x3
	buffer_load_dword v144, v137, s[0:3], 0 offen offset:8
	buffer_load_dword v145, v137, s[0:3], 0 offen offset:12
	buffer_load_dword v146, v137, s[0:3], 0 offen
	buffer_load_dword v147, v137, s[0:3], 0 offen offset:4
	ds_read_b128 v[140:143], v136
	v_add_nc_u32_e32 v135, -1, v135
	v_add_nc_u32_e32 v136, 16, v136
	v_add_nc_u32_e32 v137, 16, v137
	v_cmp_eq_u32_e32 vcc_lo, 0, v135
	s_or_b32 s73, vcc_lo, s73
	s_waitcnt vmcnt(2) lgkmcnt(0)
	v_mul_f64 v[148:149], v[142:143], v[144:145]
	v_mul_f64 v[144:145], v[140:141], v[144:145]
	s_waitcnt vmcnt(0)
	v_fma_f64 v[140:141], v[140:141], v[146:147], -v[148:149]
	v_fma_f64 v[142:143], v[142:143], v[146:147], v[144:145]
	v_add_f64 v[1:2], v[1:2], v[140:141]
	v_add_f64 v[3:4], v[3:4], v[142:143]
	s_andn2_b32 exec_lo, exec_lo, s73
	s_cbranch_execnz .LBB127_351
; %bb.352:
	s_or_b32 exec_lo, exec_lo, s73
.LBB127_353:
	s_or_b32 exec_lo, exec_lo, s4
.LBB127_354:
	s_or_b32 exec_lo, exec_lo, s8
	v_mov_b32_e32 v135, 0
	ds_read_b128 v[135:138], v135 offset:592
	s_waitcnt lgkmcnt(0)
	v_mul_f64 v[140:141], v[3:4], v[137:138]
	v_mul_f64 v[137:138], v[1:2], v[137:138]
	v_fma_f64 v[1:2], v[1:2], v[135:136], -v[140:141]
	v_fma_f64 v[3:4], v[3:4], v[135:136], v[137:138]
	buffer_store_dword v2, off, s[0:3], 0 offset:596
	buffer_store_dword v1, off, s[0:3], 0 offset:592
	;; [unrolled: 1-line block ×4, first 2 shown]
.LBB127_355:
	s_or_b32 exec_lo, exec_lo, s6
	v_mov_b32_e32 v4, s37
	v_cmp_lt_u32_e64 s4, 36, v0
	s_clause 0x3
	buffer_load_dword v1, v4, s[0:3], 0 offen
	buffer_load_dword v2, v4, s[0:3], 0 offen offset:4
	buffer_load_dword v3, v4, s[0:3], 0 offen offset:8
	;; [unrolled: 1-line block ×3, first 2 shown]
	s_waitcnt vmcnt(0)
	ds_write_b128 v134, v[1:4]
	s_waitcnt lgkmcnt(0)
	s_waitcnt_vscnt null, 0x0
	s_barrier
	buffer_gl0_inv
	s_and_saveexec_b32 s6, s4
	s_cbranch_execz .LBB127_369
; %bb.356:
	ds_read_b128 v[1:4], v134
	s_andn2_b32 vcc_lo, exec_lo, s7
	s_cbranch_vccnz .LBB127_358
; %bb.357:
	s_clause 0x3
	buffer_load_dword v135, v133, s[0:3], 0 offen offset:8
	buffer_load_dword v136, v133, s[0:3], 0 offen offset:12
	buffer_load_dword v137, v133, s[0:3], 0 offen
	buffer_load_dword v138, v133, s[0:3], 0 offen offset:4
	s_waitcnt vmcnt(2) lgkmcnt(0)
	v_mul_f64 v[140:141], v[3:4], v[135:136]
	v_mul_f64 v[135:136], v[1:2], v[135:136]
	s_waitcnt vmcnt(0)
	v_fma_f64 v[1:2], v[1:2], v[137:138], -v[140:141]
	v_fma_f64 v[3:4], v[3:4], v[137:138], v[135:136]
.LBB127_358:
	s_and_saveexec_b32 s8, s5
	s_cbranch_execz .LBB127_368
; %bb.359:
	v_subrev_nc_u32_e32 v136, 38, v0
	v_mov_b32_e32 v137, 37
	v_subrev_nc_u32_e32 v135, 37, v0
	s_mov_b32 s5, exec_lo
	v_cmpx_lt_u32_e32 6, v136
	s_cbranch_execz .LBB127_363
; %bb.360:
	v_and_b32_e32 v136, -8, v135
	s_movk_i32 s74, 0x650
	s_mov_b32 s73, 0
	s_mov_b32 s75, s36
	;; [unrolled: 1-line block ×3, first 2 shown]
.LBB127_361:                            ; =>This Inner Loop Header: Depth=1
	v_mov_b32_e32 v140, s75
	v_mov_b32_e32 v186, s74
	s_add_i32 s77, s76, 8
	s_add_i32 s76, s76, 45
	v_cmp_eq_u32_e32 vcc_lo, s77, v136
	s_clause 0x1f
	buffer_load_dword v137, v140, s[0:3], 0 offen offset:8
	buffer_load_dword v138, v140, s[0:3], 0 offen offset:12
	buffer_load_dword v148, v140, s[0:3], 0 offen
	buffer_load_dword v149, v140, s[0:3], 0 offen offset:4
	buffer_load_dword v150, v140, s[0:3], 0 offen offset:24
	;; [unrolled: 1-line block ×29, first 2 shown]
	ds_read_b128 v[140:143], v186
	ds_read_b128 v[144:147], v186 offset:16
	s_addk_i32 s74, 0x80
	s_addk_i32 s75, 0x80
	s_or_b32 s73, vcc_lo, s73
	s_waitcnt vmcnt(30) lgkmcnt(1)
	v_mul_f64 v[178:179], v[142:143], v[137:138]
	v_mul_f64 v[137:138], v[140:141], v[137:138]
	s_waitcnt vmcnt(26) lgkmcnt(0)
	v_mul_f64 v[180:181], v[146:147], v[150:151]
	v_mul_f64 v[182:183], v[144:145], v[150:151]
	v_fma_f64 v[178:179], v[140:141], v[148:149], -v[178:179]
	v_fma_f64 v[137:138], v[142:143], v[148:149], v[137:138]
	ds_read_b128 v[140:143], v186 offset:32
	ds_read_b128 v[148:151], v186 offset:48
	s_waitcnt vmcnt(24)
	v_fma_f64 v[144:145], v[144:145], v[152:153], -v[180:181]
	v_fma_f64 v[146:147], v[146:147], v[152:153], v[182:183]
	s_waitcnt vmcnt(22) lgkmcnt(1)
	v_mul_f64 v[184:185], v[142:143], v[154:155]
	v_mul_f64 v[154:155], v[140:141], v[154:155]
	v_add_f64 v[1:2], v[1:2], v[178:179]
	v_add_f64 v[3:4], v[3:4], v[137:138]
	s_waitcnt vmcnt(18) lgkmcnt(0)
	v_mul_f64 v[137:138], v[150:151], v[158:159]
	v_mul_f64 v[152:153], v[148:149], v[158:159]
	v_fma_f64 v[158:159], v[140:141], v[156:157], -v[184:185]
	v_fma_f64 v[154:155], v[142:143], v[156:157], v[154:155]
	v_add_f64 v[144:145], v[1:2], v[144:145]
	v_add_f64 v[146:147], v[3:4], v[146:147]
	ds_read_b128 v[1:4], v186 offset:64
	ds_read_b128 v[140:143], v186 offset:80
	s_waitcnt vmcnt(16)
	v_fma_f64 v[137:138], v[148:149], v[160:161], -v[137:138]
	v_fma_f64 v[148:149], v[150:151], v[160:161], v[152:153]
	s_waitcnt vmcnt(12) lgkmcnt(1)
	v_mul_f64 v[156:157], v[3:4], v[162:163]
	v_mul_f64 v[162:163], v[1:2], v[162:163]
	v_add_f64 v[144:145], v[144:145], v[158:159]
	v_add_f64 v[146:147], v[146:147], v[154:155]
	s_waitcnt vmcnt(10) lgkmcnt(0)
	v_mul_f64 v[150:151], v[142:143], v[164:165]
	v_mul_f64 v[152:153], v[140:141], v[164:165]
	s_waitcnt vmcnt(8)
	v_fma_f64 v[154:155], v[1:2], v[168:169], -v[156:157]
	v_fma_f64 v[156:157], v[3:4], v[168:169], v[162:163]
	v_add_f64 v[137:138], v[144:145], v[137:138]
	v_add_f64 v[148:149], v[146:147], v[148:149]
	ds_read_b128 v[1:4], v186 offset:96
	ds_read_b128 v[144:147], v186 offset:112
	v_fma_f64 v[140:141], v[140:141], v[166:167], -v[150:151]
	v_fma_f64 v[142:143], v[142:143], v[166:167], v[152:153]
	s_waitcnt vmcnt(4) lgkmcnt(1)
	v_mul_f64 v[158:159], v[3:4], v[170:171]
	v_mul_f64 v[160:161], v[1:2], v[170:171]
	v_add_f64 v[137:138], v[137:138], v[154:155]
	v_add_f64 v[148:149], v[148:149], v[156:157]
	s_waitcnt vmcnt(2) lgkmcnt(0)
	v_mul_f64 v[150:151], v[146:147], v[172:173]
	v_mul_f64 v[152:153], v[144:145], v[172:173]
	s_waitcnt vmcnt(0)
	v_fma_f64 v[1:2], v[1:2], v[176:177], -v[158:159]
	v_fma_f64 v[3:4], v[3:4], v[176:177], v[160:161]
	v_add_f64 v[137:138], v[137:138], v[140:141]
	v_add_f64 v[140:141], v[148:149], v[142:143]
	v_fma_f64 v[142:143], v[144:145], v[174:175], -v[150:151]
	v_fma_f64 v[144:145], v[146:147], v[174:175], v[152:153]
	v_add_f64 v[1:2], v[137:138], v[1:2]
	v_add_f64 v[3:4], v[140:141], v[3:4]
	v_mov_b32_e32 v137, s76
	s_mov_b32 s76, s77
	v_add_f64 v[1:2], v[1:2], v[142:143]
	v_add_f64 v[3:4], v[3:4], v[144:145]
	s_andn2_b32 exec_lo, exec_lo, s73
	s_cbranch_execnz .LBB127_361
; %bb.362:
	s_or_b32 exec_lo, exec_lo, s73
.LBB127_363:
	s_or_b32 exec_lo, exec_lo, s5
	v_and_b32_e32 v135, 7, v135
	s_mov_b32 s73, 0
	s_mov_b32 s5, exec_lo
	v_cmpx_ne_u32_e32 0, v135
	s_cbranch_execz .LBB127_367
; %bb.364:
	v_lshlrev_b32_e32 v137, 4, v137
	v_add_nc_u32_e32 v136, 0x400, v137
	.p2align	6
.LBB127_365:                            ; =>This Inner Loop Header: Depth=1
	s_clause 0x3
	buffer_load_dword v144, v137, s[0:3], 0 offen offset:8
	buffer_load_dword v145, v137, s[0:3], 0 offen offset:12
	buffer_load_dword v146, v137, s[0:3], 0 offen
	buffer_load_dword v147, v137, s[0:3], 0 offen offset:4
	ds_read_b128 v[140:143], v136
	v_add_nc_u32_e32 v135, -1, v135
	v_add_nc_u32_e32 v136, 16, v136
	v_add_nc_u32_e32 v137, 16, v137
	v_cmp_eq_u32_e32 vcc_lo, 0, v135
	s_or_b32 s73, vcc_lo, s73
	s_waitcnt vmcnt(2) lgkmcnt(0)
	v_mul_f64 v[148:149], v[142:143], v[144:145]
	v_mul_f64 v[144:145], v[140:141], v[144:145]
	s_waitcnt vmcnt(0)
	v_fma_f64 v[140:141], v[140:141], v[146:147], -v[148:149]
	v_fma_f64 v[142:143], v[142:143], v[146:147], v[144:145]
	v_add_f64 v[1:2], v[1:2], v[140:141]
	v_add_f64 v[3:4], v[3:4], v[142:143]
	s_andn2_b32 exec_lo, exec_lo, s73
	s_cbranch_execnz .LBB127_365
; %bb.366:
	s_or_b32 exec_lo, exec_lo, s73
.LBB127_367:
	s_or_b32 exec_lo, exec_lo, s5
.LBB127_368:
	s_or_b32 exec_lo, exec_lo, s8
	v_mov_b32_e32 v135, 0
	ds_read_b128 v[135:138], v135 offset:576
	s_waitcnt lgkmcnt(0)
	v_mul_f64 v[140:141], v[3:4], v[137:138]
	v_mul_f64 v[137:138], v[1:2], v[137:138]
	v_fma_f64 v[1:2], v[1:2], v[135:136], -v[140:141]
	v_fma_f64 v[3:4], v[3:4], v[135:136], v[137:138]
	buffer_store_dword v2, off, s[0:3], 0 offset:580
	buffer_store_dword v1, off, s[0:3], 0 offset:576
	;; [unrolled: 1-line block ×4, first 2 shown]
.LBB127_369:
	s_or_b32 exec_lo, exec_lo, s6
	v_mov_b32_e32 v4, s38
	v_cmp_lt_u32_e64 s5, 35, v0
	s_clause 0x3
	buffer_load_dword v1, v4, s[0:3], 0 offen
	buffer_load_dword v2, v4, s[0:3], 0 offen offset:4
	buffer_load_dword v3, v4, s[0:3], 0 offen offset:8
	;; [unrolled: 1-line block ×3, first 2 shown]
	s_waitcnt vmcnt(0)
	ds_write_b128 v134, v[1:4]
	s_waitcnt lgkmcnt(0)
	s_waitcnt_vscnt null, 0x0
	s_barrier
	buffer_gl0_inv
	s_and_saveexec_b32 s6, s5
	s_cbranch_execz .LBB127_383
; %bb.370:
	ds_read_b128 v[1:4], v134
	s_andn2_b32 vcc_lo, exec_lo, s7
	s_cbranch_vccnz .LBB127_372
; %bb.371:
	s_clause 0x3
	buffer_load_dword v135, v133, s[0:3], 0 offen offset:8
	buffer_load_dword v136, v133, s[0:3], 0 offen offset:12
	buffer_load_dword v137, v133, s[0:3], 0 offen
	buffer_load_dword v138, v133, s[0:3], 0 offen offset:4
	s_waitcnt vmcnt(2) lgkmcnt(0)
	v_mul_f64 v[140:141], v[3:4], v[135:136]
	v_mul_f64 v[135:136], v[1:2], v[135:136]
	s_waitcnt vmcnt(0)
	v_fma_f64 v[1:2], v[1:2], v[137:138], -v[140:141]
	v_fma_f64 v[3:4], v[3:4], v[137:138], v[135:136]
.LBB127_372:
	s_and_saveexec_b32 s8, s4
	s_cbranch_execz .LBB127_382
; %bb.373:
	v_subrev_nc_u32_e32 v136, 37, v0
	v_mov_b32_e32 v137, 36
	v_subrev_nc_u32_e32 v135, 36, v0
	s_mov_b32 s4, exec_lo
	v_cmpx_lt_u32_e32 6, v136
	s_cbranch_execz .LBB127_377
; %bb.374:
	v_and_b32_e32 v136, -8, v135
	s_movk_i32 s74, 0x640
	s_mov_b32 s73, 0
	s_mov_b32 s75, s37
	;; [unrolled: 1-line block ×3, first 2 shown]
.LBB127_375:                            ; =>This Inner Loop Header: Depth=1
	v_mov_b32_e32 v140, s75
	v_mov_b32_e32 v186, s74
	s_add_i32 s77, s76, 8
	s_add_i32 s76, s76, 44
	v_cmp_eq_u32_e32 vcc_lo, s77, v136
	s_clause 0x1f
	buffer_load_dword v137, v140, s[0:3], 0 offen offset:8
	buffer_load_dword v138, v140, s[0:3], 0 offen offset:12
	buffer_load_dword v148, v140, s[0:3], 0 offen
	buffer_load_dword v149, v140, s[0:3], 0 offen offset:4
	buffer_load_dword v150, v140, s[0:3], 0 offen offset:24
	;; [unrolled: 1-line block ×29, first 2 shown]
	ds_read_b128 v[140:143], v186
	ds_read_b128 v[144:147], v186 offset:16
	s_addk_i32 s74, 0x80
	s_addk_i32 s75, 0x80
	s_or_b32 s73, vcc_lo, s73
	s_waitcnt vmcnt(30) lgkmcnt(1)
	v_mul_f64 v[178:179], v[142:143], v[137:138]
	v_mul_f64 v[137:138], v[140:141], v[137:138]
	s_waitcnt vmcnt(26) lgkmcnt(0)
	v_mul_f64 v[180:181], v[146:147], v[150:151]
	v_mul_f64 v[182:183], v[144:145], v[150:151]
	v_fma_f64 v[178:179], v[140:141], v[148:149], -v[178:179]
	v_fma_f64 v[137:138], v[142:143], v[148:149], v[137:138]
	ds_read_b128 v[140:143], v186 offset:32
	ds_read_b128 v[148:151], v186 offset:48
	s_waitcnt vmcnt(24)
	v_fma_f64 v[144:145], v[144:145], v[152:153], -v[180:181]
	v_fma_f64 v[146:147], v[146:147], v[152:153], v[182:183]
	s_waitcnt vmcnt(22) lgkmcnt(1)
	v_mul_f64 v[184:185], v[142:143], v[154:155]
	v_mul_f64 v[154:155], v[140:141], v[154:155]
	v_add_f64 v[1:2], v[1:2], v[178:179]
	v_add_f64 v[3:4], v[3:4], v[137:138]
	s_waitcnt vmcnt(18) lgkmcnt(0)
	v_mul_f64 v[137:138], v[150:151], v[158:159]
	v_mul_f64 v[152:153], v[148:149], v[158:159]
	v_fma_f64 v[158:159], v[140:141], v[156:157], -v[184:185]
	v_fma_f64 v[154:155], v[142:143], v[156:157], v[154:155]
	v_add_f64 v[144:145], v[1:2], v[144:145]
	v_add_f64 v[146:147], v[3:4], v[146:147]
	ds_read_b128 v[1:4], v186 offset:64
	ds_read_b128 v[140:143], v186 offset:80
	s_waitcnt vmcnt(16)
	v_fma_f64 v[137:138], v[148:149], v[160:161], -v[137:138]
	v_fma_f64 v[148:149], v[150:151], v[160:161], v[152:153]
	s_waitcnt vmcnt(12) lgkmcnt(1)
	v_mul_f64 v[156:157], v[3:4], v[162:163]
	v_mul_f64 v[162:163], v[1:2], v[162:163]
	v_add_f64 v[144:145], v[144:145], v[158:159]
	v_add_f64 v[146:147], v[146:147], v[154:155]
	s_waitcnt vmcnt(10) lgkmcnt(0)
	v_mul_f64 v[150:151], v[142:143], v[164:165]
	v_mul_f64 v[152:153], v[140:141], v[164:165]
	s_waitcnt vmcnt(8)
	v_fma_f64 v[154:155], v[1:2], v[168:169], -v[156:157]
	v_fma_f64 v[156:157], v[3:4], v[168:169], v[162:163]
	v_add_f64 v[137:138], v[144:145], v[137:138]
	v_add_f64 v[148:149], v[146:147], v[148:149]
	ds_read_b128 v[1:4], v186 offset:96
	ds_read_b128 v[144:147], v186 offset:112
	v_fma_f64 v[140:141], v[140:141], v[166:167], -v[150:151]
	v_fma_f64 v[142:143], v[142:143], v[166:167], v[152:153]
	s_waitcnt vmcnt(4) lgkmcnt(1)
	v_mul_f64 v[158:159], v[3:4], v[170:171]
	v_mul_f64 v[160:161], v[1:2], v[170:171]
	v_add_f64 v[137:138], v[137:138], v[154:155]
	v_add_f64 v[148:149], v[148:149], v[156:157]
	s_waitcnt vmcnt(2) lgkmcnt(0)
	v_mul_f64 v[150:151], v[146:147], v[172:173]
	v_mul_f64 v[152:153], v[144:145], v[172:173]
	s_waitcnt vmcnt(0)
	v_fma_f64 v[1:2], v[1:2], v[176:177], -v[158:159]
	v_fma_f64 v[3:4], v[3:4], v[176:177], v[160:161]
	v_add_f64 v[137:138], v[137:138], v[140:141]
	v_add_f64 v[140:141], v[148:149], v[142:143]
	v_fma_f64 v[142:143], v[144:145], v[174:175], -v[150:151]
	v_fma_f64 v[144:145], v[146:147], v[174:175], v[152:153]
	v_add_f64 v[1:2], v[137:138], v[1:2]
	v_add_f64 v[3:4], v[140:141], v[3:4]
	v_mov_b32_e32 v137, s76
	s_mov_b32 s76, s77
	v_add_f64 v[1:2], v[1:2], v[142:143]
	v_add_f64 v[3:4], v[3:4], v[144:145]
	s_andn2_b32 exec_lo, exec_lo, s73
	s_cbranch_execnz .LBB127_375
; %bb.376:
	s_or_b32 exec_lo, exec_lo, s73
.LBB127_377:
	s_or_b32 exec_lo, exec_lo, s4
	v_and_b32_e32 v135, 7, v135
	s_mov_b32 s73, 0
	s_mov_b32 s4, exec_lo
	v_cmpx_ne_u32_e32 0, v135
	s_cbranch_execz .LBB127_381
; %bb.378:
	v_lshlrev_b32_e32 v137, 4, v137
	v_add_nc_u32_e32 v136, 0x400, v137
	.p2align	6
.LBB127_379:                            ; =>This Inner Loop Header: Depth=1
	s_clause 0x3
	buffer_load_dword v144, v137, s[0:3], 0 offen offset:8
	buffer_load_dword v145, v137, s[0:3], 0 offen offset:12
	buffer_load_dword v146, v137, s[0:3], 0 offen
	buffer_load_dword v147, v137, s[0:3], 0 offen offset:4
	ds_read_b128 v[140:143], v136
	v_add_nc_u32_e32 v135, -1, v135
	v_add_nc_u32_e32 v136, 16, v136
	v_add_nc_u32_e32 v137, 16, v137
	v_cmp_eq_u32_e32 vcc_lo, 0, v135
	s_or_b32 s73, vcc_lo, s73
	s_waitcnt vmcnt(2) lgkmcnt(0)
	v_mul_f64 v[148:149], v[142:143], v[144:145]
	v_mul_f64 v[144:145], v[140:141], v[144:145]
	s_waitcnt vmcnt(0)
	v_fma_f64 v[140:141], v[140:141], v[146:147], -v[148:149]
	v_fma_f64 v[142:143], v[142:143], v[146:147], v[144:145]
	v_add_f64 v[1:2], v[1:2], v[140:141]
	v_add_f64 v[3:4], v[3:4], v[142:143]
	s_andn2_b32 exec_lo, exec_lo, s73
	s_cbranch_execnz .LBB127_379
; %bb.380:
	s_or_b32 exec_lo, exec_lo, s73
.LBB127_381:
	s_or_b32 exec_lo, exec_lo, s4
.LBB127_382:
	s_or_b32 exec_lo, exec_lo, s8
	v_mov_b32_e32 v135, 0
	ds_read_b128 v[135:138], v135 offset:560
	s_waitcnt lgkmcnt(0)
	v_mul_f64 v[140:141], v[3:4], v[137:138]
	v_mul_f64 v[137:138], v[1:2], v[137:138]
	v_fma_f64 v[1:2], v[1:2], v[135:136], -v[140:141]
	v_fma_f64 v[3:4], v[3:4], v[135:136], v[137:138]
	buffer_store_dword v2, off, s[0:3], 0 offset:564
	buffer_store_dword v1, off, s[0:3], 0 offset:560
	;; [unrolled: 1-line block ×4, first 2 shown]
.LBB127_383:
	s_or_b32 exec_lo, exec_lo, s6
	v_mov_b32_e32 v4, s39
	v_cmp_lt_u32_e64 s4, 34, v0
	s_clause 0x3
	buffer_load_dword v1, v4, s[0:3], 0 offen
	buffer_load_dword v2, v4, s[0:3], 0 offen offset:4
	buffer_load_dword v3, v4, s[0:3], 0 offen offset:8
	;; [unrolled: 1-line block ×3, first 2 shown]
	s_waitcnt vmcnt(0)
	ds_write_b128 v134, v[1:4]
	s_waitcnt lgkmcnt(0)
	s_waitcnt_vscnt null, 0x0
	s_barrier
	buffer_gl0_inv
	s_and_saveexec_b32 s6, s4
	s_cbranch_execz .LBB127_397
; %bb.384:
	ds_read_b128 v[1:4], v134
	s_andn2_b32 vcc_lo, exec_lo, s7
	s_cbranch_vccnz .LBB127_386
; %bb.385:
	s_clause 0x3
	buffer_load_dword v135, v133, s[0:3], 0 offen offset:8
	buffer_load_dword v136, v133, s[0:3], 0 offen offset:12
	buffer_load_dword v137, v133, s[0:3], 0 offen
	buffer_load_dword v138, v133, s[0:3], 0 offen offset:4
	s_waitcnt vmcnt(2) lgkmcnt(0)
	v_mul_f64 v[140:141], v[3:4], v[135:136]
	v_mul_f64 v[135:136], v[1:2], v[135:136]
	s_waitcnt vmcnt(0)
	v_fma_f64 v[1:2], v[1:2], v[137:138], -v[140:141]
	v_fma_f64 v[3:4], v[3:4], v[137:138], v[135:136]
.LBB127_386:
	s_and_saveexec_b32 s8, s5
	s_cbranch_execz .LBB127_396
; %bb.387:
	v_subrev_nc_u32_e32 v136, 36, v0
	v_mov_b32_e32 v137, 35
	v_subrev_nc_u32_e32 v135, 35, v0
	s_mov_b32 s5, exec_lo
	v_cmpx_lt_u32_e32 6, v136
	s_cbranch_execz .LBB127_391
; %bb.388:
	v_and_b32_e32 v136, -8, v135
	s_movk_i32 s74, 0x630
	s_mov_b32 s73, 0
	s_mov_b32 s75, s38
	;; [unrolled: 1-line block ×3, first 2 shown]
.LBB127_389:                            ; =>This Inner Loop Header: Depth=1
	v_mov_b32_e32 v140, s75
	v_mov_b32_e32 v186, s74
	s_add_i32 s77, s76, 8
	s_add_i32 s76, s76, 43
	v_cmp_eq_u32_e32 vcc_lo, s77, v136
	s_clause 0x1f
	buffer_load_dword v137, v140, s[0:3], 0 offen offset:8
	buffer_load_dword v138, v140, s[0:3], 0 offen offset:12
	buffer_load_dword v148, v140, s[0:3], 0 offen
	buffer_load_dword v149, v140, s[0:3], 0 offen offset:4
	buffer_load_dword v150, v140, s[0:3], 0 offen offset:24
	;; [unrolled: 1-line block ×29, first 2 shown]
	ds_read_b128 v[140:143], v186
	ds_read_b128 v[144:147], v186 offset:16
	s_addk_i32 s74, 0x80
	s_addk_i32 s75, 0x80
	s_or_b32 s73, vcc_lo, s73
	s_waitcnt vmcnt(30) lgkmcnt(1)
	v_mul_f64 v[178:179], v[142:143], v[137:138]
	v_mul_f64 v[137:138], v[140:141], v[137:138]
	s_waitcnt vmcnt(26) lgkmcnt(0)
	v_mul_f64 v[180:181], v[146:147], v[150:151]
	v_mul_f64 v[182:183], v[144:145], v[150:151]
	v_fma_f64 v[178:179], v[140:141], v[148:149], -v[178:179]
	v_fma_f64 v[137:138], v[142:143], v[148:149], v[137:138]
	ds_read_b128 v[140:143], v186 offset:32
	ds_read_b128 v[148:151], v186 offset:48
	s_waitcnt vmcnt(24)
	v_fma_f64 v[144:145], v[144:145], v[152:153], -v[180:181]
	v_fma_f64 v[146:147], v[146:147], v[152:153], v[182:183]
	s_waitcnt vmcnt(22) lgkmcnt(1)
	v_mul_f64 v[184:185], v[142:143], v[154:155]
	v_mul_f64 v[154:155], v[140:141], v[154:155]
	v_add_f64 v[1:2], v[1:2], v[178:179]
	v_add_f64 v[3:4], v[3:4], v[137:138]
	s_waitcnt vmcnt(18) lgkmcnt(0)
	v_mul_f64 v[137:138], v[150:151], v[158:159]
	v_mul_f64 v[152:153], v[148:149], v[158:159]
	v_fma_f64 v[158:159], v[140:141], v[156:157], -v[184:185]
	v_fma_f64 v[154:155], v[142:143], v[156:157], v[154:155]
	v_add_f64 v[144:145], v[1:2], v[144:145]
	v_add_f64 v[146:147], v[3:4], v[146:147]
	ds_read_b128 v[1:4], v186 offset:64
	ds_read_b128 v[140:143], v186 offset:80
	s_waitcnt vmcnt(16)
	v_fma_f64 v[137:138], v[148:149], v[160:161], -v[137:138]
	v_fma_f64 v[148:149], v[150:151], v[160:161], v[152:153]
	s_waitcnt vmcnt(12) lgkmcnt(1)
	v_mul_f64 v[156:157], v[3:4], v[162:163]
	v_mul_f64 v[162:163], v[1:2], v[162:163]
	v_add_f64 v[144:145], v[144:145], v[158:159]
	v_add_f64 v[146:147], v[146:147], v[154:155]
	s_waitcnt vmcnt(10) lgkmcnt(0)
	v_mul_f64 v[150:151], v[142:143], v[164:165]
	v_mul_f64 v[152:153], v[140:141], v[164:165]
	s_waitcnt vmcnt(8)
	v_fma_f64 v[154:155], v[1:2], v[168:169], -v[156:157]
	v_fma_f64 v[156:157], v[3:4], v[168:169], v[162:163]
	v_add_f64 v[137:138], v[144:145], v[137:138]
	v_add_f64 v[148:149], v[146:147], v[148:149]
	ds_read_b128 v[1:4], v186 offset:96
	ds_read_b128 v[144:147], v186 offset:112
	v_fma_f64 v[140:141], v[140:141], v[166:167], -v[150:151]
	v_fma_f64 v[142:143], v[142:143], v[166:167], v[152:153]
	s_waitcnt vmcnt(4) lgkmcnt(1)
	v_mul_f64 v[158:159], v[3:4], v[170:171]
	v_mul_f64 v[160:161], v[1:2], v[170:171]
	v_add_f64 v[137:138], v[137:138], v[154:155]
	v_add_f64 v[148:149], v[148:149], v[156:157]
	s_waitcnt vmcnt(2) lgkmcnt(0)
	v_mul_f64 v[150:151], v[146:147], v[172:173]
	v_mul_f64 v[152:153], v[144:145], v[172:173]
	s_waitcnt vmcnt(0)
	v_fma_f64 v[1:2], v[1:2], v[176:177], -v[158:159]
	v_fma_f64 v[3:4], v[3:4], v[176:177], v[160:161]
	v_add_f64 v[137:138], v[137:138], v[140:141]
	v_add_f64 v[140:141], v[148:149], v[142:143]
	v_fma_f64 v[142:143], v[144:145], v[174:175], -v[150:151]
	v_fma_f64 v[144:145], v[146:147], v[174:175], v[152:153]
	v_add_f64 v[1:2], v[137:138], v[1:2]
	v_add_f64 v[3:4], v[140:141], v[3:4]
	v_mov_b32_e32 v137, s76
	s_mov_b32 s76, s77
	v_add_f64 v[1:2], v[1:2], v[142:143]
	v_add_f64 v[3:4], v[3:4], v[144:145]
	s_andn2_b32 exec_lo, exec_lo, s73
	s_cbranch_execnz .LBB127_389
; %bb.390:
	s_or_b32 exec_lo, exec_lo, s73
.LBB127_391:
	s_or_b32 exec_lo, exec_lo, s5
	v_and_b32_e32 v135, 7, v135
	s_mov_b32 s73, 0
	s_mov_b32 s5, exec_lo
	v_cmpx_ne_u32_e32 0, v135
	s_cbranch_execz .LBB127_395
; %bb.392:
	v_lshlrev_b32_e32 v137, 4, v137
	v_add_nc_u32_e32 v136, 0x400, v137
	.p2align	6
.LBB127_393:                            ; =>This Inner Loop Header: Depth=1
	s_clause 0x3
	buffer_load_dword v144, v137, s[0:3], 0 offen offset:8
	buffer_load_dword v145, v137, s[0:3], 0 offen offset:12
	buffer_load_dword v146, v137, s[0:3], 0 offen
	buffer_load_dword v147, v137, s[0:3], 0 offen offset:4
	ds_read_b128 v[140:143], v136
	v_add_nc_u32_e32 v135, -1, v135
	v_add_nc_u32_e32 v136, 16, v136
	v_add_nc_u32_e32 v137, 16, v137
	v_cmp_eq_u32_e32 vcc_lo, 0, v135
	s_or_b32 s73, vcc_lo, s73
	s_waitcnt vmcnt(2) lgkmcnt(0)
	v_mul_f64 v[148:149], v[142:143], v[144:145]
	v_mul_f64 v[144:145], v[140:141], v[144:145]
	s_waitcnt vmcnt(0)
	v_fma_f64 v[140:141], v[140:141], v[146:147], -v[148:149]
	v_fma_f64 v[142:143], v[142:143], v[146:147], v[144:145]
	v_add_f64 v[1:2], v[1:2], v[140:141]
	v_add_f64 v[3:4], v[3:4], v[142:143]
	s_andn2_b32 exec_lo, exec_lo, s73
	s_cbranch_execnz .LBB127_393
; %bb.394:
	s_or_b32 exec_lo, exec_lo, s73
.LBB127_395:
	s_or_b32 exec_lo, exec_lo, s5
.LBB127_396:
	s_or_b32 exec_lo, exec_lo, s8
	v_mov_b32_e32 v135, 0
	ds_read_b128 v[135:138], v135 offset:544
	s_waitcnt lgkmcnt(0)
	v_mul_f64 v[140:141], v[3:4], v[137:138]
	v_mul_f64 v[137:138], v[1:2], v[137:138]
	v_fma_f64 v[1:2], v[1:2], v[135:136], -v[140:141]
	v_fma_f64 v[3:4], v[3:4], v[135:136], v[137:138]
	buffer_store_dword v2, off, s[0:3], 0 offset:548
	buffer_store_dword v1, off, s[0:3], 0 offset:544
	;; [unrolled: 1-line block ×4, first 2 shown]
.LBB127_397:
	s_or_b32 exec_lo, exec_lo, s6
	v_mov_b32_e32 v4, s40
	v_cmp_lt_u32_e64 s5, 33, v0
	s_clause 0x3
	buffer_load_dword v1, v4, s[0:3], 0 offen
	buffer_load_dword v2, v4, s[0:3], 0 offen offset:4
	buffer_load_dword v3, v4, s[0:3], 0 offen offset:8
	;; [unrolled: 1-line block ×3, first 2 shown]
	s_waitcnt vmcnt(0)
	ds_write_b128 v134, v[1:4]
	s_waitcnt lgkmcnt(0)
	s_waitcnt_vscnt null, 0x0
	s_barrier
	buffer_gl0_inv
	s_and_saveexec_b32 s6, s5
	s_cbranch_execz .LBB127_411
; %bb.398:
	ds_read_b128 v[1:4], v134
	s_andn2_b32 vcc_lo, exec_lo, s7
	s_cbranch_vccnz .LBB127_400
; %bb.399:
	s_clause 0x3
	buffer_load_dword v135, v133, s[0:3], 0 offen offset:8
	buffer_load_dword v136, v133, s[0:3], 0 offen offset:12
	buffer_load_dword v137, v133, s[0:3], 0 offen
	buffer_load_dword v138, v133, s[0:3], 0 offen offset:4
	s_waitcnt vmcnt(2) lgkmcnt(0)
	v_mul_f64 v[140:141], v[3:4], v[135:136]
	v_mul_f64 v[135:136], v[1:2], v[135:136]
	s_waitcnt vmcnt(0)
	v_fma_f64 v[1:2], v[1:2], v[137:138], -v[140:141]
	v_fma_f64 v[3:4], v[3:4], v[137:138], v[135:136]
.LBB127_400:
	s_and_saveexec_b32 s8, s4
	s_cbranch_execz .LBB127_410
; %bb.401:
	v_subrev_nc_u32_e32 v136, 35, v0
	v_mov_b32_e32 v137, 34
	v_subrev_nc_u32_e32 v135, 34, v0
	s_mov_b32 s4, exec_lo
	v_cmpx_lt_u32_e32 6, v136
	s_cbranch_execz .LBB127_405
; %bb.402:
	v_and_b32_e32 v136, -8, v135
	s_movk_i32 s74, 0x620
	s_mov_b32 s73, 0
	s_mov_b32 s75, s39
	;; [unrolled: 1-line block ×3, first 2 shown]
.LBB127_403:                            ; =>This Inner Loop Header: Depth=1
	v_mov_b32_e32 v140, s75
	v_mov_b32_e32 v186, s74
	s_add_i32 s77, s76, 8
	s_add_i32 s76, s76, 42
	v_cmp_eq_u32_e32 vcc_lo, s77, v136
	s_clause 0x1f
	buffer_load_dword v137, v140, s[0:3], 0 offen offset:8
	buffer_load_dword v138, v140, s[0:3], 0 offen offset:12
	buffer_load_dword v148, v140, s[0:3], 0 offen
	buffer_load_dword v149, v140, s[0:3], 0 offen offset:4
	buffer_load_dword v150, v140, s[0:3], 0 offen offset:24
	;; [unrolled: 1-line block ×29, first 2 shown]
	ds_read_b128 v[140:143], v186
	ds_read_b128 v[144:147], v186 offset:16
	s_addk_i32 s74, 0x80
	s_addk_i32 s75, 0x80
	s_or_b32 s73, vcc_lo, s73
	s_waitcnt vmcnt(30) lgkmcnt(1)
	v_mul_f64 v[178:179], v[142:143], v[137:138]
	v_mul_f64 v[137:138], v[140:141], v[137:138]
	s_waitcnt vmcnt(26) lgkmcnt(0)
	v_mul_f64 v[180:181], v[146:147], v[150:151]
	v_mul_f64 v[182:183], v[144:145], v[150:151]
	v_fma_f64 v[178:179], v[140:141], v[148:149], -v[178:179]
	v_fma_f64 v[137:138], v[142:143], v[148:149], v[137:138]
	ds_read_b128 v[140:143], v186 offset:32
	ds_read_b128 v[148:151], v186 offset:48
	s_waitcnt vmcnt(24)
	v_fma_f64 v[144:145], v[144:145], v[152:153], -v[180:181]
	v_fma_f64 v[146:147], v[146:147], v[152:153], v[182:183]
	s_waitcnt vmcnt(22) lgkmcnt(1)
	v_mul_f64 v[184:185], v[142:143], v[154:155]
	v_mul_f64 v[154:155], v[140:141], v[154:155]
	v_add_f64 v[1:2], v[1:2], v[178:179]
	v_add_f64 v[3:4], v[3:4], v[137:138]
	s_waitcnt vmcnt(18) lgkmcnt(0)
	v_mul_f64 v[137:138], v[150:151], v[158:159]
	v_mul_f64 v[152:153], v[148:149], v[158:159]
	v_fma_f64 v[158:159], v[140:141], v[156:157], -v[184:185]
	v_fma_f64 v[154:155], v[142:143], v[156:157], v[154:155]
	v_add_f64 v[144:145], v[1:2], v[144:145]
	v_add_f64 v[146:147], v[3:4], v[146:147]
	ds_read_b128 v[1:4], v186 offset:64
	ds_read_b128 v[140:143], v186 offset:80
	s_waitcnt vmcnt(16)
	v_fma_f64 v[137:138], v[148:149], v[160:161], -v[137:138]
	v_fma_f64 v[148:149], v[150:151], v[160:161], v[152:153]
	s_waitcnt vmcnt(12) lgkmcnt(1)
	v_mul_f64 v[156:157], v[3:4], v[162:163]
	v_mul_f64 v[162:163], v[1:2], v[162:163]
	v_add_f64 v[144:145], v[144:145], v[158:159]
	v_add_f64 v[146:147], v[146:147], v[154:155]
	s_waitcnt vmcnt(10) lgkmcnt(0)
	v_mul_f64 v[150:151], v[142:143], v[164:165]
	v_mul_f64 v[152:153], v[140:141], v[164:165]
	s_waitcnt vmcnt(8)
	v_fma_f64 v[154:155], v[1:2], v[168:169], -v[156:157]
	v_fma_f64 v[156:157], v[3:4], v[168:169], v[162:163]
	v_add_f64 v[137:138], v[144:145], v[137:138]
	v_add_f64 v[148:149], v[146:147], v[148:149]
	ds_read_b128 v[1:4], v186 offset:96
	ds_read_b128 v[144:147], v186 offset:112
	v_fma_f64 v[140:141], v[140:141], v[166:167], -v[150:151]
	v_fma_f64 v[142:143], v[142:143], v[166:167], v[152:153]
	s_waitcnt vmcnt(4) lgkmcnt(1)
	v_mul_f64 v[158:159], v[3:4], v[170:171]
	v_mul_f64 v[160:161], v[1:2], v[170:171]
	v_add_f64 v[137:138], v[137:138], v[154:155]
	v_add_f64 v[148:149], v[148:149], v[156:157]
	s_waitcnt vmcnt(2) lgkmcnt(0)
	v_mul_f64 v[150:151], v[146:147], v[172:173]
	v_mul_f64 v[152:153], v[144:145], v[172:173]
	s_waitcnt vmcnt(0)
	v_fma_f64 v[1:2], v[1:2], v[176:177], -v[158:159]
	v_fma_f64 v[3:4], v[3:4], v[176:177], v[160:161]
	v_add_f64 v[137:138], v[137:138], v[140:141]
	v_add_f64 v[140:141], v[148:149], v[142:143]
	v_fma_f64 v[142:143], v[144:145], v[174:175], -v[150:151]
	v_fma_f64 v[144:145], v[146:147], v[174:175], v[152:153]
	v_add_f64 v[1:2], v[137:138], v[1:2]
	v_add_f64 v[3:4], v[140:141], v[3:4]
	v_mov_b32_e32 v137, s76
	s_mov_b32 s76, s77
	v_add_f64 v[1:2], v[1:2], v[142:143]
	v_add_f64 v[3:4], v[3:4], v[144:145]
	s_andn2_b32 exec_lo, exec_lo, s73
	s_cbranch_execnz .LBB127_403
; %bb.404:
	s_or_b32 exec_lo, exec_lo, s73
.LBB127_405:
	s_or_b32 exec_lo, exec_lo, s4
	v_and_b32_e32 v135, 7, v135
	s_mov_b32 s73, 0
	s_mov_b32 s4, exec_lo
	v_cmpx_ne_u32_e32 0, v135
	s_cbranch_execz .LBB127_409
; %bb.406:
	v_lshlrev_b32_e32 v137, 4, v137
	v_add_nc_u32_e32 v136, 0x400, v137
	.p2align	6
.LBB127_407:                            ; =>This Inner Loop Header: Depth=1
	s_clause 0x3
	buffer_load_dword v144, v137, s[0:3], 0 offen offset:8
	buffer_load_dword v145, v137, s[0:3], 0 offen offset:12
	buffer_load_dword v146, v137, s[0:3], 0 offen
	buffer_load_dword v147, v137, s[0:3], 0 offen offset:4
	ds_read_b128 v[140:143], v136
	v_add_nc_u32_e32 v135, -1, v135
	v_add_nc_u32_e32 v136, 16, v136
	v_add_nc_u32_e32 v137, 16, v137
	v_cmp_eq_u32_e32 vcc_lo, 0, v135
	s_or_b32 s73, vcc_lo, s73
	s_waitcnt vmcnt(2) lgkmcnt(0)
	v_mul_f64 v[148:149], v[142:143], v[144:145]
	v_mul_f64 v[144:145], v[140:141], v[144:145]
	s_waitcnt vmcnt(0)
	v_fma_f64 v[140:141], v[140:141], v[146:147], -v[148:149]
	v_fma_f64 v[142:143], v[142:143], v[146:147], v[144:145]
	v_add_f64 v[1:2], v[1:2], v[140:141]
	v_add_f64 v[3:4], v[3:4], v[142:143]
	s_andn2_b32 exec_lo, exec_lo, s73
	s_cbranch_execnz .LBB127_407
; %bb.408:
	s_or_b32 exec_lo, exec_lo, s73
.LBB127_409:
	s_or_b32 exec_lo, exec_lo, s4
.LBB127_410:
	s_or_b32 exec_lo, exec_lo, s8
	v_mov_b32_e32 v135, 0
	ds_read_b128 v[135:138], v135 offset:528
	s_waitcnt lgkmcnt(0)
	v_mul_f64 v[140:141], v[3:4], v[137:138]
	v_mul_f64 v[137:138], v[1:2], v[137:138]
	v_fma_f64 v[1:2], v[1:2], v[135:136], -v[140:141]
	v_fma_f64 v[3:4], v[3:4], v[135:136], v[137:138]
	buffer_store_dword v2, off, s[0:3], 0 offset:532
	buffer_store_dword v1, off, s[0:3], 0 offset:528
	;; [unrolled: 1-line block ×4, first 2 shown]
.LBB127_411:
	s_or_b32 exec_lo, exec_lo, s6
	v_mov_b32_e32 v4, s41
	v_cmp_lt_u32_e64 s4, 32, v0
	s_clause 0x3
	buffer_load_dword v1, v4, s[0:3], 0 offen
	buffer_load_dword v2, v4, s[0:3], 0 offen offset:4
	buffer_load_dword v3, v4, s[0:3], 0 offen offset:8
	;; [unrolled: 1-line block ×3, first 2 shown]
	s_waitcnt vmcnt(0)
	ds_write_b128 v134, v[1:4]
	s_waitcnt lgkmcnt(0)
	s_waitcnt_vscnt null, 0x0
	s_barrier
	buffer_gl0_inv
	s_and_saveexec_b32 s6, s4
	s_cbranch_execz .LBB127_425
; %bb.412:
	ds_read_b128 v[1:4], v134
	s_andn2_b32 vcc_lo, exec_lo, s7
	s_cbranch_vccnz .LBB127_414
; %bb.413:
	s_clause 0x3
	buffer_load_dword v135, v133, s[0:3], 0 offen offset:8
	buffer_load_dword v136, v133, s[0:3], 0 offen offset:12
	buffer_load_dword v137, v133, s[0:3], 0 offen
	buffer_load_dword v138, v133, s[0:3], 0 offen offset:4
	s_waitcnt vmcnt(2) lgkmcnt(0)
	v_mul_f64 v[140:141], v[3:4], v[135:136]
	v_mul_f64 v[135:136], v[1:2], v[135:136]
	s_waitcnt vmcnt(0)
	v_fma_f64 v[1:2], v[1:2], v[137:138], -v[140:141]
	v_fma_f64 v[3:4], v[3:4], v[137:138], v[135:136]
.LBB127_414:
	s_and_saveexec_b32 s8, s5
	s_cbranch_execz .LBB127_424
; %bb.415:
	v_subrev_nc_u32_e32 v136, 34, v0
	v_mov_b32_e32 v137, 33
	v_subrev_nc_u32_e32 v135, 33, v0
	s_mov_b32 s5, exec_lo
	v_cmpx_lt_u32_e32 6, v136
	s_cbranch_execz .LBB127_419
; %bb.416:
	v_and_b32_e32 v136, -8, v135
	s_movk_i32 s74, 0x610
	s_mov_b32 s73, 0
	s_mov_b32 s75, s40
	s_mov_b32 s76, 0
.LBB127_417:                            ; =>This Inner Loop Header: Depth=1
	v_mov_b32_e32 v140, s75
	v_mov_b32_e32 v186, s74
	s_add_i32 s77, s76, 8
	s_add_i32 s76, s76, 41
	v_cmp_eq_u32_e32 vcc_lo, s77, v136
	s_clause 0x1f
	buffer_load_dword v137, v140, s[0:3], 0 offen offset:8
	buffer_load_dword v138, v140, s[0:3], 0 offen offset:12
	buffer_load_dword v148, v140, s[0:3], 0 offen
	buffer_load_dword v149, v140, s[0:3], 0 offen offset:4
	buffer_load_dword v150, v140, s[0:3], 0 offen offset:24
	;; [unrolled: 1-line block ×29, first 2 shown]
	ds_read_b128 v[140:143], v186
	ds_read_b128 v[144:147], v186 offset:16
	s_addk_i32 s74, 0x80
	s_addk_i32 s75, 0x80
	s_or_b32 s73, vcc_lo, s73
	s_waitcnt vmcnt(30) lgkmcnt(1)
	v_mul_f64 v[178:179], v[142:143], v[137:138]
	v_mul_f64 v[137:138], v[140:141], v[137:138]
	s_waitcnt vmcnt(26) lgkmcnt(0)
	v_mul_f64 v[180:181], v[146:147], v[150:151]
	v_mul_f64 v[182:183], v[144:145], v[150:151]
	v_fma_f64 v[178:179], v[140:141], v[148:149], -v[178:179]
	v_fma_f64 v[137:138], v[142:143], v[148:149], v[137:138]
	ds_read_b128 v[140:143], v186 offset:32
	ds_read_b128 v[148:151], v186 offset:48
	s_waitcnt vmcnt(24)
	v_fma_f64 v[144:145], v[144:145], v[152:153], -v[180:181]
	v_fma_f64 v[146:147], v[146:147], v[152:153], v[182:183]
	s_waitcnt vmcnt(22) lgkmcnt(1)
	v_mul_f64 v[184:185], v[142:143], v[154:155]
	v_mul_f64 v[154:155], v[140:141], v[154:155]
	v_add_f64 v[1:2], v[1:2], v[178:179]
	v_add_f64 v[3:4], v[3:4], v[137:138]
	s_waitcnt vmcnt(18) lgkmcnt(0)
	v_mul_f64 v[137:138], v[150:151], v[158:159]
	v_mul_f64 v[152:153], v[148:149], v[158:159]
	v_fma_f64 v[158:159], v[140:141], v[156:157], -v[184:185]
	v_fma_f64 v[154:155], v[142:143], v[156:157], v[154:155]
	v_add_f64 v[144:145], v[1:2], v[144:145]
	v_add_f64 v[146:147], v[3:4], v[146:147]
	ds_read_b128 v[1:4], v186 offset:64
	ds_read_b128 v[140:143], v186 offset:80
	s_waitcnt vmcnt(16)
	v_fma_f64 v[137:138], v[148:149], v[160:161], -v[137:138]
	v_fma_f64 v[148:149], v[150:151], v[160:161], v[152:153]
	s_waitcnt vmcnt(12) lgkmcnt(1)
	v_mul_f64 v[156:157], v[3:4], v[162:163]
	v_mul_f64 v[162:163], v[1:2], v[162:163]
	v_add_f64 v[144:145], v[144:145], v[158:159]
	v_add_f64 v[146:147], v[146:147], v[154:155]
	s_waitcnt vmcnt(10) lgkmcnt(0)
	v_mul_f64 v[150:151], v[142:143], v[164:165]
	v_mul_f64 v[152:153], v[140:141], v[164:165]
	s_waitcnt vmcnt(8)
	v_fma_f64 v[154:155], v[1:2], v[168:169], -v[156:157]
	v_fma_f64 v[156:157], v[3:4], v[168:169], v[162:163]
	v_add_f64 v[137:138], v[144:145], v[137:138]
	v_add_f64 v[148:149], v[146:147], v[148:149]
	ds_read_b128 v[1:4], v186 offset:96
	ds_read_b128 v[144:147], v186 offset:112
	v_fma_f64 v[140:141], v[140:141], v[166:167], -v[150:151]
	v_fma_f64 v[142:143], v[142:143], v[166:167], v[152:153]
	s_waitcnt vmcnt(4) lgkmcnt(1)
	v_mul_f64 v[158:159], v[3:4], v[170:171]
	v_mul_f64 v[160:161], v[1:2], v[170:171]
	v_add_f64 v[137:138], v[137:138], v[154:155]
	v_add_f64 v[148:149], v[148:149], v[156:157]
	s_waitcnt vmcnt(2) lgkmcnt(0)
	v_mul_f64 v[150:151], v[146:147], v[172:173]
	v_mul_f64 v[152:153], v[144:145], v[172:173]
	s_waitcnt vmcnt(0)
	v_fma_f64 v[1:2], v[1:2], v[176:177], -v[158:159]
	v_fma_f64 v[3:4], v[3:4], v[176:177], v[160:161]
	v_add_f64 v[137:138], v[137:138], v[140:141]
	v_add_f64 v[140:141], v[148:149], v[142:143]
	v_fma_f64 v[142:143], v[144:145], v[174:175], -v[150:151]
	v_fma_f64 v[144:145], v[146:147], v[174:175], v[152:153]
	v_add_f64 v[1:2], v[137:138], v[1:2]
	v_add_f64 v[3:4], v[140:141], v[3:4]
	v_mov_b32_e32 v137, s76
	s_mov_b32 s76, s77
	v_add_f64 v[1:2], v[1:2], v[142:143]
	v_add_f64 v[3:4], v[3:4], v[144:145]
	s_andn2_b32 exec_lo, exec_lo, s73
	s_cbranch_execnz .LBB127_417
; %bb.418:
	s_or_b32 exec_lo, exec_lo, s73
.LBB127_419:
	s_or_b32 exec_lo, exec_lo, s5
	v_and_b32_e32 v135, 7, v135
	s_mov_b32 s73, 0
	s_mov_b32 s5, exec_lo
	v_cmpx_ne_u32_e32 0, v135
	s_cbranch_execz .LBB127_423
; %bb.420:
	v_lshlrev_b32_e32 v137, 4, v137
	v_add_nc_u32_e32 v136, 0x400, v137
	.p2align	6
.LBB127_421:                            ; =>This Inner Loop Header: Depth=1
	s_clause 0x3
	buffer_load_dword v144, v137, s[0:3], 0 offen offset:8
	buffer_load_dword v145, v137, s[0:3], 0 offen offset:12
	buffer_load_dword v146, v137, s[0:3], 0 offen
	buffer_load_dword v147, v137, s[0:3], 0 offen offset:4
	ds_read_b128 v[140:143], v136
	v_add_nc_u32_e32 v135, -1, v135
	v_add_nc_u32_e32 v136, 16, v136
	v_add_nc_u32_e32 v137, 16, v137
	v_cmp_eq_u32_e32 vcc_lo, 0, v135
	s_or_b32 s73, vcc_lo, s73
	s_waitcnt vmcnt(2) lgkmcnt(0)
	v_mul_f64 v[148:149], v[142:143], v[144:145]
	v_mul_f64 v[144:145], v[140:141], v[144:145]
	s_waitcnt vmcnt(0)
	v_fma_f64 v[140:141], v[140:141], v[146:147], -v[148:149]
	v_fma_f64 v[142:143], v[142:143], v[146:147], v[144:145]
	v_add_f64 v[1:2], v[1:2], v[140:141]
	v_add_f64 v[3:4], v[3:4], v[142:143]
	s_andn2_b32 exec_lo, exec_lo, s73
	s_cbranch_execnz .LBB127_421
; %bb.422:
	s_or_b32 exec_lo, exec_lo, s73
.LBB127_423:
	s_or_b32 exec_lo, exec_lo, s5
.LBB127_424:
	s_or_b32 exec_lo, exec_lo, s8
	v_mov_b32_e32 v135, 0
	ds_read_b128 v[135:138], v135 offset:512
	s_waitcnt lgkmcnt(0)
	v_mul_f64 v[140:141], v[3:4], v[137:138]
	v_mul_f64 v[137:138], v[1:2], v[137:138]
	v_fma_f64 v[1:2], v[1:2], v[135:136], -v[140:141]
	v_fma_f64 v[3:4], v[3:4], v[135:136], v[137:138]
	buffer_store_dword v2, off, s[0:3], 0 offset:516
	buffer_store_dword v1, off, s[0:3], 0 offset:512
	;; [unrolled: 1-line block ×4, first 2 shown]
.LBB127_425:
	s_or_b32 exec_lo, exec_lo, s6
	v_mov_b32_e32 v4, s42
	v_cmp_lt_u32_e64 s5, 31, v0
	s_clause 0x3
	buffer_load_dword v1, v4, s[0:3], 0 offen
	buffer_load_dword v2, v4, s[0:3], 0 offen offset:4
	buffer_load_dword v3, v4, s[0:3], 0 offen offset:8
	;; [unrolled: 1-line block ×3, first 2 shown]
	s_waitcnt vmcnt(0)
	ds_write_b128 v134, v[1:4]
	s_waitcnt lgkmcnt(0)
	s_waitcnt_vscnt null, 0x0
	s_barrier
	buffer_gl0_inv
	s_and_saveexec_b32 s6, s5
	s_cbranch_execz .LBB127_439
; %bb.426:
	ds_read_b128 v[1:4], v134
	s_andn2_b32 vcc_lo, exec_lo, s7
	s_cbranch_vccnz .LBB127_428
; %bb.427:
	s_clause 0x3
	buffer_load_dword v135, v133, s[0:3], 0 offen offset:8
	buffer_load_dword v136, v133, s[0:3], 0 offen offset:12
	buffer_load_dword v137, v133, s[0:3], 0 offen
	buffer_load_dword v138, v133, s[0:3], 0 offen offset:4
	s_waitcnt vmcnt(2) lgkmcnt(0)
	v_mul_f64 v[140:141], v[3:4], v[135:136]
	v_mul_f64 v[135:136], v[1:2], v[135:136]
	s_waitcnt vmcnt(0)
	v_fma_f64 v[1:2], v[1:2], v[137:138], -v[140:141]
	v_fma_f64 v[3:4], v[3:4], v[137:138], v[135:136]
.LBB127_428:
	s_and_saveexec_b32 s8, s4
	s_cbranch_execz .LBB127_438
; %bb.429:
	v_subrev_nc_u32_e32 v135, 33, v0
	v_cmp_lt_u32_e32 vcc_lo, 6, v135
	v_mov_b32_e32 v135, 32
	s_and_saveexec_b32 s4, vcc_lo
	s_cbranch_execz .LBB127_433
; %bb.430:
	v_and_b32_e32 v135, 56, v0
	s_mov_b32 s73, 32
	s_movk_i32 s75, 0x600
	s_mov_b32 s74, 0
	s_mov_b32 s76, s41
.LBB127_431:                            ; =>This Inner Loop Header: Depth=1
	v_mov_b32_e32 v138, s76
	s_add_i32 s73, s73, 8
	s_addk_i32 s76, 0x80
	v_cmp_eq_u32_e32 vcc_lo, s73, v135
	s_clause 0x1f
	buffer_load_dword v136, v138, s[0:3], 0 offen offset:8
	buffer_load_dword v137, v138, s[0:3], 0 offen offset:12
	buffer_load_dword v148, v138, s[0:3], 0 offen
	buffer_load_dword v149, v138, s[0:3], 0 offen offset:4
	buffer_load_dword v150, v138, s[0:3], 0 offen offset:24
	buffer_load_dword v151, v138, s[0:3], 0 offen offset:28
	buffer_load_dword v152, v138, s[0:3], 0 offen offset:16
	buffer_load_dword v153, v138, s[0:3], 0 offen offset:20
	buffer_load_dword v154, v138, s[0:3], 0 offen offset:40
	buffer_load_dword v155, v138, s[0:3], 0 offen offset:44
	buffer_load_dword v156, v138, s[0:3], 0 offen offset:32
	buffer_load_dword v157, v138, s[0:3], 0 offen offset:36
	buffer_load_dword v158, v138, s[0:3], 0 offen offset:56
	buffer_load_dword v159, v138, s[0:3], 0 offen offset:60
	buffer_load_dword v160, v138, s[0:3], 0 offen offset:48
	buffer_load_dword v161, v138, s[0:3], 0 offen offset:52
	buffer_load_dword v163, v138, s[0:3], 0 offen offset:76
	buffer_load_dword v164, v138, s[0:3], 0 offen offset:88
	buffer_load_dword v166, v138, s[0:3], 0 offen offset:80
	buffer_load_dword v162, v138, s[0:3], 0 offen offset:72
	buffer_load_dword v167, v138, s[0:3], 0 offen offset:84
	buffer_load_dword v165, v138, s[0:3], 0 offen offset:92
	buffer_load_dword v169, v138, s[0:3], 0 offen offset:68
	buffer_load_dword v168, v138, s[0:3], 0 offen offset:64
	buffer_load_dword v171, v138, s[0:3], 0 offen offset:108
	buffer_load_dword v172, v138, s[0:3], 0 offen offset:120
	buffer_load_dword v174, v138, s[0:3], 0 offen offset:112
	buffer_load_dword v170, v138, s[0:3], 0 offen offset:104
	buffer_load_dword v175, v138, s[0:3], 0 offen offset:116
	buffer_load_dword v173, v138, s[0:3], 0 offen offset:124
	buffer_load_dword v177, v138, s[0:3], 0 offen offset:100
	buffer_load_dword v176, v138, s[0:3], 0 offen offset:96
	v_mov_b32_e32 v138, s75
	s_addk_i32 s75, 0x80
	s_or_b32 s74, vcc_lo, s74
	ds_read_b128 v[140:143], v138
	ds_read_b128 v[144:147], v138 offset:16
	s_waitcnt vmcnt(30) lgkmcnt(1)
	v_mul_f64 v[178:179], v[142:143], v[136:137]
	v_mul_f64 v[136:137], v[140:141], v[136:137]
	s_waitcnt vmcnt(26) lgkmcnt(0)
	v_mul_f64 v[180:181], v[146:147], v[150:151]
	v_mul_f64 v[182:183], v[144:145], v[150:151]
	v_fma_f64 v[178:179], v[140:141], v[148:149], -v[178:179]
	v_fma_f64 v[136:137], v[142:143], v[148:149], v[136:137]
	ds_read_b128 v[140:143], v138 offset:32
	ds_read_b128 v[148:151], v138 offset:48
	s_waitcnt vmcnt(24)
	v_fma_f64 v[144:145], v[144:145], v[152:153], -v[180:181]
	v_fma_f64 v[146:147], v[146:147], v[152:153], v[182:183]
	s_waitcnt vmcnt(22) lgkmcnt(1)
	v_mul_f64 v[184:185], v[142:143], v[154:155]
	v_mul_f64 v[154:155], v[140:141], v[154:155]
	v_add_f64 v[1:2], v[1:2], v[178:179]
	v_add_f64 v[3:4], v[3:4], v[136:137]
	s_waitcnt vmcnt(18) lgkmcnt(0)
	v_mul_f64 v[136:137], v[150:151], v[158:159]
	v_mul_f64 v[152:153], v[148:149], v[158:159]
	v_fma_f64 v[158:159], v[140:141], v[156:157], -v[184:185]
	v_fma_f64 v[154:155], v[142:143], v[156:157], v[154:155]
	v_add_f64 v[144:145], v[1:2], v[144:145]
	v_add_f64 v[146:147], v[3:4], v[146:147]
	ds_read_b128 v[1:4], v138 offset:64
	ds_read_b128 v[140:143], v138 offset:80
	s_waitcnt vmcnt(16)
	v_fma_f64 v[136:137], v[148:149], v[160:161], -v[136:137]
	v_fma_f64 v[148:149], v[150:151], v[160:161], v[152:153]
	s_waitcnt vmcnt(12) lgkmcnt(1)
	v_mul_f64 v[156:157], v[3:4], v[162:163]
	v_mul_f64 v[162:163], v[1:2], v[162:163]
	v_add_f64 v[144:145], v[144:145], v[158:159]
	v_add_f64 v[146:147], v[146:147], v[154:155]
	s_waitcnt vmcnt(10) lgkmcnt(0)
	v_mul_f64 v[150:151], v[142:143], v[164:165]
	v_mul_f64 v[152:153], v[140:141], v[164:165]
	s_waitcnt vmcnt(8)
	v_fma_f64 v[154:155], v[1:2], v[168:169], -v[156:157]
	v_fma_f64 v[156:157], v[3:4], v[168:169], v[162:163]
	v_add_f64 v[136:137], v[144:145], v[136:137]
	v_add_f64 v[148:149], v[146:147], v[148:149]
	ds_read_b128 v[1:4], v138 offset:96
	ds_read_b128 v[144:147], v138 offset:112
	v_fma_f64 v[140:141], v[140:141], v[166:167], -v[150:151]
	v_fma_f64 v[142:143], v[142:143], v[166:167], v[152:153]
	s_waitcnt vmcnt(4) lgkmcnt(1)
	v_mul_f64 v[158:159], v[3:4], v[170:171]
	v_mul_f64 v[160:161], v[1:2], v[170:171]
	v_add_f64 v[136:137], v[136:137], v[154:155]
	v_add_f64 v[148:149], v[148:149], v[156:157]
	s_waitcnt vmcnt(2) lgkmcnt(0)
	v_mul_f64 v[150:151], v[146:147], v[172:173]
	v_mul_f64 v[152:153], v[144:145], v[172:173]
	s_waitcnt vmcnt(0)
	v_fma_f64 v[1:2], v[1:2], v[176:177], -v[158:159]
	v_fma_f64 v[3:4], v[3:4], v[176:177], v[160:161]
	v_add_f64 v[136:137], v[136:137], v[140:141]
	v_add_f64 v[140:141], v[148:149], v[142:143]
	v_fma_f64 v[142:143], v[144:145], v[174:175], -v[150:151]
	v_fma_f64 v[144:145], v[146:147], v[174:175], v[152:153]
	v_add_f64 v[1:2], v[136:137], v[1:2]
	v_add_f64 v[3:4], v[140:141], v[3:4]
	;; [unrolled: 1-line block ×4, first 2 shown]
	s_andn2_b32 exec_lo, exec_lo, s74
	s_cbranch_execnz .LBB127_431
; %bb.432:
	s_or_b32 exec_lo, exec_lo, s74
.LBB127_433:
	s_or_b32 exec_lo, exec_lo, s4
	v_and_b32_e32 v136, 7, v0
	s_mov_b32 s73, 0
	s_mov_b32 s4, exec_lo
	v_cmpx_ne_u32_e32 0, v136
	s_cbranch_execz .LBB127_437
; %bb.434:
	v_lshlrev_b32_e32 v137, 4, v135
	v_or_b32_e32 v135, 0x400, v137
	.p2align	6
.LBB127_435:                            ; =>This Inner Loop Header: Depth=1
	s_clause 0x3
	buffer_load_dword v144, v137, s[0:3], 0 offen offset:8
	buffer_load_dword v145, v137, s[0:3], 0 offen offset:12
	buffer_load_dword v146, v137, s[0:3], 0 offen
	buffer_load_dword v147, v137, s[0:3], 0 offen offset:4
	ds_read_b128 v[140:143], v135
	v_add_nc_u32_e32 v136, -1, v136
	v_add_nc_u32_e32 v135, 16, v135
	v_add_nc_u32_e32 v137, 16, v137
	v_cmp_eq_u32_e32 vcc_lo, 0, v136
	s_or_b32 s73, vcc_lo, s73
	s_waitcnt vmcnt(2) lgkmcnt(0)
	v_mul_f64 v[148:149], v[142:143], v[144:145]
	v_mul_f64 v[144:145], v[140:141], v[144:145]
	s_waitcnt vmcnt(0)
	v_fma_f64 v[140:141], v[140:141], v[146:147], -v[148:149]
	v_fma_f64 v[142:143], v[142:143], v[146:147], v[144:145]
	v_add_f64 v[1:2], v[1:2], v[140:141]
	v_add_f64 v[3:4], v[3:4], v[142:143]
	s_andn2_b32 exec_lo, exec_lo, s73
	s_cbranch_execnz .LBB127_435
; %bb.436:
	s_or_b32 exec_lo, exec_lo, s73
.LBB127_437:
	s_or_b32 exec_lo, exec_lo, s4
.LBB127_438:
	s_or_b32 exec_lo, exec_lo, s8
	v_mov_b32_e32 v135, 0
	ds_read_b128 v[135:138], v135 offset:496
	s_waitcnt lgkmcnt(0)
	v_mul_f64 v[140:141], v[3:4], v[137:138]
	v_mul_f64 v[137:138], v[1:2], v[137:138]
	v_fma_f64 v[1:2], v[1:2], v[135:136], -v[140:141]
	v_fma_f64 v[3:4], v[3:4], v[135:136], v[137:138]
	buffer_store_dword v2, off, s[0:3], 0 offset:500
	buffer_store_dword v1, off, s[0:3], 0 offset:496
	;; [unrolled: 1-line block ×4, first 2 shown]
.LBB127_439:
	s_or_b32 exec_lo, exec_lo, s6
	v_mov_b32_e32 v4, s43
	v_cmp_lt_u32_e64 s4, 30, v0
	s_clause 0x3
	buffer_load_dword v1, v4, s[0:3], 0 offen
	buffer_load_dword v2, v4, s[0:3], 0 offen offset:4
	buffer_load_dword v3, v4, s[0:3], 0 offen offset:8
	;; [unrolled: 1-line block ×3, first 2 shown]
	s_waitcnt vmcnt(0)
	ds_write_b128 v134, v[1:4]
	s_waitcnt lgkmcnt(0)
	s_waitcnt_vscnt null, 0x0
	s_barrier
	buffer_gl0_inv
	s_and_saveexec_b32 s6, s4
	s_cbranch_execz .LBB127_453
; %bb.440:
	ds_read_b128 v[1:4], v134
	s_andn2_b32 vcc_lo, exec_lo, s7
	s_cbranch_vccnz .LBB127_442
; %bb.441:
	s_clause 0x3
	buffer_load_dword v135, v133, s[0:3], 0 offen offset:8
	buffer_load_dword v136, v133, s[0:3], 0 offen offset:12
	buffer_load_dword v137, v133, s[0:3], 0 offen
	buffer_load_dword v138, v133, s[0:3], 0 offen offset:4
	s_waitcnt vmcnt(2) lgkmcnt(0)
	v_mul_f64 v[140:141], v[3:4], v[135:136]
	v_mul_f64 v[135:136], v[1:2], v[135:136]
	s_waitcnt vmcnt(0)
	v_fma_f64 v[1:2], v[1:2], v[137:138], -v[140:141]
	v_fma_f64 v[3:4], v[3:4], v[137:138], v[135:136]
.LBB127_442:
	s_and_saveexec_b32 s8, s5
	s_cbranch_execz .LBB127_452
; %bb.443:
	v_subrev_nc_u32_e32 v136, 32, v0
	v_mov_b32_e32 v137, 31
	v_subrev_nc_u32_e32 v135, 31, v0
	s_mov_b32 s5, exec_lo
	v_cmpx_lt_u32_e32 6, v136
	s_cbranch_execz .LBB127_447
; %bb.444:
	v_and_b32_e32 v136, -8, v135
	s_movk_i32 s74, 0x5f0
	s_mov_b32 s73, 0
	s_mov_b32 s75, s42
	;; [unrolled: 1-line block ×3, first 2 shown]
.LBB127_445:                            ; =>This Inner Loop Header: Depth=1
	v_mov_b32_e32 v140, s75
	v_mov_b32_e32 v186, s74
	s_add_i32 s77, s76, 8
	s_add_i32 s76, s76, 39
	v_cmp_eq_u32_e32 vcc_lo, s77, v136
	s_clause 0x1f
	buffer_load_dword v137, v140, s[0:3], 0 offen offset:8
	buffer_load_dword v138, v140, s[0:3], 0 offen offset:12
	buffer_load_dword v148, v140, s[0:3], 0 offen
	buffer_load_dword v149, v140, s[0:3], 0 offen offset:4
	buffer_load_dword v150, v140, s[0:3], 0 offen offset:24
	;; [unrolled: 1-line block ×29, first 2 shown]
	ds_read_b128 v[140:143], v186
	ds_read_b128 v[144:147], v186 offset:16
	s_addk_i32 s74, 0x80
	s_addk_i32 s75, 0x80
	s_or_b32 s73, vcc_lo, s73
	s_waitcnt vmcnt(30) lgkmcnt(1)
	v_mul_f64 v[178:179], v[142:143], v[137:138]
	v_mul_f64 v[137:138], v[140:141], v[137:138]
	s_waitcnt vmcnt(26) lgkmcnt(0)
	v_mul_f64 v[180:181], v[146:147], v[150:151]
	v_mul_f64 v[182:183], v[144:145], v[150:151]
	v_fma_f64 v[178:179], v[140:141], v[148:149], -v[178:179]
	v_fma_f64 v[137:138], v[142:143], v[148:149], v[137:138]
	ds_read_b128 v[140:143], v186 offset:32
	ds_read_b128 v[148:151], v186 offset:48
	s_waitcnt vmcnt(24)
	v_fma_f64 v[144:145], v[144:145], v[152:153], -v[180:181]
	v_fma_f64 v[146:147], v[146:147], v[152:153], v[182:183]
	s_waitcnt vmcnt(22) lgkmcnt(1)
	v_mul_f64 v[184:185], v[142:143], v[154:155]
	v_mul_f64 v[154:155], v[140:141], v[154:155]
	v_add_f64 v[1:2], v[1:2], v[178:179]
	v_add_f64 v[3:4], v[3:4], v[137:138]
	s_waitcnt vmcnt(18) lgkmcnt(0)
	v_mul_f64 v[137:138], v[150:151], v[158:159]
	v_mul_f64 v[152:153], v[148:149], v[158:159]
	v_fma_f64 v[158:159], v[140:141], v[156:157], -v[184:185]
	v_fma_f64 v[154:155], v[142:143], v[156:157], v[154:155]
	v_add_f64 v[144:145], v[1:2], v[144:145]
	v_add_f64 v[146:147], v[3:4], v[146:147]
	ds_read_b128 v[1:4], v186 offset:64
	ds_read_b128 v[140:143], v186 offset:80
	s_waitcnt vmcnt(16)
	v_fma_f64 v[137:138], v[148:149], v[160:161], -v[137:138]
	v_fma_f64 v[148:149], v[150:151], v[160:161], v[152:153]
	s_waitcnt vmcnt(12) lgkmcnt(1)
	v_mul_f64 v[156:157], v[3:4], v[162:163]
	v_mul_f64 v[162:163], v[1:2], v[162:163]
	v_add_f64 v[144:145], v[144:145], v[158:159]
	v_add_f64 v[146:147], v[146:147], v[154:155]
	s_waitcnt vmcnt(10) lgkmcnt(0)
	v_mul_f64 v[150:151], v[142:143], v[164:165]
	v_mul_f64 v[152:153], v[140:141], v[164:165]
	s_waitcnt vmcnt(8)
	v_fma_f64 v[154:155], v[1:2], v[168:169], -v[156:157]
	v_fma_f64 v[156:157], v[3:4], v[168:169], v[162:163]
	v_add_f64 v[137:138], v[144:145], v[137:138]
	v_add_f64 v[148:149], v[146:147], v[148:149]
	ds_read_b128 v[1:4], v186 offset:96
	ds_read_b128 v[144:147], v186 offset:112
	v_fma_f64 v[140:141], v[140:141], v[166:167], -v[150:151]
	v_fma_f64 v[142:143], v[142:143], v[166:167], v[152:153]
	s_waitcnt vmcnt(4) lgkmcnt(1)
	v_mul_f64 v[158:159], v[3:4], v[170:171]
	v_mul_f64 v[160:161], v[1:2], v[170:171]
	v_add_f64 v[137:138], v[137:138], v[154:155]
	v_add_f64 v[148:149], v[148:149], v[156:157]
	s_waitcnt vmcnt(2) lgkmcnt(0)
	v_mul_f64 v[150:151], v[146:147], v[172:173]
	v_mul_f64 v[152:153], v[144:145], v[172:173]
	s_waitcnt vmcnt(0)
	v_fma_f64 v[1:2], v[1:2], v[176:177], -v[158:159]
	v_fma_f64 v[3:4], v[3:4], v[176:177], v[160:161]
	v_add_f64 v[137:138], v[137:138], v[140:141]
	v_add_f64 v[140:141], v[148:149], v[142:143]
	v_fma_f64 v[142:143], v[144:145], v[174:175], -v[150:151]
	v_fma_f64 v[144:145], v[146:147], v[174:175], v[152:153]
	v_add_f64 v[1:2], v[137:138], v[1:2]
	v_add_f64 v[3:4], v[140:141], v[3:4]
	v_mov_b32_e32 v137, s76
	s_mov_b32 s76, s77
	v_add_f64 v[1:2], v[1:2], v[142:143]
	v_add_f64 v[3:4], v[3:4], v[144:145]
	s_andn2_b32 exec_lo, exec_lo, s73
	s_cbranch_execnz .LBB127_445
; %bb.446:
	s_or_b32 exec_lo, exec_lo, s73
.LBB127_447:
	s_or_b32 exec_lo, exec_lo, s5
	v_and_b32_e32 v135, 7, v135
	s_mov_b32 s73, 0
	s_mov_b32 s5, exec_lo
	v_cmpx_ne_u32_e32 0, v135
	s_cbranch_execz .LBB127_451
; %bb.448:
	v_lshlrev_b32_e32 v137, 4, v137
	v_add_nc_u32_e32 v136, 0x400, v137
	.p2align	6
.LBB127_449:                            ; =>This Inner Loop Header: Depth=1
	s_clause 0x3
	buffer_load_dword v144, v137, s[0:3], 0 offen offset:8
	buffer_load_dword v145, v137, s[0:3], 0 offen offset:12
	buffer_load_dword v146, v137, s[0:3], 0 offen
	buffer_load_dword v147, v137, s[0:3], 0 offen offset:4
	ds_read_b128 v[140:143], v136
	v_add_nc_u32_e32 v135, -1, v135
	v_add_nc_u32_e32 v136, 16, v136
	v_add_nc_u32_e32 v137, 16, v137
	v_cmp_eq_u32_e32 vcc_lo, 0, v135
	s_or_b32 s73, vcc_lo, s73
	s_waitcnt vmcnt(2) lgkmcnt(0)
	v_mul_f64 v[148:149], v[142:143], v[144:145]
	v_mul_f64 v[144:145], v[140:141], v[144:145]
	s_waitcnt vmcnt(0)
	v_fma_f64 v[140:141], v[140:141], v[146:147], -v[148:149]
	v_fma_f64 v[142:143], v[142:143], v[146:147], v[144:145]
	v_add_f64 v[1:2], v[1:2], v[140:141]
	v_add_f64 v[3:4], v[3:4], v[142:143]
	s_andn2_b32 exec_lo, exec_lo, s73
	s_cbranch_execnz .LBB127_449
; %bb.450:
	s_or_b32 exec_lo, exec_lo, s73
.LBB127_451:
	s_or_b32 exec_lo, exec_lo, s5
.LBB127_452:
	s_or_b32 exec_lo, exec_lo, s8
	v_mov_b32_e32 v135, 0
	ds_read_b128 v[135:138], v135 offset:480
	s_waitcnt lgkmcnt(0)
	v_mul_f64 v[140:141], v[3:4], v[137:138]
	v_mul_f64 v[137:138], v[1:2], v[137:138]
	v_fma_f64 v[1:2], v[1:2], v[135:136], -v[140:141]
	v_fma_f64 v[3:4], v[3:4], v[135:136], v[137:138]
	buffer_store_dword v2, off, s[0:3], 0 offset:484
	buffer_store_dword v1, off, s[0:3], 0 offset:480
	;; [unrolled: 1-line block ×4, first 2 shown]
.LBB127_453:
	s_or_b32 exec_lo, exec_lo, s6
	v_mov_b32_e32 v4, s44
	v_cmp_lt_u32_e64 s5, 29, v0
	s_clause 0x3
	buffer_load_dword v1, v4, s[0:3], 0 offen
	buffer_load_dword v2, v4, s[0:3], 0 offen offset:4
	buffer_load_dword v3, v4, s[0:3], 0 offen offset:8
	;; [unrolled: 1-line block ×3, first 2 shown]
	s_waitcnt vmcnt(0)
	ds_write_b128 v134, v[1:4]
	s_waitcnt lgkmcnt(0)
	s_waitcnt_vscnt null, 0x0
	s_barrier
	buffer_gl0_inv
	s_and_saveexec_b32 s6, s5
	s_cbranch_execz .LBB127_467
; %bb.454:
	ds_read_b128 v[1:4], v134
	s_andn2_b32 vcc_lo, exec_lo, s7
	s_cbranch_vccnz .LBB127_456
; %bb.455:
	s_clause 0x3
	buffer_load_dword v135, v133, s[0:3], 0 offen offset:8
	buffer_load_dword v136, v133, s[0:3], 0 offen offset:12
	buffer_load_dword v137, v133, s[0:3], 0 offen
	buffer_load_dword v138, v133, s[0:3], 0 offen offset:4
	s_waitcnt vmcnt(2) lgkmcnt(0)
	v_mul_f64 v[140:141], v[3:4], v[135:136]
	v_mul_f64 v[135:136], v[1:2], v[135:136]
	s_waitcnt vmcnt(0)
	v_fma_f64 v[1:2], v[1:2], v[137:138], -v[140:141]
	v_fma_f64 v[3:4], v[3:4], v[137:138], v[135:136]
.LBB127_456:
	s_and_saveexec_b32 s8, s4
	s_cbranch_execz .LBB127_466
; %bb.457:
	v_subrev_nc_u32_e32 v136, 31, v0
	v_mov_b32_e32 v137, 30
	v_subrev_nc_u32_e32 v135, 30, v0
	s_mov_b32 s4, exec_lo
	v_cmpx_lt_u32_e32 6, v136
	s_cbranch_execz .LBB127_461
; %bb.458:
	v_and_b32_e32 v136, -8, v135
	s_movk_i32 s74, 0x5e0
	s_mov_b32 s73, 0
	s_mov_b32 s75, s43
	;; [unrolled: 1-line block ×3, first 2 shown]
.LBB127_459:                            ; =>This Inner Loop Header: Depth=1
	v_mov_b32_e32 v140, s75
	v_mov_b32_e32 v186, s74
	s_add_i32 s77, s76, 8
	s_add_i32 s76, s76, 38
	v_cmp_eq_u32_e32 vcc_lo, s77, v136
	s_clause 0x1f
	buffer_load_dword v137, v140, s[0:3], 0 offen offset:8
	buffer_load_dword v138, v140, s[0:3], 0 offen offset:12
	buffer_load_dword v148, v140, s[0:3], 0 offen
	buffer_load_dword v149, v140, s[0:3], 0 offen offset:4
	buffer_load_dword v150, v140, s[0:3], 0 offen offset:24
	;; [unrolled: 1-line block ×29, first 2 shown]
	ds_read_b128 v[140:143], v186
	ds_read_b128 v[144:147], v186 offset:16
	s_addk_i32 s74, 0x80
	s_addk_i32 s75, 0x80
	s_or_b32 s73, vcc_lo, s73
	s_waitcnt vmcnt(30) lgkmcnt(1)
	v_mul_f64 v[178:179], v[142:143], v[137:138]
	v_mul_f64 v[137:138], v[140:141], v[137:138]
	s_waitcnt vmcnt(26) lgkmcnt(0)
	v_mul_f64 v[180:181], v[146:147], v[150:151]
	v_mul_f64 v[182:183], v[144:145], v[150:151]
	v_fma_f64 v[178:179], v[140:141], v[148:149], -v[178:179]
	v_fma_f64 v[137:138], v[142:143], v[148:149], v[137:138]
	ds_read_b128 v[140:143], v186 offset:32
	ds_read_b128 v[148:151], v186 offset:48
	s_waitcnt vmcnt(24)
	v_fma_f64 v[144:145], v[144:145], v[152:153], -v[180:181]
	v_fma_f64 v[146:147], v[146:147], v[152:153], v[182:183]
	s_waitcnt vmcnt(22) lgkmcnt(1)
	v_mul_f64 v[184:185], v[142:143], v[154:155]
	v_mul_f64 v[154:155], v[140:141], v[154:155]
	v_add_f64 v[1:2], v[1:2], v[178:179]
	v_add_f64 v[3:4], v[3:4], v[137:138]
	s_waitcnt vmcnt(18) lgkmcnt(0)
	v_mul_f64 v[137:138], v[150:151], v[158:159]
	v_mul_f64 v[152:153], v[148:149], v[158:159]
	v_fma_f64 v[158:159], v[140:141], v[156:157], -v[184:185]
	v_fma_f64 v[154:155], v[142:143], v[156:157], v[154:155]
	v_add_f64 v[144:145], v[1:2], v[144:145]
	v_add_f64 v[146:147], v[3:4], v[146:147]
	ds_read_b128 v[1:4], v186 offset:64
	ds_read_b128 v[140:143], v186 offset:80
	s_waitcnt vmcnt(16)
	v_fma_f64 v[137:138], v[148:149], v[160:161], -v[137:138]
	v_fma_f64 v[148:149], v[150:151], v[160:161], v[152:153]
	s_waitcnt vmcnt(12) lgkmcnt(1)
	v_mul_f64 v[156:157], v[3:4], v[162:163]
	v_mul_f64 v[162:163], v[1:2], v[162:163]
	v_add_f64 v[144:145], v[144:145], v[158:159]
	v_add_f64 v[146:147], v[146:147], v[154:155]
	s_waitcnt vmcnt(10) lgkmcnt(0)
	v_mul_f64 v[150:151], v[142:143], v[164:165]
	v_mul_f64 v[152:153], v[140:141], v[164:165]
	s_waitcnt vmcnt(8)
	v_fma_f64 v[154:155], v[1:2], v[168:169], -v[156:157]
	v_fma_f64 v[156:157], v[3:4], v[168:169], v[162:163]
	v_add_f64 v[137:138], v[144:145], v[137:138]
	v_add_f64 v[148:149], v[146:147], v[148:149]
	ds_read_b128 v[1:4], v186 offset:96
	ds_read_b128 v[144:147], v186 offset:112
	v_fma_f64 v[140:141], v[140:141], v[166:167], -v[150:151]
	v_fma_f64 v[142:143], v[142:143], v[166:167], v[152:153]
	s_waitcnt vmcnt(4) lgkmcnt(1)
	v_mul_f64 v[158:159], v[3:4], v[170:171]
	v_mul_f64 v[160:161], v[1:2], v[170:171]
	v_add_f64 v[137:138], v[137:138], v[154:155]
	v_add_f64 v[148:149], v[148:149], v[156:157]
	s_waitcnt vmcnt(2) lgkmcnt(0)
	v_mul_f64 v[150:151], v[146:147], v[172:173]
	v_mul_f64 v[152:153], v[144:145], v[172:173]
	s_waitcnt vmcnt(0)
	v_fma_f64 v[1:2], v[1:2], v[176:177], -v[158:159]
	v_fma_f64 v[3:4], v[3:4], v[176:177], v[160:161]
	v_add_f64 v[137:138], v[137:138], v[140:141]
	v_add_f64 v[140:141], v[148:149], v[142:143]
	v_fma_f64 v[142:143], v[144:145], v[174:175], -v[150:151]
	v_fma_f64 v[144:145], v[146:147], v[174:175], v[152:153]
	v_add_f64 v[1:2], v[137:138], v[1:2]
	v_add_f64 v[3:4], v[140:141], v[3:4]
	v_mov_b32_e32 v137, s76
	s_mov_b32 s76, s77
	v_add_f64 v[1:2], v[1:2], v[142:143]
	v_add_f64 v[3:4], v[3:4], v[144:145]
	s_andn2_b32 exec_lo, exec_lo, s73
	s_cbranch_execnz .LBB127_459
; %bb.460:
	s_or_b32 exec_lo, exec_lo, s73
.LBB127_461:
	s_or_b32 exec_lo, exec_lo, s4
	v_and_b32_e32 v135, 7, v135
	s_mov_b32 s73, 0
	s_mov_b32 s4, exec_lo
	v_cmpx_ne_u32_e32 0, v135
	s_cbranch_execz .LBB127_465
; %bb.462:
	v_lshlrev_b32_e32 v137, 4, v137
	v_add_nc_u32_e32 v136, 0x400, v137
	.p2align	6
.LBB127_463:                            ; =>This Inner Loop Header: Depth=1
	s_clause 0x3
	buffer_load_dword v144, v137, s[0:3], 0 offen offset:8
	buffer_load_dword v145, v137, s[0:3], 0 offen offset:12
	buffer_load_dword v146, v137, s[0:3], 0 offen
	buffer_load_dword v147, v137, s[0:3], 0 offen offset:4
	ds_read_b128 v[140:143], v136
	v_add_nc_u32_e32 v135, -1, v135
	v_add_nc_u32_e32 v136, 16, v136
	v_add_nc_u32_e32 v137, 16, v137
	v_cmp_eq_u32_e32 vcc_lo, 0, v135
	s_or_b32 s73, vcc_lo, s73
	s_waitcnt vmcnt(2) lgkmcnt(0)
	v_mul_f64 v[148:149], v[142:143], v[144:145]
	v_mul_f64 v[144:145], v[140:141], v[144:145]
	s_waitcnt vmcnt(0)
	v_fma_f64 v[140:141], v[140:141], v[146:147], -v[148:149]
	v_fma_f64 v[142:143], v[142:143], v[146:147], v[144:145]
	v_add_f64 v[1:2], v[1:2], v[140:141]
	v_add_f64 v[3:4], v[3:4], v[142:143]
	s_andn2_b32 exec_lo, exec_lo, s73
	s_cbranch_execnz .LBB127_463
; %bb.464:
	s_or_b32 exec_lo, exec_lo, s73
.LBB127_465:
	s_or_b32 exec_lo, exec_lo, s4
.LBB127_466:
	s_or_b32 exec_lo, exec_lo, s8
	v_mov_b32_e32 v135, 0
	ds_read_b128 v[135:138], v135 offset:464
	s_waitcnt lgkmcnt(0)
	v_mul_f64 v[140:141], v[3:4], v[137:138]
	v_mul_f64 v[137:138], v[1:2], v[137:138]
	v_fma_f64 v[1:2], v[1:2], v[135:136], -v[140:141]
	v_fma_f64 v[3:4], v[3:4], v[135:136], v[137:138]
	buffer_store_dword v2, off, s[0:3], 0 offset:468
	buffer_store_dword v1, off, s[0:3], 0 offset:464
	;; [unrolled: 1-line block ×4, first 2 shown]
.LBB127_467:
	s_or_b32 exec_lo, exec_lo, s6
	v_mov_b32_e32 v4, s45
	v_cmp_lt_u32_e64 s4, 28, v0
	s_clause 0x3
	buffer_load_dword v1, v4, s[0:3], 0 offen
	buffer_load_dword v2, v4, s[0:3], 0 offen offset:4
	buffer_load_dword v3, v4, s[0:3], 0 offen offset:8
	;; [unrolled: 1-line block ×3, first 2 shown]
	s_waitcnt vmcnt(0)
	ds_write_b128 v134, v[1:4]
	s_waitcnt lgkmcnt(0)
	s_waitcnt_vscnt null, 0x0
	s_barrier
	buffer_gl0_inv
	s_and_saveexec_b32 s6, s4
	s_cbranch_execz .LBB127_481
; %bb.468:
	ds_read_b128 v[1:4], v134
	s_andn2_b32 vcc_lo, exec_lo, s7
	s_cbranch_vccnz .LBB127_470
; %bb.469:
	s_clause 0x3
	buffer_load_dword v135, v133, s[0:3], 0 offen offset:8
	buffer_load_dword v136, v133, s[0:3], 0 offen offset:12
	buffer_load_dword v137, v133, s[0:3], 0 offen
	buffer_load_dword v138, v133, s[0:3], 0 offen offset:4
	s_waitcnt vmcnt(2) lgkmcnt(0)
	v_mul_f64 v[140:141], v[3:4], v[135:136]
	v_mul_f64 v[135:136], v[1:2], v[135:136]
	s_waitcnt vmcnt(0)
	v_fma_f64 v[1:2], v[1:2], v[137:138], -v[140:141]
	v_fma_f64 v[3:4], v[3:4], v[137:138], v[135:136]
.LBB127_470:
	s_and_saveexec_b32 s8, s5
	s_cbranch_execz .LBB127_480
; %bb.471:
	v_subrev_nc_u32_e32 v136, 30, v0
	v_mov_b32_e32 v137, 29
	v_subrev_nc_u32_e32 v135, 29, v0
	s_mov_b32 s5, exec_lo
	v_cmpx_lt_u32_e32 6, v136
	s_cbranch_execz .LBB127_475
; %bb.472:
	v_and_b32_e32 v136, -8, v135
	s_movk_i32 s74, 0x5d0
	s_mov_b32 s73, 0
	s_mov_b32 s75, s44
	;; [unrolled: 1-line block ×3, first 2 shown]
.LBB127_473:                            ; =>This Inner Loop Header: Depth=1
	v_mov_b32_e32 v140, s75
	v_mov_b32_e32 v186, s74
	s_add_i32 s77, s76, 8
	s_add_i32 s76, s76, 37
	v_cmp_eq_u32_e32 vcc_lo, s77, v136
	s_clause 0x1f
	buffer_load_dword v137, v140, s[0:3], 0 offen offset:8
	buffer_load_dword v138, v140, s[0:3], 0 offen offset:12
	buffer_load_dword v148, v140, s[0:3], 0 offen
	buffer_load_dword v149, v140, s[0:3], 0 offen offset:4
	buffer_load_dword v150, v140, s[0:3], 0 offen offset:24
	;; [unrolled: 1-line block ×29, first 2 shown]
	ds_read_b128 v[140:143], v186
	ds_read_b128 v[144:147], v186 offset:16
	s_addk_i32 s74, 0x80
	s_addk_i32 s75, 0x80
	s_or_b32 s73, vcc_lo, s73
	s_waitcnt vmcnt(30) lgkmcnt(1)
	v_mul_f64 v[178:179], v[142:143], v[137:138]
	v_mul_f64 v[137:138], v[140:141], v[137:138]
	s_waitcnt vmcnt(26) lgkmcnt(0)
	v_mul_f64 v[180:181], v[146:147], v[150:151]
	v_mul_f64 v[182:183], v[144:145], v[150:151]
	v_fma_f64 v[178:179], v[140:141], v[148:149], -v[178:179]
	v_fma_f64 v[137:138], v[142:143], v[148:149], v[137:138]
	ds_read_b128 v[140:143], v186 offset:32
	ds_read_b128 v[148:151], v186 offset:48
	s_waitcnt vmcnt(24)
	v_fma_f64 v[144:145], v[144:145], v[152:153], -v[180:181]
	v_fma_f64 v[146:147], v[146:147], v[152:153], v[182:183]
	s_waitcnt vmcnt(22) lgkmcnt(1)
	v_mul_f64 v[184:185], v[142:143], v[154:155]
	v_mul_f64 v[154:155], v[140:141], v[154:155]
	v_add_f64 v[1:2], v[1:2], v[178:179]
	v_add_f64 v[3:4], v[3:4], v[137:138]
	s_waitcnt vmcnt(18) lgkmcnt(0)
	v_mul_f64 v[137:138], v[150:151], v[158:159]
	v_mul_f64 v[152:153], v[148:149], v[158:159]
	v_fma_f64 v[158:159], v[140:141], v[156:157], -v[184:185]
	v_fma_f64 v[154:155], v[142:143], v[156:157], v[154:155]
	v_add_f64 v[144:145], v[1:2], v[144:145]
	v_add_f64 v[146:147], v[3:4], v[146:147]
	ds_read_b128 v[1:4], v186 offset:64
	ds_read_b128 v[140:143], v186 offset:80
	s_waitcnt vmcnt(16)
	v_fma_f64 v[137:138], v[148:149], v[160:161], -v[137:138]
	v_fma_f64 v[148:149], v[150:151], v[160:161], v[152:153]
	s_waitcnt vmcnt(12) lgkmcnt(1)
	v_mul_f64 v[156:157], v[3:4], v[162:163]
	v_mul_f64 v[162:163], v[1:2], v[162:163]
	v_add_f64 v[144:145], v[144:145], v[158:159]
	v_add_f64 v[146:147], v[146:147], v[154:155]
	s_waitcnt vmcnt(10) lgkmcnt(0)
	v_mul_f64 v[150:151], v[142:143], v[164:165]
	v_mul_f64 v[152:153], v[140:141], v[164:165]
	s_waitcnt vmcnt(8)
	v_fma_f64 v[154:155], v[1:2], v[168:169], -v[156:157]
	v_fma_f64 v[156:157], v[3:4], v[168:169], v[162:163]
	v_add_f64 v[137:138], v[144:145], v[137:138]
	v_add_f64 v[148:149], v[146:147], v[148:149]
	ds_read_b128 v[1:4], v186 offset:96
	ds_read_b128 v[144:147], v186 offset:112
	v_fma_f64 v[140:141], v[140:141], v[166:167], -v[150:151]
	v_fma_f64 v[142:143], v[142:143], v[166:167], v[152:153]
	s_waitcnt vmcnt(4) lgkmcnt(1)
	v_mul_f64 v[158:159], v[3:4], v[170:171]
	v_mul_f64 v[160:161], v[1:2], v[170:171]
	v_add_f64 v[137:138], v[137:138], v[154:155]
	v_add_f64 v[148:149], v[148:149], v[156:157]
	s_waitcnt vmcnt(2) lgkmcnt(0)
	v_mul_f64 v[150:151], v[146:147], v[172:173]
	v_mul_f64 v[152:153], v[144:145], v[172:173]
	s_waitcnt vmcnt(0)
	v_fma_f64 v[1:2], v[1:2], v[176:177], -v[158:159]
	v_fma_f64 v[3:4], v[3:4], v[176:177], v[160:161]
	v_add_f64 v[137:138], v[137:138], v[140:141]
	v_add_f64 v[140:141], v[148:149], v[142:143]
	v_fma_f64 v[142:143], v[144:145], v[174:175], -v[150:151]
	v_fma_f64 v[144:145], v[146:147], v[174:175], v[152:153]
	v_add_f64 v[1:2], v[137:138], v[1:2]
	v_add_f64 v[3:4], v[140:141], v[3:4]
	v_mov_b32_e32 v137, s76
	s_mov_b32 s76, s77
	v_add_f64 v[1:2], v[1:2], v[142:143]
	v_add_f64 v[3:4], v[3:4], v[144:145]
	s_andn2_b32 exec_lo, exec_lo, s73
	s_cbranch_execnz .LBB127_473
; %bb.474:
	s_or_b32 exec_lo, exec_lo, s73
.LBB127_475:
	s_or_b32 exec_lo, exec_lo, s5
	v_and_b32_e32 v135, 7, v135
	s_mov_b32 s73, 0
	s_mov_b32 s5, exec_lo
	v_cmpx_ne_u32_e32 0, v135
	s_cbranch_execz .LBB127_479
; %bb.476:
	v_lshlrev_b32_e32 v137, 4, v137
	v_add_nc_u32_e32 v136, 0x400, v137
	.p2align	6
.LBB127_477:                            ; =>This Inner Loop Header: Depth=1
	s_clause 0x3
	buffer_load_dword v144, v137, s[0:3], 0 offen offset:8
	buffer_load_dword v145, v137, s[0:3], 0 offen offset:12
	buffer_load_dword v146, v137, s[0:3], 0 offen
	buffer_load_dword v147, v137, s[0:3], 0 offen offset:4
	ds_read_b128 v[140:143], v136
	v_add_nc_u32_e32 v135, -1, v135
	v_add_nc_u32_e32 v136, 16, v136
	v_add_nc_u32_e32 v137, 16, v137
	v_cmp_eq_u32_e32 vcc_lo, 0, v135
	s_or_b32 s73, vcc_lo, s73
	s_waitcnt vmcnt(2) lgkmcnt(0)
	v_mul_f64 v[148:149], v[142:143], v[144:145]
	v_mul_f64 v[144:145], v[140:141], v[144:145]
	s_waitcnt vmcnt(0)
	v_fma_f64 v[140:141], v[140:141], v[146:147], -v[148:149]
	v_fma_f64 v[142:143], v[142:143], v[146:147], v[144:145]
	v_add_f64 v[1:2], v[1:2], v[140:141]
	v_add_f64 v[3:4], v[3:4], v[142:143]
	s_andn2_b32 exec_lo, exec_lo, s73
	s_cbranch_execnz .LBB127_477
; %bb.478:
	s_or_b32 exec_lo, exec_lo, s73
.LBB127_479:
	s_or_b32 exec_lo, exec_lo, s5
.LBB127_480:
	s_or_b32 exec_lo, exec_lo, s8
	v_mov_b32_e32 v135, 0
	ds_read_b128 v[135:138], v135 offset:448
	s_waitcnt lgkmcnt(0)
	v_mul_f64 v[140:141], v[3:4], v[137:138]
	v_mul_f64 v[137:138], v[1:2], v[137:138]
	v_fma_f64 v[1:2], v[1:2], v[135:136], -v[140:141]
	v_fma_f64 v[3:4], v[3:4], v[135:136], v[137:138]
	buffer_store_dword v2, off, s[0:3], 0 offset:452
	buffer_store_dword v1, off, s[0:3], 0 offset:448
	;; [unrolled: 1-line block ×4, first 2 shown]
.LBB127_481:
	s_or_b32 exec_lo, exec_lo, s6
	v_mov_b32_e32 v4, s46
	v_cmp_lt_u32_e64 s5, 27, v0
	s_clause 0x3
	buffer_load_dword v1, v4, s[0:3], 0 offen
	buffer_load_dword v2, v4, s[0:3], 0 offen offset:4
	buffer_load_dword v3, v4, s[0:3], 0 offen offset:8
	buffer_load_dword v4, v4, s[0:3], 0 offen offset:12
	s_waitcnt vmcnt(0)
	ds_write_b128 v134, v[1:4]
	s_waitcnt lgkmcnt(0)
	s_waitcnt_vscnt null, 0x0
	s_barrier
	buffer_gl0_inv
	s_and_saveexec_b32 s6, s5
	s_cbranch_execz .LBB127_495
; %bb.482:
	ds_read_b128 v[1:4], v134
	s_andn2_b32 vcc_lo, exec_lo, s7
	s_cbranch_vccnz .LBB127_484
; %bb.483:
	s_clause 0x3
	buffer_load_dword v135, v133, s[0:3], 0 offen offset:8
	buffer_load_dword v136, v133, s[0:3], 0 offen offset:12
	buffer_load_dword v137, v133, s[0:3], 0 offen
	buffer_load_dword v138, v133, s[0:3], 0 offen offset:4
	s_waitcnt vmcnt(2) lgkmcnt(0)
	v_mul_f64 v[140:141], v[3:4], v[135:136]
	v_mul_f64 v[135:136], v[1:2], v[135:136]
	s_waitcnt vmcnt(0)
	v_fma_f64 v[1:2], v[1:2], v[137:138], -v[140:141]
	v_fma_f64 v[3:4], v[3:4], v[137:138], v[135:136]
.LBB127_484:
	s_and_saveexec_b32 s8, s4
	s_cbranch_execz .LBB127_494
; %bb.485:
	v_subrev_nc_u32_e32 v136, 29, v0
	v_mov_b32_e32 v137, 28
	v_subrev_nc_u32_e32 v135, 28, v0
	s_mov_b32 s4, exec_lo
	v_cmpx_lt_u32_e32 6, v136
	s_cbranch_execz .LBB127_489
; %bb.486:
	v_and_b32_e32 v136, -8, v135
	s_movk_i32 s74, 0x5c0
	s_mov_b32 s73, 0
	s_mov_b32 s75, s45
	;; [unrolled: 1-line block ×3, first 2 shown]
.LBB127_487:                            ; =>This Inner Loop Header: Depth=1
	v_mov_b32_e32 v140, s75
	v_mov_b32_e32 v186, s74
	s_add_i32 s77, s76, 8
	s_add_i32 s76, s76, 36
	v_cmp_eq_u32_e32 vcc_lo, s77, v136
	s_clause 0x1f
	buffer_load_dword v137, v140, s[0:3], 0 offen offset:8
	buffer_load_dword v138, v140, s[0:3], 0 offen offset:12
	buffer_load_dword v148, v140, s[0:3], 0 offen
	buffer_load_dword v149, v140, s[0:3], 0 offen offset:4
	buffer_load_dword v150, v140, s[0:3], 0 offen offset:24
	;; [unrolled: 1-line block ×29, first 2 shown]
	ds_read_b128 v[140:143], v186
	ds_read_b128 v[144:147], v186 offset:16
	s_addk_i32 s74, 0x80
	s_addk_i32 s75, 0x80
	s_or_b32 s73, vcc_lo, s73
	s_waitcnt vmcnt(30) lgkmcnt(1)
	v_mul_f64 v[178:179], v[142:143], v[137:138]
	v_mul_f64 v[137:138], v[140:141], v[137:138]
	s_waitcnt vmcnt(26) lgkmcnt(0)
	v_mul_f64 v[180:181], v[146:147], v[150:151]
	v_mul_f64 v[182:183], v[144:145], v[150:151]
	v_fma_f64 v[178:179], v[140:141], v[148:149], -v[178:179]
	v_fma_f64 v[137:138], v[142:143], v[148:149], v[137:138]
	ds_read_b128 v[140:143], v186 offset:32
	ds_read_b128 v[148:151], v186 offset:48
	s_waitcnt vmcnt(24)
	v_fma_f64 v[144:145], v[144:145], v[152:153], -v[180:181]
	v_fma_f64 v[146:147], v[146:147], v[152:153], v[182:183]
	s_waitcnt vmcnt(22) lgkmcnt(1)
	v_mul_f64 v[184:185], v[142:143], v[154:155]
	v_mul_f64 v[154:155], v[140:141], v[154:155]
	v_add_f64 v[1:2], v[1:2], v[178:179]
	v_add_f64 v[3:4], v[3:4], v[137:138]
	s_waitcnt vmcnt(18) lgkmcnt(0)
	v_mul_f64 v[137:138], v[150:151], v[158:159]
	v_mul_f64 v[152:153], v[148:149], v[158:159]
	v_fma_f64 v[158:159], v[140:141], v[156:157], -v[184:185]
	v_fma_f64 v[154:155], v[142:143], v[156:157], v[154:155]
	v_add_f64 v[144:145], v[1:2], v[144:145]
	v_add_f64 v[146:147], v[3:4], v[146:147]
	ds_read_b128 v[1:4], v186 offset:64
	ds_read_b128 v[140:143], v186 offset:80
	s_waitcnt vmcnt(16)
	v_fma_f64 v[137:138], v[148:149], v[160:161], -v[137:138]
	v_fma_f64 v[148:149], v[150:151], v[160:161], v[152:153]
	s_waitcnt vmcnt(12) lgkmcnt(1)
	v_mul_f64 v[156:157], v[3:4], v[162:163]
	v_mul_f64 v[162:163], v[1:2], v[162:163]
	v_add_f64 v[144:145], v[144:145], v[158:159]
	v_add_f64 v[146:147], v[146:147], v[154:155]
	s_waitcnt vmcnt(10) lgkmcnt(0)
	v_mul_f64 v[150:151], v[142:143], v[164:165]
	v_mul_f64 v[152:153], v[140:141], v[164:165]
	s_waitcnt vmcnt(8)
	v_fma_f64 v[154:155], v[1:2], v[168:169], -v[156:157]
	v_fma_f64 v[156:157], v[3:4], v[168:169], v[162:163]
	v_add_f64 v[137:138], v[144:145], v[137:138]
	v_add_f64 v[148:149], v[146:147], v[148:149]
	ds_read_b128 v[1:4], v186 offset:96
	ds_read_b128 v[144:147], v186 offset:112
	v_fma_f64 v[140:141], v[140:141], v[166:167], -v[150:151]
	v_fma_f64 v[142:143], v[142:143], v[166:167], v[152:153]
	s_waitcnt vmcnt(4) lgkmcnt(1)
	v_mul_f64 v[158:159], v[3:4], v[170:171]
	v_mul_f64 v[160:161], v[1:2], v[170:171]
	v_add_f64 v[137:138], v[137:138], v[154:155]
	v_add_f64 v[148:149], v[148:149], v[156:157]
	s_waitcnt vmcnt(2) lgkmcnt(0)
	v_mul_f64 v[150:151], v[146:147], v[172:173]
	v_mul_f64 v[152:153], v[144:145], v[172:173]
	s_waitcnt vmcnt(0)
	v_fma_f64 v[1:2], v[1:2], v[176:177], -v[158:159]
	v_fma_f64 v[3:4], v[3:4], v[176:177], v[160:161]
	v_add_f64 v[137:138], v[137:138], v[140:141]
	v_add_f64 v[140:141], v[148:149], v[142:143]
	v_fma_f64 v[142:143], v[144:145], v[174:175], -v[150:151]
	v_fma_f64 v[144:145], v[146:147], v[174:175], v[152:153]
	v_add_f64 v[1:2], v[137:138], v[1:2]
	v_add_f64 v[3:4], v[140:141], v[3:4]
	v_mov_b32_e32 v137, s76
	s_mov_b32 s76, s77
	v_add_f64 v[1:2], v[1:2], v[142:143]
	v_add_f64 v[3:4], v[3:4], v[144:145]
	s_andn2_b32 exec_lo, exec_lo, s73
	s_cbranch_execnz .LBB127_487
; %bb.488:
	s_or_b32 exec_lo, exec_lo, s73
.LBB127_489:
	s_or_b32 exec_lo, exec_lo, s4
	v_and_b32_e32 v135, 7, v135
	s_mov_b32 s73, 0
	s_mov_b32 s4, exec_lo
	v_cmpx_ne_u32_e32 0, v135
	s_cbranch_execz .LBB127_493
; %bb.490:
	v_lshlrev_b32_e32 v137, 4, v137
	v_add_nc_u32_e32 v136, 0x400, v137
	.p2align	6
.LBB127_491:                            ; =>This Inner Loop Header: Depth=1
	s_clause 0x3
	buffer_load_dword v144, v137, s[0:3], 0 offen offset:8
	buffer_load_dword v145, v137, s[0:3], 0 offen offset:12
	buffer_load_dword v146, v137, s[0:3], 0 offen
	buffer_load_dword v147, v137, s[0:3], 0 offen offset:4
	ds_read_b128 v[140:143], v136
	v_add_nc_u32_e32 v135, -1, v135
	v_add_nc_u32_e32 v136, 16, v136
	v_add_nc_u32_e32 v137, 16, v137
	v_cmp_eq_u32_e32 vcc_lo, 0, v135
	s_or_b32 s73, vcc_lo, s73
	s_waitcnt vmcnt(2) lgkmcnt(0)
	v_mul_f64 v[148:149], v[142:143], v[144:145]
	v_mul_f64 v[144:145], v[140:141], v[144:145]
	s_waitcnt vmcnt(0)
	v_fma_f64 v[140:141], v[140:141], v[146:147], -v[148:149]
	v_fma_f64 v[142:143], v[142:143], v[146:147], v[144:145]
	v_add_f64 v[1:2], v[1:2], v[140:141]
	v_add_f64 v[3:4], v[3:4], v[142:143]
	s_andn2_b32 exec_lo, exec_lo, s73
	s_cbranch_execnz .LBB127_491
; %bb.492:
	s_or_b32 exec_lo, exec_lo, s73
.LBB127_493:
	s_or_b32 exec_lo, exec_lo, s4
.LBB127_494:
	s_or_b32 exec_lo, exec_lo, s8
	v_mov_b32_e32 v135, 0
	ds_read_b128 v[135:138], v135 offset:432
	s_waitcnt lgkmcnt(0)
	v_mul_f64 v[140:141], v[3:4], v[137:138]
	v_mul_f64 v[137:138], v[1:2], v[137:138]
	v_fma_f64 v[1:2], v[1:2], v[135:136], -v[140:141]
	v_fma_f64 v[3:4], v[3:4], v[135:136], v[137:138]
	buffer_store_dword v2, off, s[0:3], 0 offset:436
	buffer_store_dword v1, off, s[0:3], 0 offset:432
	;; [unrolled: 1-line block ×4, first 2 shown]
.LBB127_495:
	s_or_b32 exec_lo, exec_lo, s6
	v_mov_b32_e32 v4, s47
	v_cmp_lt_u32_e64 s4, 26, v0
	s_clause 0x3
	buffer_load_dword v1, v4, s[0:3], 0 offen
	buffer_load_dword v2, v4, s[0:3], 0 offen offset:4
	buffer_load_dword v3, v4, s[0:3], 0 offen offset:8
	;; [unrolled: 1-line block ×3, first 2 shown]
	s_waitcnt vmcnt(0)
	ds_write_b128 v134, v[1:4]
	s_waitcnt lgkmcnt(0)
	s_waitcnt_vscnt null, 0x0
	s_barrier
	buffer_gl0_inv
	s_and_saveexec_b32 s6, s4
	s_cbranch_execz .LBB127_509
; %bb.496:
	ds_read_b128 v[1:4], v134
	s_andn2_b32 vcc_lo, exec_lo, s7
	s_cbranch_vccnz .LBB127_498
; %bb.497:
	s_clause 0x3
	buffer_load_dword v135, v133, s[0:3], 0 offen offset:8
	buffer_load_dword v136, v133, s[0:3], 0 offen offset:12
	buffer_load_dword v137, v133, s[0:3], 0 offen
	buffer_load_dword v138, v133, s[0:3], 0 offen offset:4
	s_waitcnt vmcnt(2) lgkmcnt(0)
	v_mul_f64 v[140:141], v[3:4], v[135:136]
	v_mul_f64 v[135:136], v[1:2], v[135:136]
	s_waitcnt vmcnt(0)
	v_fma_f64 v[1:2], v[1:2], v[137:138], -v[140:141]
	v_fma_f64 v[3:4], v[3:4], v[137:138], v[135:136]
.LBB127_498:
	s_and_saveexec_b32 s8, s5
	s_cbranch_execz .LBB127_508
; %bb.499:
	v_subrev_nc_u32_e32 v136, 28, v0
	v_mov_b32_e32 v137, 27
	v_subrev_nc_u32_e32 v135, 27, v0
	s_mov_b32 s5, exec_lo
	v_cmpx_lt_u32_e32 6, v136
	s_cbranch_execz .LBB127_503
; %bb.500:
	v_and_b32_e32 v136, -8, v135
	s_movk_i32 s74, 0x5b0
	s_mov_b32 s73, 0
	s_mov_b32 s75, s46
	;; [unrolled: 1-line block ×3, first 2 shown]
.LBB127_501:                            ; =>This Inner Loop Header: Depth=1
	v_mov_b32_e32 v140, s75
	v_mov_b32_e32 v186, s74
	s_add_i32 s77, s76, 8
	s_add_i32 s76, s76, 35
	v_cmp_eq_u32_e32 vcc_lo, s77, v136
	s_clause 0x1f
	buffer_load_dword v137, v140, s[0:3], 0 offen offset:8
	buffer_load_dword v138, v140, s[0:3], 0 offen offset:12
	buffer_load_dword v148, v140, s[0:3], 0 offen
	buffer_load_dword v149, v140, s[0:3], 0 offen offset:4
	buffer_load_dword v150, v140, s[0:3], 0 offen offset:24
	;; [unrolled: 1-line block ×29, first 2 shown]
	ds_read_b128 v[140:143], v186
	ds_read_b128 v[144:147], v186 offset:16
	s_addk_i32 s74, 0x80
	s_addk_i32 s75, 0x80
	s_or_b32 s73, vcc_lo, s73
	s_waitcnt vmcnt(30) lgkmcnt(1)
	v_mul_f64 v[178:179], v[142:143], v[137:138]
	v_mul_f64 v[137:138], v[140:141], v[137:138]
	s_waitcnt vmcnt(26) lgkmcnt(0)
	v_mul_f64 v[180:181], v[146:147], v[150:151]
	v_mul_f64 v[182:183], v[144:145], v[150:151]
	v_fma_f64 v[178:179], v[140:141], v[148:149], -v[178:179]
	v_fma_f64 v[137:138], v[142:143], v[148:149], v[137:138]
	ds_read_b128 v[140:143], v186 offset:32
	ds_read_b128 v[148:151], v186 offset:48
	s_waitcnt vmcnt(24)
	v_fma_f64 v[144:145], v[144:145], v[152:153], -v[180:181]
	v_fma_f64 v[146:147], v[146:147], v[152:153], v[182:183]
	s_waitcnt vmcnt(22) lgkmcnt(1)
	v_mul_f64 v[184:185], v[142:143], v[154:155]
	v_mul_f64 v[154:155], v[140:141], v[154:155]
	v_add_f64 v[1:2], v[1:2], v[178:179]
	v_add_f64 v[3:4], v[3:4], v[137:138]
	s_waitcnt vmcnt(18) lgkmcnt(0)
	v_mul_f64 v[137:138], v[150:151], v[158:159]
	v_mul_f64 v[152:153], v[148:149], v[158:159]
	v_fma_f64 v[158:159], v[140:141], v[156:157], -v[184:185]
	v_fma_f64 v[154:155], v[142:143], v[156:157], v[154:155]
	v_add_f64 v[144:145], v[1:2], v[144:145]
	v_add_f64 v[146:147], v[3:4], v[146:147]
	ds_read_b128 v[1:4], v186 offset:64
	ds_read_b128 v[140:143], v186 offset:80
	s_waitcnt vmcnt(16)
	v_fma_f64 v[137:138], v[148:149], v[160:161], -v[137:138]
	v_fma_f64 v[148:149], v[150:151], v[160:161], v[152:153]
	s_waitcnt vmcnt(12) lgkmcnt(1)
	v_mul_f64 v[156:157], v[3:4], v[162:163]
	v_mul_f64 v[162:163], v[1:2], v[162:163]
	v_add_f64 v[144:145], v[144:145], v[158:159]
	v_add_f64 v[146:147], v[146:147], v[154:155]
	s_waitcnt vmcnt(10) lgkmcnt(0)
	v_mul_f64 v[150:151], v[142:143], v[164:165]
	v_mul_f64 v[152:153], v[140:141], v[164:165]
	s_waitcnt vmcnt(8)
	v_fma_f64 v[154:155], v[1:2], v[168:169], -v[156:157]
	v_fma_f64 v[156:157], v[3:4], v[168:169], v[162:163]
	v_add_f64 v[137:138], v[144:145], v[137:138]
	v_add_f64 v[148:149], v[146:147], v[148:149]
	ds_read_b128 v[1:4], v186 offset:96
	ds_read_b128 v[144:147], v186 offset:112
	v_fma_f64 v[140:141], v[140:141], v[166:167], -v[150:151]
	v_fma_f64 v[142:143], v[142:143], v[166:167], v[152:153]
	s_waitcnt vmcnt(4) lgkmcnt(1)
	v_mul_f64 v[158:159], v[3:4], v[170:171]
	v_mul_f64 v[160:161], v[1:2], v[170:171]
	v_add_f64 v[137:138], v[137:138], v[154:155]
	v_add_f64 v[148:149], v[148:149], v[156:157]
	s_waitcnt vmcnt(2) lgkmcnt(0)
	v_mul_f64 v[150:151], v[146:147], v[172:173]
	v_mul_f64 v[152:153], v[144:145], v[172:173]
	s_waitcnt vmcnt(0)
	v_fma_f64 v[1:2], v[1:2], v[176:177], -v[158:159]
	v_fma_f64 v[3:4], v[3:4], v[176:177], v[160:161]
	v_add_f64 v[137:138], v[137:138], v[140:141]
	v_add_f64 v[140:141], v[148:149], v[142:143]
	v_fma_f64 v[142:143], v[144:145], v[174:175], -v[150:151]
	v_fma_f64 v[144:145], v[146:147], v[174:175], v[152:153]
	v_add_f64 v[1:2], v[137:138], v[1:2]
	v_add_f64 v[3:4], v[140:141], v[3:4]
	v_mov_b32_e32 v137, s76
	s_mov_b32 s76, s77
	v_add_f64 v[1:2], v[1:2], v[142:143]
	v_add_f64 v[3:4], v[3:4], v[144:145]
	s_andn2_b32 exec_lo, exec_lo, s73
	s_cbranch_execnz .LBB127_501
; %bb.502:
	s_or_b32 exec_lo, exec_lo, s73
.LBB127_503:
	s_or_b32 exec_lo, exec_lo, s5
	v_and_b32_e32 v135, 7, v135
	s_mov_b32 s73, 0
	s_mov_b32 s5, exec_lo
	v_cmpx_ne_u32_e32 0, v135
	s_cbranch_execz .LBB127_507
; %bb.504:
	v_lshlrev_b32_e32 v137, 4, v137
	v_add_nc_u32_e32 v136, 0x400, v137
	.p2align	6
.LBB127_505:                            ; =>This Inner Loop Header: Depth=1
	s_clause 0x3
	buffer_load_dword v144, v137, s[0:3], 0 offen offset:8
	buffer_load_dword v145, v137, s[0:3], 0 offen offset:12
	buffer_load_dword v146, v137, s[0:3], 0 offen
	buffer_load_dword v147, v137, s[0:3], 0 offen offset:4
	ds_read_b128 v[140:143], v136
	v_add_nc_u32_e32 v135, -1, v135
	v_add_nc_u32_e32 v136, 16, v136
	v_add_nc_u32_e32 v137, 16, v137
	v_cmp_eq_u32_e32 vcc_lo, 0, v135
	s_or_b32 s73, vcc_lo, s73
	s_waitcnt vmcnt(2) lgkmcnt(0)
	v_mul_f64 v[148:149], v[142:143], v[144:145]
	v_mul_f64 v[144:145], v[140:141], v[144:145]
	s_waitcnt vmcnt(0)
	v_fma_f64 v[140:141], v[140:141], v[146:147], -v[148:149]
	v_fma_f64 v[142:143], v[142:143], v[146:147], v[144:145]
	v_add_f64 v[1:2], v[1:2], v[140:141]
	v_add_f64 v[3:4], v[3:4], v[142:143]
	s_andn2_b32 exec_lo, exec_lo, s73
	s_cbranch_execnz .LBB127_505
; %bb.506:
	s_or_b32 exec_lo, exec_lo, s73
.LBB127_507:
	s_or_b32 exec_lo, exec_lo, s5
.LBB127_508:
	s_or_b32 exec_lo, exec_lo, s8
	v_mov_b32_e32 v135, 0
	ds_read_b128 v[135:138], v135 offset:416
	s_waitcnt lgkmcnt(0)
	v_mul_f64 v[140:141], v[3:4], v[137:138]
	v_mul_f64 v[137:138], v[1:2], v[137:138]
	v_fma_f64 v[1:2], v[1:2], v[135:136], -v[140:141]
	v_fma_f64 v[3:4], v[3:4], v[135:136], v[137:138]
	buffer_store_dword v2, off, s[0:3], 0 offset:420
	buffer_store_dword v1, off, s[0:3], 0 offset:416
	;; [unrolled: 1-line block ×4, first 2 shown]
.LBB127_509:
	s_or_b32 exec_lo, exec_lo, s6
	v_mov_b32_e32 v4, s48
	v_cmp_lt_u32_e64 s5, 25, v0
	s_clause 0x3
	buffer_load_dword v1, v4, s[0:3], 0 offen
	buffer_load_dword v2, v4, s[0:3], 0 offen offset:4
	buffer_load_dword v3, v4, s[0:3], 0 offen offset:8
	buffer_load_dword v4, v4, s[0:3], 0 offen offset:12
	s_waitcnt vmcnt(0)
	ds_write_b128 v134, v[1:4]
	s_waitcnt lgkmcnt(0)
	s_waitcnt_vscnt null, 0x0
	s_barrier
	buffer_gl0_inv
	s_and_saveexec_b32 s6, s5
	s_cbranch_execz .LBB127_523
; %bb.510:
	ds_read_b128 v[1:4], v134
	s_andn2_b32 vcc_lo, exec_lo, s7
	s_cbranch_vccnz .LBB127_512
; %bb.511:
	s_clause 0x3
	buffer_load_dword v135, v133, s[0:3], 0 offen offset:8
	buffer_load_dword v136, v133, s[0:3], 0 offen offset:12
	buffer_load_dword v137, v133, s[0:3], 0 offen
	buffer_load_dword v138, v133, s[0:3], 0 offen offset:4
	s_waitcnt vmcnt(2) lgkmcnt(0)
	v_mul_f64 v[140:141], v[3:4], v[135:136]
	v_mul_f64 v[135:136], v[1:2], v[135:136]
	s_waitcnt vmcnt(0)
	v_fma_f64 v[1:2], v[1:2], v[137:138], -v[140:141]
	v_fma_f64 v[3:4], v[3:4], v[137:138], v[135:136]
.LBB127_512:
	s_and_saveexec_b32 s8, s4
	s_cbranch_execz .LBB127_522
; %bb.513:
	v_subrev_nc_u32_e32 v136, 27, v0
	v_mov_b32_e32 v137, 26
	v_subrev_nc_u32_e32 v135, 26, v0
	s_mov_b32 s4, exec_lo
	v_cmpx_lt_u32_e32 6, v136
	s_cbranch_execz .LBB127_517
; %bb.514:
	v_and_b32_e32 v136, -8, v135
	s_movk_i32 s74, 0x5a0
	s_mov_b32 s73, 0
	s_mov_b32 s75, s47
	;; [unrolled: 1-line block ×3, first 2 shown]
.LBB127_515:                            ; =>This Inner Loop Header: Depth=1
	v_mov_b32_e32 v140, s75
	v_mov_b32_e32 v186, s74
	s_add_i32 s77, s76, 8
	s_add_i32 s76, s76, 34
	v_cmp_eq_u32_e32 vcc_lo, s77, v136
	s_clause 0x1f
	buffer_load_dword v137, v140, s[0:3], 0 offen offset:8
	buffer_load_dword v138, v140, s[0:3], 0 offen offset:12
	buffer_load_dword v148, v140, s[0:3], 0 offen
	buffer_load_dword v149, v140, s[0:3], 0 offen offset:4
	buffer_load_dword v150, v140, s[0:3], 0 offen offset:24
	;; [unrolled: 1-line block ×29, first 2 shown]
	ds_read_b128 v[140:143], v186
	ds_read_b128 v[144:147], v186 offset:16
	s_addk_i32 s74, 0x80
	s_addk_i32 s75, 0x80
	s_or_b32 s73, vcc_lo, s73
	s_waitcnt vmcnt(30) lgkmcnt(1)
	v_mul_f64 v[178:179], v[142:143], v[137:138]
	v_mul_f64 v[137:138], v[140:141], v[137:138]
	s_waitcnt vmcnt(26) lgkmcnt(0)
	v_mul_f64 v[180:181], v[146:147], v[150:151]
	v_mul_f64 v[182:183], v[144:145], v[150:151]
	v_fma_f64 v[178:179], v[140:141], v[148:149], -v[178:179]
	v_fma_f64 v[137:138], v[142:143], v[148:149], v[137:138]
	ds_read_b128 v[140:143], v186 offset:32
	ds_read_b128 v[148:151], v186 offset:48
	s_waitcnt vmcnt(24)
	v_fma_f64 v[144:145], v[144:145], v[152:153], -v[180:181]
	v_fma_f64 v[146:147], v[146:147], v[152:153], v[182:183]
	s_waitcnt vmcnt(22) lgkmcnt(1)
	v_mul_f64 v[184:185], v[142:143], v[154:155]
	v_mul_f64 v[154:155], v[140:141], v[154:155]
	v_add_f64 v[1:2], v[1:2], v[178:179]
	v_add_f64 v[3:4], v[3:4], v[137:138]
	s_waitcnt vmcnt(18) lgkmcnt(0)
	v_mul_f64 v[137:138], v[150:151], v[158:159]
	v_mul_f64 v[152:153], v[148:149], v[158:159]
	v_fma_f64 v[158:159], v[140:141], v[156:157], -v[184:185]
	v_fma_f64 v[154:155], v[142:143], v[156:157], v[154:155]
	v_add_f64 v[144:145], v[1:2], v[144:145]
	v_add_f64 v[146:147], v[3:4], v[146:147]
	ds_read_b128 v[1:4], v186 offset:64
	ds_read_b128 v[140:143], v186 offset:80
	s_waitcnt vmcnt(16)
	v_fma_f64 v[137:138], v[148:149], v[160:161], -v[137:138]
	v_fma_f64 v[148:149], v[150:151], v[160:161], v[152:153]
	s_waitcnt vmcnt(12) lgkmcnt(1)
	v_mul_f64 v[156:157], v[3:4], v[162:163]
	v_mul_f64 v[162:163], v[1:2], v[162:163]
	v_add_f64 v[144:145], v[144:145], v[158:159]
	v_add_f64 v[146:147], v[146:147], v[154:155]
	s_waitcnt vmcnt(10) lgkmcnt(0)
	v_mul_f64 v[150:151], v[142:143], v[164:165]
	v_mul_f64 v[152:153], v[140:141], v[164:165]
	s_waitcnt vmcnt(8)
	v_fma_f64 v[154:155], v[1:2], v[168:169], -v[156:157]
	v_fma_f64 v[156:157], v[3:4], v[168:169], v[162:163]
	v_add_f64 v[137:138], v[144:145], v[137:138]
	v_add_f64 v[148:149], v[146:147], v[148:149]
	ds_read_b128 v[1:4], v186 offset:96
	ds_read_b128 v[144:147], v186 offset:112
	v_fma_f64 v[140:141], v[140:141], v[166:167], -v[150:151]
	v_fma_f64 v[142:143], v[142:143], v[166:167], v[152:153]
	s_waitcnt vmcnt(4) lgkmcnt(1)
	v_mul_f64 v[158:159], v[3:4], v[170:171]
	v_mul_f64 v[160:161], v[1:2], v[170:171]
	v_add_f64 v[137:138], v[137:138], v[154:155]
	v_add_f64 v[148:149], v[148:149], v[156:157]
	s_waitcnt vmcnt(2) lgkmcnt(0)
	v_mul_f64 v[150:151], v[146:147], v[172:173]
	v_mul_f64 v[152:153], v[144:145], v[172:173]
	s_waitcnt vmcnt(0)
	v_fma_f64 v[1:2], v[1:2], v[176:177], -v[158:159]
	v_fma_f64 v[3:4], v[3:4], v[176:177], v[160:161]
	v_add_f64 v[137:138], v[137:138], v[140:141]
	v_add_f64 v[140:141], v[148:149], v[142:143]
	v_fma_f64 v[142:143], v[144:145], v[174:175], -v[150:151]
	v_fma_f64 v[144:145], v[146:147], v[174:175], v[152:153]
	v_add_f64 v[1:2], v[137:138], v[1:2]
	v_add_f64 v[3:4], v[140:141], v[3:4]
	v_mov_b32_e32 v137, s76
	s_mov_b32 s76, s77
	v_add_f64 v[1:2], v[1:2], v[142:143]
	v_add_f64 v[3:4], v[3:4], v[144:145]
	s_andn2_b32 exec_lo, exec_lo, s73
	s_cbranch_execnz .LBB127_515
; %bb.516:
	s_or_b32 exec_lo, exec_lo, s73
.LBB127_517:
	s_or_b32 exec_lo, exec_lo, s4
	v_and_b32_e32 v135, 7, v135
	s_mov_b32 s73, 0
	s_mov_b32 s4, exec_lo
	v_cmpx_ne_u32_e32 0, v135
	s_cbranch_execz .LBB127_521
; %bb.518:
	v_lshlrev_b32_e32 v137, 4, v137
	v_add_nc_u32_e32 v136, 0x400, v137
	.p2align	6
.LBB127_519:                            ; =>This Inner Loop Header: Depth=1
	s_clause 0x3
	buffer_load_dword v144, v137, s[0:3], 0 offen offset:8
	buffer_load_dword v145, v137, s[0:3], 0 offen offset:12
	buffer_load_dword v146, v137, s[0:3], 0 offen
	buffer_load_dword v147, v137, s[0:3], 0 offen offset:4
	ds_read_b128 v[140:143], v136
	v_add_nc_u32_e32 v135, -1, v135
	v_add_nc_u32_e32 v136, 16, v136
	v_add_nc_u32_e32 v137, 16, v137
	v_cmp_eq_u32_e32 vcc_lo, 0, v135
	s_or_b32 s73, vcc_lo, s73
	s_waitcnt vmcnt(2) lgkmcnt(0)
	v_mul_f64 v[148:149], v[142:143], v[144:145]
	v_mul_f64 v[144:145], v[140:141], v[144:145]
	s_waitcnt vmcnt(0)
	v_fma_f64 v[140:141], v[140:141], v[146:147], -v[148:149]
	v_fma_f64 v[142:143], v[142:143], v[146:147], v[144:145]
	v_add_f64 v[1:2], v[1:2], v[140:141]
	v_add_f64 v[3:4], v[3:4], v[142:143]
	s_andn2_b32 exec_lo, exec_lo, s73
	s_cbranch_execnz .LBB127_519
; %bb.520:
	s_or_b32 exec_lo, exec_lo, s73
.LBB127_521:
	s_or_b32 exec_lo, exec_lo, s4
.LBB127_522:
	s_or_b32 exec_lo, exec_lo, s8
	v_mov_b32_e32 v135, 0
	ds_read_b128 v[135:138], v135 offset:400
	s_waitcnt lgkmcnt(0)
	v_mul_f64 v[140:141], v[3:4], v[137:138]
	v_mul_f64 v[137:138], v[1:2], v[137:138]
	v_fma_f64 v[1:2], v[1:2], v[135:136], -v[140:141]
	v_fma_f64 v[3:4], v[3:4], v[135:136], v[137:138]
	buffer_store_dword v2, off, s[0:3], 0 offset:404
	buffer_store_dword v1, off, s[0:3], 0 offset:400
	;; [unrolled: 1-line block ×4, first 2 shown]
.LBB127_523:
	s_or_b32 exec_lo, exec_lo, s6
	v_mov_b32_e32 v4, s49
	v_cmp_lt_u32_e64 s4, 24, v0
	s_clause 0x3
	buffer_load_dword v1, v4, s[0:3], 0 offen
	buffer_load_dword v2, v4, s[0:3], 0 offen offset:4
	buffer_load_dword v3, v4, s[0:3], 0 offen offset:8
	;; [unrolled: 1-line block ×3, first 2 shown]
	s_waitcnt vmcnt(0)
	ds_write_b128 v134, v[1:4]
	s_waitcnt lgkmcnt(0)
	s_waitcnt_vscnt null, 0x0
	s_barrier
	buffer_gl0_inv
	s_and_saveexec_b32 s6, s4
	s_cbranch_execz .LBB127_537
; %bb.524:
	ds_read_b128 v[1:4], v134
	s_andn2_b32 vcc_lo, exec_lo, s7
	s_cbranch_vccnz .LBB127_526
; %bb.525:
	s_clause 0x3
	buffer_load_dword v135, v133, s[0:3], 0 offen offset:8
	buffer_load_dword v136, v133, s[0:3], 0 offen offset:12
	buffer_load_dword v137, v133, s[0:3], 0 offen
	buffer_load_dword v138, v133, s[0:3], 0 offen offset:4
	s_waitcnt vmcnt(2) lgkmcnt(0)
	v_mul_f64 v[140:141], v[3:4], v[135:136]
	v_mul_f64 v[135:136], v[1:2], v[135:136]
	s_waitcnt vmcnt(0)
	v_fma_f64 v[1:2], v[1:2], v[137:138], -v[140:141]
	v_fma_f64 v[3:4], v[3:4], v[137:138], v[135:136]
.LBB127_526:
	s_and_saveexec_b32 s8, s5
	s_cbranch_execz .LBB127_536
; %bb.527:
	v_subrev_nc_u32_e32 v136, 26, v0
	v_mov_b32_e32 v137, 25
	v_subrev_nc_u32_e32 v135, 25, v0
	s_mov_b32 s5, exec_lo
	v_cmpx_lt_u32_e32 6, v136
	s_cbranch_execz .LBB127_531
; %bb.528:
	v_and_b32_e32 v136, -8, v135
	s_movk_i32 s74, 0x590
	s_mov_b32 s73, 0
	s_mov_b32 s75, s48
	;; [unrolled: 1-line block ×3, first 2 shown]
.LBB127_529:                            ; =>This Inner Loop Header: Depth=1
	v_mov_b32_e32 v140, s75
	v_mov_b32_e32 v186, s74
	s_add_i32 s77, s76, 8
	s_add_i32 s76, s76, 33
	v_cmp_eq_u32_e32 vcc_lo, s77, v136
	s_clause 0x1f
	buffer_load_dword v137, v140, s[0:3], 0 offen offset:8
	buffer_load_dword v138, v140, s[0:3], 0 offen offset:12
	buffer_load_dword v148, v140, s[0:3], 0 offen
	buffer_load_dword v149, v140, s[0:3], 0 offen offset:4
	buffer_load_dword v150, v140, s[0:3], 0 offen offset:24
	;; [unrolled: 1-line block ×29, first 2 shown]
	ds_read_b128 v[140:143], v186
	ds_read_b128 v[144:147], v186 offset:16
	s_addk_i32 s74, 0x80
	s_addk_i32 s75, 0x80
	s_or_b32 s73, vcc_lo, s73
	s_waitcnt vmcnt(30) lgkmcnt(1)
	v_mul_f64 v[178:179], v[142:143], v[137:138]
	v_mul_f64 v[137:138], v[140:141], v[137:138]
	s_waitcnt vmcnt(26) lgkmcnt(0)
	v_mul_f64 v[180:181], v[146:147], v[150:151]
	v_mul_f64 v[182:183], v[144:145], v[150:151]
	v_fma_f64 v[178:179], v[140:141], v[148:149], -v[178:179]
	v_fma_f64 v[137:138], v[142:143], v[148:149], v[137:138]
	ds_read_b128 v[140:143], v186 offset:32
	ds_read_b128 v[148:151], v186 offset:48
	s_waitcnt vmcnt(24)
	v_fma_f64 v[144:145], v[144:145], v[152:153], -v[180:181]
	v_fma_f64 v[146:147], v[146:147], v[152:153], v[182:183]
	s_waitcnt vmcnt(22) lgkmcnt(1)
	v_mul_f64 v[184:185], v[142:143], v[154:155]
	v_mul_f64 v[154:155], v[140:141], v[154:155]
	v_add_f64 v[1:2], v[1:2], v[178:179]
	v_add_f64 v[3:4], v[3:4], v[137:138]
	s_waitcnt vmcnt(18) lgkmcnt(0)
	v_mul_f64 v[137:138], v[150:151], v[158:159]
	v_mul_f64 v[152:153], v[148:149], v[158:159]
	v_fma_f64 v[158:159], v[140:141], v[156:157], -v[184:185]
	v_fma_f64 v[154:155], v[142:143], v[156:157], v[154:155]
	v_add_f64 v[144:145], v[1:2], v[144:145]
	v_add_f64 v[146:147], v[3:4], v[146:147]
	ds_read_b128 v[1:4], v186 offset:64
	ds_read_b128 v[140:143], v186 offset:80
	s_waitcnt vmcnt(16)
	v_fma_f64 v[137:138], v[148:149], v[160:161], -v[137:138]
	v_fma_f64 v[148:149], v[150:151], v[160:161], v[152:153]
	s_waitcnt vmcnt(12) lgkmcnt(1)
	v_mul_f64 v[156:157], v[3:4], v[162:163]
	v_mul_f64 v[162:163], v[1:2], v[162:163]
	v_add_f64 v[144:145], v[144:145], v[158:159]
	v_add_f64 v[146:147], v[146:147], v[154:155]
	s_waitcnt vmcnt(10) lgkmcnt(0)
	v_mul_f64 v[150:151], v[142:143], v[164:165]
	v_mul_f64 v[152:153], v[140:141], v[164:165]
	s_waitcnt vmcnt(8)
	v_fma_f64 v[154:155], v[1:2], v[168:169], -v[156:157]
	v_fma_f64 v[156:157], v[3:4], v[168:169], v[162:163]
	v_add_f64 v[137:138], v[144:145], v[137:138]
	v_add_f64 v[148:149], v[146:147], v[148:149]
	ds_read_b128 v[1:4], v186 offset:96
	ds_read_b128 v[144:147], v186 offset:112
	v_fma_f64 v[140:141], v[140:141], v[166:167], -v[150:151]
	v_fma_f64 v[142:143], v[142:143], v[166:167], v[152:153]
	s_waitcnt vmcnt(4) lgkmcnt(1)
	v_mul_f64 v[158:159], v[3:4], v[170:171]
	v_mul_f64 v[160:161], v[1:2], v[170:171]
	v_add_f64 v[137:138], v[137:138], v[154:155]
	v_add_f64 v[148:149], v[148:149], v[156:157]
	s_waitcnt vmcnt(2) lgkmcnt(0)
	v_mul_f64 v[150:151], v[146:147], v[172:173]
	v_mul_f64 v[152:153], v[144:145], v[172:173]
	s_waitcnt vmcnt(0)
	v_fma_f64 v[1:2], v[1:2], v[176:177], -v[158:159]
	v_fma_f64 v[3:4], v[3:4], v[176:177], v[160:161]
	v_add_f64 v[137:138], v[137:138], v[140:141]
	v_add_f64 v[140:141], v[148:149], v[142:143]
	v_fma_f64 v[142:143], v[144:145], v[174:175], -v[150:151]
	v_fma_f64 v[144:145], v[146:147], v[174:175], v[152:153]
	v_add_f64 v[1:2], v[137:138], v[1:2]
	v_add_f64 v[3:4], v[140:141], v[3:4]
	v_mov_b32_e32 v137, s76
	s_mov_b32 s76, s77
	v_add_f64 v[1:2], v[1:2], v[142:143]
	v_add_f64 v[3:4], v[3:4], v[144:145]
	s_andn2_b32 exec_lo, exec_lo, s73
	s_cbranch_execnz .LBB127_529
; %bb.530:
	s_or_b32 exec_lo, exec_lo, s73
.LBB127_531:
	s_or_b32 exec_lo, exec_lo, s5
	v_and_b32_e32 v135, 7, v135
	s_mov_b32 s73, 0
	s_mov_b32 s5, exec_lo
	v_cmpx_ne_u32_e32 0, v135
	s_cbranch_execz .LBB127_535
; %bb.532:
	v_lshlrev_b32_e32 v137, 4, v137
	v_add_nc_u32_e32 v136, 0x400, v137
	.p2align	6
.LBB127_533:                            ; =>This Inner Loop Header: Depth=1
	s_clause 0x3
	buffer_load_dword v144, v137, s[0:3], 0 offen offset:8
	buffer_load_dword v145, v137, s[0:3], 0 offen offset:12
	buffer_load_dword v146, v137, s[0:3], 0 offen
	buffer_load_dword v147, v137, s[0:3], 0 offen offset:4
	ds_read_b128 v[140:143], v136
	v_add_nc_u32_e32 v135, -1, v135
	v_add_nc_u32_e32 v136, 16, v136
	v_add_nc_u32_e32 v137, 16, v137
	v_cmp_eq_u32_e32 vcc_lo, 0, v135
	s_or_b32 s73, vcc_lo, s73
	s_waitcnt vmcnt(2) lgkmcnt(0)
	v_mul_f64 v[148:149], v[142:143], v[144:145]
	v_mul_f64 v[144:145], v[140:141], v[144:145]
	s_waitcnt vmcnt(0)
	v_fma_f64 v[140:141], v[140:141], v[146:147], -v[148:149]
	v_fma_f64 v[142:143], v[142:143], v[146:147], v[144:145]
	v_add_f64 v[1:2], v[1:2], v[140:141]
	v_add_f64 v[3:4], v[3:4], v[142:143]
	s_andn2_b32 exec_lo, exec_lo, s73
	s_cbranch_execnz .LBB127_533
; %bb.534:
	s_or_b32 exec_lo, exec_lo, s73
.LBB127_535:
	s_or_b32 exec_lo, exec_lo, s5
.LBB127_536:
	s_or_b32 exec_lo, exec_lo, s8
	v_mov_b32_e32 v135, 0
	ds_read_b128 v[135:138], v135 offset:384
	s_waitcnt lgkmcnt(0)
	v_mul_f64 v[140:141], v[3:4], v[137:138]
	v_mul_f64 v[137:138], v[1:2], v[137:138]
	v_fma_f64 v[1:2], v[1:2], v[135:136], -v[140:141]
	v_fma_f64 v[3:4], v[3:4], v[135:136], v[137:138]
	buffer_store_dword v2, off, s[0:3], 0 offset:388
	buffer_store_dword v1, off, s[0:3], 0 offset:384
	buffer_store_dword v4, off, s[0:3], 0 offset:396
	buffer_store_dword v3, off, s[0:3], 0 offset:392
.LBB127_537:
	s_or_b32 exec_lo, exec_lo, s6
	v_mov_b32_e32 v4, s50
	v_cmp_lt_u32_e64 s5, 23, v0
	s_clause 0x3
	buffer_load_dword v1, v4, s[0:3], 0 offen
	buffer_load_dword v2, v4, s[0:3], 0 offen offset:4
	buffer_load_dword v3, v4, s[0:3], 0 offen offset:8
	;; [unrolled: 1-line block ×3, first 2 shown]
	s_waitcnt vmcnt(0)
	ds_write_b128 v134, v[1:4]
	s_waitcnt lgkmcnt(0)
	s_waitcnt_vscnt null, 0x0
	s_barrier
	buffer_gl0_inv
	s_and_saveexec_b32 s6, s5
	s_cbranch_execz .LBB127_551
; %bb.538:
	ds_read_b128 v[1:4], v134
	s_andn2_b32 vcc_lo, exec_lo, s7
	s_cbranch_vccnz .LBB127_540
; %bb.539:
	s_clause 0x3
	buffer_load_dword v135, v133, s[0:3], 0 offen offset:8
	buffer_load_dword v136, v133, s[0:3], 0 offen offset:12
	buffer_load_dword v137, v133, s[0:3], 0 offen
	buffer_load_dword v138, v133, s[0:3], 0 offen offset:4
	s_waitcnt vmcnt(2) lgkmcnt(0)
	v_mul_f64 v[140:141], v[3:4], v[135:136]
	v_mul_f64 v[135:136], v[1:2], v[135:136]
	s_waitcnt vmcnt(0)
	v_fma_f64 v[1:2], v[1:2], v[137:138], -v[140:141]
	v_fma_f64 v[3:4], v[3:4], v[137:138], v[135:136]
.LBB127_540:
	s_and_saveexec_b32 s8, s4
	s_cbranch_execz .LBB127_550
; %bb.541:
	v_subrev_nc_u32_e32 v135, 25, v0
	v_cmp_lt_u32_e32 vcc_lo, 6, v135
	v_mov_b32_e32 v135, 24
	s_and_saveexec_b32 s4, vcc_lo
	s_cbranch_execz .LBB127_545
; %bb.542:
	v_and_b32_e32 v135, 56, v0
	s_mov_b32 s73, 24
	s_movk_i32 s75, 0x580
	s_mov_b32 s74, 0
	s_mov_b32 s76, s49
.LBB127_543:                            ; =>This Inner Loop Header: Depth=1
	v_mov_b32_e32 v138, s76
	s_add_i32 s73, s73, 8
	s_addk_i32 s76, 0x80
	v_cmp_eq_u32_e32 vcc_lo, s73, v135
	s_clause 0x1f
	buffer_load_dword v136, v138, s[0:3], 0 offen offset:8
	buffer_load_dword v137, v138, s[0:3], 0 offen offset:12
	buffer_load_dword v148, v138, s[0:3], 0 offen
	buffer_load_dword v149, v138, s[0:3], 0 offen offset:4
	buffer_load_dword v150, v138, s[0:3], 0 offen offset:24
	;; [unrolled: 1-line block ×29, first 2 shown]
	v_mov_b32_e32 v138, s75
	s_addk_i32 s75, 0x80
	s_or_b32 s74, vcc_lo, s74
	ds_read_b128 v[140:143], v138
	ds_read_b128 v[144:147], v138 offset:16
	s_waitcnt vmcnt(30) lgkmcnt(1)
	v_mul_f64 v[178:179], v[142:143], v[136:137]
	v_mul_f64 v[136:137], v[140:141], v[136:137]
	s_waitcnt vmcnt(26) lgkmcnt(0)
	v_mul_f64 v[180:181], v[146:147], v[150:151]
	v_mul_f64 v[182:183], v[144:145], v[150:151]
	v_fma_f64 v[178:179], v[140:141], v[148:149], -v[178:179]
	v_fma_f64 v[136:137], v[142:143], v[148:149], v[136:137]
	ds_read_b128 v[140:143], v138 offset:32
	ds_read_b128 v[148:151], v138 offset:48
	s_waitcnt vmcnt(24)
	v_fma_f64 v[144:145], v[144:145], v[152:153], -v[180:181]
	v_fma_f64 v[146:147], v[146:147], v[152:153], v[182:183]
	s_waitcnt vmcnt(22) lgkmcnt(1)
	v_mul_f64 v[184:185], v[142:143], v[154:155]
	v_mul_f64 v[154:155], v[140:141], v[154:155]
	v_add_f64 v[1:2], v[1:2], v[178:179]
	v_add_f64 v[3:4], v[3:4], v[136:137]
	s_waitcnt vmcnt(18) lgkmcnt(0)
	v_mul_f64 v[136:137], v[150:151], v[158:159]
	v_mul_f64 v[152:153], v[148:149], v[158:159]
	v_fma_f64 v[158:159], v[140:141], v[156:157], -v[184:185]
	v_fma_f64 v[154:155], v[142:143], v[156:157], v[154:155]
	v_add_f64 v[144:145], v[1:2], v[144:145]
	v_add_f64 v[146:147], v[3:4], v[146:147]
	ds_read_b128 v[1:4], v138 offset:64
	ds_read_b128 v[140:143], v138 offset:80
	s_waitcnt vmcnt(16)
	v_fma_f64 v[136:137], v[148:149], v[160:161], -v[136:137]
	v_fma_f64 v[148:149], v[150:151], v[160:161], v[152:153]
	s_waitcnt vmcnt(12) lgkmcnt(1)
	v_mul_f64 v[156:157], v[3:4], v[162:163]
	v_mul_f64 v[162:163], v[1:2], v[162:163]
	v_add_f64 v[144:145], v[144:145], v[158:159]
	v_add_f64 v[146:147], v[146:147], v[154:155]
	s_waitcnt vmcnt(10) lgkmcnt(0)
	v_mul_f64 v[150:151], v[142:143], v[164:165]
	v_mul_f64 v[152:153], v[140:141], v[164:165]
	s_waitcnt vmcnt(8)
	v_fma_f64 v[154:155], v[1:2], v[168:169], -v[156:157]
	v_fma_f64 v[156:157], v[3:4], v[168:169], v[162:163]
	v_add_f64 v[136:137], v[144:145], v[136:137]
	v_add_f64 v[148:149], v[146:147], v[148:149]
	ds_read_b128 v[1:4], v138 offset:96
	ds_read_b128 v[144:147], v138 offset:112
	v_fma_f64 v[140:141], v[140:141], v[166:167], -v[150:151]
	v_fma_f64 v[142:143], v[142:143], v[166:167], v[152:153]
	s_waitcnt vmcnt(4) lgkmcnt(1)
	v_mul_f64 v[158:159], v[3:4], v[170:171]
	v_mul_f64 v[160:161], v[1:2], v[170:171]
	v_add_f64 v[136:137], v[136:137], v[154:155]
	v_add_f64 v[148:149], v[148:149], v[156:157]
	s_waitcnt vmcnt(2) lgkmcnt(0)
	v_mul_f64 v[150:151], v[146:147], v[172:173]
	v_mul_f64 v[152:153], v[144:145], v[172:173]
	s_waitcnt vmcnt(0)
	v_fma_f64 v[1:2], v[1:2], v[176:177], -v[158:159]
	v_fma_f64 v[3:4], v[3:4], v[176:177], v[160:161]
	v_add_f64 v[136:137], v[136:137], v[140:141]
	v_add_f64 v[140:141], v[148:149], v[142:143]
	v_fma_f64 v[142:143], v[144:145], v[174:175], -v[150:151]
	v_fma_f64 v[144:145], v[146:147], v[174:175], v[152:153]
	v_add_f64 v[1:2], v[136:137], v[1:2]
	v_add_f64 v[3:4], v[140:141], v[3:4]
	;; [unrolled: 1-line block ×4, first 2 shown]
	s_andn2_b32 exec_lo, exec_lo, s74
	s_cbranch_execnz .LBB127_543
; %bb.544:
	s_or_b32 exec_lo, exec_lo, s74
.LBB127_545:
	s_or_b32 exec_lo, exec_lo, s4
	v_and_b32_e32 v136, 7, v0
	s_mov_b32 s73, 0
	s_mov_b32 s4, exec_lo
	v_cmpx_ne_u32_e32 0, v136
	s_cbranch_execz .LBB127_549
; %bb.546:
	v_lshlrev_b32_e32 v137, 4, v135
	v_or_b32_e32 v135, 0x400, v137
	.p2align	6
.LBB127_547:                            ; =>This Inner Loop Header: Depth=1
	s_clause 0x3
	buffer_load_dword v144, v137, s[0:3], 0 offen offset:8
	buffer_load_dword v145, v137, s[0:3], 0 offen offset:12
	buffer_load_dword v146, v137, s[0:3], 0 offen
	buffer_load_dword v147, v137, s[0:3], 0 offen offset:4
	ds_read_b128 v[140:143], v135
	v_add_nc_u32_e32 v136, -1, v136
	v_add_nc_u32_e32 v135, 16, v135
	v_add_nc_u32_e32 v137, 16, v137
	v_cmp_eq_u32_e32 vcc_lo, 0, v136
	s_or_b32 s73, vcc_lo, s73
	s_waitcnt vmcnt(2) lgkmcnt(0)
	v_mul_f64 v[148:149], v[142:143], v[144:145]
	v_mul_f64 v[144:145], v[140:141], v[144:145]
	s_waitcnt vmcnt(0)
	v_fma_f64 v[140:141], v[140:141], v[146:147], -v[148:149]
	v_fma_f64 v[142:143], v[142:143], v[146:147], v[144:145]
	v_add_f64 v[1:2], v[1:2], v[140:141]
	v_add_f64 v[3:4], v[3:4], v[142:143]
	s_andn2_b32 exec_lo, exec_lo, s73
	s_cbranch_execnz .LBB127_547
; %bb.548:
	s_or_b32 exec_lo, exec_lo, s73
.LBB127_549:
	s_or_b32 exec_lo, exec_lo, s4
.LBB127_550:
	s_or_b32 exec_lo, exec_lo, s8
	v_mov_b32_e32 v135, 0
	ds_read_b128 v[135:138], v135 offset:368
	s_waitcnt lgkmcnt(0)
	v_mul_f64 v[140:141], v[3:4], v[137:138]
	v_mul_f64 v[137:138], v[1:2], v[137:138]
	v_fma_f64 v[1:2], v[1:2], v[135:136], -v[140:141]
	v_fma_f64 v[3:4], v[3:4], v[135:136], v[137:138]
	buffer_store_dword v2, off, s[0:3], 0 offset:372
	buffer_store_dword v1, off, s[0:3], 0 offset:368
	buffer_store_dword v4, off, s[0:3], 0 offset:380
	buffer_store_dword v3, off, s[0:3], 0 offset:376
.LBB127_551:
	s_or_b32 exec_lo, exec_lo, s6
	v_mov_b32_e32 v4, s51
	v_cmp_lt_u32_e64 s4, 22, v0
	s_clause 0x3
	buffer_load_dword v1, v4, s[0:3], 0 offen
	buffer_load_dword v2, v4, s[0:3], 0 offen offset:4
	buffer_load_dword v3, v4, s[0:3], 0 offen offset:8
	;; [unrolled: 1-line block ×3, first 2 shown]
	s_waitcnt vmcnt(0)
	ds_write_b128 v134, v[1:4]
	s_waitcnt lgkmcnt(0)
	s_waitcnt_vscnt null, 0x0
	s_barrier
	buffer_gl0_inv
	s_and_saveexec_b32 s6, s4
	s_cbranch_execz .LBB127_565
; %bb.552:
	ds_read_b128 v[1:4], v134
	s_andn2_b32 vcc_lo, exec_lo, s7
	s_cbranch_vccnz .LBB127_554
; %bb.553:
	s_clause 0x3
	buffer_load_dword v135, v133, s[0:3], 0 offen offset:8
	buffer_load_dword v136, v133, s[0:3], 0 offen offset:12
	buffer_load_dword v137, v133, s[0:3], 0 offen
	buffer_load_dword v138, v133, s[0:3], 0 offen offset:4
	s_waitcnt vmcnt(2) lgkmcnt(0)
	v_mul_f64 v[140:141], v[3:4], v[135:136]
	v_mul_f64 v[135:136], v[1:2], v[135:136]
	s_waitcnt vmcnt(0)
	v_fma_f64 v[1:2], v[1:2], v[137:138], -v[140:141]
	v_fma_f64 v[3:4], v[3:4], v[137:138], v[135:136]
.LBB127_554:
	s_and_saveexec_b32 s8, s5
	s_cbranch_execz .LBB127_564
; %bb.555:
	v_subrev_nc_u32_e32 v136, 24, v0
	v_mov_b32_e32 v137, 23
	v_subrev_nc_u32_e32 v135, 23, v0
	s_mov_b32 s5, exec_lo
	v_cmpx_lt_u32_e32 6, v136
	s_cbranch_execz .LBB127_559
; %bb.556:
	v_and_b32_e32 v136, -8, v135
	s_movk_i32 s74, 0x570
	s_mov_b32 s73, 0
	s_mov_b32 s75, s50
	;; [unrolled: 1-line block ×3, first 2 shown]
.LBB127_557:                            ; =>This Inner Loop Header: Depth=1
	v_mov_b32_e32 v140, s75
	v_mov_b32_e32 v186, s74
	s_add_i32 s77, s76, 8
	s_add_i32 s76, s76, 31
	v_cmp_eq_u32_e32 vcc_lo, s77, v136
	s_clause 0x1f
	buffer_load_dword v137, v140, s[0:3], 0 offen offset:8
	buffer_load_dword v138, v140, s[0:3], 0 offen offset:12
	buffer_load_dword v148, v140, s[0:3], 0 offen
	buffer_load_dword v149, v140, s[0:3], 0 offen offset:4
	buffer_load_dword v150, v140, s[0:3], 0 offen offset:24
	;; [unrolled: 1-line block ×29, first 2 shown]
	ds_read_b128 v[140:143], v186
	ds_read_b128 v[144:147], v186 offset:16
	s_addk_i32 s74, 0x80
	s_addk_i32 s75, 0x80
	s_or_b32 s73, vcc_lo, s73
	s_waitcnt vmcnt(30) lgkmcnt(1)
	v_mul_f64 v[178:179], v[142:143], v[137:138]
	v_mul_f64 v[137:138], v[140:141], v[137:138]
	s_waitcnt vmcnt(26) lgkmcnt(0)
	v_mul_f64 v[180:181], v[146:147], v[150:151]
	v_mul_f64 v[182:183], v[144:145], v[150:151]
	v_fma_f64 v[178:179], v[140:141], v[148:149], -v[178:179]
	v_fma_f64 v[137:138], v[142:143], v[148:149], v[137:138]
	ds_read_b128 v[140:143], v186 offset:32
	ds_read_b128 v[148:151], v186 offset:48
	s_waitcnt vmcnt(24)
	v_fma_f64 v[144:145], v[144:145], v[152:153], -v[180:181]
	v_fma_f64 v[146:147], v[146:147], v[152:153], v[182:183]
	s_waitcnt vmcnt(22) lgkmcnt(1)
	v_mul_f64 v[184:185], v[142:143], v[154:155]
	v_mul_f64 v[154:155], v[140:141], v[154:155]
	v_add_f64 v[1:2], v[1:2], v[178:179]
	v_add_f64 v[3:4], v[3:4], v[137:138]
	s_waitcnt vmcnt(18) lgkmcnt(0)
	v_mul_f64 v[137:138], v[150:151], v[158:159]
	v_mul_f64 v[152:153], v[148:149], v[158:159]
	v_fma_f64 v[158:159], v[140:141], v[156:157], -v[184:185]
	v_fma_f64 v[154:155], v[142:143], v[156:157], v[154:155]
	v_add_f64 v[144:145], v[1:2], v[144:145]
	v_add_f64 v[146:147], v[3:4], v[146:147]
	ds_read_b128 v[1:4], v186 offset:64
	ds_read_b128 v[140:143], v186 offset:80
	s_waitcnt vmcnt(16)
	v_fma_f64 v[137:138], v[148:149], v[160:161], -v[137:138]
	v_fma_f64 v[148:149], v[150:151], v[160:161], v[152:153]
	s_waitcnt vmcnt(12) lgkmcnt(1)
	v_mul_f64 v[156:157], v[3:4], v[162:163]
	v_mul_f64 v[162:163], v[1:2], v[162:163]
	v_add_f64 v[144:145], v[144:145], v[158:159]
	v_add_f64 v[146:147], v[146:147], v[154:155]
	s_waitcnt vmcnt(10) lgkmcnt(0)
	v_mul_f64 v[150:151], v[142:143], v[164:165]
	v_mul_f64 v[152:153], v[140:141], v[164:165]
	s_waitcnt vmcnt(8)
	v_fma_f64 v[154:155], v[1:2], v[168:169], -v[156:157]
	v_fma_f64 v[156:157], v[3:4], v[168:169], v[162:163]
	v_add_f64 v[137:138], v[144:145], v[137:138]
	v_add_f64 v[148:149], v[146:147], v[148:149]
	ds_read_b128 v[1:4], v186 offset:96
	ds_read_b128 v[144:147], v186 offset:112
	v_fma_f64 v[140:141], v[140:141], v[166:167], -v[150:151]
	v_fma_f64 v[142:143], v[142:143], v[166:167], v[152:153]
	s_waitcnt vmcnt(4) lgkmcnt(1)
	v_mul_f64 v[158:159], v[3:4], v[170:171]
	v_mul_f64 v[160:161], v[1:2], v[170:171]
	v_add_f64 v[137:138], v[137:138], v[154:155]
	v_add_f64 v[148:149], v[148:149], v[156:157]
	s_waitcnt vmcnt(2) lgkmcnt(0)
	v_mul_f64 v[150:151], v[146:147], v[172:173]
	v_mul_f64 v[152:153], v[144:145], v[172:173]
	s_waitcnt vmcnt(0)
	v_fma_f64 v[1:2], v[1:2], v[176:177], -v[158:159]
	v_fma_f64 v[3:4], v[3:4], v[176:177], v[160:161]
	v_add_f64 v[137:138], v[137:138], v[140:141]
	v_add_f64 v[140:141], v[148:149], v[142:143]
	v_fma_f64 v[142:143], v[144:145], v[174:175], -v[150:151]
	v_fma_f64 v[144:145], v[146:147], v[174:175], v[152:153]
	v_add_f64 v[1:2], v[137:138], v[1:2]
	v_add_f64 v[3:4], v[140:141], v[3:4]
	v_mov_b32_e32 v137, s76
	s_mov_b32 s76, s77
	v_add_f64 v[1:2], v[1:2], v[142:143]
	v_add_f64 v[3:4], v[3:4], v[144:145]
	s_andn2_b32 exec_lo, exec_lo, s73
	s_cbranch_execnz .LBB127_557
; %bb.558:
	s_or_b32 exec_lo, exec_lo, s73
.LBB127_559:
	s_or_b32 exec_lo, exec_lo, s5
	v_and_b32_e32 v135, 7, v135
	s_mov_b32 s73, 0
	s_mov_b32 s5, exec_lo
	v_cmpx_ne_u32_e32 0, v135
	s_cbranch_execz .LBB127_563
; %bb.560:
	v_lshlrev_b32_e32 v137, 4, v137
	v_add_nc_u32_e32 v136, 0x400, v137
	.p2align	6
.LBB127_561:                            ; =>This Inner Loop Header: Depth=1
	s_clause 0x3
	buffer_load_dword v144, v137, s[0:3], 0 offen offset:8
	buffer_load_dword v145, v137, s[0:3], 0 offen offset:12
	buffer_load_dword v146, v137, s[0:3], 0 offen
	buffer_load_dword v147, v137, s[0:3], 0 offen offset:4
	ds_read_b128 v[140:143], v136
	v_add_nc_u32_e32 v135, -1, v135
	v_add_nc_u32_e32 v136, 16, v136
	v_add_nc_u32_e32 v137, 16, v137
	v_cmp_eq_u32_e32 vcc_lo, 0, v135
	s_or_b32 s73, vcc_lo, s73
	s_waitcnt vmcnt(2) lgkmcnt(0)
	v_mul_f64 v[148:149], v[142:143], v[144:145]
	v_mul_f64 v[144:145], v[140:141], v[144:145]
	s_waitcnt vmcnt(0)
	v_fma_f64 v[140:141], v[140:141], v[146:147], -v[148:149]
	v_fma_f64 v[142:143], v[142:143], v[146:147], v[144:145]
	v_add_f64 v[1:2], v[1:2], v[140:141]
	v_add_f64 v[3:4], v[3:4], v[142:143]
	s_andn2_b32 exec_lo, exec_lo, s73
	s_cbranch_execnz .LBB127_561
; %bb.562:
	s_or_b32 exec_lo, exec_lo, s73
.LBB127_563:
	s_or_b32 exec_lo, exec_lo, s5
.LBB127_564:
	s_or_b32 exec_lo, exec_lo, s8
	v_mov_b32_e32 v135, 0
	ds_read_b128 v[135:138], v135 offset:352
	s_waitcnt lgkmcnt(0)
	v_mul_f64 v[140:141], v[3:4], v[137:138]
	v_mul_f64 v[137:138], v[1:2], v[137:138]
	v_fma_f64 v[1:2], v[1:2], v[135:136], -v[140:141]
	v_fma_f64 v[3:4], v[3:4], v[135:136], v[137:138]
	buffer_store_dword v2, off, s[0:3], 0 offset:356
	buffer_store_dword v1, off, s[0:3], 0 offset:352
	;; [unrolled: 1-line block ×4, first 2 shown]
.LBB127_565:
	s_or_b32 exec_lo, exec_lo, s6
	v_mov_b32_e32 v4, s52
	v_cmp_lt_u32_e64 s5, 21, v0
	s_clause 0x3
	buffer_load_dword v1, v4, s[0:3], 0 offen
	buffer_load_dword v2, v4, s[0:3], 0 offen offset:4
	buffer_load_dword v3, v4, s[0:3], 0 offen offset:8
	;; [unrolled: 1-line block ×3, first 2 shown]
	s_waitcnt vmcnt(0)
	ds_write_b128 v134, v[1:4]
	s_waitcnt lgkmcnt(0)
	s_waitcnt_vscnt null, 0x0
	s_barrier
	buffer_gl0_inv
	s_and_saveexec_b32 s6, s5
	s_cbranch_execz .LBB127_579
; %bb.566:
	ds_read_b128 v[1:4], v134
	s_andn2_b32 vcc_lo, exec_lo, s7
	s_cbranch_vccnz .LBB127_568
; %bb.567:
	s_clause 0x3
	buffer_load_dword v135, v133, s[0:3], 0 offen offset:8
	buffer_load_dword v136, v133, s[0:3], 0 offen offset:12
	buffer_load_dword v137, v133, s[0:3], 0 offen
	buffer_load_dword v138, v133, s[0:3], 0 offen offset:4
	s_waitcnt vmcnt(2) lgkmcnt(0)
	v_mul_f64 v[140:141], v[3:4], v[135:136]
	v_mul_f64 v[135:136], v[1:2], v[135:136]
	s_waitcnt vmcnt(0)
	v_fma_f64 v[1:2], v[1:2], v[137:138], -v[140:141]
	v_fma_f64 v[3:4], v[3:4], v[137:138], v[135:136]
.LBB127_568:
	s_and_saveexec_b32 s8, s4
	s_cbranch_execz .LBB127_578
; %bb.569:
	v_subrev_nc_u32_e32 v136, 23, v0
	v_mov_b32_e32 v137, 22
	v_subrev_nc_u32_e32 v135, 22, v0
	s_mov_b32 s4, exec_lo
	v_cmpx_lt_u32_e32 6, v136
	s_cbranch_execz .LBB127_573
; %bb.570:
	v_and_b32_e32 v136, -8, v135
	s_movk_i32 s74, 0x560
	s_mov_b32 s73, 0
	s_mov_b32 s75, s51
	;; [unrolled: 1-line block ×3, first 2 shown]
.LBB127_571:                            ; =>This Inner Loop Header: Depth=1
	v_mov_b32_e32 v140, s75
	v_mov_b32_e32 v186, s74
	s_add_i32 s77, s76, 8
	s_add_i32 s76, s76, 30
	v_cmp_eq_u32_e32 vcc_lo, s77, v136
	s_clause 0x1f
	buffer_load_dword v137, v140, s[0:3], 0 offen offset:8
	buffer_load_dword v138, v140, s[0:3], 0 offen offset:12
	buffer_load_dword v148, v140, s[0:3], 0 offen
	buffer_load_dword v149, v140, s[0:3], 0 offen offset:4
	buffer_load_dword v150, v140, s[0:3], 0 offen offset:24
	;; [unrolled: 1-line block ×29, first 2 shown]
	ds_read_b128 v[140:143], v186
	ds_read_b128 v[144:147], v186 offset:16
	s_addk_i32 s74, 0x80
	s_addk_i32 s75, 0x80
	s_or_b32 s73, vcc_lo, s73
	s_waitcnt vmcnt(30) lgkmcnt(1)
	v_mul_f64 v[178:179], v[142:143], v[137:138]
	v_mul_f64 v[137:138], v[140:141], v[137:138]
	s_waitcnt vmcnt(26) lgkmcnt(0)
	v_mul_f64 v[180:181], v[146:147], v[150:151]
	v_mul_f64 v[182:183], v[144:145], v[150:151]
	v_fma_f64 v[178:179], v[140:141], v[148:149], -v[178:179]
	v_fma_f64 v[137:138], v[142:143], v[148:149], v[137:138]
	ds_read_b128 v[140:143], v186 offset:32
	ds_read_b128 v[148:151], v186 offset:48
	s_waitcnt vmcnt(24)
	v_fma_f64 v[144:145], v[144:145], v[152:153], -v[180:181]
	v_fma_f64 v[146:147], v[146:147], v[152:153], v[182:183]
	s_waitcnt vmcnt(22) lgkmcnt(1)
	v_mul_f64 v[184:185], v[142:143], v[154:155]
	v_mul_f64 v[154:155], v[140:141], v[154:155]
	v_add_f64 v[1:2], v[1:2], v[178:179]
	v_add_f64 v[3:4], v[3:4], v[137:138]
	s_waitcnt vmcnt(18) lgkmcnt(0)
	v_mul_f64 v[137:138], v[150:151], v[158:159]
	v_mul_f64 v[152:153], v[148:149], v[158:159]
	v_fma_f64 v[158:159], v[140:141], v[156:157], -v[184:185]
	v_fma_f64 v[154:155], v[142:143], v[156:157], v[154:155]
	v_add_f64 v[144:145], v[1:2], v[144:145]
	v_add_f64 v[146:147], v[3:4], v[146:147]
	ds_read_b128 v[1:4], v186 offset:64
	ds_read_b128 v[140:143], v186 offset:80
	s_waitcnt vmcnt(16)
	v_fma_f64 v[137:138], v[148:149], v[160:161], -v[137:138]
	v_fma_f64 v[148:149], v[150:151], v[160:161], v[152:153]
	s_waitcnt vmcnt(12) lgkmcnt(1)
	v_mul_f64 v[156:157], v[3:4], v[162:163]
	v_mul_f64 v[162:163], v[1:2], v[162:163]
	v_add_f64 v[144:145], v[144:145], v[158:159]
	v_add_f64 v[146:147], v[146:147], v[154:155]
	s_waitcnt vmcnt(10) lgkmcnt(0)
	v_mul_f64 v[150:151], v[142:143], v[164:165]
	v_mul_f64 v[152:153], v[140:141], v[164:165]
	s_waitcnt vmcnt(8)
	v_fma_f64 v[154:155], v[1:2], v[168:169], -v[156:157]
	v_fma_f64 v[156:157], v[3:4], v[168:169], v[162:163]
	v_add_f64 v[137:138], v[144:145], v[137:138]
	v_add_f64 v[148:149], v[146:147], v[148:149]
	ds_read_b128 v[1:4], v186 offset:96
	ds_read_b128 v[144:147], v186 offset:112
	v_fma_f64 v[140:141], v[140:141], v[166:167], -v[150:151]
	v_fma_f64 v[142:143], v[142:143], v[166:167], v[152:153]
	s_waitcnt vmcnt(4) lgkmcnt(1)
	v_mul_f64 v[158:159], v[3:4], v[170:171]
	v_mul_f64 v[160:161], v[1:2], v[170:171]
	v_add_f64 v[137:138], v[137:138], v[154:155]
	v_add_f64 v[148:149], v[148:149], v[156:157]
	s_waitcnt vmcnt(2) lgkmcnt(0)
	v_mul_f64 v[150:151], v[146:147], v[172:173]
	v_mul_f64 v[152:153], v[144:145], v[172:173]
	s_waitcnt vmcnt(0)
	v_fma_f64 v[1:2], v[1:2], v[176:177], -v[158:159]
	v_fma_f64 v[3:4], v[3:4], v[176:177], v[160:161]
	v_add_f64 v[137:138], v[137:138], v[140:141]
	v_add_f64 v[140:141], v[148:149], v[142:143]
	v_fma_f64 v[142:143], v[144:145], v[174:175], -v[150:151]
	v_fma_f64 v[144:145], v[146:147], v[174:175], v[152:153]
	v_add_f64 v[1:2], v[137:138], v[1:2]
	v_add_f64 v[3:4], v[140:141], v[3:4]
	v_mov_b32_e32 v137, s76
	s_mov_b32 s76, s77
	v_add_f64 v[1:2], v[1:2], v[142:143]
	v_add_f64 v[3:4], v[3:4], v[144:145]
	s_andn2_b32 exec_lo, exec_lo, s73
	s_cbranch_execnz .LBB127_571
; %bb.572:
	s_or_b32 exec_lo, exec_lo, s73
.LBB127_573:
	s_or_b32 exec_lo, exec_lo, s4
	v_and_b32_e32 v135, 7, v135
	s_mov_b32 s73, 0
	s_mov_b32 s4, exec_lo
	v_cmpx_ne_u32_e32 0, v135
	s_cbranch_execz .LBB127_577
; %bb.574:
	v_lshlrev_b32_e32 v137, 4, v137
	v_add_nc_u32_e32 v136, 0x400, v137
	.p2align	6
.LBB127_575:                            ; =>This Inner Loop Header: Depth=1
	s_clause 0x3
	buffer_load_dword v144, v137, s[0:3], 0 offen offset:8
	buffer_load_dword v145, v137, s[0:3], 0 offen offset:12
	buffer_load_dword v146, v137, s[0:3], 0 offen
	buffer_load_dword v147, v137, s[0:3], 0 offen offset:4
	ds_read_b128 v[140:143], v136
	v_add_nc_u32_e32 v135, -1, v135
	v_add_nc_u32_e32 v136, 16, v136
	v_add_nc_u32_e32 v137, 16, v137
	v_cmp_eq_u32_e32 vcc_lo, 0, v135
	s_or_b32 s73, vcc_lo, s73
	s_waitcnt vmcnt(2) lgkmcnt(0)
	v_mul_f64 v[148:149], v[142:143], v[144:145]
	v_mul_f64 v[144:145], v[140:141], v[144:145]
	s_waitcnt vmcnt(0)
	v_fma_f64 v[140:141], v[140:141], v[146:147], -v[148:149]
	v_fma_f64 v[142:143], v[142:143], v[146:147], v[144:145]
	v_add_f64 v[1:2], v[1:2], v[140:141]
	v_add_f64 v[3:4], v[3:4], v[142:143]
	s_andn2_b32 exec_lo, exec_lo, s73
	s_cbranch_execnz .LBB127_575
; %bb.576:
	s_or_b32 exec_lo, exec_lo, s73
.LBB127_577:
	s_or_b32 exec_lo, exec_lo, s4
.LBB127_578:
	s_or_b32 exec_lo, exec_lo, s8
	v_mov_b32_e32 v135, 0
	ds_read_b128 v[135:138], v135 offset:336
	s_waitcnt lgkmcnt(0)
	v_mul_f64 v[140:141], v[3:4], v[137:138]
	v_mul_f64 v[137:138], v[1:2], v[137:138]
	v_fma_f64 v[1:2], v[1:2], v[135:136], -v[140:141]
	v_fma_f64 v[3:4], v[3:4], v[135:136], v[137:138]
	buffer_store_dword v2, off, s[0:3], 0 offset:340
	buffer_store_dword v1, off, s[0:3], 0 offset:336
	;; [unrolled: 1-line block ×4, first 2 shown]
.LBB127_579:
	s_or_b32 exec_lo, exec_lo, s6
	v_mov_b32_e32 v4, s53
	v_cmp_lt_u32_e64 s4, 20, v0
	s_clause 0x3
	buffer_load_dword v1, v4, s[0:3], 0 offen
	buffer_load_dword v2, v4, s[0:3], 0 offen offset:4
	buffer_load_dword v3, v4, s[0:3], 0 offen offset:8
	;; [unrolled: 1-line block ×3, first 2 shown]
	s_waitcnt vmcnt(0)
	ds_write_b128 v134, v[1:4]
	s_waitcnt lgkmcnt(0)
	s_waitcnt_vscnt null, 0x0
	s_barrier
	buffer_gl0_inv
	s_and_saveexec_b32 s6, s4
	s_cbranch_execz .LBB127_593
; %bb.580:
	ds_read_b128 v[1:4], v134
	s_andn2_b32 vcc_lo, exec_lo, s7
	s_cbranch_vccnz .LBB127_582
; %bb.581:
	s_clause 0x3
	buffer_load_dword v135, v133, s[0:3], 0 offen offset:8
	buffer_load_dword v136, v133, s[0:3], 0 offen offset:12
	buffer_load_dword v137, v133, s[0:3], 0 offen
	buffer_load_dword v138, v133, s[0:3], 0 offen offset:4
	s_waitcnt vmcnt(2) lgkmcnt(0)
	v_mul_f64 v[140:141], v[3:4], v[135:136]
	v_mul_f64 v[135:136], v[1:2], v[135:136]
	s_waitcnt vmcnt(0)
	v_fma_f64 v[1:2], v[1:2], v[137:138], -v[140:141]
	v_fma_f64 v[3:4], v[3:4], v[137:138], v[135:136]
.LBB127_582:
	s_and_saveexec_b32 s8, s5
	s_cbranch_execz .LBB127_592
; %bb.583:
	v_subrev_nc_u32_e32 v136, 22, v0
	v_mov_b32_e32 v137, 21
	v_subrev_nc_u32_e32 v135, 21, v0
	s_mov_b32 s5, exec_lo
	v_cmpx_lt_u32_e32 6, v136
	s_cbranch_execz .LBB127_587
; %bb.584:
	v_and_b32_e32 v136, -8, v135
	s_movk_i32 s74, 0x550
	s_mov_b32 s73, 0
	s_mov_b32 s75, s52
	;; [unrolled: 1-line block ×3, first 2 shown]
.LBB127_585:                            ; =>This Inner Loop Header: Depth=1
	v_mov_b32_e32 v140, s75
	v_mov_b32_e32 v186, s74
	s_add_i32 s77, s76, 8
	s_add_i32 s76, s76, 29
	v_cmp_eq_u32_e32 vcc_lo, s77, v136
	s_clause 0x1f
	buffer_load_dword v137, v140, s[0:3], 0 offen offset:8
	buffer_load_dword v138, v140, s[0:3], 0 offen offset:12
	buffer_load_dword v148, v140, s[0:3], 0 offen
	buffer_load_dword v149, v140, s[0:3], 0 offen offset:4
	buffer_load_dword v150, v140, s[0:3], 0 offen offset:24
	;; [unrolled: 1-line block ×29, first 2 shown]
	ds_read_b128 v[140:143], v186
	ds_read_b128 v[144:147], v186 offset:16
	s_addk_i32 s74, 0x80
	s_addk_i32 s75, 0x80
	s_or_b32 s73, vcc_lo, s73
	s_waitcnt vmcnt(30) lgkmcnt(1)
	v_mul_f64 v[178:179], v[142:143], v[137:138]
	v_mul_f64 v[137:138], v[140:141], v[137:138]
	s_waitcnt vmcnt(26) lgkmcnt(0)
	v_mul_f64 v[180:181], v[146:147], v[150:151]
	v_mul_f64 v[182:183], v[144:145], v[150:151]
	v_fma_f64 v[178:179], v[140:141], v[148:149], -v[178:179]
	v_fma_f64 v[137:138], v[142:143], v[148:149], v[137:138]
	ds_read_b128 v[140:143], v186 offset:32
	ds_read_b128 v[148:151], v186 offset:48
	s_waitcnt vmcnt(24)
	v_fma_f64 v[144:145], v[144:145], v[152:153], -v[180:181]
	v_fma_f64 v[146:147], v[146:147], v[152:153], v[182:183]
	s_waitcnt vmcnt(22) lgkmcnt(1)
	v_mul_f64 v[184:185], v[142:143], v[154:155]
	v_mul_f64 v[154:155], v[140:141], v[154:155]
	v_add_f64 v[1:2], v[1:2], v[178:179]
	v_add_f64 v[3:4], v[3:4], v[137:138]
	s_waitcnt vmcnt(18) lgkmcnt(0)
	v_mul_f64 v[137:138], v[150:151], v[158:159]
	v_mul_f64 v[152:153], v[148:149], v[158:159]
	v_fma_f64 v[158:159], v[140:141], v[156:157], -v[184:185]
	v_fma_f64 v[154:155], v[142:143], v[156:157], v[154:155]
	v_add_f64 v[144:145], v[1:2], v[144:145]
	v_add_f64 v[146:147], v[3:4], v[146:147]
	ds_read_b128 v[1:4], v186 offset:64
	ds_read_b128 v[140:143], v186 offset:80
	s_waitcnt vmcnt(16)
	v_fma_f64 v[137:138], v[148:149], v[160:161], -v[137:138]
	v_fma_f64 v[148:149], v[150:151], v[160:161], v[152:153]
	s_waitcnt vmcnt(12) lgkmcnt(1)
	v_mul_f64 v[156:157], v[3:4], v[162:163]
	v_mul_f64 v[162:163], v[1:2], v[162:163]
	v_add_f64 v[144:145], v[144:145], v[158:159]
	v_add_f64 v[146:147], v[146:147], v[154:155]
	s_waitcnt vmcnt(10) lgkmcnt(0)
	v_mul_f64 v[150:151], v[142:143], v[164:165]
	v_mul_f64 v[152:153], v[140:141], v[164:165]
	s_waitcnt vmcnt(8)
	v_fma_f64 v[154:155], v[1:2], v[168:169], -v[156:157]
	v_fma_f64 v[156:157], v[3:4], v[168:169], v[162:163]
	v_add_f64 v[137:138], v[144:145], v[137:138]
	v_add_f64 v[148:149], v[146:147], v[148:149]
	ds_read_b128 v[1:4], v186 offset:96
	ds_read_b128 v[144:147], v186 offset:112
	v_fma_f64 v[140:141], v[140:141], v[166:167], -v[150:151]
	v_fma_f64 v[142:143], v[142:143], v[166:167], v[152:153]
	s_waitcnt vmcnt(4) lgkmcnt(1)
	v_mul_f64 v[158:159], v[3:4], v[170:171]
	v_mul_f64 v[160:161], v[1:2], v[170:171]
	v_add_f64 v[137:138], v[137:138], v[154:155]
	v_add_f64 v[148:149], v[148:149], v[156:157]
	s_waitcnt vmcnt(2) lgkmcnt(0)
	v_mul_f64 v[150:151], v[146:147], v[172:173]
	v_mul_f64 v[152:153], v[144:145], v[172:173]
	s_waitcnt vmcnt(0)
	v_fma_f64 v[1:2], v[1:2], v[176:177], -v[158:159]
	v_fma_f64 v[3:4], v[3:4], v[176:177], v[160:161]
	v_add_f64 v[137:138], v[137:138], v[140:141]
	v_add_f64 v[140:141], v[148:149], v[142:143]
	v_fma_f64 v[142:143], v[144:145], v[174:175], -v[150:151]
	v_fma_f64 v[144:145], v[146:147], v[174:175], v[152:153]
	v_add_f64 v[1:2], v[137:138], v[1:2]
	v_add_f64 v[3:4], v[140:141], v[3:4]
	v_mov_b32_e32 v137, s76
	s_mov_b32 s76, s77
	v_add_f64 v[1:2], v[1:2], v[142:143]
	v_add_f64 v[3:4], v[3:4], v[144:145]
	s_andn2_b32 exec_lo, exec_lo, s73
	s_cbranch_execnz .LBB127_585
; %bb.586:
	s_or_b32 exec_lo, exec_lo, s73
.LBB127_587:
	s_or_b32 exec_lo, exec_lo, s5
	v_and_b32_e32 v135, 7, v135
	s_mov_b32 s73, 0
	s_mov_b32 s5, exec_lo
	v_cmpx_ne_u32_e32 0, v135
	s_cbranch_execz .LBB127_591
; %bb.588:
	v_lshlrev_b32_e32 v137, 4, v137
	v_add_nc_u32_e32 v136, 0x400, v137
	.p2align	6
.LBB127_589:                            ; =>This Inner Loop Header: Depth=1
	s_clause 0x3
	buffer_load_dword v144, v137, s[0:3], 0 offen offset:8
	buffer_load_dword v145, v137, s[0:3], 0 offen offset:12
	buffer_load_dword v146, v137, s[0:3], 0 offen
	buffer_load_dword v147, v137, s[0:3], 0 offen offset:4
	ds_read_b128 v[140:143], v136
	v_add_nc_u32_e32 v135, -1, v135
	v_add_nc_u32_e32 v136, 16, v136
	v_add_nc_u32_e32 v137, 16, v137
	v_cmp_eq_u32_e32 vcc_lo, 0, v135
	s_or_b32 s73, vcc_lo, s73
	s_waitcnt vmcnt(2) lgkmcnt(0)
	v_mul_f64 v[148:149], v[142:143], v[144:145]
	v_mul_f64 v[144:145], v[140:141], v[144:145]
	s_waitcnt vmcnt(0)
	v_fma_f64 v[140:141], v[140:141], v[146:147], -v[148:149]
	v_fma_f64 v[142:143], v[142:143], v[146:147], v[144:145]
	v_add_f64 v[1:2], v[1:2], v[140:141]
	v_add_f64 v[3:4], v[3:4], v[142:143]
	s_andn2_b32 exec_lo, exec_lo, s73
	s_cbranch_execnz .LBB127_589
; %bb.590:
	s_or_b32 exec_lo, exec_lo, s73
.LBB127_591:
	s_or_b32 exec_lo, exec_lo, s5
.LBB127_592:
	s_or_b32 exec_lo, exec_lo, s8
	v_mov_b32_e32 v135, 0
	ds_read_b128 v[135:138], v135 offset:320
	s_waitcnt lgkmcnt(0)
	v_mul_f64 v[140:141], v[3:4], v[137:138]
	v_mul_f64 v[137:138], v[1:2], v[137:138]
	v_fma_f64 v[1:2], v[1:2], v[135:136], -v[140:141]
	v_fma_f64 v[3:4], v[3:4], v[135:136], v[137:138]
	buffer_store_dword v2, off, s[0:3], 0 offset:324
	buffer_store_dword v1, off, s[0:3], 0 offset:320
	;; [unrolled: 1-line block ×4, first 2 shown]
.LBB127_593:
	s_or_b32 exec_lo, exec_lo, s6
	v_mov_b32_e32 v4, s54
	v_cmp_lt_u32_e64 s5, 19, v0
	s_clause 0x3
	buffer_load_dword v1, v4, s[0:3], 0 offen
	buffer_load_dword v2, v4, s[0:3], 0 offen offset:4
	buffer_load_dword v3, v4, s[0:3], 0 offen offset:8
	;; [unrolled: 1-line block ×3, first 2 shown]
	s_waitcnt vmcnt(0)
	ds_write_b128 v134, v[1:4]
	s_waitcnt lgkmcnt(0)
	s_waitcnt_vscnt null, 0x0
	s_barrier
	buffer_gl0_inv
	s_and_saveexec_b32 s6, s5
	s_cbranch_execz .LBB127_607
; %bb.594:
	ds_read_b128 v[1:4], v134
	s_andn2_b32 vcc_lo, exec_lo, s7
	s_cbranch_vccnz .LBB127_596
; %bb.595:
	s_clause 0x3
	buffer_load_dword v135, v133, s[0:3], 0 offen offset:8
	buffer_load_dword v136, v133, s[0:3], 0 offen offset:12
	buffer_load_dword v137, v133, s[0:3], 0 offen
	buffer_load_dword v138, v133, s[0:3], 0 offen offset:4
	s_waitcnt vmcnt(2) lgkmcnt(0)
	v_mul_f64 v[140:141], v[3:4], v[135:136]
	v_mul_f64 v[135:136], v[1:2], v[135:136]
	s_waitcnt vmcnt(0)
	v_fma_f64 v[1:2], v[1:2], v[137:138], -v[140:141]
	v_fma_f64 v[3:4], v[3:4], v[137:138], v[135:136]
.LBB127_596:
	s_and_saveexec_b32 s8, s4
	s_cbranch_execz .LBB127_606
; %bb.597:
	v_subrev_nc_u32_e32 v136, 21, v0
	v_mov_b32_e32 v137, 20
	v_subrev_nc_u32_e32 v135, 20, v0
	s_mov_b32 s4, exec_lo
	v_cmpx_lt_u32_e32 6, v136
	s_cbranch_execz .LBB127_601
; %bb.598:
	v_and_b32_e32 v136, -8, v135
	s_movk_i32 s74, 0x540
	s_mov_b32 s73, 0
	s_mov_b32 s75, s53
	;; [unrolled: 1-line block ×3, first 2 shown]
.LBB127_599:                            ; =>This Inner Loop Header: Depth=1
	v_mov_b32_e32 v140, s75
	v_mov_b32_e32 v186, s74
	s_add_i32 s77, s76, 8
	s_add_i32 s76, s76, 28
	v_cmp_eq_u32_e32 vcc_lo, s77, v136
	s_clause 0x1f
	buffer_load_dword v137, v140, s[0:3], 0 offen offset:8
	buffer_load_dword v138, v140, s[0:3], 0 offen offset:12
	buffer_load_dword v148, v140, s[0:3], 0 offen
	buffer_load_dword v149, v140, s[0:3], 0 offen offset:4
	buffer_load_dword v150, v140, s[0:3], 0 offen offset:24
	;; [unrolled: 1-line block ×29, first 2 shown]
	ds_read_b128 v[140:143], v186
	ds_read_b128 v[144:147], v186 offset:16
	s_addk_i32 s74, 0x80
	s_addk_i32 s75, 0x80
	s_or_b32 s73, vcc_lo, s73
	s_waitcnt vmcnt(30) lgkmcnt(1)
	v_mul_f64 v[178:179], v[142:143], v[137:138]
	v_mul_f64 v[137:138], v[140:141], v[137:138]
	s_waitcnt vmcnt(26) lgkmcnt(0)
	v_mul_f64 v[180:181], v[146:147], v[150:151]
	v_mul_f64 v[182:183], v[144:145], v[150:151]
	v_fma_f64 v[178:179], v[140:141], v[148:149], -v[178:179]
	v_fma_f64 v[137:138], v[142:143], v[148:149], v[137:138]
	ds_read_b128 v[140:143], v186 offset:32
	ds_read_b128 v[148:151], v186 offset:48
	s_waitcnt vmcnt(24)
	v_fma_f64 v[144:145], v[144:145], v[152:153], -v[180:181]
	v_fma_f64 v[146:147], v[146:147], v[152:153], v[182:183]
	s_waitcnt vmcnt(22) lgkmcnt(1)
	v_mul_f64 v[184:185], v[142:143], v[154:155]
	v_mul_f64 v[154:155], v[140:141], v[154:155]
	v_add_f64 v[1:2], v[1:2], v[178:179]
	v_add_f64 v[3:4], v[3:4], v[137:138]
	s_waitcnt vmcnt(18) lgkmcnt(0)
	v_mul_f64 v[137:138], v[150:151], v[158:159]
	v_mul_f64 v[152:153], v[148:149], v[158:159]
	v_fma_f64 v[158:159], v[140:141], v[156:157], -v[184:185]
	v_fma_f64 v[154:155], v[142:143], v[156:157], v[154:155]
	v_add_f64 v[144:145], v[1:2], v[144:145]
	v_add_f64 v[146:147], v[3:4], v[146:147]
	ds_read_b128 v[1:4], v186 offset:64
	ds_read_b128 v[140:143], v186 offset:80
	s_waitcnt vmcnt(16)
	v_fma_f64 v[137:138], v[148:149], v[160:161], -v[137:138]
	v_fma_f64 v[148:149], v[150:151], v[160:161], v[152:153]
	s_waitcnt vmcnt(12) lgkmcnt(1)
	v_mul_f64 v[156:157], v[3:4], v[162:163]
	v_mul_f64 v[162:163], v[1:2], v[162:163]
	v_add_f64 v[144:145], v[144:145], v[158:159]
	v_add_f64 v[146:147], v[146:147], v[154:155]
	s_waitcnt vmcnt(10) lgkmcnt(0)
	v_mul_f64 v[150:151], v[142:143], v[164:165]
	v_mul_f64 v[152:153], v[140:141], v[164:165]
	s_waitcnt vmcnt(8)
	v_fma_f64 v[154:155], v[1:2], v[168:169], -v[156:157]
	v_fma_f64 v[156:157], v[3:4], v[168:169], v[162:163]
	v_add_f64 v[137:138], v[144:145], v[137:138]
	v_add_f64 v[148:149], v[146:147], v[148:149]
	ds_read_b128 v[1:4], v186 offset:96
	ds_read_b128 v[144:147], v186 offset:112
	v_fma_f64 v[140:141], v[140:141], v[166:167], -v[150:151]
	v_fma_f64 v[142:143], v[142:143], v[166:167], v[152:153]
	s_waitcnt vmcnt(4) lgkmcnt(1)
	v_mul_f64 v[158:159], v[3:4], v[170:171]
	v_mul_f64 v[160:161], v[1:2], v[170:171]
	v_add_f64 v[137:138], v[137:138], v[154:155]
	v_add_f64 v[148:149], v[148:149], v[156:157]
	s_waitcnt vmcnt(2) lgkmcnt(0)
	v_mul_f64 v[150:151], v[146:147], v[172:173]
	v_mul_f64 v[152:153], v[144:145], v[172:173]
	s_waitcnt vmcnt(0)
	v_fma_f64 v[1:2], v[1:2], v[176:177], -v[158:159]
	v_fma_f64 v[3:4], v[3:4], v[176:177], v[160:161]
	v_add_f64 v[137:138], v[137:138], v[140:141]
	v_add_f64 v[140:141], v[148:149], v[142:143]
	v_fma_f64 v[142:143], v[144:145], v[174:175], -v[150:151]
	v_fma_f64 v[144:145], v[146:147], v[174:175], v[152:153]
	v_add_f64 v[1:2], v[137:138], v[1:2]
	v_add_f64 v[3:4], v[140:141], v[3:4]
	v_mov_b32_e32 v137, s76
	s_mov_b32 s76, s77
	v_add_f64 v[1:2], v[1:2], v[142:143]
	v_add_f64 v[3:4], v[3:4], v[144:145]
	s_andn2_b32 exec_lo, exec_lo, s73
	s_cbranch_execnz .LBB127_599
; %bb.600:
	s_or_b32 exec_lo, exec_lo, s73
.LBB127_601:
	s_or_b32 exec_lo, exec_lo, s4
	v_and_b32_e32 v135, 7, v135
	s_mov_b32 s73, 0
	s_mov_b32 s4, exec_lo
	v_cmpx_ne_u32_e32 0, v135
	s_cbranch_execz .LBB127_605
; %bb.602:
	v_lshlrev_b32_e32 v137, 4, v137
	v_add_nc_u32_e32 v136, 0x400, v137
	.p2align	6
.LBB127_603:                            ; =>This Inner Loop Header: Depth=1
	s_clause 0x3
	buffer_load_dword v144, v137, s[0:3], 0 offen offset:8
	buffer_load_dword v145, v137, s[0:3], 0 offen offset:12
	buffer_load_dword v146, v137, s[0:3], 0 offen
	buffer_load_dword v147, v137, s[0:3], 0 offen offset:4
	ds_read_b128 v[140:143], v136
	v_add_nc_u32_e32 v135, -1, v135
	v_add_nc_u32_e32 v136, 16, v136
	v_add_nc_u32_e32 v137, 16, v137
	v_cmp_eq_u32_e32 vcc_lo, 0, v135
	s_or_b32 s73, vcc_lo, s73
	s_waitcnt vmcnt(2) lgkmcnt(0)
	v_mul_f64 v[148:149], v[142:143], v[144:145]
	v_mul_f64 v[144:145], v[140:141], v[144:145]
	s_waitcnt vmcnt(0)
	v_fma_f64 v[140:141], v[140:141], v[146:147], -v[148:149]
	v_fma_f64 v[142:143], v[142:143], v[146:147], v[144:145]
	v_add_f64 v[1:2], v[1:2], v[140:141]
	v_add_f64 v[3:4], v[3:4], v[142:143]
	s_andn2_b32 exec_lo, exec_lo, s73
	s_cbranch_execnz .LBB127_603
; %bb.604:
	s_or_b32 exec_lo, exec_lo, s73
.LBB127_605:
	s_or_b32 exec_lo, exec_lo, s4
.LBB127_606:
	s_or_b32 exec_lo, exec_lo, s8
	v_mov_b32_e32 v135, 0
	ds_read_b128 v[135:138], v135 offset:304
	s_waitcnt lgkmcnt(0)
	v_mul_f64 v[140:141], v[3:4], v[137:138]
	v_mul_f64 v[137:138], v[1:2], v[137:138]
	v_fma_f64 v[1:2], v[1:2], v[135:136], -v[140:141]
	v_fma_f64 v[3:4], v[3:4], v[135:136], v[137:138]
	buffer_store_dword v2, off, s[0:3], 0 offset:308
	buffer_store_dword v1, off, s[0:3], 0 offset:304
	;; [unrolled: 1-line block ×4, first 2 shown]
.LBB127_607:
	s_or_b32 exec_lo, exec_lo, s6
	v_mov_b32_e32 v4, s55
	v_cmp_lt_u32_e64 s4, 18, v0
	s_clause 0x3
	buffer_load_dword v1, v4, s[0:3], 0 offen
	buffer_load_dword v2, v4, s[0:3], 0 offen offset:4
	buffer_load_dword v3, v4, s[0:3], 0 offen offset:8
	;; [unrolled: 1-line block ×3, first 2 shown]
	s_waitcnt vmcnt(0)
	ds_write_b128 v134, v[1:4]
	s_waitcnt lgkmcnt(0)
	s_waitcnt_vscnt null, 0x0
	s_barrier
	buffer_gl0_inv
	s_and_saveexec_b32 s6, s4
	s_cbranch_execz .LBB127_621
; %bb.608:
	ds_read_b128 v[1:4], v134
	s_andn2_b32 vcc_lo, exec_lo, s7
	s_cbranch_vccnz .LBB127_610
; %bb.609:
	s_clause 0x3
	buffer_load_dword v135, v133, s[0:3], 0 offen offset:8
	buffer_load_dword v136, v133, s[0:3], 0 offen offset:12
	buffer_load_dword v137, v133, s[0:3], 0 offen
	buffer_load_dword v138, v133, s[0:3], 0 offen offset:4
	s_waitcnt vmcnt(2) lgkmcnt(0)
	v_mul_f64 v[140:141], v[3:4], v[135:136]
	v_mul_f64 v[135:136], v[1:2], v[135:136]
	s_waitcnt vmcnt(0)
	v_fma_f64 v[1:2], v[1:2], v[137:138], -v[140:141]
	v_fma_f64 v[3:4], v[3:4], v[137:138], v[135:136]
.LBB127_610:
	s_and_saveexec_b32 s8, s5
	s_cbranch_execz .LBB127_620
; %bb.611:
	v_subrev_nc_u32_e32 v136, 20, v0
	v_mov_b32_e32 v137, 19
	v_subrev_nc_u32_e32 v135, 19, v0
	s_mov_b32 s5, exec_lo
	v_cmpx_lt_u32_e32 6, v136
	s_cbranch_execz .LBB127_615
; %bb.612:
	v_and_b32_e32 v136, -8, v135
	s_movk_i32 s74, 0x530
	s_mov_b32 s73, 0
	s_mov_b32 s75, s54
	;; [unrolled: 1-line block ×3, first 2 shown]
.LBB127_613:                            ; =>This Inner Loop Header: Depth=1
	v_mov_b32_e32 v140, s75
	v_mov_b32_e32 v186, s74
	s_add_i32 s77, s76, 8
	s_add_i32 s76, s76, 27
	v_cmp_eq_u32_e32 vcc_lo, s77, v136
	s_clause 0x1f
	buffer_load_dword v137, v140, s[0:3], 0 offen offset:8
	buffer_load_dword v138, v140, s[0:3], 0 offen offset:12
	buffer_load_dword v148, v140, s[0:3], 0 offen
	buffer_load_dword v149, v140, s[0:3], 0 offen offset:4
	buffer_load_dword v150, v140, s[0:3], 0 offen offset:24
	;; [unrolled: 1-line block ×29, first 2 shown]
	ds_read_b128 v[140:143], v186
	ds_read_b128 v[144:147], v186 offset:16
	s_addk_i32 s74, 0x80
	s_addk_i32 s75, 0x80
	s_or_b32 s73, vcc_lo, s73
	s_waitcnt vmcnt(30) lgkmcnt(1)
	v_mul_f64 v[178:179], v[142:143], v[137:138]
	v_mul_f64 v[137:138], v[140:141], v[137:138]
	s_waitcnt vmcnt(26) lgkmcnt(0)
	v_mul_f64 v[180:181], v[146:147], v[150:151]
	v_mul_f64 v[182:183], v[144:145], v[150:151]
	v_fma_f64 v[178:179], v[140:141], v[148:149], -v[178:179]
	v_fma_f64 v[137:138], v[142:143], v[148:149], v[137:138]
	ds_read_b128 v[140:143], v186 offset:32
	ds_read_b128 v[148:151], v186 offset:48
	s_waitcnt vmcnt(24)
	v_fma_f64 v[144:145], v[144:145], v[152:153], -v[180:181]
	v_fma_f64 v[146:147], v[146:147], v[152:153], v[182:183]
	s_waitcnt vmcnt(22) lgkmcnt(1)
	v_mul_f64 v[184:185], v[142:143], v[154:155]
	v_mul_f64 v[154:155], v[140:141], v[154:155]
	v_add_f64 v[1:2], v[1:2], v[178:179]
	v_add_f64 v[3:4], v[3:4], v[137:138]
	s_waitcnt vmcnt(18) lgkmcnt(0)
	v_mul_f64 v[137:138], v[150:151], v[158:159]
	v_mul_f64 v[152:153], v[148:149], v[158:159]
	v_fma_f64 v[158:159], v[140:141], v[156:157], -v[184:185]
	v_fma_f64 v[154:155], v[142:143], v[156:157], v[154:155]
	v_add_f64 v[144:145], v[1:2], v[144:145]
	v_add_f64 v[146:147], v[3:4], v[146:147]
	ds_read_b128 v[1:4], v186 offset:64
	ds_read_b128 v[140:143], v186 offset:80
	s_waitcnt vmcnt(16)
	v_fma_f64 v[137:138], v[148:149], v[160:161], -v[137:138]
	v_fma_f64 v[148:149], v[150:151], v[160:161], v[152:153]
	s_waitcnt vmcnt(12) lgkmcnt(1)
	v_mul_f64 v[156:157], v[3:4], v[162:163]
	v_mul_f64 v[162:163], v[1:2], v[162:163]
	v_add_f64 v[144:145], v[144:145], v[158:159]
	v_add_f64 v[146:147], v[146:147], v[154:155]
	s_waitcnt vmcnt(10) lgkmcnt(0)
	v_mul_f64 v[150:151], v[142:143], v[164:165]
	v_mul_f64 v[152:153], v[140:141], v[164:165]
	s_waitcnt vmcnt(8)
	v_fma_f64 v[154:155], v[1:2], v[168:169], -v[156:157]
	v_fma_f64 v[156:157], v[3:4], v[168:169], v[162:163]
	v_add_f64 v[137:138], v[144:145], v[137:138]
	v_add_f64 v[148:149], v[146:147], v[148:149]
	ds_read_b128 v[1:4], v186 offset:96
	ds_read_b128 v[144:147], v186 offset:112
	v_fma_f64 v[140:141], v[140:141], v[166:167], -v[150:151]
	v_fma_f64 v[142:143], v[142:143], v[166:167], v[152:153]
	s_waitcnt vmcnt(4) lgkmcnt(1)
	v_mul_f64 v[158:159], v[3:4], v[170:171]
	v_mul_f64 v[160:161], v[1:2], v[170:171]
	v_add_f64 v[137:138], v[137:138], v[154:155]
	v_add_f64 v[148:149], v[148:149], v[156:157]
	s_waitcnt vmcnt(2) lgkmcnt(0)
	v_mul_f64 v[150:151], v[146:147], v[172:173]
	v_mul_f64 v[152:153], v[144:145], v[172:173]
	s_waitcnt vmcnt(0)
	v_fma_f64 v[1:2], v[1:2], v[176:177], -v[158:159]
	v_fma_f64 v[3:4], v[3:4], v[176:177], v[160:161]
	v_add_f64 v[137:138], v[137:138], v[140:141]
	v_add_f64 v[140:141], v[148:149], v[142:143]
	v_fma_f64 v[142:143], v[144:145], v[174:175], -v[150:151]
	v_fma_f64 v[144:145], v[146:147], v[174:175], v[152:153]
	v_add_f64 v[1:2], v[137:138], v[1:2]
	v_add_f64 v[3:4], v[140:141], v[3:4]
	v_mov_b32_e32 v137, s76
	s_mov_b32 s76, s77
	v_add_f64 v[1:2], v[1:2], v[142:143]
	v_add_f64 v[3:4], v[3:4], v[144:145]
	s_andn2_b32 exec_lo, exec_lo, s73
	s_cbranch_execnz .LBB127_613
; %bb.614:
	s_or_b32 exec_lo, exec_lo, s73
.LBB127_615:
	s_or_b32 exec_lo, exec_lo, s5
	v_and_b32_e32 v135, 7, v135
	s_mov_b32 s73, 0
	s_mov_b32 s5, exec_lo
	v_cmpx_ne_u32_e32 0, v135
	s_cbranch_execz .LBB127_619
; %bb.616:
	v_lshlrev_b32_e32 v137, 4, v137
	v_add_nc_u32_e32 v136, 0x400, v137
	.p2align	6
.LBB127_617:                            ; =>This Inner Loop Header: Depth=1
	s_clause 0x3
	buffer_load_dword v144, v137, s[0:3], 0 offen offset:8
	buffer_load_dword v145, v137, s[0:3], 0 offen offset:12
	buffer_load_dword v146, v137, s[0:3], 0 offen
	buffer_load_dword v147, v137, s[0:3], 0 offen offset:4
	ds_read_b128 v[140:143], v136
	v_add_nc_u32_e32 v135, -1, v135
	v_add_nc_u32_e32 v136, 16, v136
	v_add_nc_u32_e32 v137, 16, v137
	v_cmp_eq_u32_e32 vcc_lo, 0, v135
	s_or_b32 s73, vcc_lo, s73
	s_waitcnt vmcnt(2) lgkmcnt(0)
	v_mul_f64 v[148:149], v[142:143], v[144:145]
	v_mul_f64 v[144:145], v[140:141], v[144:145]
	s_waitcnt vmcnt(0)
	v_fma_f64 v[140:141], v[140:141], v[146:147], -v[148:149]
	v_fma_f64 v[142:143], v[142:143], v[146:147], v[144:145]
	v_add_f64 v[1:2], v[1:2], v[140:141]
	v_add_f64 v[3:4], v[3:4], v[142:143]
	s_andn2_b32 exec_lo, exec_lo, s73
	s_cbranch_execnz .LBB127_617
; %bb.618:
	s_or_b32 exec_lo, exec_lo, s73
.LBB127_619:
	s_or_b32 exec_lo, exec_lo, s5
.LBB127_620:
	s_or_b32 exec_lo, exec_lo, s8
	v_mov_b32_e32 v135, 0
	ds_read_b128 v[135:138], v135 offset:288
	s_waitcnt lgkmcnt(0)
	v_mul_f64 v[140:141], v[3:4], v[137:138]
	v_mul_f64 v[137:138], v[1:2], v[137:138]
	v_fma_f64 v[1:2], v[1:2], v[135:136], -v[140:141]
	v_fma_f64 v[3:4], v[3:4], v[135:136], v[137:138]
	buffer_store_dword v2, off, s[0:3], 0 offset:292
	buffer_store_dword v1, off, s[0:3], 0 offset:288
	;; [unrolled: 1-line block ×4, first 2 shown]
.LBB127_621:
	s_or_b32 exec_lo, exec_lo, s6
	v_mov_b32_e32 v4, s56
	v_cmp_lt_u32_e64 s5, 17, v0
	s_clause 0x3
	buffer_load_dword v1, v4, s[0:3], 0 offen
	buffer_load_dword v2, v4, s[0:3], 0 offen offset:4
	buffer_load_dword v3, v4, s[0:3], 0 offen offset:8
	;; [unrolled: 1-line block ×3, first 2 shown]
	s_waitcnt vmcnt(0)
	ds_write_b128 v134, v[1:4]
	s_waitcnt lgkmcnt(0)
	s_waitcnt_vscnt null, 0x0
	s_barrier
	buffer_gl0_inv
	s_and_saveexec_b32 s6, s5
	s_cbranch_execz .LBB127_635
; %bb.622:
	ds_read_b128 v[1:4], v134
	s_andn2_b32 vcc_lo, exec_lo, s7
	s_cbranch_vccnz .LBB127_624
; %bb.623:
	s_clause 0x3
	buffer_load_dword v135, v133, s[0:3], 0 offen offset:8
	buffer_load_dword v136, v133, s[0:3], 0 offen offset:12
	buffer_load_dword v137, v133, s[0:3], 0 offen
	buffer_load_dword v138, v133, s[0:3], 0 offen offset:4
	s_waitcnt vmcnt(2) lgkmcnt(0)
	v_mul_f64 v[140:141], v[3:4], v[135:136]
	v_mul_f64 v[135:136], v[1:2], v[135:136]
	s_waitcnt vmcnt(0)
	v_fma_f64 v[1:2], v[1:2], v[137:138], -v[140:141]
	v_fma_f64 v[3:4], v[3:4], v[137:138], v[135:136]
.LBB127_624:
	s_and_saveexec_b32 s8, s4
	s_cbranch_execz .LBB127_634
; %bb.625:
	v_subrev_nc_u32_e32 v136, 19, v0
	v_mov_b32_e32 v137, 18
	v_subrev_nc_u32_e32 v135, 18, v0
	s_mov_b32 s4, exec_lo
	v_cmpx_lt_u32_e32 6, v136
	s_cbranch_execz .LBB127_629
; %bb.626:
	v_and_b32_e32 v136, -8, v135
	s_movk_i32 s74, 0x520
	s_mov_b32 s73, 0
	s_mov_b32 s75, s55
	;; [unrolled: 1-line block ×3, first 2 shown]
.LBB127_627:                            ; =>This Inner Loop Header: Depth=1
	v_mov_b32_e32 v140, s75
	v_mov_b32_e32 v186, s74
	s_add_i32 s77, s76, 8
	s_add_i32 s76, s76, 26
	v_cmp_eq_u32_e32 vcc_lo, s77, v136
	s_clause 0x1f
	buffer_load_dword v137, v140, s[0:3], 0 offen offset:8
	buffer_load_dword v138, v140, s[0:3], 0 offen offset:12
	buffer_load_dword v148, v140, s[0:3], 0 offen
	buffer_load_dword v149, v140, s[0:3], 0 offen offset:4
	buffer_load_dword v150, v140, s[0:3], 0 offen offset:24
	;; [unrolled: 1-line block ×29, first 2 shown]
	ds_read_b128 v[140:143], v186
	ds_read_b128 v[144:147], v186 offset:16
	s_addk_i32 s74, 0x80
	s_addk_i32 s75, 0x80
	s_or_b32 s73, vcc_lo, s73
	s_waitcnt vmcnt(30) lgkmcnt(1)
	v_mul_f64 v[178:179], v[142:143], v[137:138]
	v_mul_f64 v[137:138], v[140:141], v[137:138]
	s_waitcnt vmcnt(26) lgkmcnt(0)
	v_mul_f64 v[180:181], v[146:147], v[150:151]
	v_mul_f64 v[182:183], v[144:145], v[150:151]
	v_fma_f64 v[178:179], v[140:141], v[148:149], -v[178:179]
	v_fma_f64 v[137:138], v[142:143], v[148:149], v[137:138]
	ds_read_b128 v[140:143], v186 offset:32
	ds_read_b128 v[148:151], v186 offset:48
	s_waitcnt vmcnt(24)
	v_fma_f64 v[144:145], v[144:145], v[152:153], -v[180:181]
	v_fma_f64 v[146:147], v[146:147], v[152:153], v[182:183]
	s_waitcnt vmcnt(22) lgkmcnt(1)
	v_mul_f64 v[184:185], v[142:143], v[154:155]
	v_mul_f64 v[154:155], v[140:141], v[154:155]
	v_add_f64 v[1:2], v[1:2], v[178:179]
	v_add_f64 v[3:4], v[3:4], v[137:138]
	s_waitcnt vmcnt(18) lgkmcnt(0)
	v_mul_f64 v[137:138], v[150:151], v[158:159]
	v_mul_f64 v[152:153], v[148:149], v[158:159]
	v_fma_f64 v[158:159], v[140:141], v[156:157], -v[184:185]
	v_fma_f64 v[154:155], v[142:143], v[156:157], v[154:155]
	v_add_f64 v[144:145], v[1:2], v[144:145]
	v_add_f64 v[146:147], v[3:4], v[146:147]
	ds_read_b128 v[1:4], v186 offset:64
	ds_read_b128 v[140:143], v186 offset:80
	s_waitcnt vmcnt(16)
	v_fma_f64 v[137:138], v[148:149], v[160:161], -v[137:138]
	v_fma_f64 v[148:149], v[150:151], v[160:161], v[152:153]
	s_waitcnt vmcnt(12) lgkmcnt(1)
	v_mul_f64 v[156:157], v[3:4], v[162:163]
	v_mul_f64 v[162:163], v[1:2], v[162:163]
	v_add_f64 v[144:145], v[144:145], v[158:159]
	v_add_f64 v[146:147], v[146:147], v[154:155]
	s_waitcnt vmcnt(10) lgkmcnt(0)
	v_mul_f64 v[150:151], v[142:143], v[164:165]
	v_mul_f64 v[152:153], v[140:141], v[164:165]
	s_waitcnt vmcnt(8)
	v_fma_f64 v[154:155], v[1:2], v[168:169], -v[156:157]
	v_fma_f64 v[156:157], v[3:4], v[168:169], v[162:163]
	v_add_f64 v[137:138], v[144:145], v[137:138]
	v_add_f64 v[148:149], v[146:147], v[148:149]
	ds_read_b128 v[1:4], v186 offset:96
	ds_read_b128 v[144:147], v186 offset:112
	v_fma_f64 v[140:141], v[140:141], v[166:167], -v[150:151]
	v_fma_f64 v[142:143], v[142:143], v[166:167], v[152:153]
	s_waitcnt vmcnt(4) lgkmcnt(1)
	v_mul_f64 v[158:159], v[3:4], v[170:171]
	v_mul_f64 v[160:161], v[1:2], v[170:171]
	v_add_f64 v[137:138], v[137:138], v[154:155]
	v_add_f64 v[148:149], v[148:149], v[156:157]
	s_waitcnt vmcnt(2) lgkmcnt(0)
	v_mul_f64 v[150:151], v[146:147], v[172:173]
	v_mul_f64 v[152:153], v[144:145], v[172:173]
	s_waitcnt vmcnt(0)
	v_fma_f64 v[1:2], v[1:2], v[176:177], -v[158:159]
	v_fma_f64 v[3:4], v[3:4], v[176:177], v[160:161]
	v_add_f64 v[137:138], v[137:138], v[140:141]
	v_add_f64 v[140:141], v[148:149], v[142:143]
	v_fma_f64 v[142:143], v[144:145], v[174:175], -v[150:151]
	v_fma_f64 v[144:145], v[146:147], v[174:175], v[152:153]
	v_add_f64 v[1:2], v[137:138], v[1:2]
	v_add_f64 v[3:4], v[140:141], v[3:4]
	v_mov_b32_e32 v137, s76
	s_mov_b32 s76, s77
	v_add_f64 v[1:2], v[1:2], v[142:143]
	v_add_f64 v[3:4], v[3:4], v[144:145]
	s_andn2_b32 exec_lo, exec_lo, s73
	s_cbranch_execnz .LBB127_627
; %bb.628:
	s_or_b32 exec_lo, exec_lo, s73
.LBB127_629:
	s_or_b32 exec_lo, exec_lo, s4
	v_and_b32_e32 v135, 7, v135
	s_mov_b32 s73, 0
	s_mov_b32 s4, exec_lo
	v_cmpx_ne_u32_e32 0, v135
	s_cbranch_execz .LBB127_633
; %bb.630:
	v_lshlrev_b32_e32 v137, 4, v137
	v_add_nc_u32_e32 v136, 0x400, v137
	.p2align	6
.LBB127_631:                            ; =>This Inner Loop Header: Depth=1
	s_clause 0x3
	buffer_load_dword v144, v137, s[0:3], 0 offen offset:8
	buffer_load_dword v145, v137, s[0:3], 0 offen offset:12
	buffer_load_dword v146, v137, s[0:3], 0 offen
	buffer_load_dword v147, v137, s[0:3], 0 offen offset:4
	ds_read_b128 v[140:143], v136
	v_add_nc_u32_e32 v135, -1, v135
	v_add_nc_u32_e32 v136, 16, v136
	v_add_nc_u32_e32 v137, 16, v137
	v_cmp_eq_u32_e32 vcc_lo, 0, v135
	s_or_b32 s73, vcc_lo, s73
	s_waitcnt vmcnt(2) lgkmcnt(0)
	v_mul_f64 v[148:149], v[142:143], v[144:145]
	v_mul_f64 v[144:145], v[140:141], v[144:145]
	s_waitcnt vmcnt(0)
	v_fma_f64 v[140:141], v[140:141], v[146:147], -v[148:149]
	v_fma_f64 v[142:143], v[142:143], v[146:147], v[144:145]
	v_add_f64 v[1:2], v[1:2], v[140:141]
	v_add_f64 v[3:4], v[3:4], v[142:143]
	s_andn2_b32 exec_lo, exec_lo, s73
	s_cbranch_execnz .LBB127_631
; %bb.632:
	s_or_b32 exec_lo, exec_lo, s73
.LBB127_633:
	s_or_b32 exec_lo, exec_lo, s4
.LBB127_634:
	s_or_b32 exec_lo, exec_lo, s8
	v_mov_b32_e32 v135, 0
	ds_read_b128 v[135:138], v135 offset:272
	s_waitcnt lgkmcnt(0)
	v_mul_f64 v[140:141], v[3:4], v[137:138]
	v_mul_f64 v[137:138], v[1:2], v[137:138]
	v_fma_f64 v[1:2], v[1:2], v[135:136], -v[140:141]
	v_fma_f64 v[3:4], v[3:4], v[135:136], v[137:138]
	buffer_store_dword v2, off, s[0:3], 0 offset:276
	buffer_store_dword v1, off, s[0:3], 0 offset:272
	;; [unrolled: 1-line block ×4, first 2 shown]
.LBB127_635:
	s_or_b32 exec_lo, exec_lo, s6
	v_mov_b32_e32 v4, s57
	v_cmp_lt_u32_e64 s4, 16, v0
	s_clause 0x3
	buffer_load_dword v1, v4, s[0:3], 0 offen
	buffer_load_dword v2, v4, s[0:3], 0 offen offset:4
	buffer_load_dword v3, v4, s[0:3], 0 offen offset:8
	;; [unrolled: 1-line block ×3, first 2 shown]
	s_waitcnt vmcnt(0)
	ds_write_b128 v134, v[1:4]
	s_waitcnt lgkmcnt(0)
	s_waitcnt_vscnt null, 0x0
	s_barrier
	buffer_gl0_inv
	s_and_saveexec_b32 s6, s4
	s_cbranch_execz .LBB127_649
; %bb.636:
	ds_read_b128 v[1:4], v134
	s_andn2_b32 vcc_lo, exec_lo, s7
	s_cbranch_vccnz .LBB127_638
; %bb.637:
	s_clause 0x3
	buffer_load_dword v135, v133, s[0:3], 0 offen offset:8
	buffer_load_dword v136, v133, s[0:3], 0 offen offset:12
	buffer_load_dword v137, v133, s[0:3], 0 offen
	buffer_load_dword v138, v133, s[0:3], 0 offen offset:4
	s_waitcnt vmcnt(2) lgkmcnt(0)
	v_mul_f64 v[140:141], v[3:4], v[135:136]
	v_mul_f64 v[135:136], v[1:2], v[135:136]
	s_waitcnt vmcnt(0)
	v_fma_f64 v[1:2], v[1:2], v[137:138], -v[140:141]
	v_fma_f64 v[3:4], v[3:4], v[137:138], v[135:136]
.LBB127_638:
	s_and_saveexec_b32 s8, s5
	s_cbranch_execz .LBB127_648
; %bb.639:
	v_subrev_nc_u32_e32 v136, 18, v0
	v_mov_b32_e32 v137, 17
	v_subrev_nc_u32_e32 v135, 17, v0
	s_mov_b32 s5, exec_lo
	v_cmpx_lt_u32_e32 6, v136
	s_cbranch_execz .LBB127_643
; %bb.640:
	v_and_b32_e32 v136, -8, v135
	s_movk_i32 s74, 0x510
	s_mov_b32 s73, 0
	s_mov_b32 s75, s56
	;; [unrolled: 1-line block ×3, first 2 shown]
.LBB127_641:                            ; =>This Inner Loop Header: Depth=1
	v_mov_b32_e32 v140, s75
	v_mov_b32_e32 v186, s74
	s_add_i32 s77, s76, 8
	s_add_i32 s76, s76, 25
	v_cmp_eq_u32_e32 vcc_lo, s77, v136
	s_clause 0x1f
	buffer_load_dword v137, v140, s[0:3], 0 offen offset:8
	buffer_load_dword v138, v140, s[0:3], 0 offen offset:12
	buffer_load_dword v148, v140, s[0:3], 0 offen
	buffer_load_dword v149, v140, s[0:3], 0 offen offset:4
	buffer_load_dword v150, v140, s[0:3], 0 offen offset:24
	;; [unrolled: 1-line block ×29, first 2 shown]
	ds_read_b128 v[140:143], v186
	ds_read_b128 v[144:147], v186 offset:16
	s_addk_i32 s74, 0x80
	s_addk_i32 s75, 0x80
	s_or_b32 s73, vcc_lo, s73
	s_waitcnt vmcnt(30) lgkmcnt(1)
	v_mul_f64 v[178:179], v[142:143], v[137:138]
	v_mul_f64 v[137:138], v[140:141], v[137:138]
	s_waitcnt vmcnt(26) lgkmcnt(0)
	v_mul_f64 v[180:181], v[146:147], v[150:151]
	v_mul_f64 v[182:183], v[144:145], v[150:151]
	v_fma_f64 v[178:179], v[140:141], v[148:149], -v[178:179]
	v_fma_f64 v[137:138], v[142:143], v[148:149], v[137:138]
	ds_read_b128 v[140:143], v186 offset:32
	ds_read_b128 v[148:151], v186 offset:48
	s_waitcnt vmcnt(24)
	v_fma_f64 v[144:145], v[144:145], v[152:153], -v[180:181]
	v_fma_f64 v[146:147], v[146:147], v[152:153], v[182:183]
	s_waitcnt vmcnt(22) lgkmcnt(1)
	v_mul_f64 v[184:185], v[142:143], v[154:155]
	v_mul_f64 v[154:155], v[140:141], v[154:155]
	v_add_f64 v[1:2], v[1:2], v[178:179]
	v_add_f64 v[3:4], v[3:4], v[137:138]
	s_waitcnt vmcnt(18) lgkmcnt(0)
	v_mul_f64 v[137:138], v[150:151], v[158:159]
	v_mul_f64 v[152:153], v[148:149], v[158:159]
	v_fma_f64 v[158:159], v[140:141], v[156:157], -v[184:185]
	v_fma_f64 v[154:155], v[142:143], v[156:157], v[154:155]
	v_add_f64 v[144:145], v[1:2], v[144:145]
	v_add_f64 v[146:147], v[3:4], v[146:147]
	ds_read_b128 v[1:4], v186 offset:64
	ds_read_b128 v[140:143], v186 offset:80
	s_waitcnt vmcnt(16)
	v_fma_f64 v[137:138], v[148:149], v[160:161], -v[137:138]
	v_fma_f64 v[148:149], v[150:151], v[160:161], v[152:153]
	s_waitcnt vmcnt(12) lgkmcnt(1)
	v_mul_f64 v[156:157], v[3:4], v[162:163]
	v_mul_f64 v[162:163], v[1:2], v[162:163]
	v_add_f64 v[144:145], v[144:145], v[158:159]
	v_add_f64 v[146:147], v[146:147], v[154:155]
	s_waitcnt vmcnt(10) lgkmcnt(0)
	v_mul_f64 v[150:151], v[142:143], v[164:165]
	v_mul_f64 v[152:153], v[140:141], v[164:165]
	s_waitcnt vmcnt(8)
	v_fma_f64 v[154:155], v[1:2], v[168:169], -v[156:157]
	v_fma_f64 v[156:157], v[3:4], v[168:169], v[162:163]
	v_add_f64 v[137:138], v[144:145], v[137:138]
	v_add_f64 v[148:149], v[146:147], v[148:149]
	ds_read_b128 v[1:4], v186 offset:96
	ds_read_b128 v[144:147], v186 offset:112
	v_fma_f64 v[140:141], v[140:141], v[166:167], -v[150:151]
	v_fma_f64 v[142:143], v[142:143], v[166:167], v[152:153]
	s_waitcnt vmcnt(4) lgkmcnt(1)
	v_mul_f64 v[158:159], v[3:4], v[170:171]
	v_mul_f64 v[160:161], v[1:2], v[170:171]
	v_add_f64 v[137:138], v[137:138], v[154:155]
	v_add_f64 v[148:149], v[148:149], v[156:157]
	s_waitcnt vmcnt(2) lgkmcnt(0)
	v_mul_f64 v[150:151], v[146:147], v[172:173]
	v_mul_f64 v[152:153], v[144:145], v[172:173]
	s_waitcnt vmcnt(0)
	v_fma_f64 v[1:2], v[1:2], v[176:177], -v[158:159]
	v_fma_f64 v[3:4], v[3:4], v[176:177], v[160:161]
	v_add_f64 v[137:138], v[137:138], v[140:141]
	v_add_f64 v[140:141], v[148:149], v[142:143]
	v_fma_f64 v[142:143], v[144:145], v[174:175], -v[150:151]
	v_fma_f64 v[144:145], v[146:147], v[174:175], v[152:153]
	v_add_f64 v[1:2], v[137:138], v[1:2]
	v_add_f64 v[3:4], v[140:141], v[3:4]
	v_mov_b32_e32 v137, s76
	s_mov_b32 s76, s77
	v_add_f64 v[1:2], v[1:2], v[142:143]
	v_add_f64 v[3:4], v[3:4], v[144:145]
	s_andn2_b32 exec_lo, exec_lo, s73
	s_cbranch_execnz .LBB127_641
; %bb.642:
	s_or_b32 exec_lo, exec_lo, s73
.LBB127_643:
	s_or_b32 exec_lo, exec_lo, s5
	v_and_b32_e32 v135, 7, v135
	s_mov_b32 s73, 0
	s_mov_b32 s5, exec_lo
	v_cmpx_ne_u32_e32 0, v135
	s_cbranch_execz .LBB127_647
; %bb.644:
	v_lshlrev_b32_e32 v137, 4, v137
	v_add_nc_u32_e32 v136, 0x400, v137
	.p2align	6
.LBB127_645:                            ; =>This Inner Loop Header: Depth=1
	s_clause 0x3
	buffer_load_dword v144, v137, s[0:3], 0 offen offset:8
	buffer_load_dword v145, v137, s[0:3], 0 offen offset:12
	buffer_load_dword v146, v137, s[0:3], 0 offen
	buffer_load_dword v147, v137, s[0:3], 0 offen offset:4
	ds_read_b128 v[140:143], v136
	v_add_nc_u32_e32 v135, -1, v135
	v_add_nc_u32_e32 v136, 16, v136
	v_add_nc_u32_e32 v137, 16, v137
	v_cmp_eq_u32_e32 vcc_lo, 0, v135
	s_or_b32 s73, vcc_lo, s73
	s_waitcnt vmcnt(2) lgkmcnt(0)
	v_mul_f64 v[148:149], v[142:143], v[144:145]
	v_mul_f64 v[144:145], v[140:141], v[144:145]
	s_waitcnt vmcnt(0)
	v_fma_f64 v[140:141], v[140:141], v[146:147], -v[148:149]
	v_fma_f64 v[142:143], v[142:143], v[146:147], v[144:145]
	v_add_f64 v[1:2], v[1:2], v[140:141]
	v_add_f64 v[3:4], v[3:4], v[142:143]
	s_andn2_b32 exec_lo, exec_lo, s73
	s_cbranch_execnz .LBB127_645
; %bb.646:
	s_or_b32 exec_lo, exec_lo, s73
.LBB127_647:
	s_or_b32 exec_lo, exec_lo, s5
.LBB127_648:
	s_or_b32 exec_lo, exec_lo, s8
	v_mov_b32_e32 v135, 0
	ds_read_b128 v[135:138], v135 offset:256
	s_waitcnt lgkmcnt(0)
	v_mul_f64 v[140:141], v[3:4], v[137:138]
	v_mul_f64 v[137:138], v[1:2], v[137:138]
	v_fma_f64 v[1:2], v[1:2], v[135:136], -v[140:141]
	v_fma_f64 v[3:4], v[3:4], v[135:136], v[137:138]
	buffer_store_dword v2, off, s[0:3], 0 offset:260
	buffer_store_dword v1, off, s[0:3], 0 offset:256
	;; [unrolled: 1-line block ×4, first 2 shown]
.LBB127_649:
	s_or_b32 exec_lo, exec_lo, s6
	v_mov_b32_e32 v4, s58
	v_cmp_lt_u32_e64 s5, 15, v0
	s_clause 0x3
	buffer_load_dword v1, v4, s[0:3], 0 offen
	buffer_load_dword v2, v4, s[0:3], 0 offen offset:4
	buffer_load_dword v3, v4, s[0:3], 0 offen offset:8
	;; [unrolled: 1-line block ×3, first 2 shown]
	s_waitcnt vmcnt(0)
	ds_write_b128 v134, v[1:4]
	s_waitcnt lgkmcnt(0)
	s_waitcnt_vscnt null, 0x0
	s_barrier
	buffer_gl0_inv
	s_and_saveexec_b32 s6, s5
	s_cbranch_execz .LBB127_663
; %bb.650:
	ds_read_b128 v[1:4], v134
	s_andn2_b32 vcc_lo, exec_lo, s7
	s_cbranch_vccnz .LBB127_652
; %bb.651:
	s_clause 0x3
	buffer_load_dword v135, v133, s[0:3], 0 offen offset:8
	buffer_load_dword v136, v133, s[0:3], 0 offen offset:12
	buffer_load_dword v137, v133, s[0:3], 0 offen
	buffer_load_dword v138, v133, s[0:3], 0 offen offset:4
	s_waitcnt vmcnt(2) lgkmcnt(0)
	v_mul_f64 v[140:141], v[3:4], v[135:136]
	v_mul_f64 v[135:136], v[1:2], v[135:136]
	s_waitcnt vmcnt(0)
	v_fma_f64 v[1:2], v[1:2], v[137:138], -v[140:141]
	v_fma_f64 v[3:4], v[3:4], v[137:138], v[135:136]
.LBB127_652:
	s_and_saveexec_b32 s8, s4
	s_cbranch_execz .LBB127_662
; %bb.653:
	v_subrev_nc_u32_e32 v135, 17, v0
	v_cmp_lt_u32_e32 vcc_lo, 6, v135
	v_mov_b32_e32 v135, 16
	s_and_saveexec_b32 s4, vcc_lo
	s_cbranch_execz .LBB127_657
; %bb.654:
	v_and_b32_e32 v135, 56, v0
	s_mov_b32 s73, 16
	s_movk_i32 s75, 0x500
	s_mov_b32 s74, 0
	s_mov_b32 s76, s57
.LBB127_655:                            ; =>This Inner Loop Header: Depth=1
	v_mov_b32_e32 v138, s76
	s_add_i32 s73, s73, 8
	s_addk_i32 s76, 0x80
	v_cmp_eq_u32_e32 vcc_lo, s73, v135
	s_clause 0x1f
	buffer_load_dword v136, v138, s[0:3], 0 offen offset:8
	buffer_load_dword v137, v138, s[0:3], 0 offen offset:12
	buffer_load_dword v148, v138, s[0:3], 0 offen
	buffer_load_dword v149, v138, s[0:3], 0 offen offset:4
	buffer_load_dword v150, v138, s[0:3], 0 offen offset:24
	;; [unrolled: 1-line block ×29, first 2 shown]
	v_mov_b32_e32 v138, s75
	s_addk_i32 s75, 0x80
	s_or_b32 s74, vcc_lo, s74
	ds_read_b128 v[140:143], v138
	ds_read_b128 v[144:147], v138 offset:16
	s_waitcnt vmcnt(30) lgkmcnt(1)
	v_mul_f64 v[178:179], v[142:143], v[136:137]
	v_mul_f64 v[136:137], v[140:141], v[136:137]
	s_waitcnt vmcnt(26) lgkmcnt(0)
	v_mul_f64 v[180:181], v[146:147], v[150:151]
	v_mul_f64 v[182:183], v[144:145], v[150:151]
	v_fma_f64 v[178:179], v[140:141], v[148:149], -v[178:179]
	v_fma_f64 v[136:137], v[142:143], v[148:149], v[136:137]
	ds_read_b128 v[140:143], v138 offset:32
	ds_read_b128 v[148:151], v138 offset:48
	s_waitcnt vmcnt(24)
	v_fma_f64 v[144:145], v[144:145], v[152:153], -v[180:181]
	v_fma_f64 v[146:147], v[146:147], v[152:153], v[182:183]
	s_waitcnt vmcnt(22) lgkmcnt(1)
	v_mul_f64 v[184:185], v[142:143], v[154:155]
	v_mul_f64 v[154:155], v[140:141], v[154:155]
	v_add_f64 v[1:2], v[1:2], v[178:179]
	v_add_f64 v[3:4], v[3:4], v[136:137]
	s_waitcnt vmcnt(18) lgkmcnt(0)
	v_mul_f64 v[136:137], v[150:151], v[158:159]
	v_mul_f64 v[152:153], v[148:149], v[158:159]
	v_fma_f64 v[158:159], v[140:141], v[156:157], -v[184:185]
	v_fma_f64 v[154:155], v[142:143], v[156:157], v[154:155]
	v_add_f64 v[144:145], v[1:2], v[144:145]
	v_add_f64 v[146:147], v[3:4], v[146:147]
	ds_read_b128 v[1:4], v138 offset:64
	ds_read_b128 v[140:143], v138 offset:80
	s_waitcnt vmcnt(16)
	v_fma_f64 v[136:137], v[148:149], v[160:161], -v[136:137]
	v_fma_f64 v[148:149], v[150:151], v[160:161], v[152:153]
	s_waitcnt vmcnt(12) lgkmcnt(1)
	v_mul_f64 v[156:157], v[3:4], v[162:163]
	v_mul_f64 v[162:163], v[1:2], v[162:163]
	v_add_f64 v[144:145], v[144:145], v[158:159]
	v_add_f64 v[146:147], v[146:147], v[154:155]
	s_waitcnt vmcnt(10) lgkmcnt(0)
	v_mul_f64 v[150:151], v[142:143], v[164:165]
	v_mul_f64 v[152:153], v[140:141], v[164:165]
	s_waitcnt vmcnt(8)
	v_fma_f64 v[154:155], v[1:2], v[168:169], -v[156:157]
	v_fma_f64 v[156:157], v[3:4], v[168:169], v[162:163]
	v_add_f64 v[136:137], v[144:145], v[136:137]
	v_add_f64 v[148:149], v[146:147], v[148:149]
	ds_read_b128 v[1:4], v138 offset:96
	ds_read_b128 v[144:147], v138 offset:112
	v_fma_f64 v[140:141], v[140:141], v[166:167], -v[150:151]
	v_fma_f64 v[142:143], v[142:143], v[166:167], v[152:153]
	s_waitcnt vmcnt(4) lgkmcnt(1)
	v_mul_f64 v[158:159], v[3:4], v[170:171]
	v_mul_f64 v[160:161], v[1:2], v[170:171]
	v_add_f64 v[136:137], v[136:137], v[154:155]
	v_add_f64 v[148:149], v[148:149], v[156:157]
	s_waitcnt vmcnt(2) lgkmcnt(0)
	v_mul_f64 v[150:151], v[146:147], v[172:173]
	v_mul_f64 v[152:153], v[144:145], v[172:173]
	s_waitcnt vmcnt(0)
	v_fma_f64 v[1:2], v[1:2], v[176:177], -v[158:159]
	v_fma_f64 v[3:4], v[3:4], v[176:177], v[160:161]
	v_add_f64 v[136:137], v[136:137], v[140:141]
	v_add_f64 v[140:141], v[148:149], v[142:143]
	v_fma_f64 v[142:143], v[144:145], v[174:175], -v[150:151]
	v_fma_f64 v[144:145], v[146:147], v[174:175], v[152:153]
	v_add_f64 v[1:2], v[136:137], v[1:2]
	v_add_f64 v[3:4], v[140:141], v[3:4]
	;; [unrolled: 1-line block ×4, first 2 shown]
	s_andn2_b32 exec_lo, exec_lo, s74
	s_cbranch_execnz .LBB127_655
; %bb.656:
	s_or_b32 exec_lo, exec_lo, s74
.LBB127_657:
	s_or_b32 exec_lo, exec_lo, s4
	v_and_b32_e32 v136, 7, v0
	s_mov_b32 s73, 0
	s_mov_b32 s4, exec_lo
	v_cmpx_ne_u32_e32 0, v136
	s_cbranch_execz .LBB127_661
; %bb.658:
	v_lshlrev_b32_e32 v137, 4, v135
	v_or_b32_e32 v135, 0x400, v137
	.p2align	6
.LBB127_659:                            ; =>This Inner Loop Header: Depth=1
	s_clause 0x3
	buffer_load_dword v144, v137, s[0:3], 0 offen offset:8
	buffer_load_dword v145, v137, s[0:3], 0 offen offset:12
	buffer_load_dword v146, v137, s[0:3], 0 offen
	buffer_load_dword v147, v137, s[0:3], 0 offen offset:4
	ds_read_b128 v[140:143], v135
	v_add_nc_u32_e32 v136, -1, v136
	v_add_nc_u32_e32 v135, 16, v135
	v_add_nc_u32_e32 v137, 16, v137
	v_cmp_eq_u32_e32 vcc_lo, 0, v136
	s_or_b32 s73, vcc_lo, s73
	s_waitcnt vmcnt(2) lgkmcnt(0)
	v_mul_f64 v[148:149], v[142:143], v[144:145]
	v_mul_f64 v[144:145], v[140:141], v[144:145]
	s_waitcnt vmcnt(0)
	v_fma_f64 v[140:141], v[140:141], v[146:147], -v[148:149]
	v_fma_f64 v[142:143], v[142:143], v[146:147], v[144:145]
	v_add_f64 v[1:2], v[1:2], v[140:141]
	v_add_f64 v[3:4], v[3:4], v[142:143]
	s_andn2_b32 exec_lo, exec_lo, s73
	s_cbranch_execnz .LBB127_659
; %bb.660:
	s_or_b32 exec_lo, exec_lo, s73
.LBB127_661:
	s_or_b32 exec_lo, exec_lo, s4
.LBB127_662:
	s_or_b32 exec_lo, exec_lo, s8
	v_mov_b32_e32 v135, 0
	ds_read_b128 v[135:138], v135 offset:240
	s_waitcnt lgkmcnt(0)
	v_mul_f64 v[140:141], v[3:4], v[137:138]
	v_mul_f64 v[137:138], v[1:2], v[137:138]
	v_fma_f64 v[1:2], v[1:2], v[135:136], -v[140:141]
	v_fma_f64 v[3:4], v[3:4], v[135:136], v[137:138]
	buffer_store_dword v2, off, s[0:3], 0 offset:244
	buffer_store_dword v1, off, s[0:3], 0 offset:240
	;; [unrolled: 1-line block ×4, first 2 shown]
.LBB127_663:
	s_or_b32 exec_lo, exec_lo, s6
	v_mov_b32_e32 v4, s59
	v_cmp_lt_u32_e64 s4, 14, v0
	s_clause 0x3
	buffer_load_dword v1, v4, s[0:3], 0 offen
	buffer_load_dword v2, v4, s[0:3], 0 offen offset:4
	buffer_load_dword v3, v4, s[0:3], 0 offen offset:8
	;; [unrolled: 1-line block ×3, first 2 shown]
	s_waitcnt vmcnt(0)
	ds_write_b128 v134, v[1:4]
	s_waitcnt lgkmcnt(0)
	s_waitcnt_vscnt null, 0x0
	s_barrier
	buffer_gl0_inv
	s_and_saveexec_b32 s6, s4
	s_cbranch_execz .LBB127_677
; %bb.664:
	ds_read_b128 v[1:4], v134
	s_andn2_b32 vcc_lo, exec_lo, s7
	s_cbranch_vccnz .LBB127_666
; %bb.665:
	s_clause 0x3
	buffer_load_dword v135, v133, s[0:3], 0 offen offset:8
	buffer_load_dword v136, v133, s[0:3], 0 offen offset:12
	buffer_load_dword v137, v133, s[0:3], 0 offen
	buffer_load_dword v138, v133, s[0:3], 0 offen offset:4
	s_waitcnt vmcnt(2) lgkmcnt(0)
	v_mul_f64 v[140:141], v[3:4], v[135:136]
	v_mul_f64 v[135:136], v[1:2], v[135:136]
	s_waitcnt vmcnt(0)
	v_fma_f64 v[1:2], v[1:2], v[137:138], -v[140:141]
	v_fma_f64 v[3:4], v[3:4], v[137:138], v[135:136]
.LBB127_666:
	s_and_saveexec_b32 s8, s5
	s_cbranch_execz .LBB127_676
; %bb.667:
	v_add_nc_u32_e32 v136, -16, v0
	v_add_nc_u32_e32 v135, -15, v0
	v_mov_b32_e32 v137, 15
	s_mov_b32 s5, exec_lo
	v_cmpx_lt_u32_e32 6, v136
	s_cbranch_execz .LBB127_671
; %bb.668:
	v_and_b32_e32 v136, -8, v135
	s_movk_i32 s74, 0x4f0
	s_mov_b32 s73, 0
	s_mov_b32 s75, s58
	;; [unrolled: 1-line block ×3, first 2 shown]
.LBB127_669:                            ; =>This Inner Loop Header: Depth=1
	v_mov_b32_e32 v140, s75
	v_mov_b32_e32 v186, s74
	s_add_i32 s77, s76, 8
	s_add_i32 s76, s76, 23
	v_cmp_eq_u32_e32 vcc_lo, s77, v136
	s_clause 0x1f
	buffer_load_dword v137, v140, s[0:3], 0 offen offset:8
	buffer_load_dword v138, v140, s[0:3], 0 offen offset:12
	buffer_load_dword v148, v140, s[0:3], 0 offen
	buffer_load_dword v149, v140, s[0:3], 0 offen offset:4
	buffer_load_dword v150, v140, s[0:3], 0 offen offset:24
	;; [unrolled: 1-line block ×29, first 2 shown]
	ds_read_b128 v[140:143], v186
	ds_read_b128 v[144:147], v186 offset:16
	s_addk_i32 s74, 0x80
	s_addk_i32 s75, 0x80
	s_or_b32 s73, vcc_lo, s73
	s_waitcnt vmcnt(30) lgkmcnt(1)
	v_mul_f64 v[178:179], v[142:143], v[137:138]
	v_mul_f64 v[137:138], v[140:141], v[137:138]
	s_waitcnt vmcnt(26) lgkmcnt(0)
	v_mul_f64 v[180:181], v[146:147], v[150:151]
	v_mul_f64 v[182:183], v[144:145], v[150:151]
	v_fma_f64 v[178:179], v[140:141], v[148:149], -v[178:179]
	v_fma_f64 v[137:138], v[142:143], v[148:149], v[137:138]
	ds_read_b128 v[140:143], v186 offset:32
	ds_read_b128 v[148:151], v186 offset:48
	s_waitcnt vmcnt(24)
	v_fma_f64 v[144:145], v[144:145], v[152:153], -v[180:181]
	v_fma_f64 v[146:147], v[146:147], v[152:153], v[182:183]
	s_waitcnt vmcnt(22) lgkmcnt(1)
	v_mul_f64 v[184:185], v[142:143], v[154:155]
	v_mul_f64 v[154:155], v[140:141], v[154:155]
	v_add_f64 v[1:2], v[1:2], v[178:179]
	v_add_f64 v[3:4], v[3:4], v[137:138]
	s_waitcnt vmcnt(18) lgkmcnt(0)
	v_mul_f64 v[137:138], v[150:151], v[158:159]
	v_mul_f64 v[152:153], v[148:149], v[158:159]
	v_fma_f64 v[158:159], v[140:141], v[156:157], -v[184:185]
	v_fma_f64 v[154:155], v[142:143], v[156:157], v[154:155]
	v_add_f64 v[144:145], v[1:2], v[144:145]
	v_add_f64 v[146:147], v[3:4], v[146:147]
	ds_read_b128 v[1:4], v186 offset:64
	ds_read_b128 v[140:143], v186 offset:80
	s_waitcnt vmcnt(16)
	v_fma_f64 v[137:138], v[148:149], v[160:161], -v[137:138]
	v_fma_f64 v[148:149], v[150:151], v[160:161], v[152:153]
	s_waitcnt vmcnt(12) lgkmcnt(1)
	v_mul_f64 v[156:157], v[3:4], v[162:163]
	v_mul_f64 v[162:163], v[1:2], v[162:163]
	v_add_f64 v[144:145], v[144:145], v[158:159]
	v_add_f64 v[146:147], v[146:147], v[154:155]
	s_waitcnt vmcnt(10) lgkmcnt(0)
	v_mul_f64 v[150:151], v[142:143], v[164:165]
	v_mul_f64 v[152:153], v[140:141], v[164:165]
	s_waitcnt vmcnt(8)
	v_fma_f64 v[154:155], v[1:2], v[168:169], -v[156:157]
	v_fma_f64 v[156:157], v[3:4], v[168:169], v[162:163]
	v_add_f64 v[137:138], v[144:145], v[137:138]
	v_add_f64 v[148:149], v[146:147], v[148:149]
	ds_read_b128 v[1:4], v186 offset:96
	ds_read_b128 v[144:147], v186 offset:112
	v_fma_f64 v[140:141], v[140:141], v[166:167], -v[150:151]
	v_fma_f64 v[142:143], v[142:143], v[166:167], v[152:153]
	s_waitcnt vmcnt(4) lgkmcnt(1)
	v_mul_f64 v[158:159], v[3:4], v[170:171]
	v_mul_f64 v[160:161], v[1:2], v[170:171]
	v_add_f64 v[137:138], v[137:138], v[154:155]
	v_add_f64 v[148:149], v[148:149], v[156:157]
	s_waitcnt vmcnt(2) lgkmcnt(0)
	v_mul_f64 v[150:151], v[146:147], v[172:173]
	v_mul_f64 v[152:153], v[144:145], v[172:173]
	s_waitcnt vmcnt(0)
	v_fma_f64 v[1:2], v[1:2], v[176:177], -v[158:159]
	v_fma_f64 v[3:4], v[3:4], v[176:177], v[160:161]
	v_add_f64 v[137:138], v[137:138], v[140:141]
	v_add_f64 v[140:141], v[148:149], v[142:143]
	v_fma_f64 v[142:143], v[144:145], v[174:175], -v[150:151]
	v_fma_f64 v[144:145], v[146:147], v[174:175], v[152:153]
	v_add_f64 v[1:2], v[137:138], v[1:2]
	v_add_f64 v[3:4], v[140:141], v[3:4]
	v_mov_b32_e32 v137, s76
	s_mov_b32 s76, s77
	v_add_f64 v[1:2], v[1:2], v[142:143]
	v_add_f64 v[3:4], v[3:4], v[144:145]
	s_andn2_b32 exec_lo, exec_lo, s73
	s_cbranch_execnz .LBB127_669
; %bb.670:
	s_or_b32 exec_lo, exec_lo, s73
.LBB127_671:
	s_or_b32 exec_lo, exec_lo, s5
	v_and_b32_e32 v135, 7, v135
	s_mov_b32 s73, 0
	s_mov_b32 s5, exec_lo
	v_cmpx_ne_u32_e32 0, v135
	s_cbranch_execz .LBB127_675
; %bb.672:
	v_lshlrev_b32_e32 v137, 4, v137
	v_add_nc_u32_e32 v136, 0x400, v137
	.p2align	6
.LBB127_673:                            ; =>This Inner Loop Header: Depth=1
	s_clause 0x3
	buffer_load_dword v144, v137, s[0:3], 0 offen offset:8
	buffer_load_dword v145, v137, s[0:3], 0 offen offset:12
	buffer_load_dword v146, v137, s[0:3], 0 offen
	buffer_load_dword v147, v137, s[0:3], 0 offen offset:4
	ds_read_b128 v[140:143], v136
	v_add_nc_u32_e32 v135, -1, v135
	v_add_nc_u32_e32 v136, 16, v136
	v_add_nc_u32_e32 v137, 16, v137
	v_cmp_eq_u32_e32 vcc_lo, 0, v135
	s_or_b32 s73, vcc_lo, s73
	s_waitcnt vmcnt(2) lgkmcnt(0)
	v_mul_f64 v[148:149], v[142:143], v[144:145]
	v_mul_f64 v[144:145], v[140:141], v[144:145]
	s_waitcnt vmcnt(0)
	v_fma_f64 v[140:141], v[140:141], v[146:147], -v[148:149]
	v_fma_f64 v[142:143], v[142:143], v[146:147], v[144:145]
	v_add_f64 v[1:2], v[1:2], v[140:141]
	v_add_f64 v[3:4], v[3:4], v[142:143]
	s_andn2_b32 exec_lo, exec_lo, s73
	s_cbranch_execnz .LBB127_673
; %bb.674:
	s_or_b32 exec_lo, exec_lo, s73
.LBB127_675:
	s_or_b32 exec_lo, exec_lo, s5
.LBB127_676:
	s_or_b32 exec_lo, exec_lo, s8
	v_mov_b32_e32 v135, 0
	ds_read_b128 v[135:138], v135 offset:224
	s_waitcnt lgkmcnt(0)
	v_mul_f64 v[140:141], v[3:4], v[137:138]
	v_mul_f64 v[137:138], v[1:2], v[137:138]
	v_fma_f64 v[1:2], v[1:2], v[135:136], -v[140:141]
	v_fma_f64 v[3:4], v[3:4], v[135:136], v[137:138]
	buffer_store_dword v2, off, s[0:3], 0 offset:228
	buffer_store_dword v1, off, s[0:3], 0 offset:224
	;; [unrolled: 1-line block ×4, first 2 shown]
.LBB127_677:
	s_or_b32 exec_lo, exec_lo, s6
	v_mov_b32_e32 v4, s60
	v_cmp_lt_u32_e64 s5, 13, v0
	s_clause 0x3
	buffer_load_dword v1, v4, s[0:3], 0 offen
	buffer_load_dword v2, v4, s[0:3], 0 offen offset:4
	buffer_load_dword v3, v4, s[0:3], 0 offen offset:8
	;; [unrolled: 1-line block ×3, first 2 shown]
	s_waitcnt vmcnt(0)
	ds_write_b128 v134, v[1:4]
	s_waitcnt lgkmcnt(0)
	s_waitcnt_vscnt null, 0x0
	s_barrier
	buffer_gl0_inv
	s_and_saveexec_b32 s6, s5
	s_cbranch_execz .LBB127_691
; %bb.678:
	ds_read_b128 v[1:4], v134
	s_andn2_b32 vcc_lo, exec_lo, s7
	s_cbranch_vccnz .LBB127_680
; %bb.679:
	s_clause 0x3
	buffer_load_dword v135, v133, s[0:3], 0 offen offset:8
	buffer_load_dword v136, v133, s[0:3], 0 offen offset:12
	buffer_load_dword v137, v133, s[0:3], 0 offen
	buffer_load_dword v138, v133, s[0:3], 0 offen offset:4
	s_waitcnt vmcnt(2) lgkmcnt(0)
	v_mul_f64 v[140:141], v[3:4], v[135:136]
	v_mul_f64 v[135:136], v[1:2], v[135:136]
	s_waitcnt vmcnt(0)
	v_fma_f64 v[1:2], v[1:2], v[137:138], -v[140:141]
	v_fma_f64 v[3:4], v[3:4], v[137:138], v[135:136]
.LBB127_680:
	s_and_saveexec_b32 s8, s4
	s_cbranch_execz .LBB127_690
; %bb.681:
	v_add_nc_u32_e32 v136, -15, v0
	v_add_nc_u32_e32 v135, -14, v0
	v_mov_b32_e32 v137, 14
	s_mov_b32 s4, exec_lo
	v_cmpx_lt_u32_e32 6, v136
	s_cbranch_execz .LBB127_685
; %bb.682:
	v_and_b32_e32 v136, -8, v135
	s_movk_i32 s74, 0x4e0
	s_mov_b32 s73, 0
	s_mov_b32 s75, s59
	s_mov_b32 s76, 0
.LBB127_683:                            ; =>This Inner Loop Header: Depth=1
	v_mov_b32_e32 v140, s75
	v_mov_b32_e32 v186, s74
	s_add_i32 s77, s76, 8
	s_add_i32 s76, s76, 22
	v_cmp_eq_u32_e32 vcc_lo, s77, v136
	s_clause 0x1f
	buffer_load_dword v137, v140, s[0:3], 0 offen offset:8
	buffer_load_dword v138, v140, s[0:3], 0 offen offset:12
	buffer_load_dword v148, v140, s[0:3], 0 offen
	buffer_load_dword v149, v140, s[0:3], 0 offen offset:4
	buffer_load_dword v150, v140, s[0:3], 0 offen offset:24
	;; [unrolled: 1-line block ×29, first 2 shown]
	ds_read_b128 v[140:143], v186
	ds_read_b128 v[144:147], v186 offset:16
	s_addk_i32 s74, 0x80
	s_addk_i32 s75, 0x80
	s_or_b32 s73, vcc_lo, s73
	s_waitcnt vmcnt(30) lgkmcnt(1)
	v_mul_f64 v[178:179], v[142:143], v[137:138]
	v_mul_f64 v[137:138], v[140:141], v[137:138]
	s_waitcnt vmcnt(26) lgkmcnt(0)
	v_mul_f64 v[180:181], v[146:147], v[150:151]
	v_mul_f64 v[182:183], v[144:145], v[150:151]
	v_fma_f64 v[178:179], v[140:141], v[148:149], -v[178:179]
	v_fma_f64 v[137:138], v[142:143], v[148:149], v[137:138]
	ds_read_b128 v[140:143], v186 offset:32
	ds_read_b128 v[148:151], v186 offset:48
	s_waitcnt vmcnt(24)
	v_fma_f64 v[144:145], v[144:145], v[152:153], -v[180:181]
	v_fma_f64 v[146:147], v[146:147], v[152:153], v[182:183]
	s_waitcnt vmcnt(22) lgkmcnt(1)
	v_mul_f64 v[184:185], v[142:143], v[154:155]
	v_mul_f64 v[154:155], v[140:141], v[154:155]
	v_add_f64 v[1:2], v[1:2], v[178:179]
	v_add_f64 v[3:4], v[3:4], v[137:138]
	s_waitcnt vmcnt(18) lgkmcnt(0)
	v_mul_f64 v[137:138], v[150:151], v[158:159]
	v_mul_f64 v[152:153], v[148:149], v[158:159]
	v_fma_f64 v[158:159], v[140:141], v[156:157], -v[184:185]
	v_fma_f64 v[154:155], v[142:143], v[156:157], v[154:155]
	v_add_f64 v[144:145], v[1:2], v[144:145]
	v_add_f64 v[146:147], v[3:4], v[146:147]
	ds_read_b128 v[1:4], v186 offset:64
	ds_read_b128 v[140:143], v186 offset:80
	s_waitcnt vmcnt(16)
	v_fma_f64 v[137:138], v[148:149], v[160:161], -v[137:138]
	v_fma_f64 v[148:149], v[150:151], v[160:161], v[152:153]
	s_waitcnt vmcnt(12) lgkmcnt(1)
	v_mul_f64 v[156:157], v[3:4], v[162:163]
	v_mul_f64 v[162:163], v[1:2], v[162:163]
	v_add_f64 v[144:145], v[144:145], v[158:159]
	v_add_f64 v[146:147], v[146:147], v[154:155]
	s_waitcnt vmcnt(10) lgkmcnt(0)
	v_mul_f64 v[150:151], v[142:143], v[164:165]
	v_mul_f64 v[152:153], v[140:141], v[164:165]
	s_waitcnt vmcnt(8)
	v_fma_f64 v[154:155], v[1:2], v[168:169], -v[156:157]
	v_fma_f64 v[156:157], v[3:4], v[168:169], v[162:163]
	v_add_f64 v[137:138], v[144:145], v[137:138]
	v_add_f64 v[148:149], v[146:147], v[148:149]
	ds_read_b128 v[1:4], v186 offset:96
	ds_read_b128 v[144:147], v186 offset:112
	v_fma_f64 v[140:141], v[140:141], v[166:167], -v[150:151]
	v_fma_f64 v[142:143], v[142:143], v[166:167], v[152:153]
	s_waitcnt vmcnt(4) lgkmcnt(1)
	v_mul_f64 v[158:159], v[3:4], v[170:171]
	v_mul_f64 v[160:161], v[1:2], v[170:171]
	v_add_f64 v[137:138], v[137:138], v[154:155]
	v_add_f64 v[148:149], v[148:149], v[156:157]
	s_waitcnt vmcnt(2) lgkmcnt(0)
	v_mul_f64 v[150:151], v[146:147], v[172:173]
	v_mul_f64 v[152:153], v[144:145], v[172:173]
	s_waitcnt vmcnt(0)
	v_fma_f64 v[1:2], v[1:2], v[176:177], -v[158:159]
	v_fma_f64 v[3:4], v[3:4], v[176:177], v[160:161]
	v_add_f64 v[137:138], v[137:138], v[140:141]
	v_add_f64 v[140:141], v[148:149], v[142:143]
	v_fma_f64 v[142:143], v[144:145], v[174:175], -v[150:151]
	v_fma_f64 v[144:145], v[146:147], v[174:175], v[152:153]
	v_add_f64 v[1:2], v[137:138], v[1:2]
	v_add_f64 v[3:4], v[140:141], v[3:4]
	v_mov_b32_e32 v137, s76
	s_mov_b32 s76, s77
	v_add_f64 v[1:2], v[1:2], v[142:143]
	v_add_f64 v[3:4], v[3:4], v[144:145]
	s_andn2_b32 exec_lo, exec_lo, s73
	s_cbranch_execnz .LBB127_683
; %bb.684:
	s_or_b32 exec_lo, exec_lo, s73
.LBB127_685:
	s_or_b32 exec_lo, exec_lo, s4
	v_and_b32_e32 v135, 7, v135
	s_mov_b32 s73, 0
	s_mov_b32 s4, exec_lo
	v_cmpx_ne_u32_e32 0, v135
	s_cbranch_execz .LBB127_689
; %bb.686:
	v_lshlrev_b32_e32 v137, 4, v137
	v_add_nc_u32_e32 v136, 0x400, v137
	.p2align	6
.LBB127_687:                            ; =>This Inner Loop Header: Depth=1
	s_clause 0x3
	buffer_load_dword v144, v137, s[0:3], 0 offen offset:8
	buffer_load_dword v145, v137, s[0:3], 0 offen offset:12
	buffer_load_dword v146, v137, s[0:3], 0 offen
	buffer_load_dword v147, v137, s[0:3], 0 offen offset:4
	ds_read_b128 v[140:143], v136
	v_add_nc_u32_e32 v135, -1, v135
	v_add_nc_u32_e32 v136, 16, v136
	v_add_nc_u32_e32 v137, 16, v137
	v_cmp_eq_u32_e32 vcc_lo, 0, v135
	s_or_b32 s73, vcc_lo, s73
	s_waitcnt vmcnt(2) lgkmcnt(0)
	v_mul_f64 v[148:149], v[142:143], v[144:145]
	v_mul_f64 v[144:145], v[140:141], v[144:145]
	s_waitcnt vmcnt(0)
	v_fma_f64 v[140:141], v[140:141], v[146:147], -v[148:149]
	v_fma_f64 v[142:143], v[142:143], v[146:147], v[144:145]
	v_add_f64 v[1:2], v[1:2], v[140:141]
	v_add_f64 v[3:4], v[3:4], v[142:143]
	s_andn2_b32 exec_lo, exec_lo, s73
	s_cbranch_execnz .LBB127_687
; %bb.688:
	s_or_b32 exec_lo, exec_lo, s73
.LBB127_689:
	s_or_b32 exec_lo, exec_lo, s4
.LBB127_690:
	s_or_b32 exec_lo, exec_lo, s8
	v_mov_b32_e32 v135, 0
	ds_read_b128 v[135:138], v135 offset:208
	s_waitcnt lgkmcnt(0)
	v_mul_f64 v[140:141], v[3:4], v[137:138]
	v_mul_f64 v[137:138], v[1:2], v[137:138]
	v_fma_f64 v[1:2], v[1:2], v[135:136], -v[140:141]
	v_fma_f64 v[3:4], v[3:4], v[135:136], v[137:138]
	buffer_store_dword v2, off, s[0:3], 0 offset:212
	buffer_store_dword v1, off, s[0:3], 0 offset:208
	;; [unrolled: 1-line block ×4, first 2 shown]
.LBB127_691:
	s_or_b32 exec_lo, exec_lo, s6
	v_mov_b32_e32 v4, s61
	v_cmp_lt_u32_e64 s4, 12, v0
	s_clause 0x3
	buffer_load_dword v1, v4, s[0:3], 0 offen
	buffer_load_dword v2, v4, s[0:3], 0 offen offset:4
	buffer_load_dword v3, v4, s[0:3], 0 offen offset:8
	buffer_load_dword v4, v4, s[0:3], 0 offen offset:12
	s_waitcnt vmcnt(0)
	ds_write_b128 v134, v[1:4]
	s_waitcnt lgkmcnt(0)
	s_waitcnt_vscnt null, 0x0
	s_barrier
	buffer_gl0_inv
	s_and_saveexec_b32 s6, s4
	s_cbranch_execz .LBB127_705
; %bb.692:
	ds_read_b128 v[1:4], v134
	s_andn2_b32 vcc_lo, exec_lo, s7
	s_cbranch_vccnz .LBB127_694
; %bb.693:
	s_clause 0x3
	buffer_load_dword v135, v133, s[0:3], 0 offen offset:8
	buffer_load_dword v136, v133, s[0:3], 0 offen offset:12
	buffer_load_dword v137, v133, s[0:3], 0 offen
	buffer_load_dword v138, v133, s[0:3], 0 offen offset:4
	s_waitcnt vmcnt(2) lgkmcnt(0)
	v_mul_f64 v[140:141], v[3:4], v[135:136]
	v_mul_f64 v[135:136], v[1:2], v[135:136]
	s_waitcnt vmcnt(0)
	v_fma_f64 v[1:2], v[1:2], v[137:138], -v[140:141]
	v_fma_f64 v[3:4], v[3:4], v[137:138], v[135:136]
.LBB127_694:
	s_and_saveexec_b32 s8, s5
	s_cbranch_execz .LBB127_704
; %bb.695:
	v_add_nc_u32_e32 v136, -14, v0
	v_add_nc_u32_e32 v135, -13, v0
	v_mov_b32_e32 v137, 13
	s_mov_b32 s5, exec_lo
	v_cmpx_lt_u32_e32 6, v136
	s_cbranch_execz .LBB127_699
; %bb.696:
	v_and_b32_e32 v136, -8, v135
	s_movk_i32 s74, 0x4d0
	s_mov_b32 s73, 0
	s_mov_b32 s75, s60
	s_mov_b32 s76, 0
.LBB127_697:                            ; =>This Inner Loop Header: Depth=1
	v_mov_b32_e32 v140, s75
	v_mov_b32_e32 v186, s74
	s_add_i32 s77, s76, 8
	s_add_i32 s76, s76, 21
	v_cmp_eq_u32_e32 vcc_lo, s77, v136
	s_clause 0x1f
	buffer_load_dword v137, v140, s[0:3], 0 offen offset:8
	buffer_load_dword v138, v140, s[0:3], 0 offen offset:12
	buffer_load_dword v148, v140, s[0:3], 0 offen
	buffer_load_dword v149, v140, s[0:3], 0 offen offset:4
	buffer_load_dword v150, v140, s[0:3], 0 offen offset:24
	;; [unrolled: 1-line block ×29, first 2 shown]
	ds_read_b128 v[140:143], v186
	ds_read_b128 v[144:147], v186 offset:16
	s_addk_i32 s74, 0x80
	s_addk_i32 s75, 0x80
	s_or_b32 s73, vcc_lo, s73
	s_waitcnt vmcnt(30) lgkmcnt(1)
	v_mul_f64 v[178:179], v[142:143], v[137:138]
	v_mul_f64 v[137:138], v[140:141], v[137:138]
	s_waitcnt vmcnt(26) lgkmcnt(0)
	v_mul_f64 v[180:181], v[146:147], v[150:151]
	v_mul_f64 v[182:183], v[144:145], v[150:151]
	v_fma_f64 v[178:179], v[140:141], v[148:149], -v[178:179]
	v_fma_f64 v[137:138], v[142:143], v[148:149], v[137:138]
	ds_read_b128 v[140:143], v186 offset:32
	ds_read_b128 v[148:151], v186 offset:48
	s_waitcnt vmcnt(24)
	v_fma_f64 v[144:145], v[144:145], v[152:153], -v[180:181]
	v_fma_f64 v[146:147], v[146:147], v[152:153], v[182:183]
	s_waitcnt vmcnt(22) lgkmcnt(1)
	v_mul_f64 v[184:185], v[142:143], v[154:155]
	v_mul_f64 v[154:155], v[140:141], v[154:155]
	v_add_f64 v[1:2], v[1:2], v[178:179]
	v_add_f64 v[3:4], v[3:4], v[137:138]
	s_waitcnt vmcnt(18) lgkmcnt(0)
	v_mul_f64 v[137:138], v[150:151], v[158:159]
	v_mul_f64 v[152:153], v[148:149], v[158:159]
	v_fma_f64 v[158:159], v[140:141], v[156:157], -v[184:185]
	v_fma_f64 v[154:155], v[142:143], v[156:157], v[154:155]
	v_add_f64 v[144:145], v[1:2], v[144:145]
	v_add_f64 v[146:147], v[3:4], v[146:147]
	ds_read_b128 v[1:4], v186 offset:64
	ds_read_b128 v[140:143], v186 offset:80
	s_waitcnt vmcnt(16)
	v_fma_f64 v[137:138], v[148:149], v[160:161], -v[137:138]
	v_fma_f64 v[148:149], v[150:151], v[160:161], v[152:153]
	s_waitcnt vmcnt(12) lgkmcnt(1)
	v_mul_f64 v[156:157], v[3:4], v[162:163]
	v_mul_f64 v[162:163], v[1:2], v[162:163]
	v_add_f64 v[144:145], v[144:145], v[158:159]
	v_add_f64 v[146:147], v[146:147], v[154:155]
	s_waitcnt vmcnt(10) lgkmcnt(0)
	v_mul_f64 v[150:151], v[142:143], v[164:165]
	v_mul_f64 v[152:153], v[140:141], v[164:165]
	s_waitcnt vmcnt(8)
	v_fma_f64 v[154:155], v[1:2], v[168:169], -v[156:157]
	v_fma_f64 v[156:157], v[3:4], v[168:169], v[162:163]
	v_add_f64 v[137:138], v[144:145], v[137:138]
	v_add_f64 v[148:149], v[146:147], v[148:149]
	ds_read_b128 v[1:4], v186 offset:96
	ds_read_b128 v[144:147], v186 offset:112
	v_fma_f64 v[140:141], v[140:141], v[166:167], -v[150:151]
	v_fma_f64 v[142:143], v[142:143], v[166:167], v[152:153]
	s_waitcnt vmcnt(4) lgkmcnt(1)
	v_mul_f64 v[158:159], v[3:4], v[170:171]
	v_mul_f64 v[160:161], v[1:2], v[170:171]
	v_add_f64 v[137:138], v[137:138], v[154:155]
	v_add_f64 v[148:149], v[148:149], v[156:157]
	s_waitcnt vmcnt(2) lgkmcnt(0)
	v_mul_f64 v[150:151], v[146:147], v[172:173]
	v_mul_f64 v[152:153], v[144:145], v[172:173]
	s_waitcnt vmcnt(0)
	v_fma_f64 v[1:2], v[1:2], v[176:177], -v[158:159]
	v_fma_f64 v[3:4], v[3:4], v[176:177], v[160:161]
	v_add_f64 v[137:138], v[137:138], v[140:141]
	v_add_f64 v[140:141], v[148:149], v[142:143]
	v_fma_f64 v[142:143], v[144:145], v[174:175], -v[150:151]
	v_fma_f64 v[144:145], v[146:147], v[174:175], v[152:153]
	v_add_f64 v[1:2], v[137:138], v[1:2]
	v_add_f64 v[3:4], v[140:141], v[3:4]
	v_mov_b32_e32 v137, s76
	s_mov_b32 s76, s77
	v_add_f64 v[1:2], v[1:2], v[142:143]
	v_add_f64 v[3:4], v[3:4], v[144:145]
	s_andn2_b32 exec_lo, exec_lo, s73
	s_cbranch_execnz .LBB127_697
; %bb.698:
	s_or_b32 exec_lo, exec_lo, s73
.LBB127_699:
	s_or_b32 exec_lo, exec_lo, s5
	v_and_b32_e32 v135, 7, v135
	s_mov_b32 s73, 0
	s_mov_b32 s5, exec_lo
	v_cmpx_ne_u32_e32 0, v135
	s_cbranch_execz .LBB127_703
; %bb.700:
	v_lshlrev_b32_e32 v137, 4, v137
	v_add_nc_u32_e32 v136, 0x400, v137
	.p2align	6
.LBB127_701:                            ; =>This Inner Loop Header: Depth=1
	s_clause 0x3
	buffer_load_dword v144, v137, s[0:3], 0 offen offset:8
	buffer_load_dword v145, v137, s[0:3], 0 offen offset:12
	buffer_load_dword v146, v137, s[0:3], 0 offen
	buffer_load_dword v147, v137, s[0:3], 0 offen offset:4
	ds_read_b128 v[140:143], v136
	v_add_nc_u32_e32 v135, -1, v135
	v_add_nc_u32_e32 v136, 16, v136
	v_add_nc_u32_e32 v137, 16, v137
	v_cmp_eq_u32_e32 vcc_lo, 0, v135
	s_or_b32 s73, vcc_lo, s73
	s_waitcnt vmcnt(2) lgkmcnt(0)
	v_mul_f64 v[148:149], v[142:143], v[144:145]
	v_mul_f64 v[144:145], v[140:141], v[144:145]
	s_waitcnt vmcnt(0)
	v_fma_f64 v[140:141], v[140:141], v[146:147], -v[148:149]
	v_fma_f64 v[142:143], v[142:143], v[146:147], v[144:145]
	v_add_f64 v[1:2], v[1:2], v[140:141]
	v_add_f64 v[3:4], v[3:4], v[142:143]
	s_andn2_b32 exec_lo, exec_lo, s73
	s_cbranch_execnz .LBB127_701
; %bb.702:
	s_or_b32 exec_lo, exec_lo, s73
.LBB127_703:
	s_or_b32 exec_lo, exec_lo, s5
.LBB127_704:
	s_or_b32 exec_lo, exec_lo, s8
	v_mov_b32_e32 v135, 0
	ds_read_b128 v[135:138], v135 offset:192
	s_waitcnt lgkmcnt(0)
	v_mul_f64 v[140:141], v[3:4], v[137:138]
	v_mul_f64 v[137:138], v[1:2], v[137:138]
	v_fma_f64 v[1:2], v[1:2], v[135:136], -v[140:141]
	v_fma_f64 v[3:4], v[3:4], v[135:136], v[137:138]
	buffer_store_dword v2, off, s[0:3], 0 offset:196
	buffer_store_dword v1, off, s[0:3], 0 offset:192
	;; [unrolled: 1-line block ×4, first 2 shown]
.LBB127_705:
	s_or_b32 exec_lo, exec_lo, s6
	v_mov_b32_e32 v4, s62
	v_cmp_lt_u32_e64 s5, 11, v0
	s_clause 0x3
	buffer_load_dword v1, v4, s[0:3], 0 offen
	buffer_load_dword v2, v4, s[0:3], 0 offen offset:4
	buffer_load_dword v3, v4, s[0:3], 0 offen offset:8
	;; [unrolled: 1-line block ×3, first 2 shown]
	s_waitcnt vmcnt(0)
	ds_write_b128 v134, v[1:4]
	s_waitcnt lgkmcnt(0)
	s_waitcnt_vscnt null, 0x0
	s_barrier
	buffer_gl0_inv
	s_and_saveexec_b32 s6, s5
	s_cbranch_execz .LBB127_719
; %bb.706:
	ds_read_b128 v[1:4], v134
	s_andn2_b32 vcc_lo, exec_lo, s7
	s_cbranch_vccnz .LBB127_708
; %bb.707:
	s_clause 0x3
	buffer_load_dword v135, v133, s[0:3], 0 offen offset:8
	buffer_load_dword v136, v133, s[0:3], 0 offen offset:12
	buffer_load_dword v137, v133, s[0:3], 0 offen
	buffer_load_dword v138, v133, s[0:3], 0 offen offset:4
	s_waitcnt vmcnt(2) lgkmcnt(0)
	v_mul_f64 v[140:141], v[3:4], v[135:136]
	v_mul_f64 v[135:136], v[1:2], v[135:136]
	s_waitcnt vmcnt(0)
	v_fma_f64 v[1:2], v[1:2], v[137:138], -v[140:141]
	v_fma_f64 v[3:4], v[3:4], v[137:138], v[135:136]
.LBB127_708:
	s_and_saveexec_b32 s8, s4
	s_cbranch_execz .LBB127_718
; %bb.709:
	v_add_nc_u32_e32 v136, -13, v0
	v_add_nc_u32_e32 v135, -12, v0
	v_mov_b32_e32 v137, 12
	s_mov_b32 s4, exec_lo
	v_cmpx_lt_u32_e32 6, v136
	s_cbranch_execz .LBB127_713
; %bb.710:
	v_and_b32_e32 v136, -8, v135
	s_movk_i32 s74, 0x4c0
	s_mov_b32 s73, 0
	s_mov_b32 s75, s61
	s_mov_b32 s76, 0
.LBB127_711:                            ; =>This Inner Loop Header: Depth=1
	v_mov_b32_e32 v140, s75
	v_mov_b32_e32 v186, s74
	s_add_i32 s77, s76, 8
	s_add_i32 s76, s76, 20
	v_cmp_eq_u32_e32 vcc_lo, s77, v136
	s_clause 0x1f
	buffer_load_dword v137, v140, s[0:3], 0 offen offset:8
	buffer_load_dword v138, v140, s[0:3], 0 offen offset:12
	buffer_load_dword v148, v140, s[0:3], 0 offen
	buffer_load_dword v149, v140, s[0:3], 0 offen offset:4
	buffer_load_dword v150, v140, s[0:3], 0 offen offset:24
	;; [unrolled: 1-line block ×29, first 2 shown]
	ds_read_b128 v[140:143], v186
	ds_read_b128 v[144:147], v186 offset:16
	s_addk_i32 s74, 0x80
	s_addk_i32 s75, 0x80
	s_or_b32 s73, vcc_lo, s73
	s_waitcnt vmcnt(30) lgkmcnt(1)
	v_mul_f64 v[178:179], v[142:143], v[137:138]
	v_mul_f64 v[137:138], v[140:141], v[137:138]
	s_waitcnt vmcnt(26) lgkmcnt(0)
	v_mul_f64 v[180:181], v[146:147], v[150:151]
	v_mul_f64 v[182:183], v[144:145], v[150:151]
	v_fma_f64 v[178:179], v[140:141], v[148:149], -v[178:179]
	v_fma_f64 v[137:138], v[142:143], v[148:149], v[137:138]
	ds_read_b128 v[140:143], v186 offset:32
	ds_read_b128 v[148:151], v186 offset:48
	s_waitcnt vmcnt(24)
	v_fma_f64 v[144:145], v[144:145], v[152:153], -v[180:181]
	v_fma_f64 v[146:147], v[146:147], v[152:153], v[182:183]
	s_waitcnt vmcnt(22) lgkmcnt(1)
	v_mul_f64 v[184:185], v[142:143], v[154:155]
	v_mul_f64 v[154:155], v[140:141], v[154:155]
	v_add_f64 v[1:2], v[1:2], v[178:179]
	v_add_f64 v[3:4], v[3:4], v[137:138]
	s_waitcnt vmcnt(18) lgkmcnt(0)
	v_mul_f64 v[137:138], v[150:151], v[158:159]
	v_mul_f64 v[152:153], v[148:149], v[158:159]
	v_fma_f64 v[158:159], v[140:141], v[156:157], -v[184:185]
	v_fma_f64 v[154:155], v[142:143], v[156:157], v[154:155]
	v_add_f64 v[144:145], v[1:2], v[144:145]
	v_add_f64 v[146:147], v[3:4], v[146:147]
	ds_read_b128 v[1:4], v186 offset:64
	ds_read_b128 v[140:143], v186 offset:80
	s_waitcnt vmcnt(16)
	v_fma_f64 v[137:138], v[148:149], v[160:161], -v[137:138]
	v_fma_f64 v[148:149], v[150:151], v[160:161], v[152:153]
	s_waitcnt vmcnt(12) lgkmcnt(1)
	v_mul_f64 v[156:157], v[3:4], v[162:163]
	v_mul_f64 v[162:163], v[1:2], v[162:163]
	v_add_f64 v[144:145], v[144:145], v[158:159]
	v_add_f64 v[146:147], v[146:147], v[154:155]
	s_waitcnt vmcnt(10) lgkmcnt(0)
	v_mul_f64 v[150:151], v[142:143], v[164:165]
	v_mul_f64 v[152:153], v[140:141], v[164:165]
	s_waitcnt vmcnt(8)
	v_fma_f64 v[154:155], v[1:2], v[168:169], -v[156:157]
	v_fma_f64 v[156:157], v[3:4], v[168:169], v[162:163]
	v_add_f64 v[137:138], v[144:145], v[137:138]
	v_add_f64 v[148:149], v[146:147], v[148:149]
	ds_read_b128 v[1:4], v186 offset:96
	ds_read_b128 v[144:147], v186 offset:112
	v_fma_f64 v[140:141], v[140:141], v[166:167], -v[150:151]
	v_fma_f64 v[142:143], v[142:143], v[166:167], v[152:153]
	s_waitcnt vmcnt(4) lgkmcnt(1)
	v_mul_f64 v[158:159], v[3:4], v[170:171]
	v_mul_f64 v[160:161], v[1:2], v[170:171]
	v_add_f64 v[137:138], v[137:138], v[154:155]
	v_add_f64 v[148:149], v[148:149], v[156:157]
	s_waitcnt vmcnt(2) lgkmcnt(0)
	v_mul_f64 v[150:151], v[146:147], v[172:173]
	v_mul_f64 v[152:153], v[144:145], v[172:173]
	s_waitcnt vmcnt(0)
	v_fma_f64 v[1:2], v[1:2], v[176:177], -v[158:159]
	v_fma_f64 v[3:4], v[3:4], v[176:177], v[160:161]
	v_add_f64 v[137:138], v[137:138], v[140:141]
	v_add_f64 v[140:141], v[148:149], v[142:143]
	v_fma_f64 v[142:143], v[144:145], v[174:175], -v[150:151]
	v_fma_f64 v[144:145], v[146:147], v[174:175], v[152:153]
	v_add_f64 v[1:2], v[137:138], v[1:2]
	v_add_f64 v[3:4], v[140:141], v[3:4]
	v_mov_b32_e32 v137, s76
	s_mov_b32 s76, s77
	v_add_f64 v[1:2], v[1:2], v[142:143]
	v_add_f64 v[3:4], v[3:4], v[144:145]
	s_andn2_b32 exec_lo, exec_lo, s73
	s_cbranch_execnz .LBB127_711
; %bb.712:
	s_or_b32 exec_lo, exec_lo, s73
.LBB127_713:
	s_or_b32 exec_lo, exec_lo, s4
	v_and_b32_e32 v135, 7, v135
	s_mov_b32 s73, 0
	s_mov_b32 s4, exec_lo
	v_cmpx_ne_u32_e32 0, v135
	s_cbranch_execz .LBB127_717
; %bb.714:
	v_lshlrev_b32_e32 v137, 4, v137
	v_add_nc_u32_e32 v136, 0x400, v137
	.p2align	6
.LBB127_715:                            ; =>This Inner Loop Header: Depth=1
	s_clause 0x3
	buffer_load_dword v144, v137, s[0:3], 0 offen offset:8
	buffer_load_dword v145, v137, s[0:3], 0 offen offset:12
	buffer_load_dword v146, v137, s[0:3], 0 offen
	buffer_load_dword v147, v137, s[0:3], 0 offen offset:4
	ds_read_b128 v[140:143], v136
	v_add_nc_u32_e32 v135, -1, v135
	v_add_nc_u32_e32 v136, 16, v136
	v_add_nc_u32_e32 v137, 16, v137
	v_cmp_eq_u32_e32 vcc_lo, 0, v135
	s_or_b32 s73, vcc_lo, s73
	s_waitcnt vmcnt(2) lgkmcnt(0)
	v_mul_f64 v[148:149], v[142:143], v[144:145]
	v_mul_f64 v[144:145], v[140:141], v[144:145]
	s_waitcnt vmcnt(0)
	v_fma_f64 v[140:141], v[140:141], v[146:147], -v[148:149]
	v_fma_f64 v[142:143], v[142:143], v[146:147], v[144:145]
	v_add_f64 v[1:2], v[1:2], v[140:141]
	v_add_f64 v[3:4], v[3:4], v[142:143]
	s_andn2_b32 exec_lo, exec_lo, s73
	s_cbranch_execnz .LBB127_715
; %bb.716:
	s_or_b32 exec_lo, exec_lo, s73
.LBB127_717:
	s_or_b32 exec_lo, exec_lo, s4
.LBB127_718:
	s_or_b32 exec_lo, exec_lo, s8
	v_mov_b32_e32 v135, 0
	ds_read_b128 v[135:138], v135 offset:176
	s_waitcnt lgkmcnt(0)
	v_mul_f64 v[140:141], v[3:4], v[137:138]
	v_mul_f64 v[137:138], v[1:2], v[137:138]
	v_fma_f64 v[1:2], v[1:2], v[135:136], -v[140:141]
	v_fma_f64 v[3:4], v[3:4], v[135:136], v[137:138]
	buffer_store_dword v2, off, s[0:3], 0 offset:180
	buffer_store_dword v1, off, s[0:3], 0 offset:176
	;; [unrolled: 1-line block ×4, first 2 shown]
.LBB127_719:
	s_or_b32 exec_lo, exec_lo, s6
	v_mov_b32_e32 v4, s63
	v_cmp_lt_u32_e64 s4, 10, v0
	s_clause 0x3
	buffer_load_dword v1, v4, s[0:3], 0 offen
	buffer_load_dword v2, v4, s[0:3], 0 offen offset:4
	buffer_load_dword v3, v4, s[0:3], 0 offen offset:8
	;; [unrolled: 1-line block ×3, first 2 shown]
	s_waitcnt vmcnt(0)
	ds_write_b128 v134, v[1:4]
	s_waitcnt lgkmcnt(0)
	s_waitcnt_vscnt null, 0x0
	s_barrier
	buffer_gl0_inv
	s_and_saveexec_b32 s6, s4
	s_cbranch_execz .LBB127_733
; %bb.720:
	ds_read_b128 v[1:4], v134
	s_andn2_b32 vcc_lo, exec_lo, s7
	s_cbranch_vccnz .LBB127_722
; %bb.721:
	s_clause 0x3
	buffer_load_dword v135, v133, s[0:3], 0 offen offset:8
	buffer_load_dword v136, v133, s[0:3], 0 offen offset:12
	buffer_load_dword v137, v133, s[0:3], 0 offen
	buffer_load_dword v138, v133, s[0:3], 0 offen offset:4
	s_waitcnt vmcnt(2) lgkmcnt(0)
	v_mul_f64 v[140:141], v[3:4], v[135:136]
	v_mul_f64 v[135:136], v[1:2], v[135:136]
	s_waitcnt vmcnt(0)
	v_fma_f64 v[1:2], v[1:2], v[137:138], -v[140:141]
	v_fma_f64 v[3:4], v[3:4], v[137:138], v[135:136]
.LBB127_722:
	s_and_saveexec_b32 s8, s5
	s_cbranch_execz .LBB127_732
; %bb.723:
	v_add_nc_u32_e32 v136, -12, v0
	v_add_nc_u32_e32 v135, -11, v0
	v_mov_b32_e32 v137, 11
	s_mov_b32 s5, exec_lo
	v_cmpx_lt_u32_e32 6, v136
	s_cbranch_execz .LBB127_727
; %bb.724:
	v_and_b32_e32 v136, -8, v135
	s_movk_i32 s74, 0x4b0
	s_mov_b32 s73, 0
	s_mov_b32 s75, s62
	;; [unrolled: 1-line block ×3, first 2 shown]
.LBB127_725:                            ; =>This Inner Loop Header: Depth=1
	v_mov_b32_e32 v140, s75
	v_mov_b32_e32 v186, s74
	s_add_i32 s77, s76, 8
	s_add_i32 s76, s76, 19
	v_cmp_eq_u32_e32 vcc_lo, s77, v136
	s_clause 0x1f
	buffer_load_dword v137, v140, s[0:3], 0 offen offset:8
	buffer_load_dword v138, v140, s[0:3], 0 offen offset:12
	buffer_load_dword v148, v140, s[0:3], 0 offen
	buffer_load_dword v149, v140, s[0:3], 0 offen offset:4
	buffer_load_dword v150, v140, s[0:3], 0 offen offset:24
	;; [unrolled: 1-line block ×29, first 2 shown]
	ds_read_b128 v[140:143], v186
	ds_read_b128 v[144:147], v186 offset:16
	s_addk_i32 s74, 0x80
	s_addk_i32 s75, 0x80
	s_or_b32 s73, vcc_lo, s73
	s_waitcnt vmcnt(30) lgkmcnt(1)
	v_mul_f64 v[178:179], v[142:143], v[137:138]
	v_mul_f64 v[137:138], v[140:141], v[137:138]
	s_waitcnt vmcnt(26) lgkmcnt(0)
	v_mul_f64 v[180:181], v[146:147], v[150:151]
	v_mul_f64 v[182:183], v[144:145], v[150:151]
	v_fma_f64 v[178:179], v[140:141], v[148:149], -v[178:179]
	v_fma_f64 v[137:138], v[142:143], v[148:149], v[137:138]
	ds_read_b128 v[140:143], v186 offset:32
	ds_read_b128 v[148:151], v186 offset:48
	s_waitcnt vmcnt(24)
	v_fma_f64 v[144:145], v[144:145], v[152:153], -v[180:181]
	v_fma_f64 v[146:147], v[146:147], v[152:153], v[182:183]
	s_waitcnt vmcnt(22) lgkmcnt(1)
	v_mul_f64 v[184:185], v[142:143], v[154:155]
	v_mul_f64 v[154:155], v[140:141], v[154:155]
	v_add_f64 v[1:2], v[1:2], v[178:179]
	v_add_f64 v[3:4], v[3:4], v[137:138]
	s_waitcnt vmcnt(18) lgkmcnt(0)
	v_mul_f64 v[137:138], v[150:151], v[158:159]
	v_mul_f64 v[152:153], v[148:149], v[158:159]
	v_fma_f64 v[158:159], v[140:141], v[156:157], -v[184:185]
	v_fma_f64 v[154:155], v[142:143], v[156:157], v[154:155]
	v_add_f64 v[144:145], v[1:2], v[144:145]
	v_add_f64 v[146:147], v[3:4], v[146:147]
	ds_read_b128 v[1:4], v186 offset:64
	ds_read_b128 v[140:143], v186 offset:80
	s_waitcnt vmcnt(16)
	v_fma_f64 v[137:138], v[148:149], v[160:161], -v[137:138]
	v_fma_f64 v[148:149], v[150:151], v[160:161], v[152:153]
	s_waitcnt vmcnt(12) lgkmcnt(1)
	v_mul_f64 v[156:157], v[3:4], v[162:163]
	v_mul_f64 v[162:163], v[1:2], v[162:163]
	v_add_f64 v[144:145], v[144:145], v[158:159]
	v_add_f64 v[146:147], v[146:147], v[154:155]
	s_waitcnt vmcnt(10) lgkmcnt(0)
	v_mul_f64 v[150:151], v[142:143], v[164:165]
	v_mul_f64 v[152:153], v[140:141], v[164:165]
	s_waitcnt vmcnt(8)
	v_fma_f64 v[154:155], v[1:2], v[168:169], -v[156:157]
	v_fma_f64 v[156:157], v[3:4], v[168:169], v[162:163]
	v_add_f64 v[137:138], v[144:145], v[137:138]
	v_add_f64 v[148:149], v[146:147], v[148:149]
	ds_read_b128 v[1:4], v186 offset:96
	ds_read_b128 v[144:147], v186 offset:112
	v_fma_f64 v[140:141], v[140:141], v[166:167], -v[150:151]
	v_fma_f64 v[142:143], v[142:143], v[166:167], v[152:153]
	s_waitcnt vmcnt(4) lgkmcnt(1)
	v_mul_f64 v[158:159], v[3:4], v[170:171]
	v_mul_f64 v[160:161], v[1:2], v[170:171]
	v_add_f64 v[137:138], v[137:138], v[154:155]
	v_add_f64 v[148:149], v[148:149], v[156:157]
	s_waitcnt vmcnt(2) lgkmcnt(0)
	v_mul_f64 v[150:151], v[146:147], v[172:173]
	v_mul_f64 v[152:153], v[144:145], v[172:173]
	s_waitcnt vmcnt(0)
	v_fma_f64 v[1:2], v[1:2], v[176:177], -v[158:159]
	v_fma_f64 v[3:4], v[3:4], v[176:177], v[160:161]
	v_add_f64 v[137:138], v[137:138], v[140:141]
	v_add_f64 v[140:141], v[148:149], v[142:143]
	v_fma_f64 v[142:143], v[144:145], v[174:175], -v[150:151]
	v_fma_f64 v[144:145], v[146:147], v[174:175], v[152:153]
	v_add_f64 v[1:2], v[137:138], v[1:2]
	v_add_f64 v[3:4], v[140:141], v[3:4]
	v_mov_b32_e32 v137, s76
	s_mov_b32 s76, s77
	v_add_f64 v[1:2], v[1:2], v[142:143]
	v_add_f64 v[3:4], v[3:4], v[144:145]
	s_andn2_b32 exec_lo, exec_lo, s73
	s_cbranch_execnz .LBB127_725
; %bb.726:
	s_or_b32 exec_lo, exec_lo, s73
.LBB127_727:
	s_or_b32 exec_lo, exec_lo, s5
	v_and_b32_e32 v135, 7, v135
	s_mov_b32 s73, 0
	s_mov_b32 s5, exec_lo
	v_cmpx_ne_u32_e32 0, v135
	s_cbranch_execz .LBB127_731
; %bb.728:
	v_lshlrev_b32_e32 v137, 4, v137
	v_add_nc_u32_e32 v136, 0x400, v137
	.p2align	6
.LBB127_729:                            ; =>This Inner Loop Header: Depth=1
	s_clause 0x3
	buffer_load_dword v144, v137, s[0:3], 0 offen offset:8
	buffer_load_dword v145, v137, s[0:3], 0 offen offset:12
	buffer_load_dword v146, v137, s[0:3], 0 offen
	buffer_load_dword v147, v137, s[0:3], 0 offen offset:4
	ds_read_b128 v[140:143], v136
	v_add_nc_u32_e32 v135, -1, v135
	v_add_nc_u32_e32 v136, 16, v136
	v_add_nc_u32_e32 v137, 16, v137
	v_cmp_eq_u32_e32 vcc_lo, 0, v135
	s_or_b32 s73, vcc_lo, s73
	s_waitcnt vmcnt(2) lgkmcnt(0)
	v_mul_f64 v[148:149], v[142:143], v[144:145]
	v_mul_f64 v[144:145], v[140:141], v[144:145]
	s_waitcnt vmcnt(0)
	v_fma_f64 v[140:141], v[140:141], v[146:147], -v[148:149]
	v_fma_f64 v[142:143], v[142:143], v[146:147], v[144:145]
	v_add_f64 v[1:2], v[1:2], v[140:141]
	v_add_f64 v[3:4], v[3:4], v[142:143]
	s_andn2_b32 exec_lo, exec_lo, s73
	s_cbranch_execnz .LBB127_729
; %bb.730:
	s_or_b32 exec_lo, exec_lo, s73
.LBB127_731:
	s_or_b32 exec_lo, exec_lo, s5
.LBB127_732:
	s_or_b32 exec_lo, exec_lo, s8
	v_mov_b32_e32 v135, 0
	ds_read_b128 v[135:138], v135 offset:160
	s_waitcnt lgkmcnt(0)
	v_mul_f64 v[140:141], v[3:4], v[137:138]
	v_mul_f64 v[137:138], v[1:2], v[137:138]
	v_fma_f64 v[1:2], v[1:2], v[135:136], -v[140:141]
	v_fma_f64 v[3:4], v[3:4], v[135:136], v[137:138]
	buffer_store_dword v2, off, s[0:3], 0 offset:164
	buffer_store_dword v1, off, s[0:3], 0 offset:160
	;; [unrolled: 1-line block ×4, first 2 shown]
.LBB127_733:
	s_or_b32 exec_lo, exec_lo, s6
	v_mov_b32_e32 v4, s64
	v_cmp_lt_u32_e64 s5, 9, v0
	s_clause 0x3
	buffer_load_dword v1, v4, s[0:3], 0 offen
	buffer_load_dword v2, v4, s[0:3], 0 offen offset:4
	buffer_load_dword v3, v4, s[0:3], 0 offen offset:8
	;; [unrolled: 1-line block ×3, first 2 shown]
	s_waitcnt vmcnt(0)
	ds_write_b128 v134, v[1:4]
	s_waitcnt lgkmcnt(0)
	s_waitcnt_vscnt null, 0x0
	s_barrier
	buffer_gl0_inv
	s_and_saveexec_b32 s6, s5
	s_cbranch_execz .LBB127_747
; %bb.734:
	ds_read_b128 v[1:4], v134
	s_andn2_b32 vcc_lo, exec_lo, s7
	s_cbranch_vccnz .LBB127_736
; %bb.735:
	s_clause 0x3
	buffer_load_dword v135, v133, s[0:3], 0 offen offset:8
	buffer_load_dword v136, v133, s[0:3], 0 offen offset:12
	buffer_load_dword v137, v133, s[0:3], 0 offen
	buffer_load_dword v138, v133, s[0:3], 0 offen offset:4
	s_waitcnt vmcnt(2) lgkmcnt(0)
	v_mul_f64 v[140:141], v[3:4], v[135:136]
	v_mul_f64 v[135:136], v[1:2], v[135:136]
	s_waitcnt vmcnt(0)
	v_fma_f64 v[1:2], v[1:2], v[137:138], -v[140:141]
	v_fma_f64 v[3:4], v[3:4], v[137:138], v[135:136]
.LBB127_736:
	s_and_saveexec_b32 s8, s4
	s_cbranch_execz .LBB127_746
; %bb.737:
	v_add_nc_u32_e32 v136, -11, v0
	v_add_nc_u32_e32 v135, -10, v0
	v_mov_b32_e32 v137, 10
	s_mov_b32 s4, exec_lo
	v_cmpx_lt_u32_e32 6, v136
	s_cbranch_execz .LBB127_741
; %bb.738:
	v_and_b32_e32 v136, -8, v135
	s_movk_i32 s74, 0x4a0
	s_mov_b32 s73, 0
	s_mov_b32 s75, s63
	;; [unrolled: 1-line block ×3, first 2 shown]
.LBB127_739:                            ; =>This Inner Loop Header: Depth=1
	v_mov_b32_e32 v140, s75
	v_mov_b32_e32 v186, s74
	s_add_i32 s77, s76, 8
	s_add_i32 s76, s76, 18
	v_cmp_eq_u32_e32 vcc_lo, s77, v136
	s_clause 0x1f
	buffer_load_dword v137, v140, s[0:3], 0 offen offset:8
	buffer_load_dword v138, v140, s[0:3], 0 offen offset:12
	buffer_load_dword v148, v140, s[0:3], 0 offen
	buffer_load_dword v149, v140, s[0:3], 0 offen offset:4
	buffer_load_dword v150, v140, s[0:3], 0 offen offset:24
	;; [unrolled: 1-line block ×29, first 2 shown]
	ds_read_b128 v[140:143], v186
	ds_read_b128 v[144:147], v186 offset:16
	s_addk_i32 s74, 0x80
	s_addk_i32 s75, 0x80
	s_or_b32 s73, vcc_lo, s73
	s_waitcnt vmcnt(30) lgkmcnt(1)
	v_mul_f64 v[178:179], v[142:143], v[137:138]
	v_mul_f64 v[137:138], v[140:141], v[137:138]
	s_waitcnt vmcnt(26) lgkmcnt(0)
	v_mul_f64 v[180:181], v[146:147], v[150:151]
	v_mul_f64 v[182:183], v[144:145], v[150:151]
	v_fma_f64 v[178:179], v[140:141], v[148:149], -v[178:179]
	v_fma_f64 v[137:138], v[142:143], v[148:149], v[137:138]
	ds_read_b128 v[140:143], v186 offset:32
	ds_read_b128 v[148:151], v186 offset:48
	s_waitcnt vmcnt(24)
	v_fma_f64 v[144:145], v[144:145], v[152:153], -v[180:181]
	v_fma_f64 v[146:147], v[146:147], v[152:153], v[182:183]
	s_waitcnt vmcnt(22) lgkmcnt(1)
	v_mul_f64 v[184:185], v[142:143], v[154:155]
	v_mul_f64 v[154:155], v[140:141], v[154:155]
	v_add_f64 v[1:2], v[1:2], v[178:179]
	v_add_f64 v[3:4], v[3:4], v[137:138]
	s_waitcnt vmcnt(18) lgkmcnt(0)
	v_mul_f64 v[137:138], v[150:151], v[158:159]
	v_mul_f64 v[152:153], v[148:149], v[158:159]
	v_fma_f64 v[158:159], v[140:141], v[156:157], -v[184:185]
	v_fma_f64 v[154:155], v[142:143], v[156:157], v[154:155]
	v_add_f64 v[144:145], v[1:2], v[144:145]
	v_add_f64 v[146:147], v[3:4], v[146:147]
	ds_read_b128 v[1:4], v186 offset:64
	ds_read_b128 v[140:143], v186 offset:80
	s_waitcnt vmcnt(16)
	v_fma_f64 v[137:138], v[148:149], v[160:161], -v[137:138]
	v_fma_f64 v[148:149], v[150:151], v[160:161], v[152:153]
	s_waitcnt vmcnt(12) lgkmcnt(1)
	v_mul_f64 v[156:157], v[3:4], v[162:163]
	v_mul_f64 v[162:163], v[1:2], v[162:163]
	v_add_f64 v[144:145], v[144:145], v[158:159]
	v_add_f64 v[146:147], v[146:147], v[154:155]
	s_waitcnt vmcnt(10) lgkmcnt(0)
	v_mul_f64 v[150:151], v[142:143], v[164:165]
	v_mul_f64 v[152:153], v[140:141], v[164:165]
	s_waitcnt vmcnt(8)
	v_fma_f64 v[154:155], v[1:2], v[168:169], -v[156:157]
	v_fma_f64 v[156:157], v[3:4], v[168:169], v[162:163]
	v_add_f64 v[137:138], v[144:145], v[137:138]
	v_add_f64 v[148:149], v[146:147], v[148:149]
	ds_read_b128 v[1:4], v186 offset:96
	ds_read_b128 v[144:147], v186 offset:112
	v_fma_f64 v[140:141], v[140:141], v[166:167], -v[150:151]
	v_fma_f64 v[142:143], v[142:143], v[166:167], v[152:153]
	s_waitcnt vmcnt(4) lgkmcnt(1)
	v_mul_f64 v[158:159], v[3:4], v[170:171]
	v_mul_f64 v[160:161], v[1:2], v[170:171]
	v_add_f64 v[137:138], v[137:138], v[154:155]
	v_add_f64 v[148:149], v[148:149], v[156:157]
	s_waitcnt vmcnt(2) lgkmcnt(0)
	v_mul_f64 v[150:151], v[146:147], v[172:173]
	v_mul_f64 v[152:153], v[144:145], v[172:173]
	s_waitcnt vmcnt(0)
	v_fma_f64 v[1:2], v[1:2], v[176:177], -v[158:159]
	v_fma_f64 v[3:4], v[3:4], v[176:177], v[160:161]
	v_add_f64 v[137:138], v[137:138], v[140:141]
	v_add_f64 v[140:141], v[148:149], v[142:143]
	v_fma_f64 v[142:143], v[144:145], v[174:175], -v[150:151]
	v_fma_f64 v[144:145], v[146:147], v[174:175], v[152:153]
	v_add_f64 v[1:2], v[137:138], v[1:2]
	v_add_f64 v[3:4], v[140:141], v[3:4]
	v_mov_b32_e32 v137, s76
	s_mov_b32 s76, s77
	v_add_f64 v[1:2], v[1:2], v[142:143]
	v_add_f64 v[3:4], v[3:4], v[144:145]
	s_andn2_b32 exec_lo, exec_lo, s73
	s_cbranch_execnz .LBB127_739
; %bb.740:
	s_or_b32 exec_lo, exec_lo, s73
.LBB127_741:
	s_or_b32 exec_lo, exec_lo, s4
	v_and_b32_e32 v135, 7, v135
	s_mov_b32 s73, 0
	s_mov_b32 s4, exec_lo
	v_cmpx_ne_u32_e32 0, v135
	s_cbranch_execz .LBB127_745
; %bb.742:
	v_lshlrev_b32_e32 v137, 4, v137
	v_add_nc_u32_e32 v136, 0x400, v137
	.p2align	6
.LBB127_743:                            ; =>This Inner Loop Header: Depth=1
	s_clause 0x3
	buffer_load_dword v144, v137, s[0:3], 0 offen offset:8
	buffer_load_dword v145, v137, s[0:3], 0 offen offset:12
	buffer_load_dword v146, v137, s[0:3], 0 offen
	buffer_load_dword v147, v137, s[0:3], 0 offen offset:4
	ds_read_b128 v[140:143], v136
	v_add_nc_u32_e32 v135, -1, v135
	v_add_nc_u32_e32 v136, 16, v136
	v_add_nc_u32_e32 v137, 16, v137
	v_cmp_eq_u32_e32 vcc_lo, 0, v135
	s_or_b32 s73, vcc_lo, s73
	s_waitcnt vmcnt(2) lgkmcnt(0)
	v_mul_f64 v[148:149], v[142:143], v[144:145]
	v_mul_f64 v[144:145], v[140:141], v[144:145]
	s_waitcnt vmcnt(0)
	v_fma_f64 v[140:141], v[140:141], v[146:147], -v[148:149]
	v_fma_f64 v[142:143], v[142:143], v[146:147], v[144:145]
	v_add_f64 v[1:2], v[1:2], v[140:141]
	v_add_f64 v[3:4], v[3:4], v[142:143]
	s_andn2_b32 exec_lo, exec_lo, s73
	s_cbranch_execnz .LBB127_743
; %bb.744:
	s_or_b32 exec_lo, exec_lo, s73
.LBB127_745:
	s_or_b32 exec_lo, exec_lo, s4
.LBB127_746:
	s_or_b32 exec_lo, exec_lo, s8
	v_mov_b32_e32 v135, 0
	ds_read_b128 v[135:138], v135 offset:144
	s_waitcnt lgkmcnt(0)
	v_mul_f64 v[140:141], v[3:4], v[137:138]
	v_mul_f64 v[137:138], v[1:2], v[137:138]
	v_fma_f64 v[1:2], v[1:2], v[135:136], -v[140:141]
	v_fma_f64 v[3:4], v[3:4], v[135:136], v[137:138]
	buffer_store_dword v2, off, s[0:3], 0 offset:148
	buffer_store_dword v1, off, s[0:3], 0 offset:144
	;; [unrolled: 1-line block ×4, first 2 shown]
.LBB127_747:
	s_or_b32 exec_lo, exec_lo, s6
	v_mov_b32_e32 v4, s65
	v_cmp_lt_u32_e64 s4, 8, v0
	s_clause 0x3
	buffer_load_dword v1, v4, s[0:3], 0 offen
	buffer_load_dword v2, v4, s[0:3], 0 offen offset:4
	buffer_load_dword v3, v4, s[0:3], 0 offen offset:8
	;; [unrolled: 1-line block ×3, first 2 shown]
	s_waitcnt vmcnt(0)
	ds_write_b128 v134, v[1:4]
	s_waitcnt lgkmcnt(0)
	s_waitcnt_vscnt null, 0x0
	s_barrier
	buffer_gl0_inv
	s_and_saveexec_b32 s6, s4
	s_cbranch_execz .LBB127_761
; %bb.748:
	ds_read_b128 v[1:4], v134
	s_andn2_b32 vcc_lo, exec_lo, s7
	s_cbranch_vccnz .LBB127_750
; %bb.749:
	s_clause 0x3
	buffer_load_dword v135, v133, s[0:3], 0 offen offset:8
	buffer_load_dword v136, v133, s[0:3], 0 offen offset:12
	buffer_load_dword v137, v133, s[0:3], 0 offen
	buffer_load_dword v138, v133, s[0:3], 0 offen offset:4
	s_waitcnt vmcnt(2) lgkmcnt(0)
	v_mul_f64 v[140:141], v[3:4], v[135:136]
	v_mul_f64 v[135:136], v[1:2], v[135:136]
	s_waitcnt vmcnt(0)
	v_fma_f64 v[1:2], v[1:2], v[137:138], -v[140:141]
	v_fma_f64 v[3:4], v[3:4], v[137:138], v[135:136]
.LBB127_750:
	s_and_saveexec_b32 s8, s5
	s_cbranch_execz .LBB127_760
; %bb.751:
	v_add_nc_u32_e32 v136, -10, v0
	v_add_nc_u32_e32 v135, -9, v0
	v_mov_b32_e32 v137, 9
	s_mov_b32 s5, exec_lo
	v_cmpx_lt_u32_e32 6, v136
	s_cbranch_execz .LBB127_755
; %bb.752:
	v_and_b32_e32 v136, -8, v135
	s_movk_i32 s74, 0x490
	s_mov_b32 s73, 0
	s_mov_b32 s75, s64
	s_mov_b32 s76, 0
.LBB127_753:                            ; =>This Inner Loop Header: Depth=1
	v_mov_b32_e32 v140, s75
	v_mov_b32_e32 v186, s74
	s_add_i32 s77, s76, 8
	s_add_i32 s76, s76, 17
	v_cmp_eq_u32_e32 vcc_lo, s77, v136
	s_clause 0x1f
	buffer_load_dword v137, v140, s[0:3], 0 offen offset:8
	buffer_load_dword v138, v140, s[0:3], 0 offen offset:12
	buffer_load_dword v148, v140, s[0:3], 0 offen
	buffer_load_dword v149, v140, s[0:3], 0 offen offset:4
	buffer_load_dword v150, v140, s[0:3], 0 offen offset:24
	;; [unrolled: 1-line block ×29, first 2 shown]
	ds_read_b128 v[140:143], v186
	ds_read_b128 v[144:147], v186 offset:16
	s_addk_i32 s74, 0x80
	s_addk_i32 s75, 0x80
	s_or_b32 s73, vcc_lo, s73
	s_waitcnt vmcnt(30) lgkmcnt(1)
	v_mul_f64 v[178:179], v[142:143], v[137:138]
	v_mul_f64 v[137:138], v[140:141], v[137:138]
	s_waitcnt vmcnt(26) lgkmcnt(0)
	v_mul_f64 v[180:181], v[146:147], v[150:151]
	v_mul_f64 v[182:183], v[144:145], v[150:151]
	v_fma_f64 v[178:179], v[140:141], v[148:149], -v[178:179]
	v_fma_f64 v[137:138], v[142:143], v[148:149], v[137:138]
	ds_read_b128 v[140:143], v186 offset:32
	ds_read_b128 v[148:151], v186 offset:48
	s_waitcnt vmcnt(24)
	v_fma_f64 v[144:145], v[144:145], v[152:153], -v[180:181]
	v_fma_f64 v[146:147], v[146:147], v[152:153], v[182:183]
	s_waitcnt vmcnt(22) lgkmcnt(1)
	v_mul_f64 v[184:185], v[142:143], v[154:155]
	v_mul_f64 v[154:155], v[140:141], v[154:155]
	v_add_f64 v[1:2], v[1:2], v[178:179]
	v_add_f64 v[3:4], v[3:4], v[137:138]
	s_waitcnt vmcnt(18) lgkmcnt(0)
	v_mul_f64 v[137:138], v[150:151], v[158:159]
	v_mul_f64 v[152:153], v[148:149], v[158:159]
	v_fma_f64 v[158:159], v[140:141], v[156:157], -v[184:185]
	v_fma_f64 v[154:155], v[142:143], v[156:157], v[154:155]
	v_add_f64 v[144:145], v[1:2], v[144:145]
	v_add_f64 v[146:147], v[3:4], v[146:147]
	ds_read_b128 v[1:4], v186 offset:64
	ds_read_b128 v[140:143], v186 offset:80
	s_waitcnt vmcnt(16)
	v_fma_f64 v[137:138], v[148:149], v[160:161], -v[137:138]
	v_fma_f64 v[148:149], v[150:151], v[160:161], v[152:153]
	s_waitcnt vmcnt(12) lgkmcnt(1)
	v_mul_f64 v[156:157], v[3:4], v[162:163]
	v_mul_f64 v[162:163], v[1:2], v[162:163]
	v_add_f64 v[144:145], v[144:145], v[158:159]
	v_add_f64 v[146:147], v[146:147], v[154:155]
	s_waitcnt vmcnt(10) lgkmcnt(0)
	v_mul_f64 v[150:151], v[142:143], v[164:165]
	v_mul_f64 v[152:153], v[140:141], v[164:165]
	s_waitcnt vmcnt(8)
	v_fma_f64 v[154:155], v[1:2], v[168:169], -v[156:157]
	v_fma_f64 v[156:157], v[3:4], v[168:169], v[162:163]
	v_add_f64 v[137:138], v[144:145], v[137:138]
	v_add_f64 v[148:149], v[146:147], v[148:149]
	ds_read_b128 v[1:4], v186 offset:96
	ds_read_b128 v[144:147], v186 offset:112
	v_fma_f64 v[140:141], v[140:141], v[166:167], -v[150:151]
	v_fma_f64 v[142:143], v[142:143], v[166:167], v[152:153]
	s_waitcnt vmcnt(4) lgkmcnt(1)
	v_mul_f64 v[158:159], v[3:4], v[170:171]
	v_mul_f64 v[160:161], v[1:2], v[170:171]
	v_add_f64 v[137:138], v[137:138], v[154:155]
	v_add_f64 v[148:149], v[148:149], v[156:157]
	s_waitcnt vmcnt(2) lgkmcnt(0)
	v_mul_f64 v[150:151], v[146:147], v[172:173]
	v_mul_f64 v[152:153], v[144:145], v[172:173]
	s_waitcnt vmcnt(0)
	v_fma_f64 v[1:2], v[1:2], v[176:177], -v[158:159]
	v_fma_f64 v[3:4], v[3:4], v[176:177], v[160:161]
	v_add_f64 v[137:138], v[137:138], v[140:141]
	v_add_f64 v[140:141], v[148:149], v[142:143]
	v_fma_f64 v[142:143], v[144:145], v[174:175], -v[150:151]
	v_fma_f64 v[144:145], v[146:147], v[174:175], v[152:153]
	v_add_f64 v[1:2], v[137:138], v[1:2]
	v_add_f64 v[3:4], v[140:141], v[3:4]
	v_mov_b32_e32 v137, s76
	s_mov_b32 s76, s77
	v_add_f64 v[1:2], v[1:2], v[142:143]
	v_add_f64 v[3:4], v[3:4], v[144:145]
	s_andn2_b32 exec_lo, exec_lo, s73
	s_cbranch_execnz .LBB127_753
; %bb.754:
	s_or_b32 exec_lo, exec_lo, s73
.LBB127_755:
	s_or_b32 exec_lo, exec_lo, s5
	v_and_b32_e32 v135, 7, v135
	s_mov_b32 s73, 0
	s_mov_b32 s5, exec_lo
	v_cmpx_ne_u32_e32 0, v135
	s_cbranch_execz .LBB127_759
; %bb.756:
	v_lshlrev_b32_e32 v137, 4, v137
	v_add_nc_u32_e32 v136, 0x400, v137
	.p2align	6
.LBB127_757:                            ; =>This Inner Loop Header: Depth=1
	s_clause 0x3
	buffer_load_dword v144, v137, s[0:3], 0 offen offset:8
	buffer_load_dword v145, v137, s[0:3], 0 offen offset:12
	buffer_load_dword v146, v137, s[0:3], 0 offen
	buffer_load_dword v147, v137, s[0:3], 0 offen offset:4
	ds_read_b128 v[140:143], v136
	v_add_nc_u32_e32 v135, -1, v135
	v_add_nc_u32_e32 v136, 16, v136
	v_add_nc_u32_e32 v137, 16, v137
	v_cmp_eq_u32_e32 vcc_lo, 0, v135
	s_or_b32 s73, vcc_lo, s73
	s_waitcnt vmcnt(2) lgkmcnt(0)
	v_mul_f64 v[148:149], v[142:143], v[144:145]
	v_mul_f64 v[144:145], v[140:141], v[144:145]
	s_waitcnt vmcnt(0)
	v_fma_f64 v[140:141], v[140:141], v[146:147], -v[148:149]
	v_fma_f64 v[142:143], v[142:143], v[146:147], v[144:145]
	v_add_f64 v[1:2], v[1:2], v[140:141]
	v_add_f64 v[3:4], v[3:4], v[142:143]
	s_andn2_b32 exec_lo, exec_lo, s73
	s_cbranch_execnz .LBB127_757
; %bb.758:
	s_or_b32 exec_lo, exec_lo, s73
.LBB127_759:
	s_or_b32 exec_lo, exec_lo, s5
.LBB127_760:
	s_or_b32 exec_lo, exec_lo, s8
	v_mov_b32_e32 v135, 0
	ds_read_b128 v[135:138], v135 offset:128
	s_waitcnt lgkmcnt(0)
	v_mul_f64 v[140:141], v[3:4], v[137:138]
	v_mul_f64 v[137:138], v[1:2], v[137:138]
	v_fma_f64 v[1:2], v[1:2], v[135:136], -v[140:141]
	v_fma_f64 v[3:4], v[3:4], v[135:136], v[137:138]
	buffer_store_dword v2, off, s[0:3], 0 offset:132
	buffer_store_dword v1, off, s[0:3], 0 offset:128
	;; [unrolled: 1-line block ×4, first 2 shown]
.LBB127_761:
	s_or_b32 exec_lo, exec_lo, s6
	v_mov_b32_e32 v4, s66
	v_cmp_lt_u32_e64 s5, 7, v0
	s_clause 0x3
	buffer_load_dword v1, v4, s[0:3], 0 offen
	buffer_load_dword v2, v4, s[0:3], 0 offen offset:4
	buffer_load_dword v3, v4, s[0:3], 0 offen offset:8
	;; [unrolled: 1-line block ×3, first 2 shown]
	s_waitcnt vmcnt(0)
	ds_write_b128 v134, v[1:4]
	s_waitcnt lgkmcnt(0)
	s_waitcnt_vscnt null, 0x0
	s_barrier
	buffer_gl0_inv
	s_and_saveexec_b32 s6, s5
	s_cbranch_execz .LBB127_775
; %bb.762:
	ds_read_b128 v[1:4], v134
	s_andn2_b32 vcc_lo, exec_lo, s7
	s_cbranch_vccnz .LBB127_764
; %bb.763:
	s_clause 0x3
	buffer_load_dword v135, v133, s[0:3], 0 offen offset:8
	buffer_load_dword v136, v133, s[0:3], 0 offen offset:12
	buffer_load_dword v137, v133, s[0:3], 0 offen
	buffer_load_dword v138, v133, s[0:3], 0 offen offset:4
	s_waitcnt vmcnt(2) lgkmcnt(0)
	v_mul_f64 v[140:141], v[3:4], v[135:136]
	v_mul_f64 v[135:136], v[1:2], v[135:136]
	s_waitcnt vmcnt(0)
	v_fma_f64 v[1:2], v[1:2], v[137:138], -v[140:141]
	v_fma_f64 v[3:4], v[3:4], v[137:138], v[135:136]
.LBB127_764:
	s_and_saveexec_b32 s8, s4
	s_cbranch_execz .LBB127_774
; %bb.765:
	v_add_nc_u32_e32 v135, -9, v0
	v_cmp_lt_u32_e32 vcc_lo, 6, v135
	v_mov_b32_e32 v135, 8
	s_and_saveexec_b32 s4, vcc_lo
	s_cbranch_execz .LBB127_769
; %bb.766:
	v_and_b32_e32 v135, 56, v0
	s_mov_b32 s73, 8
	s_movk_i32 s75, 0x480
	s_mov_b32 s74, 0
	s_mov_b32 s76, s65
.LBB127_767:                            ; =>This Inner Loop Header: Depth=1
	v_mov_b32_e32 v138, s76
	s_add_i32 s73, s73, 8
	s_addk_i32 s76, 0x80
	v_cmp_eq_u32_e32 vcc_lo, s73, v135
	s_clause 0x1f
	buffer_load_dword v136, v138, s[0:3], 0 offen offset:8
	buffer_load_dword v137, v138, s[0:3], 0 offen offset:12
	buffer_load_dword v148, v138, s[0:3], 0 offen
	buffer_load_dword v149, v138, s[0:3], 0 offen offset:4
	buffer_load_dword v150, v138, s[0:3], 0 offen offset:24
	;; [unrolled: 1-line block ×29, first 2 shown]
	v_mov_b32_e32 v138, s75
	s_addk_i32 s75, 0x80
	s_or_b32 s74, vcc_lo, s74
	ds_read_b128 v[140:143], v138
	ds_read_b128 v[144:147], v138 offset:16
	s_waitcnt vmcnt(30) lgkmcnt(1)
	v_mul_f64 v[178:179], v[142:143], v[136:137]
	v_mul_f64 v[136:137], v[140:141], v[136:137]
	s_waitcnt vmcnt(26) lgkmcnt(0)
	v_mul_f64 v[180:181], v[146:147], v[150:151]
	v_mul_f64 v[182:183], v[144:145], v[150:151]
	v_fma_f64 v[178:179], v[140:141], v[148:149], -v[178:179]
	v_fma_f64 v[136:137], v[142:143], v[148:149], v[136:137]
	ds_read_b128 v[140:143], v138 offset:32
	ds_read_b128 v[148:151], v138 offset:48
	s_waitcnt vmcnt(24)
	v_fma_f64 v[144:145], v[144:145], v[152:153], -v[180:181]
	v_fma_f64 v[146:147], v[146:147], v[152:153], v[182:183]
	s_waitcnt vmcnt(22) lgkmcnt(1)
	v_mul_f64 v[184:185], v[142:143], v[154:155]
	v_mul_f64 v[154:155], v[140:141], v[154:155]
	v_add_f64 v[1:2], v[1:2], v[178:179]
	v_add_f64 v[3:4], v[3:4], v[136:137]
	s_waitcnt vmcnt(18) lgkmcnt(0)
	v_mul_f64 v[136:137], v[150:151], v[158:159]
	v_mul_f64 v[152:153], v[148:149], v[158:159]
	v_fma_f64 v[158:159], v[140:141], v[156:157], -v[184:185]
	v_fma_f64 v[154:155], v[142:143], v[156:157], v[154:155]
	v_add_f64 v[144:145], v[1:2], v[144:145]
	v_add_f64 v[146:147], v[3:4], v[146:147]
	ds_read_b128 v[1:4], v138 offset:64
	ds_read_b128 v[140:143], v138 offset:80
	s_waitcnt vmcnt(16)
	v_fma_f64 v[136:137], v[148:149], v[160:161], -v[136:137]
	v_fma_f64 v[148:149], v[150:151], v[160:161], v[152:153]
	s_waitcnt vmcnt(12) lgkmcnt(1)
	v_mul_f64 v[156:157], v[3:4], v[162:163]
	v_mul_f64 v[162:163], v[1:2], v[162:163]
	v_add_f64 v[144:145], v[144:145], v[158:159]
	v_add_f64 v[146:147], v[146:147], v[154:155]
	s_waitcnt vmcnt(10) lgkmcnt(0)
	v_mul_f64 v[150:151], v[142:143], v[164:165]
	v_mul_f64 v[152:153], v[140:141], v[164:165]
	s_waitcnt vmcnt(8)
	v_fma_f64 v[154:155], v[1:2], v[168:169], -v[156:157]
	v_fma_f64 v[156:157], v[3:4], v[168:169], v[162:163]
	v_add_f64 v[136:137], v[144:145], v[136:137]
	v_add_f64 v[148:149], v[146:147], v[148:149]
	ds_read_b128 v[1:4], v138 offset:96
	ds_read_b128 v[144:147], v138 offset:112
	v_fma_f64 v[140:141], v[140:141], v[166:167], -v[150:151]
	v_fma_f64 v[142:143], v[142:143], v[166:167], v[152:153]
	s_waitcnt vmcnt(4) lgkmcnt(1)
	v_mul_f64 v[158:159], v[3:4], v[170:171]
	v_mul_f64 v[160:161], v[1:2], v[170:171]
	v_add_f64 v[136:137], v[136:137], v[154:155]
	v_add_f64 v[148:149], v[148:149], v[156:157]
	s_waitcnt vmcnt(2) lgkmcnt(0)
	v_mul_f64 v[150:151], v[146:147], v[172:173]
	v_mul_f64 v[152:153], v[144:145], v[172:173]
	s_waitcnt vmcnt(0)
	v_fma_f64 v[1:2], v[1:2], v[176:177], -v[158:159]
	v_fma_f64 v[3:4], v[3:4], v[176:177], v[160:161]
	v_add_f64 v[136:137], v[136:137], v[140:141]
	v_add_f64 v[140:141], v[148:149], v[142:143]
	v_fma_f64 v[142:143], v[144:145], v[174:175], -v[150:151]
	v_fma_f64 v[144:145], v[146:147], v[174:175], v[152:153]
	v_add_f64 v[1:2], v[136:137], v[1:2]
	v_add_f64 v[3:4], v[140:141], v[3:4]
	v_add_f64 v[1:2], v[1:2], v[142:143]
	v_add_f64 v[3:4], v[3:4], v[144:145]
	s_andn2_b32 exec_lo, exec_lo, s74
	s_cbranch_execnz .LBB127_767
; %bb.768:
	s_or_b32 exec_lo, exec_lo, s74
.LBB127_769:
	s_or_b32 exec_lo, exec_lo, s4
	v_and_b32_e32 v136, 7, v0
	s_mov_b32 s73, 0
	s_mov_b32 s4, exec_lo
	v_cmpx_ne_u32_e32 0, v136
	s_cbranch_execz .LBB127_773
; %bb.770:
	v_lshlrev_b32_e32 v137, 4, v135
	v_or_b32_e32 v135, 0x400, v137
	.p2align	6
.LBB127_771:                            ; =>This Inner Loop Header: Depth=1
	s_clause 0x3
	buffer_load_dword v144, v137, s[0:3], 0 offen offset:8
	buffer_load_dword v145, v137, s[0:3], 0 offen offset:12
	buffer_load_dword v146, v137, s[0:3], 0 offen
	buffer_load_dword v147, v137, s[0:3], 0 offen offset:4
	ds_read_b128 v[140:143], v135
	v_add_nc_u32_e32 v136, -1, v136
	v_add_nc_u32_e32 v135, 16, v135
	v_add_nc_u32_e32 v137, 16, v137
	v_cmp_eq_u32_e32 vcc_lo, 0, v136
	s_or_b32 s73, vcc_lo, s73
	s_waitcnt vmcnt(2) lgkmcnt(0)
	v_mul_f64 v[148:149], v[142:143], v[144:145]
	v_mul_f64 v[144:145], v[140:141], v[144:145]
	s_waitcnt vmcnt(0)
	v_fma_f64 v[140:141], v[140:141], v[146:147], -v[148:149]
	v_fma_f64 v[142:143], v[142:143], v[146:147], v[144:145]
	v_add_f64 v[1:2], v[1:2], v[140:141]
	v_add_f64 v[3:4], v[3:4], v[142:143]
	s_andn2_b32 exec_lo, exec_lo, s73
	s_cbranch_execnz .LBB127_771
; %bb.772:
	s_or_b32 exec_lo, exec_lo, s73
.LBB127_773:
	s_or_b32 exec_lo, exec_lo, s4
.LBB127_774:
	s_or_b32 exec_lo, exec_lo, s8
	v_mov_b32_e32 v135, 0
	ds_read_b128 v[135:138], v135 offset:112
	s_waitcnt lgkmcnt(0)
	v_mul_f64 v[140:141], v[3:4], v[137:138]
	v_mul_f64 v[137:138], v[1:2], v[137:138]
	v_fma_f64 v[1:2], v[1:2], v[135:136], -v[140:141]
	v_fma_f64 v[3:4], v[3:4], v[135:136], v[137:138]
	buffer_store_dword v2, off, s[0:3], 0 offset:116
	buffer_store_dword v1, off, s[0:3], 0 offset:112
	;; [unrolled: 1-line block ×4, first 2 shown]
.LBB127_775:
	s_or_b32 exec_lo, exec_lo, s6
	v_mov_b32_e32 v4, s67
	v_cmp_lt_u32_e64 s4, 6, v0
	s_clause 0x3
	buffer_load_dword v1, v4, s[0:3], 0 offen
	buffer_load_dword v2, v4, s[0:3], 0 offen offset:4
	buffer_load_dword v3, v4, s[0:3], 0 offen offset:8
	;; [unrolled: 1-line block ×3, first 2 shown]
	s_waitcnt vmcnt(0)
	ds_write_b128 v134, v[1:4]
	s_waitcnt lgkmcnt(0)
	s_waitcnt_vscnt null, 0x0
	s_barrier
	buffer_gl0_inv
	s_and_saveexec_b32 s6, s4
	s_cbranch_execz .LBB127_789
; %bb.776:
	ds_read_b128 v[1:4], v134
	s_andn2_b32 vcc_lo, exec_lo, s7
	s_cbranch_vccnz .LBB127_778
; %bb.777:
	s_clause 0x3
	buffer_load_dword v135, v133, s[0:3], 0 offen offset:8
	buffer_load_dword v136, v133, s[0:3], 0 offen offset:12
	buffer_load_dword v137, v133, s[0:3], 0 offen
	buffer_load_dword v138, v133, s[0:3], 0 offen offset:4
	s_waitcnt vmcnt(2) lgkmcnt(0)
	v_mul_f64 v[140:141], v[3:4], v[135:136]
	v_mul_f64 v[135:136], v[1:2], v[135:136]
	s_waitcnt vmcnt(0)
	v_fma_f64 v[1:2], v[1:2], v[137:138], -v[140:141]
	v_fma_f64 v[3:4], v[3:4], v[137:138], v[135:136]
.LBB127_778:
	s_and_saveexec_b32 s8, s5
	s_cbranch_execz .LBB127_788
; %bb.779:
	v_add_nc_u32_e32 v136, -8, v0
	v_add_nc_u32_e32 v135, -7, v0
	v_mov_b32_e32 v137, 7
	s_mov_b32 s5, exec_lo
	v_cmpx_lt_u32_e32 6, v136
	s_cbranch_execz .LBB127_783
; %bb.780:
	v_and_b32_e32 v136, -8, v135
	s_movk_i32 s74, 0x470
	s_mov_b32 s73, 0
	s_mov_b32 s75, s66
	;; [unrolled: 1-line block ×3, first 2 shown]
.LBB127_781:                            ; =>This Inner Loop Header: Depth=1
	v_mov_b32_e32 v140, s75
	v_mov_b32_e32 v186, s74
	s_add_i32 s77, s76, 8
	s_add_i32 s76, s76, 15
	v_cmp_eq_u32_e32 vcc_lo, s77, v136
	s_clause 0x1f
	buffer_load_dword v137, v140, s[0:3], 0 offen offset:8
	buffer_load_dword v138, v140, s[0:3], 0 offen offset:12
	buffer_load_dword v148, v140, s[0:3], 0 offen
	buffer_load_dword v149, v140, s[0:3], 0 offen offset:4
	buffer_load_dword v150, v140, s[0:3], 0 offen offset:24
	;; [unrolled: 1-line block ×29, first 2 shown]
	ds_read_b128 v[140:143], v186
	ds_read_b128 v[144:147], v186 offset:16
	s_addk_i32 s74, 0x80
	s_addk_i32 s75, 0x80
	s_or_b32 s73, vcc_lo, s73
	s_waitcnt vmcnt(30) lgkmcnt(1)
	v_mul_f64 v[178:179], v[142:143], v[137:138]
	v_mul_f64 v[137:138], v[140:141], v[137:138]
	s_waitcnt vmcnt(26) lgkmcnt(0)
	v_mul_f64 v[180:181], v[146:147], v[150:151]
	v_mul_f64 v[182:183], v[144:145], v[150:151]
	v_fma_f64 v[178:179], v[140:141], v[148:149], -v[178:179]
	v_fma_f64 v[137:138], v[142:143], v[148:149], v[137:138]
	ds_read_b128 v[140:143], v186 offset:32
	ds_read_b128 v[148:151], v186 offset:48
	s_waitcnt vmcnt(24)
	v_fma_f64 v[144:145], v[144:145], v[152:153], -v[180:181]
	v_fma_f64 v[146:147], v[146:147], v[152:153], v[182:183]
	s_waitcnt vmcnt(22) lgkmcnt(1)
	v_mul_f64 v[184:185], v[142:143], v[154:155]
	v_mul_f64 v[154:155], v[140:141], v[154:155]
	v_add_f64 v[1:2], v[1:2], v[178:179]
	v_add_f64 v[3:4], v[3:4], v[137:138]
	s_waitcnt vmcnt(18) lgkmcnt(0)
	v_mul_f64 v[137:138], v[150:151], v[158:159]
	v_mul_f64 v[152:153], v[148:149], v[158:159]
	v_fma_f64 v[158:159], v[140:141], v[156:157], -v[184:185]
	v_fma_f64 v[154:155], v[142:143], v[156:157], v[154:155]
	v_add_f64 v[144:145], v[1:2], v[144:145]
	v_add_f64 v[146:147], v[3:4], v[146:147]
	ds_read_b128 v[1:4], v186 offset:64
	ds_read_b128 v[140:143], v186 offset:80
	s_waitcnt vmcnt(16)
	v_fma_f64 v[137:138], v[148:149], v[160:161], -v[137:138]
	v_fma_f64 v[148:149], v[150:151], v[160:161], v[152:153]
	s_waitcnt vmcnt(12) lgkmcnt(1)
	v_mul_f64 v[156:157], v[3:4], v[162:163]
	v_mul_f64 v[162:163], v[1:2], v[162:163]
	v_add_f64 v[144:145], v[144:145], v[158:159]
	v_add_f64 v[146:147], v[146:147], v[154:155]
	s_waitcnt vmcnt(10) lgkmcnt(0)
	v_mul_f64 v[150:151], v[142:143], v[164:165]
	v_mul_f64 v[152:153], v[140:141], v[164:165]
	s_waitcnt vmcnt(8)
	v_fma_f64 v[154:155], v[1:2], v[168:169], -v[156:157]
	v_fma_f64 v[156:157], v[3:4], v[168:169], v[162:163]
	v_add_f64 v[137:138], v[144:145], v[137:138]
	v_add_f64 v[148:149], v[146:147], v[148:149]
	ds_read_b128 v[1:4], v186 offset:96
	ds_read_b128 v[144:147], v186 offset:112
	v_fma_f64 v[140:141], v[140:141], v[166:167], -v[150:151]
	v_fma_f64 v[142:143], v[142:143], v[166:167], v[152:153]
	s_waitcnt vmcnt(4) lgkmcnt(1)
	v_mul_f64 v[158:159], v[3:4], v[170:171]
	v_mul_f64 v[160:161], v[1:2], v[170:171]
	v_add_f64 v[137:138], v[137:138], v[154:155]
	v_add_f64 v[148:149], v[148:149], v[156:157]
	s_waitcnt vmcnt(2) lgkmcnt(0)
	v_mul_f64 v[150:151], v[146:147], v[172:173]
	v_mul_f64 v[152:153], v[144:145], v[172:173]
	s_waitcnt vmcnt(0)
	v_fma_f64 v[1:2], v[1:2], v[176:177], -v[158:159]
	v_fma_f64 v[3:4], v[3:4], v[176:177], v[160:161]
	v_add_f64 v[137:138], v[137:138], v[140:141]
	v_add_f64 v[140:141], v[148:149], v[142:143]
	v_fma_f64 v[142:143], v[144:145], v[174:175], -v[150:151]
	v_fma_f64 v[144:145], v[146:147], v[174:175], v[152:153]
	v_add_f64 v[1:2], v[137:138], v[1:2]
	v_add_f64 v[3:4], v[140:141], v[3:4]
	v_mov_b32_e32 v137, s76
	s_mov_b32 s76, s77
	v_add_f64 v[1:2], v[1:2], v[142:143]
	v_add_f64 v[3:4], v[3:4], v[144:145]
	s_andn2_b32 exec_lo, exec_lo, s73
	s_cbranch_execnz .LBB127_781
; %bb.782:
	s_or_b32 exec_lo, exec_lo, s73
.LBB127_783:
	s_or_b32 exec_lo, exec_lo, s5
	v_and_b32_e32 v135, 7, v135
	s_mov_b32 s73, 0
	s_mov_b32 s5, exec_lo
	v_cmpx_ne_u32_e32 0, v135
	s_cbranch_execz .LBB127_787
; %bb.784:
	v_lshlrev_b32_e32 v137, 4, v137
	v_add_nc_u32_e32 v136, 0x400, v137
	.p2align	6
.LBB127_785:                            ; =>This Inner Loop Header: Depth=1
	s_clause 0x3
	buffer_load_dword v144, v137, s[0:3], 0 offen offset:8
	buffer_load_dword v145, v137, s[0:3], 0 offen offset:12
	buffer_load_dword v146, v137, s[0:3], 0 offen
	buffer_load_dword v147, v137, s[0:3], 0 offen offset:4
	ds_read_b128 v[140:143], v136
	v_add_nc_u32_e32 v135, -1, v135
	v_add_nc_u32_e32 v136, 16, v136
	v_add_nc_u32_e32 v137, 16, v137
	v_cmp_eq_u32_e32 vcc_lo, 0, v135
	s_or_b32 s73, vcc_lo, s73
	s_waitcnt vmcnt(2) lgkmcnt(0)
	v_mul_f64 v[148:149], v[142:143], v[144:145]
	v_mul_f64 v[144:145], v[140:141], v[144:145]
	s_waitcnt vmcnt(0)
	v_fma_f64 v[140:141], v[140:141], v[146:147], -v[148:149]
	v_fma_f64 v[142:143], v[142:143], v[146:147], v[144:145]
	v_add_f64 v[1:2], v[1:2], v[140:141]
	v_add_f64 v[3:4], v[3:4], v[142:143]
	s_andn2_b32 exec_lo, exec_lo, s73
	s_cbranch_execnz .LBB127_785
; %bb.786:
	s_or_b32 exec_lo, exec_lo, s73
.LBB127_787:
	s_or_b32 exec_lo, exec_lo, s5
.LBB127_788:
	s_or_b32 exec_lo, exec_lo, s8
	v_mov_b32_e32 v135, 0
	ds_read_b128 v[135:138], v135 offset:96
	s_waitcnt lgkmcnt(0)
	v_mul_f64 v[140:141], v[3:4], v[137:138]
	v_mul_f64 v[137:138], v[1:2], v[137:138]
	v_fma_f64 v[1:2], v[1:2], v[135:136], -v[140:141]
	v_fma_f64 v[3:4], v[3:4], v[135:136], v[137:138]
	buffer_store_dword v2, off, s[0:3], 0 offset:100
	buffer_store_dword v1, off, s[0:3], 0 offset:96
	;; [unrolled: 1-line block ×4, first 2 shown]
.LBB127_789:
	s_or_b32 exec_lo, exec_lo, s6
	v_mov_b32_e32 v4, s68
	v_cmp_lt_u32_e64 s5, 5, v0
	s_clause 0x3
	buffer_load_dword v1, v4, s[0:3], 0 offen
	buffer_load_dword v2, v4, s[0:3], 0 offen offset:4
	buffer_load_dword v3, v4, s[0:3], 0 offen offset:8
	;; [unrolled: 1-line block ×3, first 2 shown]
	s_waitcnt vmcnt(0)
	ds_write_b128 v134, v[1:4]
	s_waitcnt lgkmcnt(0)
	s_waitcnt_vscnt null, 0x0
	s_barrier
	buffer_gl0_inv
	s_and_saveexec_b32 s6, s5
	s_cbranch_execz .LBB127_803
; %bb.790:
	ds_read_b128 v[1:4], v134
	s_andn2_b32 vcc_lo, exec_lo, s7
	s_cbranch_vccnz .LBB127_792
; %bb.791:
	s_clause 0x3
	buffer_load_dword v135, v133, s[0:3], 0 offen offset:8
	buffer_load_dword v136, v133, s[0:3], 0 offen offset:12
	buffer_load_dword v137, v133, s[0:3], 0 offen
	buffer_load_dword v138, v133, s[0:3], 0 offen offset:4
	s_waitcnt vmcnt(2) lgkmcnt(0)
	v_mul_f64 v[140:141], v[3:4], v[135:136]
	v_mul_f64 v[135:136], v[1:2], v[135:136]
	s_waitcnt vmcnt(0)
	v_fma_f64 v[1:2], v[1:2], v[137:138], -v[140:141]
	v_fma_f64 v[3:4], v[3:4], v[137:138], v[135:136]
.LBB127_792:
	s_and_saveexec_b32 s8, s4
	s_cbranch_execz .LBB127_802
; %bb.793:
	v_add_nc_u32_e32 v136, -7, v0
	v_add_nc_u32_e32 v135, -6, v0
	v_mov_b32_e32 v137, 6
	s_mov_b32 s4, exec_lo
	v_cmpx_lt_u32_e32 6, v136
	s_cbranch_execz .LBB127_797
; %bb.794:
	v_and_b32_e32 v136, -8, v135
	s_movk_i32 s74, 0x460
	s_mov_b32 s73, 0
	s_mov_b32 s75, s67
	;; [unrolled: 1-line block ×3, first 2 shown]
.LBB127_795:                            ; =>This Inner Loop Header: Depth=1
	v_mov_b32_e32 v140, s75
	v_mov_b32_e32 v186, s74
	s_add_i32 s77, s76, 8
	s_add_i32 s76, s76, 14
	v_cmp_eq_u32_e32 vcc_lo, s77, v136
	s_clause 0x1f
	buffer_load_dword v137, v140, s[0:3], 0 offen offset:8
	buffer_load_dword v138, v140, s[0:3], 0 offen offset:12
	buffer_load_dword v148, v140, s[0:3], 0 offen
	buffer_load_dword v149, v140, s[0:3], 0 offen offset:4
	buffer_load_dword v150, v140, s[0:3], 0 offen offset:24
	;; [unrolled: 1-line block ×29, first 2 shown]
	ds_read_b128 v[140:143], v186
	ds_read_b128 v[144:147], v186 offset:16
	s_addk_i32 s74, 0x80
	s_addk_i32 s75, 0x80
	s_or_b32 s73, vcc_lo, s73
	s_waitcnt vmcnt(30) lgkmcnt(1)
	v_mul_f64 v[178:179], v[142:143], v[137:138]
	v_mul_f64 v[137:138], v[140:141], v[137:138]
	s_waitcnt vmcnt(26) lgkmcnt(0)
	v_mul_f64 v[180:181], v[146:147], v[150:151]
	v_mul_f64 v[182:183], v[144:145], v[150:151]
	v_fma_f64 v[178:179], v[140:141], v[148:149], -v[178:179]
	v_fma_f64 v[137:138], v[142:143], v[148:149], v[137:138]
	ds_read_b128 v[140:143], v186 offset:32
	ds_read_b128 v[148:151], v186 offset:48
	s_waitcnt vmcnt(24)
	v_fma_f64 v[144:145], v[144:145], v[152:153], -v[180:181]
	v_fma_f64 v[146:147], v[146:147], v[152:153], v[182:183]
	s_waitcnt vmcnt(22) lgkmcnt(1)
	v_mul_f64 v[184:185], v[142:143], v[154:155]
	v_mul_f64 v[154:155], v[140:141], v[154:155]
	v_add_f64 v[1:2], v[1:2], v[178:179]
	v_add_f64 v[3:4], v[3:4], v[137:138]
	s_waitcnt vmcnt(18) lgkmcnt(0)
	v_mul_f64 v[137:138], v[150:151], v[158:159]
	v_mul_f64 v[152:153], v[148:149], v[158:159]
	v_fma_f64 v[158:159], v[140:141], v[156:157], -v[184:185]
	v_fma_f64 v[154:155], v[142:143], v[156:157], v[154:155]
	v_add_f64 v[144:145], v[1:2], v[144:145]
	v_add_f64 v[146:147], v[3:4], v[146:147]
	ds_read_b128 v[1:4], v186 offset:64
	ds_read_b128 v[140:143], v186 offset:80
	s_waitcnt vmcnt(16)
	v_fma_f64 v[137:138], v[148:149], v[160:161], -v[137:138]
	v_fma_f64 v[148:149], v[150:151], v[160:161], v[152:153]
	s_waitcnt vmcnt(12) lgkmcnt(1)
	v_mul_f64 v[156:157], v[3:4], v[162:163]
	v_mul_f64 v[162:163], v[1:2], v[162:163]
	v_add_f64 v[144:145], v[144:145], v[158:159]
	v_add_f64 v[146:147], v[146:147], v[154:155]
	s_waitcnt vmcnt(10) lgkmcnt(0)
	v_mul_f64 v[150:151], v[142:143], v[164:165]
	v_mul_f64 v[152:153], v[140:141], v[164:165]
	s_waitcnt vmcnt(8)
	v_fma_f64 v[154:155], v[1:2], v[168:169], -v[156:157]
	v_fma_f64 v[156:157], v[3:4], v[168:169], v[162:163]
	v_add_f64 v[137:138], v[144:145], v[137:138]
	v_add_f64 v[148:149], v[146:147], v[148:149]
	ds_read_b128 v[1:4], v186 offset:96
	ds_read_b128 v[144:147], v186 offset:112
	v_fma_f64 v[140:141], v[140:141], v[166:167], -v[150:151]
	v_fma_f64 v[142:143], v[142:143], v[166:167], v[152:153]
	s_waitcnt vmcnt(4) lgkmcnt(1)
	v_mul_f64 v[158:159], v[3:4], v[170:171]
	v_mul_f64 v[160:161], v[1:2], v[170:171]
	v_add_f64 v[137:138], v[137:138], v[154:155]
	v_add_f64 v[148:149], v[148:149], v[156:157]
	s_waitcnt vmcnt(2) lgkmcnt(0)
	v_mul_f64 v[150:151], v[146:147], v[172:173]
	v_mul_f64 v[152:153], v[144:145], v[172:173]
	s_waitcnt vmcnt(0)
	v_fma_f64 v[1:2], v[1:2], v[176:177], -v[158:159]
	v_fma_f64 v[3:4], v[3:4], v[176:177], v[160:161]
	v_add_f64 v[137:138], v[137:138], v[140:141]
	v_add_f64 v[140:141], v[148:149], v[142:143]
	v_fma_f64 v[142:143], v[144:145], v[174:175], -v[150:151]
	v_fma_f64 v[144:145], v[146:147], v[174:175], v[152:153]
	v_add_f64 v[1:2], v[137:138], v[1:2]
	v_add_f64 v[3:4], v[140:141], v[3:4]
	v_mov_b32_e32 v137, s76
	s_mov_b32 s76, s77
	v_add_f64 v[1:2], v[1:2], v[142:143]
	v_add_f64 v[3:4], v[3:4], v[144:145]
	s_andn2_b32 exec_lo, exec_lo, s73
	s_cbranch_execnz .LBB127_795
; %bb.796:
	s_or_b32 exec_lo, exec_lo, s73
.LBB127_797:
	s_or_b32 exec_lo, exec_lo, s4
	v_and_b32_e32 v135, 7, v135
	s_mov_b32 s73, 0
	s_mov_b32 s4, exec_lo
	v_cmpx_ne_u32_e32 0, v135
	s_cbranch_execz .LBB127_801
; %bb.798:
	v_lshlrev_b32_e32 v137, 4, v137
	v_add_nc_u32_e32 v136, 0x400, v137
	.p2align	6
.LBB127_799:                            ; =>This Inner Loop Header: Depth=1
	s_clause 0x3
	buffer_load_dword v144, v137, s[0:3], 0 offen offset:8
	buffer_load_dword v145, v137, s[0:3], 0 offen offset:12
	buffer_load_dword v146, v137, s[0:3], 0 offen
	buffer_load_dword v147, v137, s[0:3], 0 offen offset:4
	ds_read_b128 v[140:143], v136
	v_add_nc_u32_e32 v135, -1, v135
	v_add_nc_u32_e32 v136, 16, v136
	v_add_nc_u32_e32 v137, 16, v137
	v_cmp_eq_u32_e32 vcc_lo, 0, v135
	s_or_b32 s73, vcc_lo, s73
	s_waitcnt vmcnt(2) lgkmcnt(0)
	v_mul_f64 v[148:149], v[142:143], v[144:145]
	v_mul_f64 v[144:145], v[140:141], v[144:145]
	s_waitcnt vmcnt(0)
	v_fma_f64 v[140:141], v[140:141], v[146:147], -v[148:149]
	v_fma_f64 v[142:143], v[142:143], v[146:147], v[144:145]
	v_add_f64 v[1:2], v[1:2], v[140:141]
	v_add_f64 v[3:4], v[3:4], v[142:143]
	s_andn2_b32 exec_lo, exec_lo, s73
	s_cbranch_execnz .LBB127_799
; %bb.800:
	s_or_b32 exec_lo, exec_lo, s73
.LBB127_801:
	s_or_b32 exec_lo, exec_lo, s4
.LBB127_802:
	s_or_b32 exec_lo, exec_lo, s8
	v_mov_b32_e32 v135, 0
	ds_read_b128 v[135:138], v135 offset:80
	s_waitcnt lgkmcnt(0)
	v_mul_f64 v[140:141], v[3:4], v[137:138]
	v_mul_f64 v[137:138], v[1:2], v[137:138]
	v_fma_f64 v[1:2], v[1:2], v[135:136], -v[140:141]
	v_fma_f64 v[3:4], v[3:4], v[135:136], v[137:138]
	buffer_store_dword v2, off, s[0:3], 0 offset:84
	buffer_store_dword v1, off, s[0:3], 0 offset:80
	;; [unrolled: 1-line block ×4, first 2 shown]
.LBB127_803:
	s_or_b32 exec_lo, exec_lo, s6
	v_mov_b32_e32 v4, s69
	v_cmp_lt_u32_e64 s4, 4, v0
	s_clause 0x3
	buffer_load_dword v1, v4, s[0:3], 0 offen
	buffer_load_dword v2, v4, s[0:3], 0 offen offset:4
	buffer_load_dword v3, v4, s[0:3], 0 offen offset:8
	;; [unrolled: 1-line block ×3, first 2 shown]
	s_waitcnt vmcnt(0)
	ds_write_b128 v134, v[1:4]
	s_waitcnt lgkmcnt(0)
	s_waitcnt_vscnt null, 0x0
	s_barrier
	buffer_gl0_inv
	s_and_saveexec_b32 s6, s4
	s_cbranch_execz .LBB127_817
; %bb.804:
	ds_read_b128 v[1:4], v134
	s_andn2_b32 vcc_lo, exec_lo, s7
	s_cbranch_vccnz .LBB127_806
; %bb.805:
	s_clause 0x3
	buffer_load_dword v135, v133, s[0:3], 0 offen offset:8
	buffer_load_dword v136, v133, s[0:3], 0 offen offset:12
	buffer_load_dword v137, v133, s[0:3], 0 offen
	buffer_load_dword v138, v133, s[0:3], 0 offen offset:4
	s_waitcnt vmcnt(2) lgkmcnt(0)
	v_mul_f64 v[140:141], v[3:4], v[135:136]
	v_mul_f64 v[135:136], v[1:2], v[135:136]
	s_waitcnt vmcnt(0)
	v_fma_f64 v[1:2], v[1:2], v[137:138], -v[140:141]
	v_fma_f64 v[3:4], v[3:4], v[137:138], v[135:136]
.LBB127_806:
	s_and_saveexec_b32 s8, s5
	s_cbranch_execz .LBB127_816
; %bb.807:
	v_add_nc_u32_e32 v136, -6, v0
	v_add_nc_u32_e32 v135, -5, v0
	v_mov_b32_e32 v137, 5
	s_mov_b32 s5, exec_lo
	v_cmpx_lt_u32_e32 6, v136
	s_cbranch_execz .LBB127_811
; %bb.808:
	v_and_b32_e32 v136, -8, v135
	s_movk_i32 s74, 0x450
	s_mov_b32 s73, 0
	s_mov_b32 s75, s68
	;; [unrolled: 1-line block ×3, first 2 shown]
.LBB127_809:                            ; =>This Inner Loop Header: Depth=1
	v_mov_b32_e32 v140, s75
	v_mov_b32_e32 v186, s74
	s_add_i32 s77, s76, 8
	s_add_i32 s76, s76, 13
	v_cmp_eq_u32_e32 vcc_lo, s77, v136
	s_clause 0x1f
	buffer_load_dword v137, v140, s[0:3], 0 offen offset:8
	buffer_load_dword v138, v140, s[0:3], 0 offen offset:12
	buffer_load_dword v148, v140, s[0:3], 0 offen
	buffer_load_dword v149, v140, s[0:3], 0 offen offset:4
	buffer_load_dword v150, v140, s[0:3], 0 offen offset:24
	;; [unrolled: 1-line block ×29, first 2 shown]
	ds_read_b128 v[140:143], v186
	ds_read_b128 v[144:147], v186 offset:16
	s_addk_i32 s74, 0x80
	s_addk_i32 s75, 0x80
	s_or_b32 s73, vcc_lo, s73
	s_waitcnt vmcnt(30) lgkmcnt(1)
	v_mul_f64 v[178:179], v[142:143], v[137:138]
	v_mul_f64 v[137:138], v[140:141], v[137:138]
	s_waitcnt vmcnt(26) lgkmcnt(0)
	v_mul_f64 v[180:181], v[146:147], v[150:151]
	v_mul_f64 v[182:183], v[144:145], v[150:151]
	v_fma_f64 v[178:179], v[140:141], v[148:149], -v[178:179]
	v_fma_f64 v[137:138], v[142:143], v[148:149], v[137:138]
	ds_read_b128 v[140:143], v186 offset:32
	ds_read_b128 v[148:151], v186 offset:48
	s_waitcnt vmcnt(24)
	v_fma_f64 v[144:145], v[144:145], v[152:153], -v[180:181]
	v_fma_f64 v[146:147], v[146:147], v[152:153], v[182:183]
	s_waitcnt vmcnt(22) lgkmcnt(1)
	v_mul_f64 v[184:185], v[142:143], v[154:155]
	v_mul_f64 v[154:155], v[140:141], v[154:155]
	v_add_f64 v[1:2], v[1:2], v[178:179]
	v_add_f64 v[3:4], v[3:4], v[137:138]
	s_waitcnt vmcnt(18) lgkmcnt(0)
	v_mul_f64 v[137:138], v[150:151], v[158:159]
	v_mul_f64 v[152:153], v[148:149], v[158:159]
	v_fma_f64 v[158:159], v[140:141], v[156:157], -v[184:185]
	v_fma_f64 v[154:155], v[142:143], v[156:157], v[154:155]
	v_add_f64 v[144:145], v[1:2], v[144:145]
	v_add_f64 v[146:147], v[3:4], v[146:147]
	ds_read_b128 v[1:4], v186 offset:64
	ds_read_b128 v[140:143], v186 offset:80
	s_waitcnt vmcnt(16)
	v_fma_f64 v[137:138], v[148:149], v[160:161], -v[137:138]
	v_fma_f64 v[148:149], v[150:151], v[160:161], v[152:153]
	s_waitcnt vmcnt(12) lgkmcnt(1)
	v_mul_f64 v[156:157], v[3:4], v[162:163]
	v_mul_f64 v[162:163], v[1:2], v[162:163]
	v_add_f64 v[144:145], v[144:145], v[158:159]
	v_add_f64 v[146:147], v[146:147], v[154:155]
	s_waitcnt vmcnt(10) lgkmcnt(0)
	v_mul_f64 v[150:151], v[142:143], v[164:165]
	v_mul_f64 v[152:153], v[140:141], v[164:165]
	s_waitcnt vmcnt(8)
	v_fma_f64 v[154:155], v[1:2], v[168:169], -v[156:157]
	v_fma_f64 v[156:157], v[3:4], v[168:169], v[162:163]
	v_add_f64 v[137:138], v[144:145], v[137:138]
	v_add_f64 v[148:149], v[146:147], v[148:149]
	ds_read_b128 v[1:4], v186 offset:96
	ds_read_b128 v[144:147], v186 offset:112
	v_fma_f64 v[140:141], v[140:141], v[166:167], -v[150:151]
	v_fma_f64 v[142:143], v[142:143], v[166:167], v[152:153]
	s_waitcnt vmcnt(4) lgkmcnt(1)
	v_mul_f64 v[158:159], v[3:4], v[170:171]
	v_mul_f64 v[160:161], v[1:2], v[170:171]
	v_add_f64 v[137:138], v[137:138], v[154:155]
	v_add_f64 v[148:149], v[148:149], v[156:157]
	s_waitcnt vmcnt(2) lgkmcnt(0)
	v_mul_f64 v[150:151], v[146:147], v[172:173]
	v_mul_f64 v[152:153], v[144:145], v[172:173]
	s_waitcnt vmcnt(0)
	v_fma_f64 v[1:2], v[1:2], v[176:177], -v[158:159]
	v_fma_f64 v[3:4], v[3:4], v[176:177], v[160:161]
	v_add_f64 v[137:138], v[137:138], v[140:141]
	v_add_f64 v[140:141], v[148:149], v[142:143]
	v_fma_f64 v[142:143], v[144:145], v[174:175], -v[150:151]
	v_fma_f64 v[144:145], v[146:147], v[174:175], v[152:153]
	v_add_f64 v[1:2], v[137:138], v[1:2]
	v_add_f64 v[3:4], v[140:141], v[3:4]
	v_mov_b32_e32 v137, s76
	s_mov_b32 s76, s77
	v_add_f64 v[1:2], v[1:2], v[142:143]
	v_add_f64 v[3:4], v[3:4], v[144:145]
	s_andn2_b32 exec_lo, exec_lo, s73
	s_cbranch_execnz .LBB127_809
; %bb.810:
	s_or_b32 exec_lo, exec_lo, s73
.LBB127_811:
	s_or_b32 exec_lo, exec_lo, s5
	v_and_b32_e32 v135, 7, v135
	s_mov_b32 s73, 0
	s_mov_b32 s5, exec_lo
	v_cmpx_ne_u32_e32 0, v135
	s_cbranch_execz .LBB127_815
; %bb.812:
	v_lshlrev_b32_e32 v137, 4, v137
	v_add_nc_u32_e32 v136, 0x400, v137
	.p2align	6
.LBB127_813:                            ; =>This Inner Loop Header: Depth=1
	s_clause 0x3
	buffer_load_dword v144, v137, s[0:3], 0 offen offset:8
	buffer_load_dword v145, v137, s[0:3], 0 offen offset:12
	buffer_load_dword v146, v137, s[0:3], 0 offen
	buffer_load_dword v147, v137, s[0:3], 0 offen offset:4
	ds_read_b128 v[140:143], v136
	v_add_nc_u32_e32 v135, -1, v135
	v_add_nc_u32_e32 v136, 16, v136
	v_add_nc_u32_e32 v137, 16, v137
	v_cmp_eq_u32_e32 vcc_lo, 0, v135
	s_or_b32 s73, vcc_lo, s73
	s_waitcnt vmcnt(2) lgkmcnt(0)
	v_mul_f64 v[148:149], v[142:143], v[144:145]
	v_mul_f64 v[144:145], v[140:141], v[144:145]
	s_waitcnt vmcnt(0)
	v_fma_f64 v[140:141], v[140:141], v[146:147], -v[148:149]
	v_fma_f64 v[142:143], v[142:143], v[146:147], v[144:145]
	v_add_f64 v[1:2], v[1:2], v[140:141]
	v_add_f64 v[3:4], v[3:4], v[142:143]
	s_andn2_b32 exec_lo, exec_lo, s73
	s_cbranch_execnz .LBB127_813
; %bb.814:
	s_or_b32 exec_lo, exec_lo, s73
.LBB127_815:
	s_or_b32 exec_lo, exec_lo, s5
.LBB127_816:
	s_or_b32 exec_lo, exec_lo, s8
	v_mov_b32_e32 v135, 0
	ds_read_b128 v[135:138], v135 offset:64
	s_waitcnt lgkmcnt(0)
	v_mul_f64 v[140:141], v[3:4], v[137:138]
	v_mul_f64 v[137:138], v[1:2], v[137:138]
	v_fma_f64 v[1:2], v[1:2], v[135:136], -v[140:141]
	v_fma_f64 v[3:4], v[3:4], v[135:136], v[137:138]
	buffer_store_dword v2, off, s[0:3], 0 offset:68
	buffer_store_dword v1, off, s[0:3], 0 offset:64
	;; [unrolled: 1-line block ×4, first 2 shown]
.LBB127_817:
	s_or_b32 exec_lo, exec_lo, s6
	v_mov_b32_e32 v4, s70
	v_cmp_lt_u32_e64 s5, 3, v0
	s_clause 0x3
	buffer_load_dword v1, v4, s[0:3], 0 offen
	buffer_load_dword v2, v4, s[0:3], 0 offen offset:4
	buffer_load_dword v3, v4, s[0:3], 0 offen offset:8
	;; [unrolled: 1-line block ×3, first 2 shown]
	s_waitcnt vmcnt(0)
	ds_write_b128 v134, v[1:4]
	s_waitcnt lgkmcnt(0)
	s_waitcnt_vscnt null, 0x0
	s_barrier
	buffer_gl0_inv
	s_and_saveexec_b32 s6, s5
	s_cbranch_execz .LBB127_831
; %bb.818:
	ds_read_b128 v[1:4], v134
	s_andn2_b32 vcc_lo, exec_lo, s7
	s_cbranch_vccnz .LBB127_820
; %bb.819:
	s_clause 0x3
	buffer_load_dword v135, v133, s[0:3], 0 offen offset:8
	buffer_load_dword v136, v133, s[0:3], 0 offen offset:12
	buffer_load_dword v137, v133, s[0:3], 0 offen
	buffer_load_dword v138, v133, s[0:3], 0 offen offset:4
	s_waitcnt vmcnt(2) lgkmcnt(0)
	v_mul_f64 v[140:141], v[3:4], v[135:136]
	v_mul_f64 v[135:136], v[1:2], v[135:136]
	s_waitcnt vmcnt(0)
	v_fma_f64 v[1:2], v[1:2], v[137:138], -v[140:141]
	v_fma_f64 v[3:4], v[3:4], v[137:138], v[135:136]
.LBB127_820:
	s_and_saveexec_b32 s8, s4
	s_cbranch_execz .LBB127_830
; %bb.821:
	v_add_nc_u32_e32 v136, -5, v0
	v_add_nc_u32_e32 v135, -4, v0
	v_mov_b32_e32 v137, 4
	s_mov_b32 s4, exec_lo
	v_cmpx_lt_u32_e32 6, v136
	s_cbranch_execz .LBB127_825
; %bb.822:
	v_and_b32_e32 v136, -8, v135
	s_movk_i32 s74, 0x440
	s_mov_b32 s73, 0
	s_mov_b32 s75, s69
	;; [unrolled: 1-line block ×3, first 2 shown]
.LBB127_823:                            ; =>This Inner Loop Header: Depth=1
	v_mov_b32_e32 v140, s75
	v_mov_b32_e32 v186, s74
	s_add_i32 s77, s76, 8
	s_add_i32 s76, s76, 12
	v_cmp_eq_u32_e32 vcc_lo, s77, v136
	s_clause 0x1f
	buffer_load_dword v137, v140, s[0:3], 0 offen offset:8
	buffer_load_dword v138, v140, s[0:3], 0 offen offset:12
	buffer_load_dword v148, v140, s[0:3], 0 offen
	buffer_load_dword v149, v140, s[0:3], 0 offen offset:4
	buffer_load_dword v150, v140, s[0:3], 0 offen offset:24
	;; [unrolled: 1-line block ×29, first 2 shown]
	ds_read_b128 v[140:143], v186
	ds_read_b128 v[144:147], v186 offset:16
	s_addk_i32 s74, 0x80
	s_addk_i32 s75, 0x80
	s_or_b32 s73, vcc_lo, s73
	s_waitcnt vmcnt(30) lgkmcnt(1)
	v_mul_f64 v[178:179], v[142:143], v[137:138]
	v_mul_f64 v[137:138], v[140:141], v[137:138]
	s_waitcnt vmcnt(26) lgkmcnt(0)
	v_mul_f64 v[180:181], v[146:147], v[150:151]
	v_mul_f64 v[182:183], v[144:145], v[150:151]
	v_fma_f64 v[178:179], v[140:141], v[148:149], -v[178:179]
	v_fma_f64 v[137:138], v[142:143], v[148:149], v[137:138]
	ds_read_b128 v[140:143], v186 offset:32
	ds_read_b128 v[148:151], v186 offset:48
	s_waitcnt vmcnt(24)
	v_fma_f64 v[144:145], v[144:145], v[152:153], -v[180:181]
	v_fma_f64 v[146:147], v[146:147], v[152:153], v[182:183]
	s_waitcnt vmcnt(22) lgkmcnt(1)
	v_mul_f64 v[184:185], v[142:143], v[154:155]
	v_mul_f64 v[154:155], v[140:141], v[154:155]
	v_add_f64 v[1:2], v[1:2], v[178:179]
	v_add_f64 v[3:4], v[3:4], v[137:138]
	s_waitcnt vmcnt(18) lgkmcnt(0)
	v_mul_f64 v[137:138], v[150:151], v[158:159]
	v_mul_f64 v[152:153], v[148:149], v[158:159]
	v_fma_f64 v[158:159], v[140:141], v[156:157], -v[184:185]
	v_fma_f64 v[154:155], v[142:143], v[156:157], v[154:155]
	v_add_f64 v[144:145], v[1:2], v[144:145]
	v_add_f64 v[146:147], v[3:4], v[146:147]
	ds_read_b128 v[1:4], v186 offset:64
	ds_read_b128 v[140:143], v186 offset:80
	s_waitcnt vmcnt(16)
	v_fma_f64 v[137:138], v[148:149], v[160:161], -v[137:138]
	v_fma_f64 v[148:149], v[150:151], v[160:161], v[152:153]
	s_waitcnt vmcnt(12) lgkmcnt(1)
	v_mul_f64 v[156:157], v[3:4], v[162:163]
	v_mul_f64 v[162:163], v[1:2], v[162:163]
	v_add_f64 v[144:145], v[144:145], v[158:159]
	v_add_f64 v[146:147], v[146:147], v[154:155]
	s_waitcnt vmcnt(10) lgkmcnt(0)
	v_mul_f64 v[150:151], v[142:143], v[164:165]
	v_mul_f64 v[152:153], v[140:141], v[164:165]
	s_waitcnt vmcnt(8)
	v_fma_f64 v[154:155], v[1:2], v[168:169], -v[156:157]
	v_fma_f64 v[156:157], v[3:4], v[168:169], v[162:163]
	v_add_f64 v[137:138], v[144:145], v[137:138]
	v_add_f64 v[148:149], v[146:147], v[148:149]
	ds_read_b128 v[1:4], v186 offset:96
	ds_read_b128 v[144:147], v186 offset:112
	v_fma_f64 v[140:141], v[140:141], v[166:167], -v[150:151]
	v_fma_f64 v[142:143], v[142:143], v[166:167], v[152:153]
	s_waitcnt vmcnt(4) lgkmcnt(1)
	v_mul_f64 v[158:159], v[3:4], v[170:171]
	v_mul_f64 v[160:161], v[1:2], v[170:171]
	v_add_f64 v[137:138], v[137:138], v[154:155]
	v_add_f64 v[148:149], v[148:149], v[156:157]
	s_waitcnt vmcnt(2) lgkmcnt(0)
	v_mul_f64 v[150:151], v[146:147], v[172:173]
	v_mul_f64 v[152:153], v[144:145], v[172:173]
	s_waitcnt vmcnt(0)
	v_fma_f64 v[1:2], v[1:2], v[176:177], -v[158:159]
	v_fma_f64 v[3:4], v[3:4], v[176:177], v[160:161]
	v_add_f64 v[137:138], v[137:138], v[140:141]
	v_add_f64 v[140:141], v[148:149], v[142:143]
	v_fma_f64 v[142:143], v[144:145], v[174:175], -v[150:151]
	v_fma_f64 v[144:145], v[146:147], v[174:175], v[152:153]
	v_add_f64 v[1:2], v[137:138], v[1:2]
	v_add_f64 v[3:4], v[140:141], v[3:4]
	v_mov_b32_e32 v137, s76
	s_mov_b32 s76, s77
	v_add_f64 v[1:2], v[1:2], v[142:143]
	v_add_f64 v[3:4], v[3:4], v[144:145]
	s_andn2_b32 exec_lo, exec_lo, s73
	s_cbranch_execnz .LBB127_823
; %bb.824:
	s_or_b32 exec_lo, exec_lo, s73
.LBB127_825:
	s_or_b32 exec_lo, exec_lo, s4
	v_and_b32_e32 v135, 7, v135
	s_mov_b32 s73, 0
	s_mov_b32 s4, exec_lo
	v_cmpx_ne_u32_e32 0, v135
	s_cbranch_execz .LBB127_829
; %bb.826:
	v_lshlrev_b32_e32 v137, 4, v137
	v_add_nc_u32_e32 v136, 0x400, v137
	.p2align	6
.LBB127_827:                            ; =>This Inner Loop Header: Depth=1
	s_clause 0x3
	buffer_load_dword v144, v137, s[0:3], 0 offen offset:8
	buffer_load_dword v145, v137, s[0:3], 0 offen offset:12
	buffer_load_dword v146, v137, s[0:3], 0 offen
	buffer_load_dword v147, v137, s[0:3], 0 offen offset:4
	ds_read_b128 v[140:143], v136
	v_add_nc_u32_e32 v135, -1, v135
	v_add_nc_u32_e32 v136, 16, v136
	v_add_nc_u32_e32 v137, 16, v137
	v_cmp_eq_u32_e32 vcc_lo, 0, v135
	s_or_b32 s73, vcc_lo, s73
	s_waitcnt vmcnt(2) lgkmcnt(0)
	v_mul_f64 v[148:149], v[142:143], v[144:145]
	v_mul_f64 v[144:145], v[140:141], v[144:145]
	s_waitcnt vmcnt(0)
	v_fma_f64 v[140:141], v[140:141], v[146:147], -v[148:149]
	v_fma_f64 v[142:143], v[142:143], v[146:147], v[144:145]
	v_add_f64 v[1:2], v[1:2], v[140:141]
	v_add_f64 v[3:4], v[3:4], v[142:143]
	s_andn2_b32 exec_lo, exec_lo, s73
	s_cbranch_execnz .LBB127_827
; %bb.828:
	s_or_b32 exec_lo, exec_lo, s73
.LBB127_829:
	s_or_b32 exec_lo, exec_lo, s4
.LBB127_830:
	s_or_b32 exec_lo, exec_lo, s8
	v_mov_b32_e32 v135, 0
	ds_read_b128 v[135:138], v135 offset:48
	s_waitcnt lgkmcnt(0)
	v_mul_f64 v[140:141], v[3:4], v[137:138]
	v_mul_f64 v[137:138], v[1:2], v[137:138]
	v_fma_f64 v[1:2], v[1:2], v[135:136], -v[140:141]
	v_fma_f64 v[3:4], v[3:4], v[135:136], v[137:138]
	buffer_store_dword v2, off, s[0:3], 0 offset:52
	buffer_store_dword v1, off, s[0:3], 0 offset:48
	;; [unrolled: 1-line block ×4, first 2 shown]
.LBB127_831:
	s_or_b32 exec_lo, exec_lo, s6
	v_mov_b32_e32 v4, s71
	v_cmp_lt_u32_e64 s6, 2, v0
	s_clause 0x3
	buffer_load_dword v1, v4, s[0:3], 0 offen
	buffer_load_dword v2, v4, s[0:3], 0 offen offset:4
	buffer_load_dword v3, v4, s[0:3], 0 offen offset:8
	;; [unrolled: 1-line block ×3, first 2 shown]
	s_waitcnt vmcnt(0)
	ds_write_b128 v134, v[1:4]
	s_waitcnt lgkmcnt(0)
	s_waitcnt_vscnt null, 0x0
	s_barrier
	buffer_gl0_inv
	s_and_saveexec_b32 s4, s6
	s_cbranch_execz .LBB127_845
; %bb.832:
	ds_read_b128 v[1:4], v134
	s_andn2_b32 vcc_lo, exec_lo, s7
	s_cbranch_vccnz .LBB127_834
; %bb.833:
	s_clause 0x3
	buffer_load_dword v135, v133, s[0:3], 0 offen offset:8
	buffer_load_dword v136, v133, s[0:3], 0 offen offset:12
	buffer_load_dword v137, v133, s[0:3], 0 offen
	buffer_load_dword v138, v133, s[0:3], 0 offen offset:4
	s_waitcnt vmcnt(2) lgkmcnt(0)
	v_mul_f64 v[140:141], v[3:4], v[135:136]
	v_mul_f64 v[135:136], v[1:2], v[135:136]
	s_waitcnt vmcnt(0)
	v_fma_f64 v[1:2], v[1:2], v[137:138], -v[140:141]
	v_fma_f64 v[3:4], v[3:4], v[137:138], v[135:136]
.LBB127_834:
	s_and_saveexec_b32 s8, s5
	s_cbranch_execz .LBB127_844
; %bb.835:
	v_add_nc_u32_e32 v136, -4, v0
	v_add_nc_u32_e32 v135, -3, v0
	v_mov_b32_e32 v137, 3
	s_mov_b32 s5, exec_lo
	v_cmpx_lt_u32_e32 6, v136
	s_cbranch_execz .LBB127_839
; %bb.836:
	v_and_b32_e32 v136, -8, v135
	s_movk_i32 s74, 0x430
	s_mov_b32 s73, 0
	s_mov_b32 s75, s70
	;; [unrolled: 1-line block ×3, first 2 shown]
.LBB127_837:                            ; =>This Inner Loop Header: Depth=1
	v_mov_b32_e32 v140, s75
	v_mov_b32_e32 v186, s74
	s_add_i32 s77, s76, 8
	s_add_i32 s76, s76, 11
	v_cmp_eq_u32_e32 vcc_lo, s77, v136
	s_clause 0x1f
	buffer_load_dword v137, v140, s[0:3], 0 offen offset:8
	buffer_load_dword v138, v140, s[0:3], 0 offen offset:12
	buffer_load_dword v148, v140, s[0:3], 0 offen
	buffer_load_dword v149, v140, s[0:3], 0 offen offset:4
	buffer_load_dword v150, v140, s[0:3], 0 offen offset:24
	;; [unrolled: 1-line block ×29, first 2 shown]
	ds_read_b128 v[140:143], v186
	ds_read_b128 v[144:147], v186 offset:16
	s_addk_i32 s74, 0x80
	s_addk_i32 s75, 0x80
	s_or_b32 s73, vcc_lo, s73
	s_waitcnt vmcnt(30) lgkmcnt(1)
	v_mul_f64 v[178:179], v[142:143], v[137:138]
	v_mul_f64 v[137:138], v[140:141], v[137:138]
	s_waitcnt vmcnt(26) lgkmcnt(0)
	v_mul_f64 v[180:181], v[146:147], v[150:151]
	v_mul_f64 v[182:183], v[144:145], v[150:151]
	v_fma_f64 v[178:179], v[140:141], v[148:149], -v[178:179]
	v_fma_f64 v[137:138], v[142:143], v[148:149], v[137:138]
	ds_read_b128 v[140:143], v186 offset:32
	ds_read_b128 v[148:151], v186 offset:48
	s_waitcnt vmcnt(24)
	v_fma_f64 v[144:145], v[144:145], v[152:153], -v[180:181]
	v_fma_f64 v[146:147], v[146:147], v[152:153], v[182:183]
	s_waitcnt vmcnt(22) lgkmcnt(1)
	v_mul_f64 v[184:185], v[142:143], v[154:155]
	v_mul_f64 v[154:155], v[140:141], v[154:155]
	v_add_f64 v[1:2], v[1:2], v[178:179]
	v_add_f64 v[3:4], v[3:4], v[137:138]
	s_waitcnt vmcnt(18) lgkmcnt(0)
	v_mul_f64 v[137:138], v[150:151], v[158:159]
	v_mul_f64 v[152:153], v[148:149], v[158:159]
	v_fma_f64 v[158:159], v[140:141], v[156:157], -v[184:185]
	v_fma_f64 v[154:155], v[142:143], v[156:157], v[154:155]
	v_add_f64 v[144:145], v[1:2], v[144:145]
	v_add_f64 v[146:147], v[3:4], v[146:147]
	ds_read_b128 v[1:4], v186 offset:64
	ds_read_b128 v[140:143], v186 offset:80
	s_waitcnt vmcnt(16)
	v_fma_f64 v[137:138], v[148:149], v[160:161], -v[137:138]
	v_fma_f64 v[148:149], v[150:151], v[160:161], v[152:153]
	s_waitcnt vmcnt(12) lgkmcnt(1)
	v_mul_f64 v[156:157], v[3:4], v[162:163]
	v_mul_f64 v[162:163], v[1:2], v[162:163]
	v_add_f64 v[144:145], v[144:145], v[158:159]
	v_add_f64 v[146:147], v[146:147], v[154:155]
	s_waitcnt vmcnt(10) lgkmcnt(0)
	v_mul_f64 v[150:151], v[142:143], v[164:165]
	v_mul_f64 v[152:153], v[140:141], v[164:165]
	s_waitcnt vmcnt(8)
	v_fma_f64 v[154:155], v[1:2], v[168:169], -v[156:157]
	v_fma_f64 v[156:157], v[3:4], v[168:169], v[162:163]
	v_add_f64 v[137:138], v[144:145], v[137:138]
	v_add_f64 v[148:149], v[146:147], v[148:149]
	ds_read_b128 v[1:4], v186 offset:96
	ds_read_b128 v[144:147], v186 offset:112
	v_fma_f64 v[140:141], v[140:141], v[166:167], -v[150:151]
	v_fma_f64 v[142:143], v[142:143], v[166:167], v[152:153]
	s_waitcnt vmcnt(4) lgkmcnt(1)
	v_mul_f64 v[158:159], v[3:4], v[170:171]
	v_mul_f64 v[160:161], v[1:2], v[170:171]
	v_add_f64 v[137:138], v[137:138], v[154:155]
	v_add_f64 v[148:149], v[148:149], v[156:157]
	s_waitcnt vmcnt(2) lgkmcnt(0)
	v_mul_f64 v[150:151], v[146:147], v[172:173]
	v_mul_f64 v[152:153], v[144:145], v[172:173]
	s_waitcnt vmcnt(0)
	v_fma_f64 v[1:2], v[1:2], v[176:177], -v[158:159]
	v_fma_f64 v[3:4], v[3:4], v[176:177], v[160:161]
	v_add_f64 v[137:138], v[137:138], v[140:141]
	v_add_f64 v[140:141], v[148:149], v[142:143]
	v_fma_f64 v[142:143], v[144:145], v[174:175], -v[150:151]
	v_fma_f64 v[144:145], v[146:147], v[174:175], v[152:153]
	v_add_f64 v[1:2], v[137:138], v[1:2]
	v_add_f64 v[3:4], v[140:141], v[3:4]
	v_mov_b32_e32 v137, s76
	s_mov_b32 s76, s77
	v_add_f64 v[1:2], v[1:2], v[142:143]
	v_add_f64 v[3:4], v[3:4], v[144:145]
	s_andn2_b32 exec_lo, exec_lo, s73
	s_cbranch_execnz .LBB127_837
; %bb.838:
	s_or_b32 exec_lo, exec_lo, s73
.LBB127_839:
	s_or_b32 exec_lo, exec_lo, s5
	v_and_b32_e32 v135, 7, v135
	s_mov_b32 s73, 0
	s_mov_b32 s5, exec_lo
	v_cmpx_ne_u32_e32 0, v135
	s_cbranch_execz .LBB127_843
; %bb.840:
	v_lshlrev_b32_e32 v137, 4, v137
	v_add_nc_u32_e32 v136, 0x400, v137
	.p2align	6
.LBB127_841:                            ; =>This Inner Loop Header: Depth=1
	s_clause 0x3
	buffer_load_dword v144, v137, s[0:3], 0 offen offset:8
	buffer_load_dword v145, v137, s[0:3], 0 offen offset:12
	buffer_load_dword v146, v137, s[0:3], 0 offen
	buffer_load_dword v147, v137, s[0:3], 0 offen offset:4
	ds_read_b128 v[140:143], v136
	v_add_nc_u32_e32 v135, -1, v135
	v_add_nc_u32_e32 v136, 16, v136
	v_add_nc_u32_e32 v137, 16, v137
	v_cmp_eq_u32_e32 vcc_lo, 0, v135
	s_or_b32 s73, vcc_lo, s73
	s_waitcnt vmcnt(2) lgkmcnt(0)
	v_mul_f64 v[148:149], v[142:143], v[144:145]
	v_mul_f64 v[144:145], v[140:141], v[144:145]
	s_waitcnt vmcnt(0)
	v_fma_f64 v[140:141], v[140:141], v[146:147], -v[148:149]
	v_fma_f64 v[142:143], v[142:143], v[146:147], v[144:145]
	v_add_f64 v[1:2], v[1:2], v[140:141]
	v_add_f64 v[3:4], v[3:4], v[142:143]
	s_andn2_b32 exec_lo, exec_lo, s73
	s_cbranch_execnz .LBB127_841
; %bb.842:
	s_or_b32 exec_lo, exec_lo, s73
.LBB127_843:
	s_or_b32 exec_lo, exec_lo, s5
.LBB127_844:
	s_or_b32 exec_lo, exec_lo, s8
	v_mov_b32_e32 v135, 0
	ds_read_b128 v[135:138], v135 offset:32
	s_waitcnt lgkmcnt(0)
	v_mul_f64 v[140:141], v[3:4], v[137:138]
	v_mul_f64 v[137:138], v[1:2], v[137:138]
	v_fma_f64 v[1:2], v[1:2], v[135:136], -v[140:141]
	v_fma_f64 v[3:4], v[3:4], v[135:136], v[137:138]
	buffer_store_dword v2, off, s[0:3], 0 offset:36
	buffer_store_dword v1, off, s[0:3], 0 offset:32
	;; [unrolled: 1-line block ×4, first 2 shown]
.LBB127_845:
	s_or_b32 exec_lo, exec_lo, s4
	v_mov_b32_e32 v4, s72
	v_cmp_lt_u32_e64 s4, 1, v0
	s_clause 0x3
	buffer_load_dword v1, v4, s[0:3], 0 offen
	buffer_load_dword v2, v4, s[0:3], 0 offen offset:4
	buffer_load_dword v3, v4, s[0:3], 0 offen offset:8
	;; [unrolled: 1-line block ×3, first 2 shown]
	s_waitcnt vmcnt(0)
	ds_write_b128 v134, v[1:4]
	s_waitcnt lgkmcnt(0)
	s_waitcnt_vscnt null, 0x0
	s_barrier
	buffer_gl0_inv
	s_and_saveexec_b32 s5, s4
	s_cbranch_execz .LBB127_859
; %bb.846:
	ds_read_b128 v[1:4], v134
	s_andn2_b32 vcc_lo, exec_lo, s7
	s_cbranch_vccnz .LBB127_848
; %bb.847:
	s_clause 0x3
	buffer_load_dword v135, v133, s[0:3], 0 offen offset:8
	buffer_load_dword v136, v133, s[0:3], 0 offen offset:12
	buffer_load_dword v137, v133, s[0:3], 0 offen
	buffer_load_dword v138, v133, s[0:3], 0 offen offset:4
	s_waitcnt vmcnt(2) lgkmcnt(0)
	v_mul_f64 v[140:141], v[3:4], v[135:136]
	v_mul_f64 v[135:136], v[1:2], v[135:136]
	s_waitcnt vmcnt(0)
	v_fma_f64 v[1:2], v[1:2], v[137:138], -v[140:141]
	v_fma_f64 v[3:4], v[3:4], v[137:138], v[135:136]
.LBB127_848:
	s_and_saveexec_b32 s8, s6
	s_cbranch_execz .LBB127_858
; %bb.849:
	v_add_nc_u32_e32 v136, -3, v0
	v_add_nc_u32_e32 v135, -2, v0
	v_mov_b32_e32 v137, 2
	s_mov_b32 s6, exec_lo
	v_cmpx_lt_u32_e32 6, v136
	s_cbranch_execz .LBB127_853
; %bb.850:
	v_and_b32_e32 v136, -8, v135
	s_movk_i32 s74, 0x420
	s_mov_b32 s73, 0
	s_mov_b32 s75, s71
	;; [unrolled: 1-line block ×3, first 2 shown]
.LBB127_851:                            ; =>This Inner Loop Header: Depth=1
	v_mov_b32_e32 v140, s75
	v_mov_b32_e32 v186, s74
	s_add_i32 s77, s76, 8
	s_add_i32 s76, s76, 10
	v_cmp_eq_u32_e32 vcc_lo, s77, v136
	s_clause 0x1f
	buffer_load_dword v137, v140, s[0:3], 0 offen offset:8
	buffer_load_dword v138, v140, s[0:3], 0 offen offset:12
	buffer_load_dword v148, v140, s[0:3], 0 offen
	buffer_load_dword v149, v140, s[0:3], 0 offen offset:4
	buffer_load_dword v150, v140, s[0:3], 0 offen offset:24
	;; [unrolled: 1-line block ×29, first 2 shown]
	ds_read_b128 v[140:143], v186
	ds_read_b128 v[144:147], v186 offset:16
	s_addk_i32 s74, 0x80
	s_addk_i32 s75, 0x80
	s_or_b32 s73, vcc_lo, s73
	s_waitcnt vmcnt(30) lgkmcnt(1)
	v_mul_f64 v[178:179], v[142:143], v[137:138]
	v_mul_f64 v[137:138], v[140:141], v[137:138]
	s_waitcnt vmcnt(26) lgkmcnt(0)
	v_mul_f64 v[180:181], v[146:147], v[150:151]
	v_mul_f64 v[182:183], v[144:145], v[150:151]
	v_fma_f64 v[178:179], v[140:141], v[148:149], -v[178:179]
	v_fma_f64 v[137:138], v[142:143], v[148:149], v[137:138]
	ds_read_b128 v[140:143], v186 offset:32
	ds_read_b128 v[148:151], v186 offset:48
	s_waitcnt vmcnt(24)
	v_fma_f64 v[144:145], v[144:145], v[152:153], -v[180:181]
	v_fma_f64 v[146:147], v[146:147], v[152:153], v[182:183]
	s_waitcnt vmcnt(22) lgkmcnt(1)
	v_mul_f64 v[184:185], v[142:143], v[154:155]
	v_mul_f64 v[154:155], v[140:141], v[154:155]
	v_add_f64 v[1:2], v[1:2], v[178:179]
	v_add_f64 v[3:4], v[3:4], v[137:138]
	s_waitcnt vmcnt(18) lgkmcnt(0)
	v_mul_f64 v[137:138], v[150:151], v[158:159]
	v_mul_f64 v[152:153], v[148:149], v[158:159]
	v_fma_f64 v[158:159], v[140:141], v[156:157], -v[184:185]
	v_fma_f64 v[154:155], v[142:143], v[156:157], v[154:155]
	v_add_f64 v[144:145], v[1:2], v[144:145]
	v_add_f64 v[146:147], v[3:4], v[146:147]
	ds_read_b128 v[1:4], v186 offset:64
	ds_read_b128 v[140:143], v186 offset:80
	s_waitcnt vmcnt(16)
	v_fma_f64 v[137:138], v[148:149], v[160:161], -v[137:138]
	v_fma_f64 v[148:149], v[150:151], v[160:161], v[152:153]
	s_waitcnt vmcnt(12) lgkmcnt(1)
	v_mul_f64 v[156:157], v[3:4], v[162:163]
	v_mul_f64 v[162:163], v[1:2], v[162:163]
	v_add_f64 v[144:145], v[144:145], v[158:159]
	v_add_f64 v[146:147], v[146:147], v[154:155]
	s_waitcnt vmcnt(10) lgkmcnt(0)
	v_mul_f64 v[150:151], v[142:143], v[164:165]
	v_mul_f64 v[152:153], v[140:141], v[164:165]
	s_waitcnt vmcnt(8)
	v_fma_f64 v[154:155], v[1:2], v[168:169], -v[156:157]
	v_fma_f64 v[156:157], v[3:4], v[168:169], v[162:163]
	v_add_f64 v[137:138], v[144:145], v[137:138]
	v_add_f64 v[148:149], v[146:147], v[148:149]
	ds_read_b128 v[1:4], v186 offset:96
	ds_read_b128 v[144:147], v186 offset:112
	v_fma_f64 v[140:141], v[140:141], v[166:167], -v[150:151]
	v_fma_f64 v[142:143], v[142:143], v[166:167], v[152:153]
	s_waitcnt vmcnt(4) lgkmcnt(1)
	v_mul_f64 v[158:159], v[3:4], v[170:171]
	v_mul_f64 v[160:161], v[1:2], v[170:171]
	v_add_f64 v[137:138], v[137:138], v[154:155]
	v_add_f64 v[148:149], v[148:149], v[156:157]
	s_waitcnt vmcnt(2) lgkmcnt(0)
	v_mul_f64 v[150:151], v[146:147], v[172:173]
	v_mul_f64 v[152:153], v[144:145], v[172:173]
	s_waitcnt vmcnt(0)
	v_fma_f64 v[1:2], v[1:2], v[176:177], -v[158:159]
	v_fma_f64 v[3:4], v[3:4], v[176:177], v[160:161]
	v_add_f64 v[137:138], v[137:138], v[140:141]
	v_add_f64 v[140:141], v[148:149], v[142:143]
	v_fma_f64 v[142:143], v[144:145], v[174:175], -v[150:151]
	v_fma_f64 v[144:145], v[146:147], v[174:175], v[152:153]
	v_add_f64 v[1:2], v[137:138], v[1:2]
	v_add_f64 v[3:4], v[140:141], v[3:4]
	v_mov_b32_e32 v137, s76
	s_mov_b32 s76, s77
	v_add_f64 v[1:2], v[1:2], v[142:143]
	v_add_f64 v[3:4], v[3:4], v[144:145]
	s_andn2_b32 exec_lo, exec_lo, s73
	s_cbranch_execnz .LBB127_851
; %bb.852:
	s_or_b32 exec_lo, exec_lo, s73
.LBB127_853:
	s_or_b32 exec_lo, exec_lo, s6
	v_and_b32_e32 v135, 7, v135
	s_mov_b32 s73, 0
	s_mov_b32 s6, exec_lo
	v_cmpx_ne_u32_e32 0, v135
	s_cbranch_execz .LBB127_857
; %bb.854:
	v_lshlrev_b32_e32 v137, 4, v137
	v_add_nc_u32_e32 v136, 0x400, v137
	.p2align	6
.LBB127_855:                            ; =>This Inner Loop Header: Depth=1
	s_clause 0x3
	buffer_load_dword v144, v137, s[0:3], 0 offen offset:8
	buffer_load_dword v145, v137, s[0:3], 0 offen offset:12
	buffer_load_dword v146, v137, s[0:3], 0 offen
	buffer_load_dword v147, v137, s[0:3], 0 offen offset:4
	ds_read_b128 v[140:143], v136
	v_add_nc_u32_e32 v135, -1, v135
	v_add_nc_u32_e32 v136, 16, v136
	v_add_nc_u32_e32 v137, 16, v137
	v_cmp_eq_u32_e32 vcc_lo, 0, v135
	s_or_b32 s73, vcc_lo, s73
	s_waitcnt vmcnt(2) lgkmcnt(0)
	v_mul_f64 v[148:149], v[142:143], v[144:145]
	v_mul_f64 v[144:145], v[140:141], v[144:145]
	s_waitcnt vmcnt(0)
	v_fma_f64 v[140:141], v[140:141], v[146:147], -v[148:149]
	v_fma_f64 v[142:143], v[142:143], v[146:147], v[144:145]
	v_add_f64 v[1:2], v[1:2], v[140:141]
	v_add_f64 v[3:4], v[3:4], v[142:143]
	s_andn2_b32 exec_lo, exec_lo, s73
	s_cbranch_execnz .LBB127_855
; %bb.856:
	s_or_b32 exec_lo, exec_lo, s73
.LBB127_857:
	s_or_b32 exec_lo, exec_lo, s6
.LBB127_858:
	s_or_b32 exec_lo, exec_lo, s8
	v_mov_b32_e32 v135, 0
	ds_read_b128 v[135:138], v135 offset:16
	s_waitcnt lgkmcnt(0)
	v_mul_f64 v[140:141], v[3:4], v[137:138]
	v_mul_f64 v[137:138], v[1:2], v[137:138]
	v_fma_f64 v[1:2], v[1:2], v[135:136], -v[140:141]
	v_fma_f64 v[3:4], v[3:4], v[135:136], v[137:138]
	buffer_store_dword v2, off, s[0:3], 0 offset:20
	buffer_store_dword v1, off, s[0:3], 0 offset:16
	;; [unrolled: 1-line block ×4, first 2 shown]
.LBB127_859:
	s_or_b32 exec_lo, exec_lo, s5
	s_clause 0x3
	buffer_load_dword v1, off, s[0:3], 0
	buffer_load_dword v2, off, s[0:3], 0 offset:4
	buffer_load_dword v3, off, s[0:3], 0 offset:8
	;; [unrolled: 1-line block ×3, first 2 shown]
	s_mov_b32 s5, 0
	s_mov_b32 s8, 0
	s_mov_b32 s6, exec_lo
                                        ; implicit-def: $sgpr73
	s_waitcnt vmcnt(0)
	ds_write_b128 v134, v[1:4]
	s_waitcnt lgkmcnt(0)
	s_waitcnt_vscnt null, 0x0
	s_barrier
	buffer_gl0_inv
                                        ; implicit-def: $vgpr1_vgpr2
	v_cmpx_ne_u32_e32 0, v0
	s_cbranch_execz .LBB127_873
; %bb.860:
	ds_read_b128 v[1:4], v134
	s_andn2_b32 vcc_lo, exec_lo, s7
	s_cbranch_vccnz .LBB127_862
; %bb.861:
	s_clause 0x3
	buffer_load_dword v135, v133, s[0:3], 0 offen offset:8
	buffer_load_dword v136, v133, s[0:3], 0 offen offset:12
	buffer_load_dword v137, v133, s[0:3], 0 offen
	buffer_load_dword v138, v133, s[0:3], 0 offen offset:4
	s_waitcnt vmcnt(2) lgkmcnt(0)
	v_mul_f64 v[140:141], v[3:4], v[135:136]
	v_mul_f64 v[135:136], v[1:2], v[135:136]
	s_waitcnt vmcnt(0)
	v_fma_f64 v[1:2], v[1:2], v[137:138], -v[140:141]
	v_fma_f64 v[3:4], v[3:4], v[137:138], v[135:136]
.LBB127_862:
	s_and_saveexec_b32 s8, s4
	s_cbranch_execz .LBB127_872
; %bb.863:
	v_add_nc_u32_e32 v136, -2, v0
	v_add_nc_u32_e32 v135, -1, v0
	v_mov_b32_e32 v137, 1
	s_mov_b32 s4, exec_lo
	v_cmpx_lt_u32_e32 6, v136
	s_cbranch_execz .LBB127_867
; %bb.864:
	v_and_b32_e32 v136, -8, v135
	s_movk_i32 s74, 0x410
	s_mov_b32 s73, 0
	s_mov_b32 s75, s72
	;; [unrolled: 1-line block ×3, first 2 shown]
.LBB127_865:                            ; =>This Inner Loop Header: Depth=1
	v_mov_b32_e32 v140, s75
	v_mov_b32_e32 v186, s74
	s_add_i32 s77, s76, 8
	s_add_i32 s76, s76, 9
	v_cmp_eq_u32_e32 vcc_lo, s77, v136
	s_clause 0x1f
	buffer_load_dword v137, v140, s[0:3], 0 offen offset:8
	buffer_load_dword v138, v140, s[0:3], 0 offen offset:12
	buffer_load_dword v148, v140, s[0:3], 0 offen
	buffer_load_dword v149, v140, s[0:3], 0 offen offset:4
	buffer_load_dword v150, v140, s[0:3], 0 offen offset:24
	buffer_load_dword v151, v140, s[0:3], 0 offen offset:28
	buffer_load_dword v152, v140, s[0:3], 0 offen offset:16
	buffer_load_dword v153, v140, s[0:3], 0 offen offset:20
	buffer_load_dword v154, v140, s[0:3], 0 offen offset:40
	buffer_load_dword v155, v140, s[0:3], 0 offen offset:44
	buffer_load_dword v156, v140, s[0:3], 0 offen offset:32
	buffer_load_dword v157, v140, s[0:3], 0 offen offset:36
	buffer_load_dword v158, v140, s[0:3], 0 offen offset:56
	buffer_load_dword v159, v140, s[0:3], 0 offen offset:60
	buffer_load_dword v160, v140, s[0:3], 0 offen offset:48
	buffer_load_dword v161, v140, s[0:3], 0 offen offset:52
	buffer_load_dword v163, v140, s[0:3], 0 offen offset:76
	buffer_load_dword v164, v140, s[0:3], 0 offen offset:88
	buffer_load_dword v166, v140, s[0:3], 0 offen offset:80
	buffer_load_dword v162, v140, s[0:3], 0 offen offset:72
	buffer_load_dword v167, v140, s[0:3], 0 offen offset:84
	buffer_load_dword v165, v140, s[0:3], 0 offen offset:92
	buffer_load_dword v169, v140, s[0:3], 0 offen offset:68
	buffer_load_dword v168, v140, s[0:3], 0 offen offset:64
	buffer_load_dword v171, v140, s[0:3], 0 offen offset:108
	buffer_load_dword v172, v140, s[0:3], 0 offen offset:120
	buffer_load_dword v174, v140, s[0:3], 0 offen offset:112
	buffer_load_dword v170, v140, s[0:3], 0 offen offset:104
	buffer_load_dword v175, v140, s[0:3], 0 offen offset:116
	buffer_load_dword v173, v140, s[0:3], 0 offen offset:124
	buffer_load_dword v177, v140, s[0:3], 0 offen offset:100
	buffer_load_dword v176, v140, s[0:3], 0 offen offset:96
	ds_read_b128 v[140:143], v186
	ds_read_b128 v[144:147], v186 offset:16
	s_addk_i32 s74, 0x80
	s_addk_i32 s75, 0x80
	s_or_b32 s73, vcc_lo, s73
	s_waitcnt vmcnt(30) lgkmcnt(1)
	v_mul_f64 v[178:179], v[142:143], v[137:138]
	v_mul_f64 v[137:138], v[140:141], v[137:138]
	s_waitcnt vmcnt(26) lgkmcnt(0)
	v_mul_f64 v[180:181], v[146:147], v[150:151]
	v_mul_f64 v[182:183], v[144:145], v[150:151]
	v_fma_f64 v[178:179], v[140:141], v[148:149], -v[178:179]
	v_fma_f64 v[137:138], v[142:143], v[148:149], v[137:138]
	ds_read_b128 v[140:143], v186 offset:32
	ds_read_b128 v[148:151], v186 offset:48
	s_waitcnt vmcnt(24)
	v_fma_f64 v[144:145], v[144:145], v[152:153], -v[180:181]
	v_fma_f64 v[146:147], v[146:147], v[152:153], v[182:183]
	s_waitcnt vmcnt(22) lgkmcnt(1)
	v_mul_f64 v[184:185], v[142:143], v[154:155]
	v_mul_f64 v[154:155], v[140:141], v[154:155]
	v_add_f64 v[1:2], v[1:2], v[178:179]
	v_add_f64 v[3:4], v[3:4], v[137:138]
	s_waitcnt vmcnt(18) lgkmcnt(0)
	v_mul_f64 v[137:138], v[150:151], v[158:159]
	v_mul_f64 v[152:153], v[148:149], v[158:159]
	v_fma_f64 v[158:159], v[140:141], v[156:157], -v[184:185]
	v_fma_f64 v[154:155], v[142:143], v[156:157], v[154:155]
	v_add_f64 v[144:145], v[1:2], v[144:145]
	v_add_f64 v[146:147], v[3:4], v[146:147]
	ds_read_b128 v[1:4], v186 offset:64
	ds_read_b128 v[140:143], v186 offset:80
	s_waitcnt vmcnt(16)
	v_fma_f64 v[137:138], v[148:149], v[160:161], -v[137:138]
	v_fma_f64 v[148:149], v[150:151], v[160:161], v[152:153]
	s_waitcnt vmcnt(12) lgkmcnt(1)
	v_mul_f64 v[156:157], v[3:4], v[162:163]
	v_mul_f64 v[162:163], v[1:2], v[162:163]
	v_add_f64 v[144:145], v[144:145], v[158:159]
	v_add_f64 v[146:147], v[146:147], v[154:155]
	s_waitcnt vmcnt(10) lgkmcnt(0)
	v_mul_f64 v[150:151], v[142:143], v[164:165]
	v_mul_f64 v[152:153], v[140:141], v[164:165]
	s_waitcnt vmcnt(8)
	v_fma_f64 v[154:155], v[1:2], v[168:169], -v[156:157]
	v_fma_f64 v[156:157], v[3:4], v[168:169], v[162:163]
	v_add_f64 v[137:138], v[144:145], v[137:138]
	v_add_f64 v[148:149], v[146:147], v[148:149]
	ds_read_b128 v[1:4], v186 offset:96
	ds_read_b128 v[144:147], v186 offset:112
	v_fma_f64 v[140:141], v[140:141], v[166:167], -v[150:151]
	v_fma_f64 v[142:143], v[142:143], v[166:167], v[152:153]
	s_waitcnt vmcnt(4) lgkmcnt(1)
	v_mul_f64 v[158:159], v[3:4], v[170:171]
	v_mul_f64 v[160:161], v[1:2], v[170:171]
	v_add_f64 v[137:138], v[137:138], v[154:155]
	v_add_f64 v[148:149], v[148:149], v[156:157]
	s_waitcnt vmcnt(2) lgkmcnt(0)
	v_mul_f64 v[150:151], v[146:147], v[172:173]
	v_mul_f64 v[152:153], v[144:145], v[172:173]
	s_waitcnt vmcnt(0)
	v_fma_f64 v[1:2], v[1:2], v[176:177], -v[158:159]
	v_fma_f64 v[3:4], v[3:4], v[176:177], v[160:161]
	v_add_f64 v[137:138], v[137:138], v[140:141]
	v_add_f64 v[140:141], v[148:149], v[142:143]
	v_fma_f64 v[142:143], v[144:145], v[174:175], -v[150:151]
	v_fma_f64 v[144:145], v[146:147], v[174:175], v[152:153]
	v_add_f64 v[1:2], v[137:138], v[1:2]
	v_add_f64 v[3:4], v[140:141], v[3:4]
	v_mov_b32_e32 v137, s76
	s_mov_b32 s76, s77
	v_add_f64 v[1:2], v[1:2], v[142:143]
	v_add_f64 v[3:4], v[3:4], v[144:145]
	s_andn2_b32 exec_lo, exec_lo, s73
	s_cbranch_execnz .LBB127_865
; %bb.866:
	s_or_b32 exec_lo, exec_lo, s73
.LBB127_867:
	s_or_b32 exec_lo, exec_lo, s4
	v_and_b32_e32 v135, 7, v135
	s_mov_b32 s73, 0
	s_mov_b32 s4, exec_lo
	v_cmpx_ne_u32_e32 0, v135
	s_cbranch_execz .LBB127_871
; %bb.868:
	v_lshlrev_b32_e32 v137, 4, v137
	v_add_nc_u32_e32 v136, 0x400, v137
	.p2align	6
.LBB127_869:                            ; =>This Inner Loop Header: Depth=1
	s_clause 0x3
	buffer_load_dword v144, v137, s[0:3], 0 offen offset:8
	buffer_load_dword v145, v137, s[0:3], 0 offen offset:12
	buffer_load_dword v146, v137, s[0:3], 0 offen
	buffer_load_dword v147, v137, s[0:3], 0 offen offset:4
	ds_read_b128 v[140:143], v136
	v_add_nc_u32_e32 v135, -1, v135
	v_add_nc_u32_e32 v136, 16, v136
	v_add_nc_u32_e32 v137, 16, v137
	v_cmp_eq_u32_e32 vcc_lo, 0, v135
	s_or_b32 s73, vcc_lo, s73
	s_waitcnt vmcnt(2) lgkmcnt(0)
	v_mul_f64 v[148:149], v[142:143], v[144:145]
	v_mul_f64 v[144:145], v[140:141], v[144:145]
	s_waitcnt vmcnt(0)
	v_fma_f64 v[140:141], v[140:141], v[146:147], -v[148:149]
	v_fma_f64 v[142:143], v[142:143], v[146:147], v[144:145]
	v_add_f64 v[1:2], v[1:2], v[140:141]
	v_add_f64 v[3:4], v[3:4], v[142:143]
	s_andn2_b32 exec_lo, exec_lo, s73
	s_cbranch_execnz .LBB127_869
; %bb.870:
	s_or_b32 exec_lo, exec_lo, s73
.LBB127_871:
	s_or_b32 exec_lo, exec_lo, s4
.LBB127_872:
	s_or_b32 exec_lo, exec_lo, s8
	v_mov_b32_e32 v135, 0
	s_mov_b32 s8, exec_lo
	s_or_b32 s73, 0, 8
	ds_read_b128 v[135:138], v135
	s_waitcnt lgkmcnt(0)
	v_mul_f64 v[140:141], v[3:4], v[137:138]
	v_mul_f64 v[137:138], v[1:2], v[137:138]
	v_fma_f64 v[140:141], v[1:2], v[135:136], -v[140:141]
	v_fma_f64 v[1:2], v[3:4], v[135:136], v[137:138]
	buffer_store_dword v141, off, s[0:3], 0 offset:4
	buffer_store_dword v140, off, s[0:3], 0
.LBB127_873:
	s_or_b32 exec_lo, exec_lo, s6
	s_and_b32 vcc_lo, exec_lo, s5
	s_cbranch_vccnz .LBB127_875
	s_branch .LBB127_1386
.LBB127_874:
	s_mov_b32 s8, 0
                                        ; implicit-def: $vgpr1_vgpr2
                                        ; implicit-def: $sgpr73
	s_cbranch_execz .LBB127_1386
.LBB127_875:
	v_mov_b32_e32 v4, s72
	v_cmp_eq_u32_e64 s4, 0, v0
	v_cndmask_b32_e64 v135, 0, 1, s7
	s_clause 0x3
	buffer_load_dword v1, v4, s[0:3], 0 offen
	buffer_load_dword v2, v4, s[0:3], 0 offen offset:4
	buffer_load_dword v3, v4, s[0:3], 0 offen offset:8
	;; [unrolled: 1-line block ×3, first 2 shown]
	s_waitcnt vmcnt(0)
	ds_write_b128 v134, v[1:4]
	s_waitcnt lgkmcnt(0)
	s_waitcnt_vscnt null, 0x0
	s_barrier
	buffer_gl0_inv
	s_and_saveexec_b32 s5, s4
	s_cbranch_execz .LBB127_879
; %bb.876:
	ds_read_b128 v[1:4], v134
	s_andn2_b32 vcc_lo, exec_lo, s7
	s_cbranch_vccnz .LBB127_878
; %bb.877:
	s_clause 0x3
	buffer_load_dword v136, v133, s[0:3], 0 offen offset:8
	buffer_load_dword v137, v133, s[0:3], 0 offen offset:12
	buffer_load_dword v140, v133, s[0:3], 0 offen
	buffer_load_dword v141, v133, s[0:3], 0 offen offset:4
	s_waitcnt vmcnt(2) lgkmcnt(0)
	v_mul_f64 v[142:143], v[3:4], v[136:137]
	v_mul_f64 v[136:137], v[1:2], v[136:137]
	s_waitcnt vmcnt(0)
	v_fma_f64 v[1:2], v[1:2], v[140:141], -v[142:143]
	v_fma_f64 v[3:4], v[3:4], v[140:141], v[136:137]
.LBB127_878:
	v_mov_b32_e32 v136, 0
	ds_read_b128 v[140:143], v136 offset:16
	s_waitcnt lgkmcnt(0)
	v_mul_f64 v[136:137], v[3:4], v[142:143]
	v_mul_f64 v[142:143], v[1:2], v[142:143]
	v_fma_f64 v[1:2], v[1:2], v[140:141], -v[136:137]
	v_fma_f64 v[3:4], v[3:4], v[140:141], v[142:143]
	buffer_store_dword v2, off, s[0:3], 0 offset:20
	buffer_store_dword v1, off, s[0:3], 0 offset:16
	;; [unrolled: 1-line block ×4, first 2 shown]
.LBB127_879:
	s_or_b32 exec_lo, exec_lo, s5
	v_mov_b32_e32 v4, s71
	s_mov_b32 s5, exec_lo
	s_clause 0x3
	buffer_load_dword v1, v4, s[0:3], 0 offen
	buffer_load_dword v2, v4, s[0:3], 0 offen offset:4
	buffer_load_dword v3, v4, s[0:3], 0 offen offset:8
	;; [unrolled: 1-line block ×3, first 2 shown]
	s_waitcnt vmcnt(0)
	ds_write_b128 v134, v[1:4]
	s_waitcnt lgkmcnt(0)
	s_waitcnt_vscnt null, 0x0
	s_barrier
	buffer_gl0_inv
	v_cmpx_gt_u32_e32 2, v0
	s_cbranch_execz .LBB127_885
; %bb.880:
	ds_read_b128 v[1:4], v134
	v_cmp_ne_u32_e32 vcc_lo, 1, v135
	s_cbranch_vccnz .LBB127_882
; %bb.881:
	s_clause 0x3
	buffer_load_dword v136, v133, s[0:3], 0 offen offset:8
	buffer_load_dword v137, v133, s[0:3], 0 offen offset:12
	buffer_load_dword v140, v133, s[0:3], 0 offen
	buffer_load_dword v141, v133, s[0:3], 0 offen offset:4
	s_waitcnt vmcnt(2) lgkmcnt(0)
	v_mul_f64 v[142:143], v[3:4], v[136:137]
	v_mul_f64 v[136:137], v[1:2], v[136:137]
	s_waitcnt vmcnt(0)
	v_fma_f64 v[1:2], v[1:2], v[140:141], -v[142:143]
	v_fma_f64 v[3:4], v[3:4], v[140:141], v[136:137]
.LBB127_882:
	s_and_saveexec_b32 s6, s4
	s_cbranch_execz .LBB127_884
; %bb.883:
	s_clause 0x3
	buffer_load_dword v136, off, s[0:3], 0 offset:24
	buffer_load_dword v137, off, s[0:3], 0 offset:28
	;; [unrolled: 1-line block ×4, first 2 shown]
	v_mov_b32_e32 v138, 0
	ds_read_b128 v[140:143], v138 offset:1040
	s_waitcnt vmcnt(2) lgkmcnt(0)
	v_mul_f64 v[146:147], v[142:143], v[136:137]
	v_mul_f64 v[136:137], v[140:141], v[136:137]
	s_waitcnt vmcnt(0)
	v_fma_f64 v[140:141], v[140:141], v[144:145], -v[146:147]
	v_fma_f64 v[136:137], v[142:143], v[144:145], v[136:137]
	v_add_f64 v[1:2], v[1:2], v[140:141]
	v_add_f64 v[3:4], v[3:4], v[136:137]
.LBB127_884:
	s_or_b32 exec_lo, exec_lo, s6
	v_mov_b32_e32 v136, 0
	ds_read_b128 v[140:143], v136 offset:32
	s_waitcnt lgkmcnt(0)
	v_mul_f64 v[136:137], v[3:4], v[142:143]
	v_mul_f64 v[142:143], v[1:2], v[142:143]
	v_fma_f64 v[1:2], v[1:2], v[140:141], -v[136:137]
	v_fma_f64 v[3:4], v[3:4], v[140:141], v[142:143]
	buffer_store_dword v2, off, s[0:3], 0 offset:36
	buffer_store_dword v1, off, s[0:3], 0 offset:32
	;; [unrolled: 1-line block ×4, first 2 shown]
.LBB127_885:
	s_or_b32 exec_lo, exec_lo, s5
	v_mov_b32_e32 v4, s70
	v_cmp_gt_u32_e64 s5, 3, v0
	s_clause 0x3
	buffer_load_dword v1, v4, s[0:3], 0 offen
	buffer_load_dword v2, v4, s[0:3], 0 offen offset:4
	buffer_load_dword v3, v4, s[0:3], 0 offen offset:8
	;; [unrolled: 1-line block ×3, first 2 shown]
	s_waitcnt vmcnt(0)
	ds_write_b128 v134, v[1:4]
	s_waitcnt lgkmcnt(0)
	s_waitcnt_vscnt null, 0x0
	s_barrier
	buffer_gl0_inv
	s_and_saveexec_b32 s6, s5
	s_cbranch_execz .LBB127_893
; %bb.886:
	ds_read_b128 v[1:4], v134
	v_cmp_ne_u32_e32 vcc_lo, 1, v135
	s_cbranch_vccnz .LBB127_888
; %bb.887:
	s_clause 0x3
	buffer_load_dword v136, v133, s[0:3], 0 offen offset:8
	buffer_load_dword v137, v133, s[0:3], 0 offen offset:12
	buffer_load_dword v140, v133, s[0:3], 0 offen
	buffer_load_dword v141, v133, s[0:3], 0 offen offset:4
	s_waitcnt vmcnt(2) lgkmcnt(0)
	v_mul_f64 v[142:143], v[3:4], v[136:137]
	v_mul_f64 v[136:137], v[1:2], v[136:137]
	s_waitcnt vmcnt(0)
	v_fma_f64 v[1:2], v[1:2], v[140:141], -v[142:143]
	v_fma_f64 v[3:4], v[3:4], v[140:141], v[136:137]
.LBB127_888:
	s_mov_b32 s7, exec_lo
	v_cmpx_ne_u32_e32 2, v0
	s_cbranch_execz .LBB127_892
; %bb.889:
	s_clause 0x3
	buffer_load_dword v136, v133, s[0:3], 0 offen offset:24
	buffer_load_dword v137, v133, s[0:3], 0 offen offset:28
	;; [unrolled: 1-line block ×4, first 2 shown]
	ds_read_b128 v[140:143], v134 offset:16
	s_waitcnt vmcnt(2) lgkmcnt(0)
	v_mul_f64 v[146:147], v[142:143], v[136:137]
	v_mul_f64 v[136:137], v[140:141], v[136:137]
	s_waitcnt vmcnt(0)
	v_fma_f64 v[140:141], v[140:141], v[144:145], -v[146:147]
	v_fma_f64 v[136:137], v[142:143], v[144:145], v[136:137]
	v_add_f64 v[1:2], v[1:2], v[140:141]
	v_add_f64 v[3:4], v[3:4], v[136:137]
	s_and_saveexec_b32 s73, s4
	s_cbranch_execz .LBB127_891
; %bb.890:
	s_clause 0x3
	buffer_load_dword v136, off, s[0:3], 0 offset:40
	buffer_load_dword v137, off, s[0:3], 0 offset:44
	;; [unrolled: 1-line block ×4, first 2 shown]
	v_mov_b32_e32 v138, 0
	ds_read_b128 v[140:143], v138 offset:1056
	s_waitcnt vmcnt(2) lgkmcnt(0)
	v_mul_f64 v[146:147], v[140:141], v[136:137]
	v_mul_f64 v[136:137], v[142:143], v[136:137]
	s_waitcnt vmcnt(0)
	v_fma_f64 v[142:143], v[142:143], v[144:145], v[146:147]
	v_fma_f64 v[136:137], v[140:141], v[144:145], -v[136:137]
	v_add_f64 v[3:4], v[3:4], v[142:143]
	v_add_f64 v[1:2], v[1:2], v[136:137]
.LBB127_891:
	s_or_b32 exec_lo, exec_lo, s73
.LBB127_892:
	s_or_b32 exec_lo, exec_lo, s7
	v_mov_b32_e32 v136, 0
	ds_read_b128 v[140:143], v136 offset:48
	s_waitcnt lgkmcnt(0)
	v_mul_f64 v[136:137], v[3:4], v[142:143]
	v_mul_f64 v[142:143], v[1:2], v[142:143]
	v_fma_f64 v[1:2], v[1:2], v[140:141], -v[136:137]
	v_fma_f64 v[3:4], v[3:4], v[140:141], v[142:143]
	buffer_store_dword v2, off, s[0:3], 0 offset:52
	buffer_store_dword v1, off, s[0:3], 0 offset:48
	;; [unrolled: 1-line block ×4, first 2 shown]
.LBB127_893:
	s_or_b32 exec_lo, exec_lo, s6
	v_mov_b32_e32 v4, s69
	s_mov_b32 s6, exec_lo
	s_clause 0x3
	buffer_load_dword v1, v4, s[0:3], 0 offen
	buffer_load_dword v2, v4, s[0:3], 0 offen offset:4
	buffer_load_dword v3, v4, s[0:3], 0 offen offset:8
	;; [unrolled: 1-line block ×3, first 2 shown]
	s_waitcnt vmcnt(0)
	ds_write_b128 v134, v[1:4]
	s_waitcnt lgkmcnt(0)
	s_waitcnt_vscnt null, 0x0
	s_barrier
	buffer_gl0_inv
	v_cmpx_gt_u32_e32 4, v0
	s_cbranch_execz .LBB127_901
; %bb.894:
	ds_read_b128 v[1:4], v134
	v_cmp_ne_u32_e32 vcc_lo, 1, v135
	s_cbranch_vccnz .LBB127_896
; %bb.895:
	s_clause 0x3
	buffer_load_dword v136, v133, s[0:3], 0 offen offset:8
	buffer_load_dword v137, v133, s[0:3], 0 offen offset:12
	buffer_load_dword v140, v133, s[0:3], 0 offen
	buffer_load_dword v141, v133, s[0:3], 0 offen offset:4
	s_waitcnt vmcnt(2) lgkmcnt(0)
	v_mul_f64 v[142:143], v[3:4], v[136:137]
	v_mul_f64 v[136:137], v[1:2], v[136:137]
	s_waitcnt vmcnt(0)
	v_fma_f64 v[1:2], v[1:2], v[140:141], -v[142:143]
	v_fma_f64 v[3:4], v[3:4], v[140:141], v[136:137]
.LBB127_896:
	s_mov_b32 s7, exec_lo
	v_cmpx_ne_u32_e32 3, v0
	s_cbranch_execz .LBB127_900
; %bb.897:
	v_add_nc_u32_e32 v136, 0x410, v139
	v_add3_u32 v137, 0, v139, 16
	v_mov_b32_e32 v138, v0
	s_mov_b32 s73, 0
	.p2align	6
.LBB127_898:                            ; =>This Inner Loop Header: Depth=1
	s_clause 0x3
	buffer_load_dword v144, v137, s[0:3], 0 offen offset:8
	buffer_load_dword v145, v137, s[0:3], 0 offen offset:12
	buffer_load_dword v146, v137, s[0:3], 0 offen
	buffer_load_dword v147, v137, s[0:3], 0 offen offset:4
	ds_read_b128 v[140:143], v136
	v_add_nc_u32_e32 v138, 1, v138
	v_add_nc_u32_e32 v136, 16, v136
	v_add_nc_u32_e32 v137, 16, v137
	v_cmp_lt_u32_e32 vcc_lo, 2, v138
	s_or_b32 s73, vcc_lo, s73
	s_waitcnt vmcnt(2) lgkmcnt(0)
	v_mul_f64 v[148:149], v[142:143], v[144:145]
	v_mul_f64 v[144:145], v[140:141], v[144:145]
	s_waitcnt vmcnt(0)
	v_fma_f64 v[140:141], v[140:141], v[146:147], -v[148:149]
	v_fma_f64 v[142:143], v[142:143], v[146:147], v[144:145]
	v_add_f64 v[1:2], v[1:2], v[140:141]
	v_add_f64 v[3:4], v[3:4], v[142:143]
	s_andn2_b32 exec_lo, exec_lo, s73
	s_cbranch_execnz .LBB127_898
; %bb.899:
	s_or_b32 exec_lo, exec_lo, s73
.LBB127_900:
	s_or_b32 exec_lo, exec_lo, s7
	v_mov_b32_e32 v136, 0
	ds_read_b128 v[140:143], v136 offset:64
	s_waitcnt lgkmcnt(0)
	v_mul_f64 v[136:137], v[3:4], v[142:143]
	v_mul_f64 v[142:143], v[1:2], v[142:143]
	v_fma_f64 v[1:2], v[1:2], v[140:141], -v[136:137]
	v_fma_f64 v[3:4], v[3:4], v[140:141], v[142:143]
	buffer_store_dword v2, off, s[0:3], 0 offset:68
	buffer_store_dword v1, off, s[0:3], 0 offset:64
	buffer_store_dword v4, off, s[0:3], 0 offset:76
	buffer_store_dword v3, off, s[0:3], 0 offset:72
.LBB127_901:
	s_or_b32 exec_lo, exec_lo, s6
	v_mov_b32_e32 v4, s68
	v_cmp_gt_u32_e64 s6, 5, v0
	s_clause 0x3
	buffer_load_dword v1, v4, s[0:3], 0 offen
	buffer_load_dword v2, v4, s[0:3], 0 offen offset:4
	buffer_load_dword v3, v4, s[0:3], 0 offen offset:8
	;; [unrolled: 1-line block ×3, first 2 shown]
	s_waitcnt vmcnt(0)
	ds_write_b128 v134, v[1:4]
	s_waitcnt lgkmcnt(0)
	s_waitcnt_vscnt null, 0x0
	s_barrier
	buffer_gl0_inv
	s_and_saveexec_b32 s7, s6
	s_cbranch_execz .LBB127_909
; %bb.902:
	ds_read_b128 v[1:4], v134
	v_cmp_ne_u32_e32 vcc_lo, 1, v135
	s_cbranch_vccnz .LBB127_904
; %bb.903:
	s_clause 0x3
	buffer_load_dword v136, v133, s[0:3], 0 offen offset:8
	buffer_load_dword v137, v133, s[0:3], 0 offen offset:12
	buffer_load_dword v140, v133, s[0:3], 0 offen
	buffer_load_dword v141, v133, s[0:3], 0 offen offset:4
	s_waitcnt vmcnt(2) lgkmcnt(0)
	v_mul_f64 v[142:143], v[3:4], v[136:137]
	v_mul_f64 v[136:137], v[1:2], v[136:137]
	s_waitcnt vmcnt(0)
	v_fma_f64 v[1:2], v[1:2], v[140:141], -v[142:143]
	v_fma_f64 v[3:4], v[3:4], v[140:141], v[136:137]
.LBB127_904:
	s_mov_b32 s73, exec_lo
	v_cmpx_ne_u32_e32 4, v0
	s_cbranch_execz .LBB127_908
; %bb.905:
	v_add_nc_u32_e32 v136, 0x410, v139
	v_add3_u32 v137, 0, v139, 16
	v_mov_b32_e32 v138, v0
	s_mov_b32 s74, 0
	.p2align	6
.LBB127_906:                            ; =>This Inner Loop Header: Depth=1
	s_clause 0x3
	buffer_load_dword v144, v137, s[0:3], 0 offen offset:8
	buffer_load_dword v145, v137, s[0:3], 0 offen offset:12
	buffer_load_dword v146, v137, s[0:3], 0 offen
	buffer_load_dword v147, v137, s[0:3], 0 offen offset:4
	ds_read_b128 v[140:143], v136
	v_add_nc_u32_e32 v138, 1, v138
	v_add_nc_u32_e32 v136, 16, v136
	;; [unrolled: 1-line block ×3, first 2 shown]
	v_cmp_lt_u32_e32 vcc_lo, 3, v138
	s_or_b32 s74, vcc_lo, s74
	s_waitcnt vmcnt(2) lgkmcnt(0)
	v_mul_f64 v[148:149], v[142:143], v[144:145]
	v_mul_f64 v[144:145], v[140:141], v[144:145]
	s_waitcnt vmcnt(0)
	v_fma_f64 v[140:141], v[140:141], v[146:147], -v[148:149]
	v_fma_f64 v[142:143], v[142:143], v[146:147], v[144:145]
	v_add_f64 v[1:2], v[1:2], v[140:141]
	v_add_f64 v[3:4], v[3:4], v[142:143]
	s_andn2_b32 exec_lo, exec_lo, s74
	s_cbranch_execnz .LBB127_906
; %bb.907:
	s_or_b32 exec_lo, exec_lo, s74
.LBB127_908:
	s_or_b32 exec_lo, exec_lo, s73
	v_mov_b32_e32 v136, 0
	ds_read_b128 v[140:143], v136 offset:80
	s_waitcnt lgkmcnt(0)
	v_mul_f64 v[136:137], v[3:4], v[142:143]
	v_mul_f64 v[142:143], v[1:2], v[142:143]
	v_fma_f64 v[1:2], v[1:2], v[140:141], -v[136:137]
	v_fma_f64 v[3:4], v[3:4], v[140:141], v[142:143]
	buffer_store_dword v2, off, s[0:3], 0 offset:84
	buffer_store_dword v1, off, s[0:3], 0 offset:80
	;; [unrolled: 1-line block ×4, first 2 shown]
.LBB127_909:
	s_or_b32 exec_lo, exec_lo, s7
	v_mov_b32_e32 v4, s67
	s_mov_b32 s7, exec_lo
	s_clause 0x3
	buffer_load_dword v1, v4, s[0:3], 0 offen
	buffer_load_dword v2, v4, s[0:3], 0 offen offset:4
	buffer_load_dword v3, v4, s[0:3], 0 offen offset:8
	;; [unrolled: 1-line block ×3, first 2 shown]
	s_waitcnt vmcnt(0)
	ds_write_b128 v134, v[1:4]
	s_waitcnt lgkmcnt(0)
	s_waitcnt_vscnt null, 0x0
	s_barrier
	buffer_gl0_inv
	v_cmpx_gt_u32_e32 6, v0
	s_cbranch_execz .LBB127_917
; %bb.910:
	ds_read_b128 v[1:4], v134
	v_cmp_ne_u32_e32 vcc_lo, 1, v135
	s_cbranch_vccnz .LBB127_912
; %bb.911:
	s_clause 0x3
	buffer_load_dword v136, v133, s[0:3], 0 offen offset:8
	buffer_load_dword v137, v133, s[0:3], 0 offen offset:12
	buffer_load_dword v140, v133, s[0:3], 0 offen
	buffer_load_dword v141, v133, s[0:3], 0 offen offset:4
	s_waitcnt vmcnt(2) lgkmcnt(0)
	v_mul_f64 v[142:143], v[3:4], v[136:137]
	v_mul_f64 v[136:137], v[1:2], v[136:137]
	s_waitcnt vmcnt(0)
	v_fma_f64 v[1:2], v[1:2], v[140:141], -v[142:143]
	v_fma_f64 v[3:4], v[3:4], v[140:141], v[136:137]
.LBB127_912:
	s_mov_b32 s73, exec_lo
	v_cmpx_ne_u32_e32 5, v0
	s_cbranch_execz .LBB127_916
; %bb.913:
	v_add_nc_u32_e32 v136, 0x410, v139
	v_add3_u32 v137, 0, v139, 16
	v_mov_b32_e32 v138, v0
	s_mov_b32 s74, 0
	.p2align	6
.LBB127_914:                            ; =>This Inner Loop Header: Depth=1
	s_clause 0x3
	buffer_load_dword v144, v137, s[0:3], 0 offen offset:8
	buffer_load_dword v145, v137, s[0:3], 0 offen offset:12
	buffer_load_dword v146, v137, s[0:3], 0 offen
	buffer_load_dword v147, v137, s[0:3], 0 offen offset:4
	ds_read_b128 v[140:143], v136
	v_add_nc_u32_e32 v138, 1, v138
	v_add_nc_u32_e32 v136, 16, v136
	;; [unrolled: 1-line block ×3, first 2 shown]
	v_cmp_lt_u32_e32 vcc_lo, 4, v138
	s_or_b32 s74, vcc_lo, s74
	s_waitcnt vmcnt(2) lgkmcnt(0)
	v_mul_f64 v[148:149], v[142:143], v[144:145]
	v_mul_f64 v[144:145], v[140:141], v[144:145]
	s_waitcnt vmcnt(0)
	v_fma_f64 v[140:141], v[140:141], v[146:147], -v[148:149]
	v_fma_f64 v[142:143], v[142:143], v[146:147], v[144:145]
	v_add_f64 v[1:2], v[1:2], v[140:141]
	v_add_f64 v[3:4], v[3:4], v[142:143]
	s_andn2_b32 exec_lo, exec_lo, s74
	s_cbranch_execnz .LBB127_914
; %bb.915:
	s_or_b32 exec_lo, exec_lo, s74
.LBB127_916:
	s_or_b32 exec_lo, exec_lo, s73
	v_mov_b32_e32 v136, 0
	ds_read_b128 v[140:143], v136 offset:96
	s_waitcnt lgkmcnt(0)
	v_mul_f64 v[136:137], v[3:4], v[142:143]
	v_mul_f64 v[142:143], v[1:2], v[142:143]
	v_fma_f64 v[1:2], v[1:2], v[140:141], -v[136:137]
	v_fma_f64 v[3:4], v[3:4], v[140:141], v[142:143]
	buffer_store_dword v2, off, s[0:3], 0 offset:100
	buffer_store_dword v1, off, s[0:3], 0 offset:96
	;; [unrolled: 1-line block ×4, first 2 shown]
.LBB127_917:
	s_or_b32 exec_lo, exec_lo, s7
	v_mov_b32_e32 v4, s66
	v_cmp_gt_u32_e64 s7, 7, v0
	s_clause 0x3
	buffer_load_dword v1, v4, s[0:3], 0 offen
	buffer_load_dword v2, v4, s[0:3], 0 offen offset:4
	buffer_load_dword v3, v4, s[0:3], 0 offen offset:8
	;; [unrolled: 1-line block ×3, first 2 shown]
	s_waitcnt vmcnt(0)
	ds_write_b128 v134, v[1:4]
	s_waitcnt lgkmcnt(0)
	s_waitcnt_vscnt null, 0x0
	s_barrier
	buffer_gl0_inv
	s_and_saveexec_b32 s73, s7
	s_cbranch_execz .LBB127_925
; %bb.918:
	ds_read_b128 v[1:4], v134
	v_cmp_ne_u32_e32 vcc_lo, 1, v135
	s_cbranch_vccnz .LBB127_920
; %bb.919:
	s_clause 0x3
	buffer_load_dword v136, v133, s[0:3], 0 offen offset:8
	buffer_load_dword v137, v133, s[0:3], 0 offen offset:12
	buffer_load_dword v140, v133, s[0:3], 0 offen
	buffer_load_dword v141, v133, s[0:3], 0 offen offset:4
	s_waitcnt vmcnt(2) lgkmcnt(0)
	v_mul_f64 v[142:143], v[3:4], v[136:137]
	v_mul_f64 v[136:137], v[1:2], v[136:137]
	s_waitcnt vmcnt(0)
	v_fma_f64 v[1:2], v[1:2], v[140:141], -v[142:143]
	v_fma_f64 v[3:4], v[3:4], v[140:141], v[136:137]
.LBB127_920:
	s_mov_b32 s74, exec_lo
	v_cmpx_ne_u32_e32 6, v0
	s_cbranch_execz .LBB127_924
; %bb.921:
	v_add_nc_u32_e32 v136, 0x410, v139
	v_add3_u32 v137, 0, v139, 16
	v_mov_b32_e32 v138, v0
	s_mov_b32 s75, 0
	.p2align	6
.LBB127_922:                            ; =>This Inner Loop Header: Depth=1
	s_clause 0x3
	buffer_load_dword v144, v137, s[0:3], 0 offen offset:8
	buffer_load_dword v145, v137, s[0:3], 0 offen offset:12
	buffer_load_dword v146, v137, s[0:3], 0 offen
	buffer_load_dword v147, v137, s[0:3], 0 offen offset:4
	ds_read_b128 v[140:143], v136
	v_add_nc_u32_e32 v138, 1, v138
	v_add_nc_u32_e32 v136, 16, v136
	;; [unrolled: 1-line block ×3, first 2 shown]
	v_cmp_lt_u32_e32 vcc_lo, 5, v138
	s_or_b32 s75, vcc_lo, s75
	s_waitcnt vmcnt(2) lgkmcnt(0)
	v_mul_f64 v[148:149], v[142:143], v[144:145]
	v_mul_f64 v[144:145], v[140:141], v[144:145]
	s_waitcnt vmcnt(0)
	v_fma_f64 v[140:141], v[140:141], v[146:147], -v[148:149]
	v_fma_f64 v[142:143], v[142:143], v[146:147], v[144:145]
	v_add_f64 v[1:2], v[1:2], v[140:141]
	v_add_f64 v[3:4], v[3:4], v[142:143]
	s_andn2_b32 exec_lo, exec_lo, s75
	s_cbranch_execnz .LBB127_922
; %bb.923:
	s_or_b32 exec_lo, exec_lo, s75
.LBB127_924:
	s_or_b32 exec_lo, exec_lo, s74
	v_mov_b32_e32 v136, 0
	ds_read_b128 v[140:143], v136 offset:112
	s_waitcnt lgkmcnt(0)
	v_mul_f64 v[136:137], v[3:4], v[142:143]
	v_mul_f64 v[142:143], v[1:2], v[142:143]
	v_fma_f64 v[1:2], v[1:2], v[140:141], -v[136:137]
	v_fma_f64 v[3:4], v[3:4], v[140:141], v[142:143]
	buffer_store_dword v2, off, s[0:3], 0 offset:116
	buffer_store_dword v1, off, s[0:3], 0 offset:112
	;; [unrolled: 1-line block ×4, first 2 shown]
.LBB127_925:
	s_or_b32 exec_lo, exec_lo, s73
	v_mov_b32_e32 v4, s65
	s_mov_b32 s73, exec_lo
	s_clause 0x3
	buffer_load_dword v1, v4, s[0:3], 0 offen
	buffer_load_dword v2, v4, s[0:3], 0 offen offset:4
	buffer_load_dword v3, v4, s[0:3], 0 offen offset:8
	;; [unrolled: 1-line block ×3, first 2 shown]
	s_waitcnt vmcnt(0)
	ds_write_b128 v134, v[1:4]
	s_waitcnt lgkmcnt(0)
	s_waitcnt_vscnt null, 0x0
	s_barrier
	buffer_gl0_inv
	v_cmpx_gt_u32_e32 8, v0
	s_cbranch_execz .LBB127_933
; %bb.926:
	ds_read_b128 v[1:4], v134
	v_cmp_ne_u32_e32 vcc_lo, 1, v135
	s_cbranch_vccnz .LBB127_928
; %bb.927:
	s_clause 0x3
	buffer_load_dword v136, v133, s[0:3], 0 offen offset:8
	buffer_load_dword v137, v133, s[0:3], 0 offen offset:12
	buffer_load_dword v140, v133, s[0:3], 0 offen
	buffer_load_dword v141, v133, s[0:3], 0 offen offset:4
	s_waitcnt vmcnt(2) lgkmcnt(0)
	v_mul_f64 v[142:143], v[3:4], v[136:137]
	v_mul_f64 v[136:137], v[1:2], v[136:137]
	s_waitcnt vmcnt(0)
	v_fma_f64 v[1:2], v[1:2], v[140:141], -v[142:143]
	v_fma_f64 v[3:4], v[3:4], v[140:141], v[136:137]
.LBB127_928:
	s_mov_b32 s74, exec_lo
	v_cmpx_ne_u32_e32 7, v0
	s_cbranch_execz .LBB127_932
; %bb.929:
	v_add_nc_u32_e32 v136, 0x410, v139
	v_add3_u32 v137, 0, v139, 16
	v_mov_b32_e32 v138, v0
	s_mov_b32 s75, 0
	.p2align	6
.LBB127_930:                            ; =>This Inner Loop Header: Depth=1
	s_clause 0x3
	buffer_load_dword v144, v137, s[0:3], 0 offen offset:8
	buffer_load_dword v145, v137, s[0:3], 0 offen offset:12
	buffer_load_dword v146, v137, s[0:3], 0 offen
	buffer_load_dword v147, v137, s[0:3], 0 offen offset:4
	ds_read_b128 v[140:143], v136
	v_add_nc_u32_e32 v138, 1, v138
	v_add_nc_u32_e32 v136, 16, v136
	;; [unrolled: 1-line block ×3, first 2 shown]
	v_cmp_lt_u32_e32 vcc_lo, 6, v138
	s_or_b32 s75, vcc_lo, s75
	s_waitcnt vmcnt(2) lgkmcnt(0)
	v_mul_f64 v[148:149], v[142:143], v[144:145]
	v_mul_f64 v[144:145], v[140:141], v[144:145]
	s_waitcnt vmcnt(0)
	v_fma_f64 v[140:141], v[140:141], v[146:147], -v[148:149]
	v_fma_f64 v[142:143], v[142:143], v[146:147], v[144:145]
	v_add_f64 v[1:2], v[1:2], v[140:141]
	v_add_f64 v[3:4], v[3:4], v[142:143]
	s_andn2_b32 exec_lo, exec_lo, s75
	s_cbranch_execnz .LBB127_930
; %bb.931:
	s_or_b32 exec_lo, exec_lo, s75
.LBB127_932:
	s_or_b32 exec_lo, exec_lo, s74
	v_mov_b32_e32 v136, 0
	ds_read_b128 v[140:143], v136 offset:128
	s_waitcnt lgkmcnt(0)
	v_mul_f64 v[136:137], v[3:4], v[142:143]
	v_mul_f64 v[142:143], v[1:2], v[142:143]
	v_fma_f64 v[1:2], v[1:2], v[140:141], -v[136:137]
	v_fma_f64 v[3:4], v[3:4], v[140:141], v[142:143]
	buffer_store_dword v2, off, s[0:3], 0 offset:132
	buffer_store_dword v1, off, s[0:3], 0 offset:128
	buffer_store_dword v4, off, s[0:3], 0 offset:140
	buffer_store_dword v3, off, s[0:3], 0 offset:136
.LBB127_933:
	s_or_b32 exec_lo, exec_lo, s73
	v_mov_b32_e32 v4, s64
	s_mov_b32 s73, exec_lo
	s_clause 0x3
	buffer_load_dword v1, v4, s[0:3], 0 offen
	buffer_load_dword v2, v4, s[0:3], 0 offen offset:4
	buffer_load_dword v3, v4, s[0:3], 0 offen offset:8
	;; [unrolled: 1-line block ×3, first 2 shown]
	s_waitcnt vmcnt(0)
	ds_write_b128 v134, v[1:4]
	s_waitcnt lgkmcnt(0)
	s_waitcnt_vscnt null, 0x0
	s_barrier
	buffer_gl0_inv
	v_cmpx_gt_u32_e32 9, v0
	s_cbranch_execz .LBB127_953
; %bb.934:
	ds_read_b128 v[1:4], v134
	v_cmp_ne_u32_e32 vcc_lo, 1, v135
	s_cbranch_vccnz .LBB127_936
; %bb.935:
	s_clause 0x3
	buffer_load_dword v136, v133, s[0:3], 0 offen offset:8
	buffer_load_dword v137, v133, s[0:3], 0 offen offset:12
	buffer_load_dword v140, v133, s[0:3], 0 offen
	buffer_load_dword v141, v133, s[0:3], 0 offen offset:4
	s_waitcnt vmcnt(2) lgkmcnt(0)
	v_mul_f64 v[142:143], v[3:4], v[136:137]
	v_mul_f64 v[136:137], v[1:2], v[136:137]
	s_waitcnt vmcnt(0)
	v_fma_f64 v[1:2], v[1:2], v[140:141], -v[142:143]
	v_fma_f64 v[3:4], v[3:4], v[140:141], v[136:137]
.LBB127_936:
	s_mov_b32 s74, exec_lo
	v_cmpx_ne_u32_e32 8, v0
	s_cbranch_execz .LBB127_952
; %bb.937:
	s_clause 0x3
	buffer_load_dword v136, v133, s[0:3], 0 offen offset:24
	buffer_load_dword v137, v133, s[0:3], 0 offen offset:28
	buffer_load_dword v144, v133, s[0:3], 0 offen offset:16
	buffer_load_dword v145, v133, s[0:3], 0 offen offset:20
	ds_read_b128 v[140:143], v134 offset:16
	s_waitcnt vmcnt(2) lgkmcnt(0)
	v_mul_f64 v[146:147], v[142:143], v[136:137]
	v_mul_f64 v[136:137], v[140:141], v[136:137]
	s_waitcnt vmcnt(0)
	v_fma_f64 v[140:141], v[140:141], v[144:145], -v[146:147]
	v_fma_f64 v[136:137], v[142:143], v[144:145], v[136:137]
	v_add_f64 v[1:2], v[1:2], v[140:141]
	v_add_f64 v[3:4], v[3:4], v[136:137]
	s_and_saveexec_b32 s75, s7
	s_cbranch_execz .LBB127_951
; %bb.938:
	s_clause 0x3
	buffer_load_dword v136, v133, s[0:3], 0 offen offset:40
	buffer_load_dword v137, v133, s[0:3], 0 offen offset:44
	buffer_load_dword v144, v133, s[0:3], 0 offen offset:32
	buffer_load_dword v145, v133, s[0:3], 0 offen offset:36
	ds_read_b128 v[140:143], v134 offset:32
	s_mov_b32 s7, exec_lo
	s_waitcnt vmcnt(2) lgkmcnt(0)
	v_mul_f64 v[146:147], v[142:143], v[136:137]
	v_mul_f64 v[136:137], v[140:141], v[136:137]
	s_waitcnt vmcnt(0)
	v_fma_f64 v[140:141], v[140:141], v[144:145], -v[146:147]
	v_fma_f64 v[136:137], v[142:143], v[144:145], v[136:137]
	v_add_f64 v[1:2], v[1:2], v[140:141]
	v_add_f64 v[3:4], v[3:4], v[136:137]
	v_cmpx_ne_u32_e32 6, v0
	s_cbranch_execz .LBB127_950
; %bb.939:
	s_clause 0x3
	buffer_load_dword v136, v133, s[0:3], 0 offen offset:56
	buffer_load_dword v137, v133, s[0:3], 0 offen offset:60
	buffer_load_dword v144, v133, s[0:3], 0 offen offset:48
	buffer_load_dword v145, v133, s[0:3], 0 offen offset:52
	ds_read_b128 v[140:143], v134 offset:48
	s_waitcnt vmcnt(2) lgkmcnt(0)
	v_mul_f64 v[146:147], v[142:143], v[136:137]
	v_mul_f64 v[136:137], v[140:141], v[136:137]
	s_waitcnt vmcnt(0)
	v_fma_f64 v[140:141], v[140:141], v[144:145], -v[146:147]
	v_fma_f64 v[136:137], v[142:143], v[144:145], v[136:137]
	v_add_f64 v[1:2], v[1:2], v[140:141]
	v_add_f64 v[3:4], v[3:4], v[136:137]
	s_and_saveexec_b32 s76, s6
	s_cbranch_execz .LBB127_949
; %bb.940:
	s_clause 0x3
	buffer_load_dword v136, v133, s[0:3], 0 offen offset:72
	buffer_load_dword v137, v133, s[0:3], 0 offen offset:76
	buffer_load_dword v144, v133, s[0:3], 0 offen offset:64
	buffer_load_dword v145, v133, s[0:3], 0 offen offset:68
	ds_read_b128 v[140:143], v134 offset:64
	s_mov_b32 s6, exec_lo
	s_waitcnt vmcnt(2) lgkmcnt(0)
	v_mul_f64 v[146:147], v[142:143], v[136:137]
	v_mul_f64 v[136:137], v[140:141], v[136:137]
	s_waitcnt vmcnt(0)
	v_fma_f64 v[140:141], v[140:141], v[144:145], -v[146:147]
	v_fma_f64 v[136:137], v[142:143], v[144:145], v[136:137]
	v_add_f64 v[1:2], v[1:2], v[140:141]
	v_add_f64 v[3:4], v[3:4], v[136:137]
	v_cmpx_ne_u32_e32 4, v0
	s_cbranch_execz .LBB127_948
; %bb.941:
	s_clause 0x3
	buffer_load_dword v136, v133, s[0:3], 0 offen offset:88
	buffer_load_dword v137, v133, s[0:3], 0 offen offset:92
	buffer_load_dword v144, v133, s[0:3], 0 offen offset:80
	buffer_load_dword v145, v133, s[0:3], 0 offen offset:84
	ds_read_b128 v[140:143], v134 offset:80
	s_waitcnt vmcnt(2) lgkmcnt(0)
	v_mul_f64 v[146:147], v[142:143], v[136:137]
	v_mul_f64 v[136:137], v[140:141], v[136:137]
	s_waitcnt vmcnt(0)
	v_fma_f64 v[140:141], v[140:141], v[144:145], -v[146:147]
	v_fma_f64 v[136:137], v[142:143], v[144:145], v[136:137]
	v_add_f64 v[1:2], v[1:2], v[140:141]
	v_add_f64 v[3:4], v[3:4], v[136:137]
	s_and_saveexec_b32 s77, s5
	s_cbranch_execz .LBB127_947
; %bb.942:
	s_clause 0x3
	buffer_load_dword v136, v133, s[0:3], 0 offen offset:104
	buffer_load_dword v137, v133, s[0:3], 0 offen offset:108
	buffer_load_dword v144, v133, s[0:3], 0 offen offset:96
	buffer_load_dword v145, v133, s[0:3], 0 offen offset:100
	ds_read_b128 v[140:143], v134 offset:96
	s_mov_b32 s5, exec_lo
	s_waitcnt vmcnt(2) lgkmcnt(0)
	v_mul_f64 v[146:147], v[142:143], v[136:137]
	v_mul_f64 v[136:137], v[140:141], v[136:137]
	s_waitcnt vmcnt(0)
	v_fma_f64 v[140:141], v[140:141], v[144:145], -v[146:147]
	v_fma_f64 v[136:137], v[142:143], v[144:145], v[136:137]
	v_add_f64 v[1:2], v[1:2], v[140:141]
	v_add_f64 v[3:4], v[3:4], v[136:137]
	v_cmpx_ne_u32_e32 2, v0
	s_cbranch_execz .LBB127_946
; %bb.943:
	s_clause 0x3
	buffer_load_dword v136, v133, s[0:3], 0 offen offset:120
	buffer_load_dword v137, v133, s[0:3], 0 offen offset:124
	;; [unrolled: 1-line block ×4, first 2 shown]
	ds_read_b128 v[140:143], v134 offset:112
	s_waitcnt vmcnt(2) lgkmcnt(0)
	v_mul_f64 v[146:147], v[142:143], v[136:137]
	v_mul_f64 v[136:137], v[140:141], v[136:137]
	s_waitcnt vmcnt(0)
	v_fma_f64 v[140:141], v[140:141], v[144:145], -v[146:147]
	v_fma_f64 v[136:137], v[142:143], v[144:145], v[136:137]
	v_add_f64 v[1:2], v[1:2], v[140:141]
	v_add_f64 v[3:4], v[3:4], v[136:137]
	s_and_saveexec_b32 s78, s4
	s_cbranch_execz .LBB127_945
; %bb.944:
	s_clause 0x3
	buffer_load_dword v136, v133, s[0:3], 0 offen offset:136
	buffer_load_dword v137, v133, s[0:3], 0 offen offset:140
	;; [unrolled: 1-line block ×4, first 2 shown]
	ds_read_b128 v[140:143], v134 offset:128
	s_waitcnt vmcnt(2) lgkmcnt(0)
	v_mul_f64 v[146:147], v[142:143], v[136:137]
	v_mul_f64 v[136:137], v[140:141], v[136:137]
	s_waitcnt vmcnt(0)
	v_fma_f64 v[140:141], v[140:141], v[144:145], -v[146:147]
	v_fma_f64 v[136:137], v[142:143], v[144:145], v[136:137]
	v_add_f64 v[1:2], v[1:2], v[140:141]
	v_add_f64 v[3:4], v[3:4], v[136:137]
.LBB127_945:
	s_or_b32 exec_lo, exec_lo, s78
.LBB127_946:
	s_or_b32 exec_lo, exec_lo, s5
.LBB127_947:
	s_or_b32 exec_lo, exec_lo, s77
.LBB127_948:
	s_or_b32 exec_lo, exec_lo, s6
.LBB127_949:
	s_or_b32 exec_lo, exec_lo, s76
.LBB127_950:
	s_or_b32 exec_lo, exec_lo, s7
.LBB127_951:
	s_or_b32 exec_lo, exec_lo, s75
.LBB127_952:
	s_or_b32 exec_lo, exec_lo, s74
	v_mov_b32_e32 v136, 0
	ds_read_b128 v[140:143], v136 offset:144
	s_waitcnt lgkmcnt(0)
	v_mul_f64 v[136:137], v[3:4], v[142:143]
	v_mul_f64 v[142:143], v[1:2], v[142:143]
	v_fma_f64 v[1:2], v[1:2], v[140:141], -v[136:137]
	v_fma_f64 v[3:4], v[3:4], v[140:141], v[142:143]
	buffer_store_dword v2, off, s[0:3], 0 offset:148
	buffer_store_dword v1, off, s[0:3], 0 offset:144
	;; [unrolled: 1-line block ×4, first 2 shown]
.LBB127_953:
	s_or_b32 exec_lo, exec_lo, s73
	v_mov_b32_e32 v4, s63
	s_mov_b32 s4, exec_lo
	s_clause 0x3
	buffer_load_dword v1, v4, s[0:3], 0 offen
	buffer_load_dword v2, v4, s[0:3], 0 offen offset:4
	buffer_load_dword v3, v4, s[0:3], 0 offen offset:8
	;; [unrolled: 1-line block ×3, first 2 shown]
	s_waitcnt vmcnt(0)
	ds_write_b128 v134, v[1:4]
	s_waitcnt lgkmcnt(0)
	s_waitcnt_vscnt null, 0x0
	s_barrier
	buffer_gl0_inv
	v_cmpx_gt_u32_e32 10, v0
	s_cbranch_execz .LBB127_961
; %bb.954:
	ds_read_b128 v[1:4], v134
	v_cmp_ne_u32_e32 vcc_lo, 1, v135
	s_cbranch_vccnz .LBB127_956
; %bb.955:
	s_clause 0x3
	buffer_load_dword v136, v133, s[0:3], 0 offen offset:8
	buffer_load_dword v137, v133, s[0:3], 0 offen offset:12
	buffer_load_dword v140, v133, s[0:3], 0 offen
	buffer_load_dword v141, v133, s[0:3], 0 offen offset:4
	s_waitcnt vmcnt(2) lgkmcnt(0)
	v_mul_f64 v[142:143], v[3:4], v[136:137]
	v_mul_f64 v[136:137], v[1:2], v[136:137]
	s_waitcnt vmcnt(0)
	v_fma_f64 v[1:2], v[1:2], v[140:141], -v[142:143]
	v_fma_f64 v[3:4], v[3:4], v[140:141], v[136:137]
.LBB127_956:
	s_mov_b32 s5, exec_lo
	v_cmpx_ne_u32_e32 9, v0
	s_cbranch_execz .LBB127_960
; %bb.957:
	v_add_nc_u32_e32 v136, 0x410, v139
	v_add3_u32 v137, 0, v139, 16
	v_mov_b32_e32 v138, v0
	s_mov_b32 s6, 0
	.p2align	6
.LBB127_958:                            ; =>This Inner Loop Header: Depth=1
	s_clause 0x3
	buffer_load_dword v144, v137, s[0:3], 0 offen offset:8
	buffer_load_dword v145, v137, s[0:3], 0 offen offset:12
	buffer_load_dword v146, v137, s[0:3], 0 offen
	buffer_load_dword v147, v137, s[0:3], 0 offen offset:4
	ds_read_b128 v[140:143], v136
	v_add_nc_u32_e32 v138, 1, v138
	v_add_nc_u32_e32 v136, 16, v136
	v_add_nc_u32_e32 v137, 16, v137
	v_cmp_lt_u32_e32 vcc_lo, 8, v138
	s_or_b32 s6, vcc_lo, s6
	s_waitcnt vmcnt(2) lgkmcnt(0)
	v_mul_f64 v[148:149], v[142:143], v[144:145]
	v_mul_f64 v[144:145], v[140:141], v[144:145]
	s_waitcnt vmcnt(0)
	v_fma_f64 v[140:141], v[140:141], v[146:147], -v[148:149]
	v_fma_f64 v[142:143], v[142:143], v[146:147], v[144:145]
	v_add_f64 v[1:2], v[1:2], v[140:141]
	v_add_f64 v[3:4], v[3:4], v[142:143]
	s_andn2_b32 exec_lo, exec_lo, s6
	s_cbranch_execnz .LBB127_958
; %bb.959:
	s_or_b32 exec_lo, exec_lo, s6
.LBB127_960:
	s_or_b32 exec_lo, exec_lo, s5
	v_mov_b32_e32 v136, 0
	ds_read_b128 v[140:143], v136 offset:160
	s_waitcnt lgkmcnt(0)
	v_mul_f64 v[136:137], v[3:4], v[142:143]
	v_mul_f64 v[142:143], v[1:2], v[142:143]
	v_fma_f64 v[1:2], v[1:2], v[140:141], -v[136:137]
	v_fma_f64 v[3:4], v[3:4], v[140:141], v[142:143]
	buffer_store_dword v2, off, s[0:3], 0 offset:164
	buffer_store_dword v1, off, s[0:3], 0 offset:160
	;; [unrolled: 1-line block ×4, first 2 shown]
.LBB127_961:
	s_or_b32 exec_lo, exec_lo, s4
	v_mov_b32_e32 v4, s62
	s_mov_b32 s4, exec_lo
	s_clause 0x3
	buffer_load_dword v1, v4, s[0:3], 0 offen
	buffer_load_dword v2, v4, s[0:3], 0 offen offset:4
	buffer_load_dword v3, v4, s[0:3], 0 offen offset:8
	;; [unrolled: 1-line block ×3, first 2 shown]
	s_waitcnt vmcnt(0)
	ds_write_b128 v134, v[1:4]
	s_waitcnt lgkmcnt(0)
	s_waitcnt_vscnt null, 0x0
	s_barrier
	buffer_gl0_inv
	v_cmpx_gt_u32_e32 11, v0
	s_cbranch_execz .LBB127_969
; %bb.962:
	ds_read_b128 v[1:4], v134
	v_cmp_ne_u32_e32 vcc_lo, 1, v135
	s_cbranch_vccnz .LBB127_964
; %bb.963:
	s_clause 0x3
	buffer_load_dword v136, v133, s[0:3], 0 offen offset:8
	buffer_load_dword v137, v133, s[0:3], 0 offen offset:12
	buffer_load_dword v140, v133, s[0:3], 0 offen
	buffer_load_dword v141, v133, s[0:3], 0 offen offset:4
	s_waitcnt vmcnt(2) lgkmcnt(0)
	v_mul_f64 v[142:143], v[3:4], v[136:137]
	v_mul_f64 v[136:137], v[1:2], v[136:137]
	s_waitcnt vmcnt(0)
	v_fma_f64 v[1:2], v[1:2], v[140:141], -v[142:143]
	v_fma_f64 v[3:4], v[3:4], v[140:141], v[136:137]
.LBB127_964:
	s_mov_b32 s5, exec_lo
	v_cmpx_ne_u32_e32 10, v0
	s_cbranch_execz .LBB127_968
; %bb.965:
	v_add_nc_u32_e32 v136, 0x410, v139
	v_add3_u32 v137, 0, v139, 16
	v_mov_b32_e32 v138, v0
	s_mov_b32 s6, 0
	.p2align	6
.LBB127_966:                            ; =>This Inner Loop Header: Depth=1
	s_clause 0x3
	buffer_load_dword v144, v137, s[0:3], 0 offen offset:8
	buffer_load_dword v145, v137, s[0:3], 0 offen offset:12
	buffer_load_dword v146, v137, s[0:3], 0 offen
	buffer_load_dword v147, v137, s[0:3], 0 offen offset:4
	ds_read_b128 v[140:143], v136
	v_add_nc_u32_e32 v138, 1, v138
	v_add_nc_u32_e32 v136, 16, v136
	;; [unrolled: 1-line block ×3, first 2 shown]
	v_cmp_lt_u32_e32 vcc_lo, 9, v138
	s_or_b32 s6, vcc_lo, s6
	s_waitcnt vmcnt(2) lgkmcnt(0)
	v_mul_f64 v[148:149], v[142:143], v[144:145]
	v_mul_f64 v[144:145], v[140:141], v[144:145]
	s_waitcnt vmcnt(0)
	v_fma_f64 v[140:141], v[140:141], v[146:147], -v[148:149]
	v_fma_f64 v[142:143], v[142:143], v[146:147], v[144:145]
	v_add_f64 v[1:2], v[1:2], v[140:141]
	v_add_f64 v[3:4], v[3:4], v[142:143]
	s_andn2_b32 exec_lo, exec_lo, s6
	s_cbranch_execnz .LBB127_966
; %bb.967:
	s_or_b32 exec_lo, exec_lo, s6
.LBB127_968:
	s_or_b32 exec_lo, exec_lo, s5
	v_mov_b32_e32 v136, 0
	ds_read_b128 v[140:143], v136 offset:176
	s_waitcnt lgkmcnt(0)
	v_mul_f64 v[136:137], v[3:4], v[142:143]
	v_mul_f64 v[142:143], v[1:2], v[142:143]
	v_fma_f64 v[1:2], v[1:2], v[140:141], -v[136:137]
	v_fma_f64 v[3:4], v[3:4], v[140:141], v[142:143]
	buffer_store_dword v2, off, s[0:3], 0 offset:180
	buffer_store_dword v1, off, s[0:3], 0 offset:176
	;; [unrolled: 1-line block ×4, first 2 shown]
.LBB127_969:
	s_or_b32 exec_lo, exec_lo, s4
	v_mov_b32_e32 v4, s61
	s_mov_b32 s4, exec_lo
	s_clause 0x3
	buffer_load_dword v1, v4, s[0:3], 0 offen
	buffer_load_dword v2, v4, s[0:3], 0 offen offset:4
	buffer_load_dword v3, v4, s[0:3], 0 offen offset:8
	;; [unrolled: 1-line block ×3, first 2 shown]
	s_waitcnt vmcnt(0)
	ds_write_b128 v134, v[1:4]
	s_waitcnt lgkmcnt(0)
	s_waitcnt_vscnt null, 0x0
	s_barrier
	buffer_gl0_inv
	v_cmpx_gt_u32_e32 12, v0
	s_cbranch_execz .LBB127_977
; %bb.970:
	ds_read_b128 v[1:4], v134
	v_cmp_ne_u32_e32 vcc_lo, 1, v135
	s_cbranch_vccnz .LBB127_972
; %bb.971:
	s_clause 0x3
	buffer_load_dword v136, v133, s[0:3], 0 offen offset:8
	buffer_load_dword v137, v133, s[0:3], 0 offen offset:12
	buffer_load_dword v140, v133, s[0:3], 0 offen
	buffer_load_dword v141, v133, s[0:3], 0 offen offset:4
	s_waitcnt vmcnt(2) lgkmcnt(0)
	v_mul_f64 v[142:143], v[3:4], v[136:137]
	v_mul_f64 v[136:137], v[1:2], v[136:137]
	s_waitcnt vmcnt(0)
	v_fma_f64 v[1:2], v[1:2], v[140:141], -v[142:143]
	v_fma_f64 v[3:4], v[3:4], v[140:141], v[136:137]
.LBB127_972:
	s_mov_b32 s5, exec_lo
	v_cmpx_ne_u32_e32 11, v0
	s_cbranch_execz .LBB127_976
; %bb.973:
	v_add_nc_u32_e32 v136, 0x410, v139
	v_add3_u32 v137, 0, v139, 16
	v_mov_b32_e32 v138, v0
	s_mov_b32 s6, 0
	.p2align	6
.LBB127_974:                            ; =>This Inner Loop Header: Depth=1
	s_clause 0x3
	buffer_load_dword v144, v137, s[0:3], 0 offen offset:8
	buffer_load_dword v145, v137, s[0:3], 0 offen offset:12
	buffer_load_dword v146, v137, s[0:3], 0 offen
	buffer_load_dword v147, v137, s[0:3], 0 offen offset:4
	ds_read_b128 v[140:143], v136
	v_add_nc_u32_e32 v138, 1, v138
	v_add_nc_u32_e32 v136, 16, v136
	;; [unrolled: 1-line block ×3, first 2 shown]
	v_cmp_lt_u32_e32 vcc_lo, 10, v138
	s_or_b32 s6, vcc_lo, s6
	s_waitcnt vmcnt(2) lgkmcnt(0)
	v_mul_f64 v[148:149], v[142:143], v[144:145]
	v_mul_f64 v[144:145], v[140:141], v[144:145]
	s_waitcnt vmcnt(0)
	v_fma_f64 v[140:141], v[140:141], v[146:147], -v[148:149]
	v_fma_f64 v[142:143], v[142:143], v[146:147], v[144:145]
	v_add_f64 v[1:2], v[1:2], v[140:141]
	v_add_f64 v[3:4], v[3:4], v[142:143]
	s_andn2_b32 exec_lo, exec_lo, s6
	s_cbranch_execnz .LBB127_974
; %bb.975:
	s_or_b32 exec_lo, exec_lo, s6
.LBB127_976:
	s_or_b32 exec_lo, exec_lo, s5
	v_mov_b32_e32 v136, 0
	ds_read_b128 v[140:143], v136 offset:192
	s_waitcnt lgkmcnt(0)
	v_mul_f64 v[136:137], v[3:4], v[142:143]
	v_mul_f64 v[142:143], v[1:2], v[142:143]
	v_fma_f64 v[1:2], v[1:2], v[140:141], -v[136:137]
	v_fma_f64 v[3:4], v[3:4], v[140:141], v[142:143]
	buffer_store_dword v2, off, s[0:3], 0 offset:196
	buffer_store_dword v1, off, s[0:3], 0 offset:192
	;; [unrolled: 1-line block ×4, first 2 shown]
.LBB127_977:
	s_or_b32 exec_lo, exec_lo, s4
	v_mov_b32_e32 v4, s60
	s_mov_b32 s4, exec_lo
	s_clause 0x3
	buffer_load_dword v1, v4, s[0:3], 0 offen
	buffer_load_dword v2, v4, s[0:3], 0 offen offset:4
	buffer_load_dword v3, v4, s[0:3], 0 offen offset:8
	;; [unrolled: 1-line block ×3, first 2 shown]
	s_waitcnt vmcnt(0)
	ds_write_b128 v134, v[1:4]
	s_waitcnt lgkmcnt(0)
	s_waitcnt_vscnt null, 0x0
	s_barrier
	buffer_gl0_inv
	v_cmpx_gt_u32_e32 13, v0
	s_cbranch_execz .LBB127_985
; %bb.978:
	ds_read_b128 v[1:4], v134
	v_cmp_ne_u32_e32 vcc_lo, 1, v135
	s_cbranch_vccnz .LBB127_980
; %bb.979:
	s_clause 0x3
	buffer_load_dword v136, v133, s[0:3], 0 offen offset:8
	buffer_load_dword v137, v133, s[0:3], 0 offen offset:12
	buffer_load_dword v140, v133, s[0:3], 0 offen
	buffer_load_dword v141, v133, s[0:3], 0 offen offset:4
	s_waitcnt vmcnt(2) lgkmcnt(0)
	v_mul_f64 v[142:143], v[3:4], v[136:137]
	v_mul_f64 v[136:137], v[1:2], v[136:137]
	s_waitcnt vmcnt(0)
	v_fma_f64 v[1:2], v[1:2], v[140:141], -v[142:143]
	v_fma_f64 v[3:4], v[3:4], v[140:141], v[136:137]
.LBB127_980:
	s_mov_b32 s5, exec_lo
	v_cmpx_ne_u32_e32 12, v0
	s_cbranch_execz .LBB127_984
; %bb.981:
	v_add_nc_u32_e32 v136, 0x410, v139
	v_add3_u32 v137, 0, v139, 16
	v_mov_b32_e32 v138, v0
	s_mov_b32 s6, 0
	.p2align	6
.LBB127_982:                            ; =>This Inner Loop Header: Depth=1
	s_clause 0x3
	buffer_load_dword v144, v137, s[0:3], 0 offen offset:8
	buffer_load_dword v145, v137, s[0:3], 0 offen offset:12
	buffer_load_dword v146, v137, s[0:3], 0 offen
	buffer_load_dword v147, v137, s[0:3], 0 offen offset:4
	ds_read_b128 v[140:143], v136
	v_add_nc_u32_e32 v138, 1, v138
	v_add_nc_u32_e32 v136, 16, v136
	;; [unrolled: 1-line block ×3, first 2 shown]
	v_cmp_lt_u32_e32 vcc_lo, 11, v138
	s_or_b32 s6, vcc_lo, s6
	s_waitcnt vmcnt(2) lgkmcnt(0)
	v_mul_f64 v[148:149], v[142:143], v[144:145]
	v_mul_f64 v[144:145], v[140:141], v[144:145]
	s_waitcnt vmcnt(0)
	v_fma_f64 v[140:141], v[140:141], v[146:147], -v[148:149]
	v_fma_f64 v[142:143], v[142:143], v[146:147], v[144:145]
	v_add_f64 v[1:2], v[1:2], v[140:141]
	v_add_f64 v[3:4], v[3:4], v[142:143]
	s_andn2_b32 exec_lo, exec_lo, s6
	s_cbranch_execnz .LBB127_982
; %bb.983:
	s_or_b32 exec_lo, exec_lo, s6
.LBB127_984:
	s_or_b32 exec_lo, exec_lo, s5
	v_mov_b32_e32 v136, 0
	ds_read_b128 v[140:143], v136 offset:208
	s_waitcnt lgkmcnt(0)
	v_mul_f64 v[136:137], v[3:4], v[142:143]
	v_mul_f64 v[142:143], v[1:2], v[142:143]
	v_fma_f64 v[1:2], v[1:2], v[140:141], -v[136:137]
	v_fma_f64 v[3:4], v[3:4], v[140:141], v[142:143]
	buffer_store_dword v2, off, s[0:3], 0 offset:212
	buffer_store_dword v1, off, s[0:3], 0 offset:208
	;; [unrolled: 1-line block ×4, first 2 shown]
.LBB127_985:
	s_or_b32 exec_lo, exec_lo, s4
	v_mov_b32_e32 v4, s59
	s_mov_b32 s4, exec_lo
	s_clause 0x3
	buffer_load_dword v1, v4, s[0:3], 0 offen
	buffer_load_dword v2, v4, s[0:3], 0 offen offset:4
	buffer_load_dword v3, v4, s[0:3], 0 offen offset:8
	;; [unrolled: 1-line block ×3, first 2 shown]
	s_waitcnt vmcnt(0)
	ds_write_b128 v134, v[1:4]
	s_waitcnt lgkmcnt(0)
	s_waitcnt_vscnt null, 0x0
	s_barrier
	buffer_gl0_inv
	v_cmpx_gt_u32_e32 14, v0
	s_cbranch_execz .LBB127_993
; %bb.986:
	ds_read_b128 v[1:4], v134
	v_cmp_ne_u32_e32 vcc_lo, 1, v135
	s_cbranch_vccnz .LBB127_988
; %bb.987:
	s_clause 0x3
	buffer_load_dword v136, v133, s[0:3], 0 offen offset:8
	buffer_load_dword v137, v133, s[0:3], 0 offen offset:12
	buffer_load_dword v140, v133, s[0:3], 0 offen
	buffer_load_dword v141, v133, s[0:3], 0 offen offset:4
	s_waitcnt vmcnt(2) lgkmcnt(0)
	v_mul_f64 v[142:143], v[3:4], v[136:137]
	v_mul_f64 v[136:137], v[1:2], v[136:137]
	s_waitcnt vmcnt(0)
	v_fma_f64 v[1:2], v[1:2], v[140:141], -v[142:143]
	v_fma_f64 v[3:4], v[3:4], v[140:141], v[136:137]
.LBB127_988:
	s_mov_b32 s5, exec_lo
	v_cmpx_ne_u32_e32 13, v0
	s_cbranch_execz .LBB127_992
; %bb.989:
	v_add_nc_u32_e32 v136, 0x410, v139
	v_add3_u32 v137, 0, v139, 16
	v_mov_b32_e32 v138, v0
	s_mov_b32 s6, 0
	.p2align	6
.LBB127_990:                            ; =>This Inner Loop Header: Depth=1
	s_clause 0x3
	buffer_load_dword v144, v137, s[0:3], 0 offen offset:8
	buffer_load_dword v145, v137, s[0:3], 0 offen offset:12
	buffer_load_dword v146, v137, s[0:3], 0 offen
	buffer_load_dword v147, v137, s[0:3], 0 offen offset:4
	ds_read_b128 v[140:143], v136
	v_add_nc_u32_e32 v138, 1, v138
	v_add_nc_u32_e32 v136, 16, v136
	;; [unrolled: 1-line block ×3, first 2 shown]
	v_cmp_lt_u32_e32 vcc_lo, 12, v138
	s_or_b32 s6, vcc_lo, s6
	s_waitcnt vmcnt(2) lgkmcnt(0)
	v_mul_f64 v[148:149], v[142:143], v[144:145]
	v_mul_f64 v[144:145], v[140:141], v[144:145]
	s_waitcnt vmcnt(0)
	v_fma_f64 v[140:141], v[140:141], v[146:147], -v[148:149]
	v_fma_f64 v[142:143], v[142:143], v[146:147], v[144:145]
	v_add_f64 v[1:2], v[1:2], v[140:141]
	v_add_f64 v[3:4], v[3:4], v[142:143]
	s_andn2_b32 exec_lo, exec_lo, s6
	s_cbranch_execnz .LBB127_990
; %bb.991:
	s_or_b32 exec_lo, exec_lo, s6
.LBB127_992:
	s_or_b32 exec_lo, exec_lo, s5
	v_mov_b32_e32 v136, 0
	ds_read_b128 v[140:143], v136 offset:224
	s_waitcnt lgkmcnt(0)
	v_mul_f64 v[136:137], v[3:4], v[142:143]
	v_mul_f64 v[142:143], v[1:2], v[142:143]
	v_fma_f64 v[1:2], v[1:2], v[140:141], -v[136:137]
	v_fma_f64 v[3:4], v[3:4], v[140:141], v[142:143]
	buffer_store_dword v2, off, s[0:3], 0 offset:228
	buffer_store_dword v1, off, s[0:3], 0 offset:224
	;; [unrolled: 1-line block ×4, first 2 shown]
.LBB127_993:
	s_or_b32 exec_lo, exec_lo, s4
	v_mov_b32_e32 v4, s58
	s_mov_b32 s4, exec_lo
	s_clause 0x3
	buffer_load_dword v1, v4, s[0:3], 0 offen
	buffer_load_dword v2, v4, s[0:3], 0 offen offset:4
	buffer_load_dword v3, v4, s[0:3], 0 offen offset:8
	;; [unrolled: 1-line block ×3, first 2 shown]
	s_waitcnt vmcnt(0)
	ds_write_b128 v134, v[1:4]
	s_waitcnt lgkmcnt(0)
	s_waitcnt_vscnt null, 0x0
	s_barrier
	buffer_gl0_inv
	v_cmpx_gt_u32_e32 15, v0
	s_cbranch_execz .LBB127_1001
; %bb.994:
	ds_read_b128 v[1:4], v134
	v_cmp_ne_u32_e32 vcc_lo, 1, v135
	s_cbranch_vccnz .LBB127_996
; %bb.995:
	s_clause 0x3
	buffer_load_dword v136, v133, s[0:3], 0 offen offset:8
	buffer_load_dword v137, v133, s[0:3], 0 offen offset:12
	buffer_load_dword v140, v133, s[0:3], 0 offen
	buffer_load_dword v141, v133, s[0:3], 0 offen offset:4
	s_waitcnt vmcnt(2) lgkmcnt(0)
	v_mul_f64 v[142:143], v[3:4], v[136:137]
	v_mul_f64 v[136:137], v[1:2], v[136:137]
	s_waitcnt vmcnt(0)
	v_fma_f64 v[1:2], v[1:2], v[140:141], -v[142:143]
	v_fma_f64 v[3:4], v[3:4], v[140:141], v[136:137]
.LBB127_996:
	s_mov_b32 s5, exec_lo
	v_cmpx_ne_u32_e32 14, v0
	s_cbranch_execz .LBB127_1000
; %bb.997:
	v_add_nc_u32_e32 v136, 0x410, v139
	v_add3_u32 v137, 0, v139, 16
	v_mov_b32_e32 v138, v0
	s_mov_b32 s6, 0
	.p2align	6
.LBB127_998:                            ; =>This Inner Loop Header: Depth=1
	s_clause 0x3
	buffer_load_dword v144, v137, s[0:3], 0 offen offset:8
	buffer_load_dword v145, v137, s[0:3], 0 offen offset:12
	buffer_load_dword v146, v137, s[0:3], 0 offen
	buffer_load_dword v147, v137, s[0:3], 0 offen offset:4
	ds_read_b128 v[140:143], v136
	v_add_nc_u32_e32 v138, 1, v138
	v_add_nc_u32_e32 v136, 16, v136
	;; [unrolled: 1-line block ×3, first 2 shown]
	v_cmp_lt_u32_e32 vcc_lo, 13, v138
	s_or_b32 s6, vcc_lo, s6
	s_waitcnt vmcnt(2) lgkmcnt(0)
	v_mul_f64 v[148:149], v[142:143], v[144:145]
	v_mul_f64 v[144:145], v[140:141], v[144:145]
	s_waitcnt vmcnt(0)
	v_fma_f64 v[140:141], v[140:141], v[146:147], -v[148:149]
	v_fma_f64 v[142:143], v[142:143], v[146:147], v[144:145]
	v_add_f64 v[1:2], v[1:2], v[140:141]
	v_add_f64 v[3:4], v[3:4], v[142:143]
	s_andn2_b32 exec_lo, exec_lo, s6
	s_cbranch_execnz .LBB127_998
; %bb.999:
	s_or_b32 exec_lo, exec_lo, s6
.LBB127_1000:
	s_or_b32 exec_lo, exec_lo, s5
	v_mov_b32_e32 v136, 0
	ds_read_b128 v[140:143], v136 offset:240
	s_waitcnt lgkmcnt(0)
	v_mul_f64 v[136:137], v[3:4], v[142:143]
	v_mul_f64 v[142:143], v[1:2], v[142:143]
	v_fma_f64 v[1:2], v[1:2], v[140:141], -v[136:137]
	v_fma_f64 v[3:4], v[3:4], v[140:141], v[142:143]
	buffer_store_dword v2, off, s[0:3], 0 offset:244
	buffer_store_dword v1, off, s[0:3], 0 offset:240
	;; [unrolled: 1-line block ×4, first 2 shown]
.LBB127_1001:
	s_or_b32 exec_lo, exec_lo, s4
	v_mov_b32_e32 v4, s57
	s_mov_b32 s4, exec_lo
	s_clause 0x3
	buffer_load_dword v1, v4, s[0:3], 0 offen
	buffer_load_dword v2, v4, s[0:3], 0 offen offset:4
	buffer_load_dword v3, v4, s[0:3], 0 offen offset:8
	;; [unrolled: 1-line block ×3, first 2 shown]
	s_waitcnt vmcnt(0)
	ds_write_b128 v134, v[1:4]
	s_waitcnt lgkmcnt(0)
	s_waitcnt_vscnt null, 0x0
	s_barrier
	buffer_gl0_inv
	v_cmpx_gt_u32_e32 16, v0
	s_cbranch_execz .LBB127_1009
; %bb.1002:
	ds_read_b128 v[1:4], v134
	v_cmp_ne_u32_e32 vcc_lo, 1, v135
	s_cbranch_vccnz .LBB127_1004
; %bb.1003:
	s_clause 0x3
	buffer_load_dword v136, v133, s[0:3], 0 offen offset:8
	buffer_load_dword v137, v133, s[0:3], 0 offen offset:12
	buffer_load_dword v140, v133, s[0:3], 0 offen
	buffer_load_dword v141, v133, s[0:3], 0 offen offset:4
	s_waitcnt vmcnt(2) lgkmcnt(0)
	v_mul_f64 v[142:143], v[3:4], v[136:137]
	v_mul_f64 v[136:137], v[1:2], v[136:137]
	s_waitcnt vmcnt(0)
	v_fma_f64 v[1:2], v[1:2], v[140:141], -v[142:143]
	v_fma_f64 v[3:4], v[3:4], v[140:141], v[136:137]
.LBB127_1004:
	s_mov_b32 s5, exec_lo
	v_cmpx_ne_u32_e32 15, v0
	s_cbranch_execz .LBB127_1008
; %bb.1005:
	v_add_nc_u32_e32 v136, 0x410, v139
	v_add3_u32 v137, 0, v139, 16
	v_mov_b32_e32 v138, v0
	s_mov_b32 s6, 0
	.p2align	6
.LBB127_1006:                           ; =>This Inner Loop Header: Depth=1
	s_clause 0x3
	buffer_load_dword v144, v137, s[0:3], 0 offen offset:8
	buffer_load_dword v145, v137, s[0:3], 0 offen offset:12
	buffer_load_dword v146, v137, s[0:3], 0 offen
	buffer_load_dword v147, v137, s[0:3], 0 offen offset:4
	ds_read_b128 v[140:143], v136
	v_add_nc_u32_e32 v138, 1, v138
	v_add_nc_u32_e32 v136, 16, v136
	;; [unrolled: 1-line block ×3, first 2 shown]
	v_cmp_lt_u32_e32 vcc_lo, 14, v138
	s_or_b32 s6, vcc_lo, s6
	s_waitcnt vmcnt(2) lgkmcnt(0)
	v_mul_f64 v[148:149], v[142:143], v[144:145]
	v_mul_f64 v[144:145], v[140:141], v[144:145]
	s_waitcnt vmcnt(0)
	v_fma_f64 v[140:141], v[140:141], v[146:147], -v[148:149]
	v_fma_f64 v[142:143], v[142:143], v[146:147], v[144:145]
	v_add_f64 v[1:2], v[1:2], v[140:141]
	v_add_f64 v[3:4], v[3:4], v[142:143]
	s_andn2_b32 exec_lo, exec_lo, s6
	s_cbranch_execnz .LBB127_1006
; %bb.1007:
	s_or_b32 exec_lo, exec_lo, s6
.LBB127_1008:
	s_or_b32 exec_lo, exec_lo, s5
	v_mov_b32_e32 v136, 0
	ds_read_b128 v[140:143], v136 offset:256
	s_waitcnt lgkmcnt(0)
	v_mul_f64 v[136:137], v[3:4], v[142:143]
	v_mul_f64 v[142:143], v[1:2], v[142:143]
	v_fma_f64 v[1:2], v[1:2], v[140:141], -v[136:137]
	v_fma_f64 v[3:4], v[3:4], v[140:141], v[142:143]
	buffer_store_dword v2, off, s[0:3], 0 offset:260
	buffer_store_dword v1, off, s[0:3], 0 offset:256
	;; [unrolled: 1-line block ×4, first 2 shown]
.LBB127_1009:
	s_or_b32 exec_lo, exec_lo, s4
	v_mov_b32_e32 v4, s56
	s_mov_b32 s4, exec_lo
	s_clause 0x3
	buffer_load_dword v1, v4, s[0:3], 0 offen
	buffer_load_dword v2, v4, s[0:3], 0 offen offset:4
	buffer_load_dword v3, v4, s[0:3], 0 offen offset:8
	;; [unrolled: 1-line block ×3, first 2 shown]
	s_waitcnt vmcnt(0)
	ds_write_b128 v134, v[1:4]
	s_waitcnt lgkmcnt(0)
	s_waitcnt_vscnt null, 0x0
	s_barrier
	buffer_gl0_inv
	v_cmpx_gt_u32_e32 17, v0
	s_cbranch_execz .LBB127_1017
; %bb.1010:
	ds_read_b128 v[1:4], v134
	v_cmp_ne_u32_e32 vcc_lo, 1, v135
	s_cbranch_vccnz .LBB127_1012
; %bb.1011:
	s_clause 0x3
	buffer_load_dword v136, v133, s[0:3], 0 offen offset:8
	buffer_load_dword v137, v133, s[0:3], 0 offen offset:12
	buffer_load_dword v140, v133, s[0:3], 0 offen
	buffer_load_dword v141, v133, s[0:3], 0 offen offset:4
	s_waitcnt vmcnt(2) lgkmcnt(0)
	v_mul_f64 v[142:143], v[3:4], v[136:137]
	v_mul_f64 v[136:137], v[1:2], v[136:137]
	s_waitcnt vmcnt(0)
	v_fma_f64 v[1:2], v[1:2], v[140:141], -v[142:143]
	v_fma_f64 v[3:4], v[3:4], v[140:141], v[136:137]
.LBB127_1012:
	s_mov_b32 s5, exec_lo
	v_cmpx_ne_u32_e32 16, v0
	s_cbranch_execz .LBB127_1016
; %bb.1013:
	v_add_nc_u32_e32 v136, 0x410, v139
	v_add3_u32 v137, 0, v139, 16
	v_mov_b32_e32 v138, v0
	s_mov_b32 s6, 0
	.p2align	6
.LBB127_1014:                           ; =>This Inner Loop Header: Depth=1
	s_clause 0x3
	buffer_load_dword v144, v137, s[0:3], 0 offen offset:8
	buffer_load_dword v145, v137, s[0:3], 0 offen offset:12
	buffer_load_dword v146, v137, s[0:3], 0 offen
	buffer_load_dword v147, v137, s[0:3], 0 offen offset:4
	ds_read_b128 v[140:143], v136
	v_add_nc_u32_e32 v138, 1, v138
	v_add_nc_u32_e32 v136, 16, v136
	;; [unrolled: 1-line block ×3, first 2 shown]
	v_cmp_lt_u32_e32 vcc_lo, 15, v138
	s_or_b32 s6, vcc_lo, s6
	s_waitcnt vmcnt(2) lgkmcnt(0)
	v_mul_f64 v[148:149], v[142:143], v[144:145]
	v_mul_f64 v[144:145], v[140:141], v[144:145]
	s_waitcnt vmcnt(0)
	v_fma_f64 v[140:141], v[140:141], v[146:147], -v[148:149]
	v_fma_f64 v[142:143], v[142:143], v[146:147], v[144:145]
	v_add_f64 v[1:2], v[1:2], v[140:141]
	v_add_f64 v[3:4], v[3:4], v[142:143]
	s_andn2_b32 exec_lo, exec_lo, s6
	s_cbranch_execnz .LBB127_1014
; %bb.1015:
	s_or_b32 exec_lo, exec_lo, s6
.LBB127_1016:
	s_or_b32 exec_lo, exec_lo, s5
	v_mov_b32_e32 v136, 0
	ds_read_b128 v[140:143], v136 offset:272
	s_waitcnt lgkmcnt(0)
	v_mul_f64 v[136:137], v[3:4], v[142:143]
	v_mul_f64 v[142:143], v[1:2], v[142:143]
	v_fma_f64 v[1:2], v[1:2], v[140:141], -v[136:137]
	v_fma_f64 v[3:4], v[3:4], v[140:141], v[142:143]
	buffer_store_dword v2, off, s[0:3], 0 offset:276
	buffer_store_dword v1, off, s[0:3], 0 offset:272
	;; [unrolled: 1-line block ×4, first 2 shown]
.LBB127_1017:
	s_or_b32 exec_lo, exec_lo, s4
	v_mov_b32_e32 v4, s55
	s_mov_b32 s4, exec_lo
	s_clause 0x3
	buffer_load_dword v1, v4, s[0:3], 0 offen
	buffer_load_dword v2, v4, s[0:3], 0 offen offset:4
	buffer_load_dword v3, v4, s[0:3], 0 offen offset:8
	;; [unrolled: 1-line block ×3, first 2 shown]
	s_waitcnt vmcnt(0)
	ds_write_b128 v134, v[1:4]
	s_waitcnt lgkmcnt(0)
	s_waitcnt_vscnt null, 0x0
	s_barrier
	buffer_gl0_inv
	v_cmpx_gt_u32_e32 18, v0
	s_cbranch_execz .LBB127_1025
; %bb.1018:
	ds_read_b128 v[1:4], v134
	v_cmp_ne_u32_e32 vcc_lo, 1, v135
	s_cbranch_vccnz .LBB127_1020
; %bb.1019:
	s_clause 0x3
	buffer_load_dword v136, v133, s[0:3], 0 offen offset:8
	buffer_load_dword v137, v133, s[0:3], 0 offen offset:12
	buffer_load_dword v140, v133, s[0:3], 0 offen
	buffer_load_dword v141, v133, s[0:3], 0 offen offset:4
	s_waitcnt vmcnt(2) lgkmcnt(0)
	v_mul_f64 v[142:143], v[3:4], v[136:137]
	v_mul_f64 v[136:137], v[1:2], v[136:137]
	s_waitcnt vmcnt(0)
	v_fma_f64 v[1:2], v[1:2], v[140:141], -v[142:143]
	v_fma_f64 v[3:4], v[3:4], v[140:141], v[136:137]
.LBB127_1020:
	s_mov_b32 s5, exec_lo
	v_cmpx_ne_u32_e32 17, v0
	s_cbranch_execz .LBB127_1024
; %bb.1021:
	v_add_nc_u32_e32 v136, 0x410, v139
	v_add3_u32 v137, 0, v139, 16
	v_mov_b32_e32 v138, v0
	s_mov_b32 s6, 0
	.p2align	6
.LBB127_1022:                           ; =>This Inner Loop Header: Depth=1
	s_clause 0x3
	buffer_load_dword v144, v137, s[0:3], 0 offen offset:8
	buffer_load_dword v145, v137, s[0:3], 0 offen offset:12
	buffer_load_dword v146, v137, s[0:3], 0 offen
	buffer_load_dword v147, v137, s[0:3], 0 offen offset:4
	ds_read_b128 v[140:143], v136
	v_add_nc_u32_e32 v138, 1, v138
	v_add_nc_u32_e32 v136, 16, v136
	v_add_nc_u32_e32 v137, 16, v137
	v_cmp_lt_u32_e32 vcc_lo, 16, v138
	s_or_b32 s6, vcc_lo, s6
	s_waitcnt vmcnt(2) lgkmcnt(0)
	v_mul_f64 v[148:149], v[142:143], v[144:145]
	v_mul_f64 v[144:145], v[140:141], v[144:145]
	s_waitcnt vmcnt(0)
	v_fma_f64 v[140:141], v[140:141], v[146:147], -v[148:149]
	v_fma_f64 v[142:143], v[142:143], v[146:147], v[144:145]
	v_add_f64 v[1:2], v[1:2], v[140:141]
	v_add_f64 v[3:4], v[3:4], v[142:143]
	s_andn2_b32 exec_lo, exec_lo, s6
	s_cbranch_execnz .LBB127_1022
; %bb.1023:
	s_or_b32 exec_lo, exec_lo, s6
.LBB127_1024:
	s_or_b32 exec_lo, exec_lo, s5
	v_mov_b32_e32 v136, 0
	ds_read_b128 v[140:143], v136 offset:288
	s_waitcnt lgkmcnt(0)
	v_mul_f64 v[136:137], v[3:4], v[142:143]
	v_mul_f64 v[142:143], v[1:2], v[142:143]
	v_fma_f64 v[1:2], v[1:2], v[140:141], -v[136:137]
	v_fma_f64 v[3:4], v[3:4], v[140:141], v[142:143]
	buffer_store_dword v2, off, s[0:3], 0 offset:292
	buffer_store_dword v1, off, s[0:3], 0 offset:288
	;; [unrolled: 1-line block ×4, first 2 shown]
.LBB127_1025:
	s_or_b32 exec_lo, exec_lo, s4
	v_mov_b32_e32 v4, s54
	s_mov_b32 s4, exec_lo
	s_clause 0x3
	buffer_load_dword v1, v4, s[0:3], 0 offen
	buffer_load_dword v2, v4, s[0:3], 0 offen offset:4
	buffer_load_dword v3, v4, s[0:3], 0 offen offset:8
	;; [unrolled: 1-line block ×3, first 2 shown]
	s_waitcnt vmcnt(0)
	ds_write_b128 v134, v[1:4]
	s_waitcnt lgkmcnt(0)
	s_waitcnt_vscnt null, 0x0
	s_barrier
	buffer_gl0_inv
	v_cmpx_gt_u32_e32 19, v0
	s_cbranch_execz .LBB127_1033
; %bb.1026:
	ds_read_b128 v[1:4], v134
	v_cmp_ne_u32_e32 vcc_lo, 1, v135
	s_cbranch_vccnz .LBB127_1028
; %bb.1027:
	s_clause 0x3
	buffer_load_dword v136, v133, s[0:3], 0 offen offset:8
	buffer_load_dword v137, v133, s[0:3], 0 offen offset:12
	buffer_load_dword v140, v133, s[0:3], 0 offen
	buffer_load_dword v141, v133, s[0:3], 0 offen offset:4
	s_waitcnt vmcnt(2) lgkmcnt(0)
	v_mul_f64 v[142:143], v[3:4], v[136:137]
	v_mul_f64 v[136:137], v[1:2], v[136:137]
	s_waitcnt vmcnt(0)
	v_fma_f64 v[1:2], v[1:2], v[140:141], -v[142:143]
	v_fma_f64 v[3:4], v[3:4], v[140:141], v[136:137]
.LBB127_1028:
	s_mov_b32 s5, exec_lo
	v_cmpx_ne_u32_e32 18, v0
	s_cbranch_execz .LBB127_1032
; %bb.1029:
	v_add_nc_u32_e32 v136, 0x410, v139
	v_add3_u32 v137, 0, v139, 16
	v_mov_b32_e32 v138, v0
	s_mov_b32 s6, 0
	.p2align	6
.LBB127_1030:                           ; =>This Inner Loop Header: Depth=1
	s_clause 0x3
	buffer_load_dword v144, v137, s[0:3], 0 offen offset:8
	buffer_load_dword v145, v137, s[0:3], 0 offen offset:12
	buffer_load_dword v146, v137, s[0:3], 0 offen
	buffer_load_dword v147, v137, s[0:3], 0 offen offset:4
	ds_read_b128 v[140:143], v136
	v_add_nc_u32_e32 v138, 1, v138
	v_add_nc_u32_e32 v136, 16, v136
	;; [unrolled: 1-line block ×3, first 2 shown]
	v_cmp_lt_u32_e32 vcc_lo, 17, v138
	s_or_b32 s6, vcc_lo, s6
	s_waitcnt vmcnt(2) lgkmcnt(0)
	v_mul_f64 v[148:149], v[142:143], v[144:145]
	v_mul_f64 v[144:145], v[140:141], v[144:145]
	s_waitcnt vmcnt(0)
	v_fma_f64 v[140:141], v[140:141], v[146:147], -v[148:149]
	v_fma_f64 v[142:143], v[142:143], v[146:147], v[144:145]
	v_add_f64 v[1:2], v[1:2], v[140:141]
	v_add_f64 v[3:4], v[3:4], v[142:143]
	s_andn2_b32 exec_lo, exec_lo, s6
	s_cbranch_execnz .LBB127_1030
; %bb.1031:
	s_or_b32 exec_lo, exec_lo, s6
.LBB127_1032:
	s_or_b32 exec_lo, exec_lo, s5
	v_mov_b32_e32 v136, 0
	ds_read_b128 v[140:143], v136 offset:304
	s_waitcnt lgkmcnt(0)
	v_mul_f64 v[136:137], v[3:4], v[142:143]
	v_mul_f64 v[142:143], v[1:2], v[142:143]
	v_fma_f64 v[1:2], v[1:2], v[140:141], -v[136:137]
	v_fma_f64 v[3:4], v[3:4], v[140:141], v[142:143]
	buffer_store_dword v2, off, s[0:3], 0 offset:308
	buffer_store_dword v1, off, s[0:3], 0 offset:304
	;; [unrolled: 1-line block ×4, first 2 shown]
.LBB127_1033:
	s_or_b32 exec_lo, exec_lo, s4
	v_mov_b32_e32 v4, s53
	s_mov_b32 s4, exec_lo
	s_clause 0x3
	buffer_load_dword v1, v4, s[0:3], 0 offen
	buffer_load_dword v2, v4, s[0:3], 0 offen offset:4
	buffer_load_dword v3, v4, s[0:3], 0 offen offset:8
	;; [unrolled: 1-line block ×3, first 2 shown]
	s_waitcnt vmcnt(0)
	ds_write_b128 v134, v[1:4]
	s_waitcnt lgkmcnt(0)
	s_waitcnt_vscnt null, 0x0
	s_barrier
	buffer_gl0_inv
	v_cmpx_gt_u32_e32 20, v0
	s_cbranch_execz .LBB127_1041
; %bb.1034:
	ds_read_b128 v[1:4], v134
	v_cmp_ne_u32_e32 vcc_lo, 1, v135
	s_cbranch_vccnz .LBB127_1036
; %bb.1035:
	s_clause 0x3
	buffer_load_dword v136, v133, s[0:3], 0 offen offset:8
	buffer_load_dword v137, v133, s[0:3], 0 offen offset:12
	buffer_load_dword v140, v133, s[0:3], 0 offen
	buffer_load_dword v141, v133, s[0:3], 0 offen offset:4
	s_waitcnt vmcnt(2) lgkmcnt(0)
	v_mul_f64 v[142:143], v[3:4], v[136:137]
	v_mul_f64 v[136:137], v[1:2], v[136:137]
	s_waitcnt vmcnt(0)
	v_fma_f64 v[1:2], v[1:2], v[140:141], -v[142:143]
	v_fma_f64 v[3:4], v[3:4], v[140:141], v[136:137]
.LBB127_1036:
	s_mov_b32 s5, exec_lo
	v_cmpx_ne_u32_e32 19, v0
	s_cbranch_execz .LBB127_1040
; %bb.1037:
	v_add_nc_u32_e32 v136, 0x410, v139
	v_add3_u32 v137, 0, v139, 16
	v_mov_b32_e32 v138, v0
	s_mov_b32 s6, 0
	.p2align	6
.LBB127_1038:                           ; =>This Inner Loop Header: Depth=1
	s_clause 0x3
	buffer_load_dword v144, v137, s[0:3], 0 offen offset:8
	buffer_load_dword v145, v137, s[0:3], 0 offen offset:12
	buffer_load_dword v146, v137, s[0:3], 0 offen
	buffer_load_dword v147, v137, s[0:3], 0 offen offset:4
	ds_read_b128 v[140:143], v136
	v_add_nc_u32_e32 v138, 1, v138
	v_add_nc_u32_e32 v136, 16, v136
	;; [unrolled: 1-line block ×3, first 2 shown]
	v_cmp_lt_u32_e32 vcc_lo, 18, v138
	s_or_b32 s6, vcc_lo, s6
	s_waitcnt vmcnt(2) lgkmcnt(0)
	v_mul_f64 v[148:149], v[142:143], v[144:145]
	v_mul_f64 v[144:145], v[140:141], v[144:145]
	s_waitcnt vmcnt(0)
	v_fma_f64 v[140:141], v[140:141], v[146:147], -v[148:149]
	v_fma_f64 v[142:143], v[142:143], v[146:147], v[144:145]
	v_add_f64 v[1:2], v[1:2], v[140:141]
	v_add_f64 v[3:4], v[3:4], v[142:143]
	s_andn2_b32 exec_lo, exec_lo, s6
	s_cbranch_execnz .LBB127_1038
; %bb.1039:
	s_or_b32 exec_lo, exec_lo, s6
.LBB127_1040:
	s_or_b32 exec_lo, exec_lo, s5
	v_mov_b32_e32 v136, 0
	ds_read_b128 v[140:143], v136 offset:320
	s_waitcnt lgkmcnt(0)
	v_mul_f64 v[136:137], v[3:4], v[142:143]
	v_mul_f64 v[142:143], v[1:2], v[142:143]
	v_fma_f64 v[1:2], v[1:2], v[140:141], -v[136:137]
	v_fma_f64 v[3:4], v[3:4], v[140:141], v[142:143]
	buffer_store_dword v2, off, s[0:3], 0 offset:324
	buffer_store_dword v1, off, s[0:3], 0 offset:320
	;; [unrolled: 1-line block ×4, first 2 shown]
.LBB127_1041:
	s_or_b32 exec_lo, exec_lo, s4
	v_mov_b32_e32 v4, s52
	s_mov_b32 s4, exec_lo
	s_clause 0x3
	buffer_load_dword v1, v4, s[0:3], 0 offen
	buffer_load_dword v2, v4, s[0:3], 0 offen offset:4
	buffer_load_dword v3, v4, s[0:3], 0 offen offset:8
	buffer_load_dword v4, v4, s[0:3], 0 offen offset:12
	s_waitcnt vmcnt(0)
	ds_write_b128 v134, v[1:4]
	s_waitcnt lgkmcnt(0)
	s_waitcnt_vscnt null, 0x0
	s_barrier
	buffer_gl0_inv
	v_cmpx_gt_u32_e32 21, v0
	s_cbranch_execz .LBB127_1049
; %bb.1042:
	ds_read_b128 v[1:4], v134
	v_cmp_ne_u32_e32 vcc_lo, 1, v135
	s_cbranch_vccnz .LBB127_1044
; %bb.1043:
	s_clause 0x3
	buffer_load_dword v136, v133, s[0:3], 0 offen offset:8
	buffer_load_dword v137, v133, s[0:3], 0 offen offset:12
	buffer_load_dword v140, v133, s[0:3], 0 offen
	buffer_load_dword v141, v133, s[0:3], 0 offen offset:4
	s_waitcnt vmcnt(2) lgkmcnt(0)
	v_mul_f64 v[142:143], v[3:4], v[136:137]
	v_mul_f64 v[136:137], v[1:2], v[136:137]
	s_waitcnt vmcnt(0)
	v_fma_f64 v[1:2], v[1:2], v[140:141], -v[142:143]
	v_fma_f64 v[3:4], v[3:4], v[140:141], v[136:137]
.LBB127_1044:
	s_mov_b32 s5, exec_lo
	v_cmpx_ne_u32_e32 20, v0
	s_cbranch_execz .LBB127_1048
; %bb.1045:
	v_add_nc_u32_e32 v136, 0x410, v139
	v_add3_u32 v137, 0, v139, 16
	v_mov_b32_e32 v138, v0
	s_mov_b32 s6, 0
	.p2align	6
.LBB127_1046:                           ; =>This Inner Loop Header: Depth=1
	s_clause 0x3
	buffer_load_dword v144, v137, s[0:3], 0 offen offset:8
	buffer_load_dword v145, v137, s[0:3], 0 offen offset:12
	buffer_load_dword v146, v137, s[0:3], 0 offen
	buffer_load_dword v147, v137, s[0:3], 0 offen offset:4
	ds_read_b128 v[140:143], v136
	v_add_nc_u32_e32 v138, 1, v138
	v_add_nc_u32_e32 v136, 16, v136
	;; [unrolled: 1-line block ×3, first 2 shown]
	v_cmp_lt_u32_e32 vcc_lo, 19, v138
	s_or_b32 s6, vcc_lo, s6
	s_waitcnt vmcnt(2) lgkmcnt(0)
	v_mul_f64 v[148:149], v[142:143], v[144:145]
	v_mul_f64 v[144:145], v[140:141], v[144:145]
	s_waitcnt vmcnt(0)
	v_fma_f64 v[140:141], v[140:141], v[146:147], -v[148:149]
	v_fma_f64 v[142:143], v[142:143], v[146:147], v[144:145]
	v_add_f64 v[1:2], v[1:2], v[140:141]
	v_add_f64 v[3:4], v[3:4], v[142:143]
	s_andn2_b32 exec_lo, exec_lo, s6
	s_cbranch_execnz .LBB127_1046
; %bb.1047:
	s_or_b32 exec_lo, exec_lo, s6
.LBB127_1048:
	s_or_b32 exec_lo, exec_lo, s5
	v_mov_b32_e32 v136, 0
	ds_read_b128 v[140:143], v136 offset:336
	s_waitcnt lgkmcnt(0)
	v_mul_f64 v[136:137], v[3:4], v[142:143]
	v_mul_f64 v[142:143], v[1:2], v[142:143]
	v_fma_f64 v[1:2], v[1:2], v[140:141], -v[136:137]
	v_fma_f64 v[3:4], v[3:4], v[140:141], v[142:143]
	buffer_store_dword v2, off, s[0:3], 0 offset:340
	buffer_store_dword v1, off, s[0:3], 0 offset:336
	buffer_store_dword v4, off, s[0:3], 0 offset:348
	buffer_store_dword v3, off, s[0:3], 0 offset:344
.LBB127_1049:
	s_or_b32 exec_lo, exec_lo, s4
	v_mov_b32_e32 v4, s51
	s_mov_b32 s4, exec_lo
	s_clause 0x3
	buffer_load_dword v1, v4, s[0:3], 0 offen
	buffer_load_dword v2, v4, s[0:3], 0 offen offset:4
	buffer_load_dword v3, v4, s[0:3], 0 offen offset:8
	;; [unrolled: 1-line block ×3, first 2 shown]
	s_waitcnt vmcnt(0)
	ds_write_b128 v134, v[1:4]
	s_waitcnt lgkmcnt(0)
	s_waitcnt_vscnt null, 0x0
	s_barrier
	buffer_gl0_inv
	v_cmpx_gt_u32_e32 22, v0
	s_cbranch_execz .LBB127_1057
; %bb.1050:
	ds_read_b128 v[1:4], v134
	v_cmp_ne_u32_e32 vcc_lo, 1, v135
	s_cbranch_vccnz .LBB127_1052
; %bb.1051:
	s_clause 0x3
	buffer_load_dword v136, v133, s[0:3], 0 offen offset:8
	buffer_load_dword v137, v133, s[0:3], 0 offen offset:12
	buffer_load_dword v140, v133, s[0:3], 0 offen
	buffer_load_dword v141, v133, s[0:3], 0 offen offset:4
	s_waitcnt vmcnt(2) lgkmcnt(0)
	v_mul_f64 v[142:143], v[3:4], v[136:137]
	v_mul_f64 v[136:137], v[1:2], v[136:137]
	s_waitcnt vmcnt(0)
	v_fma_f64 v[1:2], v[1:2], v[140:141], -v[142:143]
	v_fma_f64 v[3:4], v[3:4], v[140:141], v[136:137]
.LBB127_1052:
	s_mov_b32 s5, exec_lo
	v_cmpx_ne_u32_e32 21, v0
	s_cbranch_execz .LBB127_1056
; %bb.1053:
	v_add_nc_u32_e32 v136, 0x410, v139
	v_add3_u32 v137, 0, v139, 16
	v_mov_b32_e32 v138, v0
	s_mov_b32 s6, 0
	.p2align	6
.LBB127_1054:                           ; =>This Inner Loop Header: Depth=1
	s_clause 0x3
	buffer_load_dword v144, v137, s[0:3], 0 offen offset:8
	buffer_load_dword v145, v137, s[0:3], 0 offen offset:12
	buffer_load_dword v146, v137, s[0:3], 0 offen
	buffer_load_dword v147, v137, s[0:3], 0 offen offset:4
	ds_read_b128 v[140:143], v136
	v_add_nc_u32_e32 v138, 1, v138
	v_add_nc_u32_e32 v136, 16, v136
	;; [unrolled: 1-line block ×3, first 2 shown]
	v_cmp_lt_u32_e32 vcc_lo, 20, v138
	s_or_b32 s6, vcc_lo, s6
	s_waitcnt vmcnt(2) lgkmcnt(0)
	v_mul_f64 v[148:149], v[142:143], v[144:145]
	v_mul_f64 v[144:145], v[140:141], v[144:145]
	s_waitcnt vmcnt(0)
	v_fma_f64 v[140:141], v[140:141], v[146:147], -v[148:149]
	v_fma_f64 v[142:143], v[142:143], v[146:147], v[144:145]
	v_add_f64 v[1:2], v[1:2], v[140:141]
	v_add_f64 v[3:4], v[3:4], v[142:143]
	s_andn2_b32 exec_lo, exec_lo, s6
	s_cbranch_execnz .LBB127_1054
; %bb.1055:
	s_or_b32 exec_lo, exec_lo, s6
.LBB127_1056:
	s_or_b32 exec_lo, exec_lo, s5
	v_mov_b32_e32 v136, 0
	ds_read_b128 v[140:143], v136 offset:352
	s_waitcnt lgkmcnt(0)
	v_mul_f64 v[136:137], v[3:4], v[142:143]
	v_mul_f64 v[142:143], v[1:2], v[142:143]
	v_fma_f64 v[1:2], v[1:2], v[140:141], -v[136:137]
	v_fma_f64 v[3:4], v[3:4], v[140:141], v[142:143]
	buffer_store_dword v2, off, s[0:3], 0 offset:356
	buffer_store_dword v1, off, s[0:3], 0 offset:352
	;; [unrolled: 1-line block ×4, first 2 shown]
.LBB127_1057:
	s_or_b32 exec_lo, exec_lo, s4
	v_mov_b32_e32 v4, s50
	s_mov_b32 s4, exec_lo
	s_clause 0x3
	buffer_load_dword v1, v4, s[0:3], 0 offen
	buffer_load_dword v2, v4, s[0:3], 0 offen offset:4
	buffer_load_dword v3, v4, s[0:3], 0 offen offset:8
	;; [unrolled: 1-line block ×3, first 2 shown]
	s_waitcnt vmcnt(0)
	ds_write_b128 v134, v[1:4]
	s_waitcnt lgkmcnt(0)
	s_waitcnt_vscnt null, 0x0
	s_barrier
	buffer_gl0_inv
	v_cmpx_gt_u32_e32 23, v0
	s_cbranch_execz .LBB127_1065
; %bb.1058:
	ds_read_b128 v[1:4], v134
	v_cmp_ne_u32_e32 vcc_lo, 1, v135
	s_cbranch_vccnz .LBB127_1060
; %bb.1059:
	s_clause 0x3
	buffer_load_dword v136, v133, s[0:3], 0 offen offset:8
	buffer_load_dword v137, v133, s[0:3], 0 offen offset:12
	buffer_load_dword v140, v133, s[0:3], 0 offen
	buffer_load_dword v141, v133, s[0:3], 0 offen offset:4
	s_waitcnt vmcnt(2) lgkmcnt(0)
	v_mul_f64 v[142:143], v[3:4], v[136:137]
	v_mul_f64 v[136:137], v[1:2], v[136:137]
	s_waitcnt vmcnt(0)
	v_fma_f64 v[1:2], v[1:2], v[140:141], -v[142:143]
	v_fma_f64 v[3:4], v[3:4], v[140:141], v[136:137]
.LBB127_1060:
	s_mov_b32 s5, exec_lo
	v_cmpx_ne_u32_e32 22, v0
	s_cbranch_execz .LBB127_1064
; %bb.1061:
	v_add_nc_u32_e32 v136, 0x410, v139
	v_add3_u32 v137, 0, v139, 16
	v_mov_b32_e32 v138, v0
	s_mov_b32 s6, 0
	.p2align	6
.LBB127_1062:                           ; =>This Inner Loop Header: Depth=1
	s_clause 0x3
	buffer_load_dword v144, v137, s[0:3], 0 offen offset:8
	buffer_load_dword v145, v137, s[0:3], 0 offen offset:12
	buffer_load_dword v146, v137, s[0:3], 0 offen
	buffer_load_dword v147, v137, s[0:3], 0 offen offset:4
	ds_read_b128 v[140:143], v136
	v_add_nc_u32_e32 v138, 1, v138
	v_add_nc_u32_e32 v136, 16, v136
	;; [unrolled: 1-line block ×3, first 2 shown]
	v_cmp_lt_u32_e32 vcc_lo, 21, v138
	s_or_b32 s6, vcc_lo, s6
	s_waitcnt vmcnt(2) lgkmcnt(0)
	v_mul_f64 v[148:149], v[142:143], v[144:145]
	v_mul_f64 v[144:145], v[140:141], v[144:145]
	s_waitcnt vmcnt(0)
	v_fma_f64 v[140:141], v[140:141], v[146:147], -v[148:149]
	v_fma_f64 v[142:143], v[142:143], v[146:147], v[144:145]
	v_add_f64 v[1:2], v[1:2], v[140:141]
	v_add_f64 v[3:4], v[3:4], v[142:143]
	s_andn2_b32 exec_lo, exec_lo, s6
	s_cbranch_execnz .LBB127_1062
; %bb.1063:
	s_or_b32 exec_lo, exec_lo, s6
.LBB127_1064:
	s_or_b32 exec_lo, exec_lo, s5
	v_mov_b32_e32 v136, 0
	ds_read_b128 v[140:143], v136 offset:368
	s_waitcnt lgkmcnt(0)
	v_mul_f64 v[136:137], v[3:4], v[142:143]
	v_mul_f64 v[142:143], v[1:2], v[142:143]
	v_fma_f64 v[1:2], v[1:2], v[140:141], -v[136:137]
	v_fma_f64 v[3:4], v[3:4], v[140:141], v[142:143]
	buffer_store_dword v2, off, s[0:3], 0 offset:372
	buffer_store_dword v1, off, s[0:3], 0 offset:368
	;; [unrolled: 1-line block ×4, first 2 shown]
.LBB127_1065:
	s_or_b32 exec_lo, exec_lo, s4
	v_mov_b32_e32 v4, s49
	s_mov_b32 s4, exec_lo
	s_clause 0x3
	buffer_load_dword v1, v4, s[0:3], 0 offen
	buffer_load_dword v2, v4, s[0:3], 0 offen offset:4
	buffer_load_dword v3, v4, s[0:3], 0 offen offset:8
	;; [unrolled: 1-line block ×3, first 2 shown]
	s_waitcnt vmcnt(0)
	ds_write_b128 v134, v[1:4]
	s_waitcnt lgkmcnt(0)
	s_waitcnt_vscnt null, 0x0
	s_barrier
	buffer_gl0_inv
	v_cmpx_gt_u32_e32 24, v0
	s_cbranch_execz .LBB127_1073
; %bb.1066:
	ds_read_b128 v[1:4], v134
	v_cmp_ne_u32_e32 vcc_lo, 1, v135
	s_cbranch_vccnz .LBB127_1068
; %bb.1067:
	s_clause 0x3
	buffer_load_dword v136, v133, s[0:3], 0 offen offset:8
	buffer_load_dword v137, v133, s[0:3], 0 offen offset:12
	buffer_load_dword v140, v133, s[0:3], 0 offen
	buffer_load_dword v141, v133, s[0:3], 0 offen offset:4
	s_waitcnt vmcnt(2) lgkmcnt(0)
	v_mul_f64 v[142:143], v[3:4], v[136:137]
	v_mul_f64 v[136:137], v[1:2], v[136:137]
	s_waitcnt vmcnt(0)
	v_fma_f64 v[1:2], v[1:2], v[140:141], -v[142:143]
	v_fma_f64 v[3:4], v[3:4], v[140:141], v[136:137]
.LBB127_1068:
	s_mov_b32 s5, exec_lo
	v_cmpx_ne_u32_e32 23, v0
	s_cbranch_execz .LBB127_1072
; %bb.1069:
	v_add_nc_u32_e32 v136, 0x410, v139
	v_add3_u32 v137, 0, v139, 16
	v_mov_b32_e32 v138, v0
	s_mov_b32 s6, 0
	.p2align	6
.LBB127_1070:                           ; =>This Inner Loop Header: Depth=1
	s_clause 0x3
	buffer_load_dword v144, v137, s[0:3], 0 offen offset:8
	buffer_load_dword v145, v137, s[0:3], 0 offen offset:12
	buffer_load_dword v146, v137, s[0:3], 0 offen
	buffer_load_dword v147, v137, s[0:3], 0 offen offset:4
	ds_read_b128 v[140:143], v136
	v_add_nc_u32_e32 v138, 1, v138
	v_add_nc_u32_e32 v136, 16, v136
	;; [unrolled: 1-line block ×3, first 2 shown]
	v_cmp_lt_u32_e32 vcc_lo, 22, v138
	s_or_b32 s6, vcc_lo, s6
	s_waitcnt vmcnt(2) lgkmcnt(0)
	v_mul_f64 v[148:149], v[142:143], v[144:145]
	v_mul_f64 v[144:145], v[140:141], v[144:145]
	s_waitcnt vmcnt(0)
	v_fma_f64 v[140:141], v[140:141], v[146:147], -v[148:149]
	v_fma_f64 v[142:143], v[142:143], v[146:147], v[144:145]
	v_add_f64 v[1:2], v[1:2], v[140:141]
	v_add_f64 v[3:4], v[3:4], v[142:143]
	s_andn2_b32 exec_lo, exec_lo, s6
	s_cbranch_execnz .LBB127_1070
; %bb.1071:
	s_or_b32 exec_lo, exec_lo, s6
.LBB127_1072:
	s_or_b32 exec_lo, exec_lo, s5
	v_mov_b32_e32 v136, 0
	ds_read_b128 v[140:143], v136 offset:384
	s_waitcnt lgkmcnt(0)
	v_mul_f64 v[136:137], v[3:4], v[142:143]
	v_mul_f64 v[142:143], v[1:2], v[142:143]
	v_fma_f64 v[1:2], v[1:2], v[140:141], -v[136:137]
	v_fma_f64 v[3:4], v[3:4], v[140:141], v[142:143]
	buffer_store_dword v2, off, s[0:3], 0 offset:388
	buffer_store_dword v1, off, s[0:3], 0 offset:384
	;; [unrolled: 1-line block ×4, first 2 shown]
.LBB127_1073:
	s_or_b32 exec_lo, exec_lo, s4
	v_mov_b32_e32 v4, s48
	s_mov_b32 s4, exec_lo
	s_clause 0x3
	buffer_load_dword v1, v4, s[0:3], 0 offen
	buffer_load_dword v2, v4, s[0:3], 0 offen offset:4
	buffer_load_dword v3, v4, s[0:3], 0 offen offset:8
	;; [unrolled: 1-line block ×3, first 2 shown]
	s_waitcnt vmcnt(0)
	ds_write_b128 v134, v[1:4]
	s_waitcnt lgkmcnt(0)
	s_waitcnt_vscnt null, 0x0
	s_barrier
	buffer_gl0_inv
	v_cmpx_gt_u32_e32 25, v0
	s_cbranch_execz .LBB127_1081
; %bb.1074:
	ds_read_b128 v[1:4], v134
	v_cmp_ne_u32_e32 vcc_lo, 1, v135
	s_cbranch_vccnz .LBB127_1076
; %bb.1075:
	s_clause 0x3
	buffer_load_dword v136, v133, s[0:3], 0 offen offset:8
	buffer_load_dword v137, v133, s[0:3], 0 offen offset:12
	buffer_load_dword v140, v133, s[0:3], 0 offen
	buffer_load_dword v141, v133, s[0:3], 0 offen offset:4
	s_waitcnt vmcnt(2) lgkmcnt(0)
	v_mul_f64 v[142:143], v[3:4], v[136:137]
	v_mul_f64 v[136:137], v[1:2], v[136:137]
	s_waitcnt vmcnt(0)
	v_fma_f64 v[1:2], v[1:2], v[140:141], -v[142:143]
	v_fma_f64 v[3:4], v[3:4], v[140:141], v[136:137]
.LBB127_1076:
	s_mov_b32 s5, exec_lo
	v_cmpx_ne_u32_e32 24, v0
	s_cbranch_execz .LBB127_1080
; %bb.1077:
	v_add_nc_u32_e32 v136, 0x410, v139
	v_add3_u32 v137, 0, v139, 16
	v_mov_b32_e32 v138, v0
	s_mov_b32 s6, 0
	.p2align	6
.LBB127_1078:                           ; =>This Inner Loop Header: Depth=1
	s_clause 0x3
	buffer_load_dword v144, v137, s[0:3], 0 offen offset:8
	buffer_load_dword v145, v137, s[0:3], 0 offen offset:12
	buffer_load_dword v146, v137, s[0:3], 0 offen
	buffer_load_dword v147, v137, s[0:3], 0 offen offset:4
	ds_read_b128 v[140:143], v136
	v_add_nc_u32_e32 v138, 1, v138
	v_add_nc_u32_e32 v136, 16, v136
	;; [unrolled: 1-line block ×3, first 2 shown]
	v_cmp_lt_u32_e32 vcc_lo, 23, v138
	s_or_b32 s6, vcc_lo, s6
	s_waitcnt vmcnt(2) lgkmcnt(0)
	v_mul_f64 v[148:149], v[142:143], v[144:145]
	v_mul_f64 v[144:145], v[140:141], v[144:145]
	s_waitcnt vmcnt(0)
	v_fma_f64 v[140:141], v[140:141], v[146:147], -v[148:149]
	v_fma_f64 v[142:143], v[142:143], v[146:147], v[144:145]
	v_add_f64 v[1:2], v[1:2], v[140:141]
	v_add_f64 v[3:4], v[3:4], v[142:143]
	s_andn2_b32 exec_lo, exec_lo, s6
	s_cbranch_execnz .LBB127_1078
; %bb.1079:
	s_or_b32 exec_lo, exec_lo, s6
.LBB127_1080:
	s_or_b32 exec_lo, exec_lo, s5
	v_mov_b32_e32 v136, 0
	ds_read_b128 v[140:143], v136 offset:400
	s_waitcnt lgkmcnt(0)
	v_mul_f64 v[136:137], v[3:4], v[142:143]
	v_mul_f64 v[142:143], v[1:2], v[142:143]
	v_fma_f64 v[1:2], v[1:2], v[140:141], -v[136:137]
	v_fma_f64 v[3:4], v[3:4], v[140:141], v[142:143]
	buffer_store_dword v2, off, s[0:3], 0 offset:404
	buffer_store_dword v1, off, s[0:3], 0 offset:400
	;; [unrolled: 1-line block ×4, first 2 shown]
.LBB127_1081:
	s_or_b32 exec_lo, exec_lo, s4
	v_mov_b32_e32 v4, s47
	s_mov_b32 s4, exec_lo
	s_clause 0x3
	buffer_load_dword v1, v4, s[0:3], 0 offen
	buffer_load_dword v2, v4, s[0:3], 0 offen offset:4
	buffer_load_dword v3, v4, s[0:3], 0 offen offset:8
	;; [unrolled: 1-line block ×3, first 2 shown]
	s_waitcnt vmcnt(0)
	ds_write_b128 v134, v[1:4]
	s_waitcnt lgkmcnt(0)
	s_waitcnt_vscnt null, 0x0
	s_barrier
	buffer_gl0_inv
	v_cmpx_gt_u32_e32 26, v0
	s_cbranch_execz .LBB127_1089
; %bb.1082:
	ds_read_b128 v[1:4], v134
	v_cmp_ne_u32_e32 vcc_lo, 1, v135
	s_cbranch_vccnz .LBB127_1084
; %bb.1083:
	s_clause 0x3
	buffer_load_dword v136, v133, s[0:3], 0 offen offset:8
	buffer_load_dword v137, v133, s[0:3], 0 offen offset:12
	buffer_load_dword v140, v133, s[0:3], 0 offen
	buffer_load_dword v141, v133, s[0:3], 0 offen offset:4
	s_waitcnt vmcnt(2) lgkmcnt(0)
	v_mul_f64 v[142:143], v[3:4], v[136:137]
	v_mul_f64 v[136:137], v[1:2], v[136:137]
	s_waitcnt vmcnt(0)
	v_fma_f64 v[1:2], v[1:2], v[140:141], -v[142:143]
	v_fma_f64 v[3:4], v[3:4], v[140:141], v[136:137]
.LBB127_1084:
	s_mov_b32 s5, exec_lo
	v_cmpx_ne_u32_e32 25, v0
	s_cbranch_execz .LBB127_1088
; %bb.1085:
	v_add_nc_u32_e32 v136, 0x410, v139
	v_add3_u32 v137, 0, v139, 16
	v_mov_b32_e32 v138, v0
	s_mov_b32 s6, 0
	.p2align	6
.LBB127_1086:                           ; =>This Inner Loop Header: Depth=1
	s_clause 0x3
	buffer_load_dword v144, v137, s[0:3], 0 offen offset:8
	buffer_load_dword v145, v137, s[0:3], 0 offen offset:12
	buffer_load_dword v146, v137, s[0:3], 0 offen
	buffer_load_dword v147, v137, s[0:3], 0 offen offset:4
	ds_read_b128 v[140:143], v136
	v_add_nc_u32_e32 v138, 1, v138
	v_add_nc_u32_e32 v136, 16, v136
	;; [unrolled: 1-line block ×3, first 2 shown]
	v_cmp_lt_u32_e32 vcc_lo, 24, v138
	s_or_b32 s6, vcc_lo, s6
	s_waitcnt vmcnt(2) lgkmcnt(0)
	v_mul_f64 v[148:149], v[142:143], v[144:145]
	v_mul_f64 v[144:145], v[140:141], v[144:145]
	s_waitcnt vmcnt(0)
	v_fma_f64 v[140:141], v[140:141], v[146:147], -v[148:149]
	v_fma_f64 v[142:143], v[142:143], v[146:147], v[144:145]
	v_add_f64 v[1:2], v[1:2], v[140:141]
	v_add_f64 v[3:4], v[3:4], v[142:143]
	s_andn2_b32 exec_lo, exec_lo, s6
	s_cbranch_execnz .LBB127_1086
; %bb.1087:
	s_or_b32 exec_lo, exec_lo, s6
.LBB127_1088:
	s_or_b32 exec_lo, exec_lo, s5
	v_mov_b32_e32 v136, 0
	ds_read_b128 v[140:143], v136 offset:416
	s_waitcnt lgkmcnt(0)
	v_mul_f64 v[136:137], v[3:4], v[142:143]
	v_mul_f64 v[142:143], v[1:2], v[142:143]
	v_fma_f64 v[1:2], v[1:2], v[140:141], -v[136:137]
	v_fma_f64 v[3:4], v[3:4], v[140:141], v[142:143]
	buffer_store_dword v2, off, s[0:3], 0 offset:420
	buffer_store_dword v1, off, s[0:3], 0 offset:416
	;; [unrolled: 1-line block ×4, first 2 shown]
.LBB127_1089:
	s_or_b32 exec_lo, exec_lo, s4
	v_mov_b32_e32 v4, s46
	s_mov_b32 s4, exec_lo
	s_clause 0x3
	buffer_load_dword v1, v4, s[0:3], 0 offen
	buffer_load_dword v2, v4, s[0:3], 0 offen offset:4
	buffer_load_dword v3, v4, s[0:3], 0 offen offset:8
	;; [unrolled: 1-line block ×3, first 2 shown]
	s_waitcnt vmcnt(0)
	ds_write_b128 v134, v[1:4]
	s_waitcnt lgkmcnt(0)
	s_waitcnt_vscnt null, 0x0
	s_barrier
	buffer_gl0_inv
	v_cmpx_gt_u32_e32 27, v0
	s_cbranch_execz .LBB127_1097
; %bb.1090:
	ds_read_b128 v[1:4], v134
	v_cmp_ne_u32_e32 vcc_lo, 1, v135
	s_cbranch_vccnz .LBB127_1092
; %bb.1091:
	s_clause 0x3
	buffer_load_dword v136, v133, s[0:3], 0 offen offset:8
	buffer_load_dword v137, v133, s[0:3], 0 offen offset:12
	buffer_load_dword v140, v133, s[0:3], 0 offen
	buffer_load_dword v141, v133, s[0:3], 0 offen offset:4
	s_waitcnt vmcnt(2) lgkmcnt(0)
	v_mul_f64 v[142:143], v[3:4], v[136:137]
	v_mul_f64 v[136:137], v[1:2], v[136:137]
	s_waitcnt vmcnt(0)
	v_fma_f64 v[1:2], v[1:2], v[140:141], -v[142:143]
	v_fma_f64 v[3:4], v[3:4], v[140:141], v[136:137]
.LBB127_1092:
	s_mov_b32 s5, exec_lo
	v_cmpx_ne_u32_e32 26, v0
	s_cbranch_execz .LBB127_1096
; %bb.1093:
	v_add_nc_u32_e32 v136, 0x410, v139
	v_add3_u32 v137, 0, v139, 16
	v_mov_b32_e32 v138, v0
	s_mov_b32 s6, 0
	.p2align	6
.LBB127_1094:                           ; =>This Inner Loop Header: Depth=1
	s_clause 0x3
	buffer_load_dword v144, v137, s[0:3], 0 offen offset:8
	buffer_load_dword v145, v137, s[0:3], 0 offen offset:12
	buffer_load_dword v146, v137, s[0:3], 0 offen
	buffer_load_dword v147, v137, s[0:3], 0 offen offset:4
	ds_read_b128 v[140:143], v136
	v_add_nc_u32_e32 v138, 1, v138
	v_add_nc_u32_e32 v136, 16, v136
	;; [unrolled: 1-line block ×3, first 2 shown]
	v_cmp_lt_u32_e32 vcc_lo, 25, v138
	s_or_b32 s6, vcc_lo, s6
	s_waitcnt vmcnt(2) lgkmcnt(0)
	v_mul_f64 v[148:149], v[142:143], v[144:145]
	v_mul_f64 v[144:145], v[140:141], v[144:145]
	s_waitcnt vmcnt(0)
	v_fma_f64 v[140:141], v[140:141], v[146:147], -v[148:149]
	v_fma_f64 v[142:143], v[142:143], v[146:147], v[144:145]
	v_add_f64 v[1:2], v[1:2], v[140:141]
	v_add_f64 v[3:4], v[3:4], v[142:143]
	s_andn2_b32 exec_lo, exec_lo, s6
	s_cbranch_execnz .LBB127_1094
; %bb.1095:
	s_or_b32 exec_lo, exec_lo, s6
.LBB127_1096:
	s_or_b32 exec_lo, exec_lo, s5
	v_mov_b32_e32 v136, 0
	ds_read_b128 v[140:143], v136 offset:432
	s_waitcnt lgkmcnt(0)
	v_mul_f64 v[136:137], v[3:4], v[142:143]
	v_mul_f64 v[142:143], v[1:2], v[142:143]
	v_fma_f64 v[1:2], v[1:2], v[140:141], -v[136:137]
	v_fma_f64 v[3:4], v[3:4], v[140:141], v[142:143]
	buffer_store_dword v2, off, s[0:3], 0 offset:436
	buffer_store_dword v1, off, s[0:3], 0 offset:432
	;; [unrolled: 1-line block ×4, first 2 shown]
.LBB127_1097:
	s_or_b32 exec_lo, exec_lo, s4
	v_mov_b32_e32 v4, s45
	s_mov_b32 s4, exec_lo
	s_clause 0x3
	buffer_load_dword v1, v4, s[0:3], 0 offen
	buffer_load_dword v2, v4, s[0:3], 0 offen offset:4
	buffer_load_dword v3, v4, s[0:3], 0 offen offset:8
	;; [unrolled: 1-line block ×3, first 2 shown]
	s_waitcnt vmcnt(0)
	ds_write_b128 v134, v[1:4]
	s_waitcnt lgkmcnt(0)
	s_waitcnt_vscnt null, 0x0
	s_barrier
	buffer_gl0_inv
	v_cmpx_gt_u32_e32 28, v0
	s_cbranch_execz .LBB127_1105
; %bb.1098:
	ds_read_b128 v[1:4], v134
	v_cmp_ne_u32_e32 vcc_lo, 1, v135
	s_cbranch_vccnz .LBB127_1100
; %bb.1099:
	s_clause 0x3
	buffer_load_dword v136, v133, s[0:3], 0 offen offset:8
	buffer_load_dword v137, v133, s[0:3], 0 offen offset:12
	buffer_load_dword v140, v133, s[0:3], 0 offen
	buffer_load_dword v141, v133, s[0:3], 0 offen offset:4
	s_waitcnt vmcnt(2) lgkmcnt(0)
	v_mul_f64 v[142:143], v[3:4], v[136:137]
	v_mul_f64 v[136:137], v[1:2], v[136:137]
	s_waitcnt vmcnt(0)
	v_fma_f64 v[1:2], v[1:2], v[140:141], -v[142:143]
	v_fma_f64 v[3:4], v[3:4], v[140:141], v[136:137]
.LBB127_1100:
	s_mov_b32 s5, exec_lo
	v_cmpx_ne_u32_e32 27, v0
	s_cbranch_execz .LBB127_1104
; %bb.1101:
	v_add_nc_u32_e32 v136, 0x410, v139
	v_add3_u32 v137, 0, v139, 16
	v_mov_b32_e32 v138, v0
	s_mov_b32 s6, 0
	.p2align	6
.LBB127_1102:                           ; =>This Inner Loop Header: Depth=1
	s_clause 0x3
	buffer_load_dword v144, v137, s[0:3], 0 offen offset:8
	buffer_load_dword v145, v137, s[0:3], 0 offen offset:12
	buffer_load_dword v146, v137, s[0:3], 0 offen
	buffer_load_dword v147, v137, s[0:3], 0 offen offset:4
	ds_read_b128 v[140:143], v136
	v_add_nc_u32_e32 v138, 1, v138
	v_add_nc_u32_e32 v136, 16, v136
	;; [unrolled: 1-line block ×3, first 2 shown]
	v_cmp_lt_u32_e32 vcc_lo, 26, v138
	s_or_b32 s6, vcc_lo, s6
	s_waitcnt vmcnt(2) lgkmcnt(0)
	v_mul_f64 v[148:149], v[142:143], v[144:145]
	v_mul_f64 v[144:145], v[140:141], v[144:145]
	s_waitcnt vmcnt(0)
	v_fma_f64 v[140:141], v[140:141], v[146:147], -v[148:149]
	v_fma_f64 v[142:143], v[142:143], v[146:147], v[144:145]
	v_add_f64 v[1:2], v[1:2], v[140:141]
	v_add_f64 v[3:4], v[3:4], v[142:143]
	s_andn2_b32 exec_lo, exec_lo, s6
	s_cbranch_execnz .LBB127_1102
; %bb.1103:
	s_or_b32 exec_lo, exec_lo, s6
.LBB127_1104:
	s_or_b32 exec_lo, exec_lo, s5
	v_mov_b32_e32 v136, 0
	ds_read_b128 v[140:143], v136 offset:448
	s_waitcnt lgkmcnt(0)
	v_mul_f64 v[136:137], v[3:4], v[142:143]
	v_mul_f64 v[142:143], v[1:2], v[142:143]
	v_fma_f64 v[1:2], v[1:2], v[140:141], -v[136:137]
	v_fma_f64 v[3:4], v[3:4], v[140:141], v[142:143]
	buffer_store_dword v2, off, s[0:3], 0 offset:452
	buffer_store_dword v1, off, s[0:3], 0 offset:448
	;; [unrolled: 1-line block ×4, first 2 shown]
.LBB127_1105:
	s_or_b32 exec_lo, exec_lo, s4
	v_mov_b32_e32 v4, s44
	s_mov_b32 s4, exec_lo
	s_clause 0x3
	buffer_load_dword v1, v4, s[0:3], 0 offen
	buffer_load_dword v2, v4, s[0:3], 0 offen offset:4
	buffer_load_dword v3, v4, s[0:3], 0 offen offset:8
	;; [unrolled: 1-line block ×3, first 2 shown]
	s_waitcnt vmcnt(0)
	ds_write_b128 v134, v[1:4]
	s_waitcnt lgkmcnt(0)
	s_waitcnt_vscnt null, 0x0
	s_barrier
	buffer_gl0_inv
	v_cmpx_gt_u32_e32 29, v0
	s_cbranch_execz .LBB127_1113
; %bb.1106:
	ds_read_b128 v[1:4], v134
	v_cmp_ne_u32_e32 vcc_lo, 1, v135
	s_cbranch_vccnz .LBB127_1108
; %bb.1107:
	s_clause 0x3
	buffer_load_dword v136, v133, s[0:3], 0 offen offset:8
	buffer_load_dword v137, v133, s[0:3], 0 offen offset:12
	buffer_load_dword v140, v133, s[0:3], 0 offen
	buffer_load_dword v141, v133, s[0:3], 0 offen offset:4
	s_waitcnt vmcnt(2) lgkmcnt(0)
	v_mul_f64 v[142:143], v[3:4], v[136:137]
	v_mul_f64 v[136:137], v[1:2], v[136:137]
	s_waitcnt vmcnt(0)
	v_fma_f64 v[1:2], v[1:2], v[140:141], -v[142:143]
	v_fma_f64 v[3:4], v[3:4], v[140:141], v[136:137]
.LBB127_1108:
	s_mov_b32 s5, exec_lo
	v_cmpx_ne_u32_e32 28, v0
	s_cbranch_execz .LBB127_1112
; %bb.1109:
	v_add_nc_u32_e32 v136, 0x410, v139
	v_add3_u32 v137, 0, v139, 16
	v_mov_b32_e32 v138, v0
	s_mov_b32 s6, 0
	.p2align	6
.LBB127_1110:                           ; =>This Inner Loop Header: Depth=1
	s_clause 0x3
	buffer_load_dword v144, v137, s[0:3], 0 offen offset:8
	buffer_load_dword v145, v137, s[0:3], 0 offen offset:12
	buffer_load_dword v146, v137, s[0:3], 0 offen
	buffer_load_dword v147, v137, s[0:3], 0 offen offset:4
	ds_read_b128 v[140:143], v136
	v_add_nc_u32_e32 v138, 1, v138
	v_add_nc_u32_e32 v136, 16, v136
	;; [unrolled: 1-line block ×3, first 2 shown]
	v_cmp_lt_u32_e32 vcc_lo, 27, v138
	s_or_b32 s6, vcc_lo, s6
	s_waitcnt vmcnt(2) lgkmcnt(0)
	v_mul_f64 v[148:149], v[142:143], v[144:145]
	v_mul_f64 v[144:145], v[140:141], v[144:145]
	s_waitcnt vmcnt(0)
	v_fma_f64 v[140:141], v[140:141], v[146:147], -v[148:149]
	v_fma_f64 v[142:143], v[142:143], v[146:147], v[144:145]
	v_add_f64 v[1:2], v[1:2], v[140:141]
	v_add_f64 v[3:4], v[3:4], v[142:143]
	s_andn2_b32 exec_lo, exec_lo, s6
	s_cbranch_execnz .LBB127_1110
; %bb.1111:
	s_or_b32 exec_lo, exec_lo, s6
.LBB127_1112:
	s_or_b32 exec_lo, exec_lo, s5
	v_mov_b32_e32 v136, 0
	ds_read_b128 v[140:143], v136 offset:464
	s_waitcnt lgkmcnt(0)
	v_mul_f64 v[136:137], v[3:4], v[142:143]
	v_mul_f64 v[142:143], v[1:2], v[142:143]
	v_fma_f64 v[1:2], v[1:2], v[140:141], -v[136:137]
	v_fma_f64 v[3:4], v[3:4], v[140:141], v[142:143]
	buffer_store_dword v2, off, s[0:3], 0 offset:468
	buffer_store_dword v1, off, s[0:3], 0 offset:464
	;; [unrolled: 1-line block ×4, first 2 shown]
.LBB127_1113:
	s_or_b32 exec_lo, exec_lo, s4
	v_mov_b32_e32 v4, s43
	s_mov_b32 s4, exec_lo
	s_clause 0x3
	buffer_load_dword v1, v4, s[0:3], 0 offen
	buffer_load_dword v2, v4, s[0:3], 0 offen offset:4
	buffer_load_dword v3, v4, s[0:3], 0 offen offset:8
	;; [unrolled: 1-line block ×3, first 2 shown]
	s_waitcnt vmcnt(0)
	ds_write_b128 v134, v[1:4]
	s_waitcnt lgkmcnt(0)
	s_waitcnt_vscnt null, 0x0
	s_barrier
	buffer_gl0_inv
	v_cmpx_gt_u32_e32 30, v0
	s_cbranch_execz .LBB127_1121
; %bb.1114:
	ds_read_b128 v[1:4], v134
	v_cmp_ne_u32_e32 vcc_lo, 1, v135
	s_cbranch_vccnz .LBB127_1116
; %bb.1115:
	s_clause 0x3
	buffer_load_dword v136, v133, s[0:3], 0 offen offset:8
	buffer_load_dword v137, v133, s[0:3], 0 offen offset:12
	buffer_load_dword v140, v133, s[0:3], 0 offen
	buffer_load_dword v141, v133, s[0:3], 0 offen offset:4
	s_waitcnt vmcnt(2) lgkmcnt(0)
	v_mul_f64 v[142:143], v[3:4], v[136:137]
	v_mul_f64 v[136:137], v[1:2], v[136:137]
	s_waitcnt vmcnt(0)
	v_fma_f64 v[1:2], v[1:2], v[140:141], -v[142:143]
	v_fma_f64 v[3:4], v[3:4], v[140:141], v[136:137]
.LBB127_1116:
	s_mov_b32 s5, exec_lo
	v_cmpx_ne_u32_e32 29, v0
	s_cbranch_execz .LBB127_1120
; %bb.1117:
	v_add_nc_u32_e32 v136, 0x410, v139
	v_add3_u32 v137, 0, v139, 16
	v_mov_b32_e32 v138, v0
	s_mov_b32 s6, 0
	.p2align	6
.LBB127_1118:                           ; =>This Inner Loop Header: Depth=1
	s_clause 0x3
	buffer_load_dword v144, v137, s[0:3], 0 offen offset:8
	buffer_load_dword v145, v137, s[0:3], 0 offen offset:12
	buffer_load_dword v146, v137, s[0:3], 0 offen
	buffer_load_dword v147, v137, s[0:3], 0 offen offset:4
	ds_read_b128 v[140:143], v136
	v_add_nc_u32_e32 v138, 1, v138
	v_add_nc_u32_e32 v136, 16, v136
	;; [unrolled: 1-line block ×3, first 2 shown]
	v_cmp_lt_u32_e32 vcc_lo, 28, v138
	s_or_b32 s6, vcc_lo, s6
	s_waitcnt vmcnt(2) lgkmcnt(0)
	v_mul_f64 v[148:149], v[142:143], v[144:145]
	v_mul_f64 v[144:145], v[140:141], v[144:145]
	s_waitcnt vmcnt(0)
	v_fma_f64 v[140:141], v[140:141], v[146:147], -v[148:149]
	v_fma_f64 v[142:143], v[142:143], v[146:147], v[144:145]
	v_add_f64 v[1:2], v[1:2], v[140:141]
	v_add_f64 v[3:4], v[3:4], v[142:143]
	s_andn2_b32 exec_lo, exec_lo, s6
	s_cbranch_execnz .LBB127_1118
; %bb.1119:
	s_or_b32 exec_lo, exec_lo, s6
.LBB127_1120:
	s_or_b32 exec_lo, exec_lo, s5
	v_mov_b32_e32 v136, 0
	ds_read_b128 v[140:143], v136 offset:480
	s_waitcnt lgkmcnt(0)
	v_mul_f64 v[136:137], v[3:4], v[142:143]
	v_mul_f64 v[142:143], v[1:2], v[142:143]
	v_fma_f64 v[1:2], v[1:2], v[140:141], -v[136:137]
	v_fma_f64 v[3:4], v[3:4], v[140:141], v[142:143]
	buffer_store_dword v2, off, s[0:3], 0 offset:484
	buffer_store_dword v1, off, s[0:3], 0 offset:480
	;; [unrolled: 1-line block ×4, first 2 shown]
.LBB127_1121:
	s_or_b32 exec_lo, exec_lo, s4
	v_mov_b32_e32 v4, s42
	s_mov_b32 s4, exec_lo
	s_clause 0x3
	buffer_load_dword v1, v4, s[0:3], 0 offen
	buffer_load_dword v2, v4, s[0:3], 0 offen offset:4
	buffer_load_dword v3, v4, s[0:3], 0 offen offset:8
	;; [unrolled: 1-line block ×3, first 2 shown]
	s_waitcnt vmcnt(0)
	ds_write_b128 v134, v[1:4]
	s_waitcnt lgkmcnt(0)
	s_waitcnt_vscnt null, 0x0
	s_barrier
	buffer_gl0_inv
	v_cmpx_gt_u32_e32 31, v0
	s_cbranch_execz .LBB127_1129
; %bb.1122:
	ds_read_b128 v[1:4], v134
	v_cmp_ne_u32_e32 vcc_lo, 1, v135
	s_cbranch_vccnz .LBB127_1124
; %bb.1123:
	s_clause 0x3
	buffer_load_dword v136, v133, s[0:3], 0 offen offset:8
	buffer_load_dword v137, v133, s[0:3], 0 offen offset:12
	buffer_load_dword v140, v133, s[0:3], 0 offen
	buffer_load_dword v141, v133, s[0:3], 0 offen offset:4
	s_waitcnt vmcnt(2) lgkmcnt(0)
	v_mul_f64 v[142:143], v[3:4], v[136:137]
	v_mul_f64 v[136:137], v[1:2], v[136:137]
	s_waitcnt vmcnt(0)
	v_fma_f64 v[1:2], v[1:2], v[140:141], -v[142:143]
	v_fma_f64 v[3:4], v[3:4], v[140:141], v[136:137]
.LBB127_1124:
	s_mov_b32 s5, exec_lo
	v_cmpx_ne_u32_e32 30, v0
	s_cbranch_execz .LBB127_1128
; %bb.1125:
	v_add_nc_u32_e32 v136, 0x410, v139
	v_add3_u32 v137, 0, v139, 16
	v_mov_b32_e32 v138, v0
	s_mov_b32 s6, 0
	.p2align	6
.LBB127_1126:                           ; =>This Inner Loop Header: Depth=1
	s_clause 0x3
	buffer_load_dword v144, v137, s[0:3], 0 offen offset:8
	buffer_load_dword v145, v137, s[0:3], 0 offen offset:12
	buffer_load_dword v146, v137, s[0:3], 0 offen
	buffer_load_dword v147, v137, s[0:3], 0 offen offset:4
	ds_read_b128 v[140:143], v136
	v_add_nc_u32_e32 v138, 1, v138
	v_add_nc_u32_e32 v136, 16, v136
	;; [unrolled: 1-line block ×3, first 2 shown]
	v_cmp_lt_u32_e32 vcc_lo, 29, v138
	s_or_b32 s6, vcc_lo, s6
	s_waitcnt vmcnt(2) lgkmcnt(0)
	v_mul_f64 v[148:149], v[142:143], v[144:145]
	v_mul_f64 v[144:145], v[140:141], v[144:145]
	s_waitcnt vmcnt(0)
	v_fma_f64 v[140:141], v[140:141], v[146:147], -v[148:149]
	v_fma_f64 v[142:143], v[142:143], v[146:147], v[144:145]
	v_add_f64 v[1:2], v[1:2], v[140:141]
	v_add_f64 v[3:4], v[3:4], v[142:143]
	s_andn2_b32 exec_lo, exec_lo, s6
	s_cbranch_execnz .LBB127_1126
; %bb.1127:
	s_or_b32 exec_lo, exec_lo, s6
.LBB127_1128:
	s_or_b32 exec_lo, exec_lo, s5
	v_mov_b32_e32 v136, 0
	ds_read_b128 v[140:143], v136 offset:496
	s_waitcnt lgkmcnt(0)
	v_mul_f64 v[136:137], v[3:4], v[142:143]
	v_mul_f64 v[142:143], v[1:2], v[142:143]
	v_fma_f64 v[1:2], v[1:2], v[140:141], -v[136:137]
	v_fma_f64 v[3:4], v[3:4], v[140:141], v[142:143]
	buffer_store_dword v2, off, s[0:3], 0 offset:500
	buffer_store_dword v1, off, s[0:3], 0 offset:496
	;; [unrolled: 1-line block ×4, first 2 shown]
.LBB127_1129:
	s_or_b32 exec_lo, exec_lo, s4
	v_mov_b32_e32 v4, s41
	s_mov_b32 s4, exec_lo
	s_clause 0x3
	buffer_load_dword v1, v4, s[0:3], 0 offen
	buffer_load_dword v2, v4, s[0:3], 0 offen offset:4
	buffer_load_dword v3, v4, s[0:3], 0 offen offset:8
	;; [unrolled: 1-line block ×3, first 2 shown]
	s_waitcnt vmcnt(0)
	ds_write_b128 v134, v[1:4]
	s_waitcnt lgkmcnt(0)
	s_waitcnt_vscnt null, 0x0
	s_barrier
	buffer_gl0_inv
	v_cmpx_gt_u32_e32 32, v0
	s_cbranch_execz .LBB127_1137
; %bb.1130:
	ds_read_b128 v[1:4], v134
	v_cmp_ne_u32_e32 vcc_lo, 1, v135
	s_cbranch_vccnz .LBB127_1132
; %bb.1131:
	s_clause 0x3
	buffer_load_dword v136, v133, s[0:3], 0 offen offset:8
	buffer_load_dword v137, v133, s[0:3], 0 offen offset:12
	buffer_load_dword v140, v133, s[0:3], 0 offen
	buffer_load_dword v141, v133, s[0:3], 0 offen offset:4
	s_waitcnt vmcnt(2) lgkmcnt(0)
	v_mul_f64 v[142:143], v[3:4], v[136:137]
	v_mul_f64 v[136:137], v[1:2], v[136:137]
	s_waitcnt vmcnt(0)
	v_fma_f64 v[1:2], v[1:2], v[140:141], -v[142:143]
	v_fma_f64 v[3:4], v[3:4], v[140:141], v[136:137]
.LBB127_1132:
	s_mov_b32 s5, exec_lo
	v_cmpx_ne_u32_e32 31, v0
	s_cbranch_execz .LBB127_1136
; %bb.1133:
	v_add_nc_u32_e32 v136, 0x410, v139
	v_add3_u32 v137, 0, v139, 16
	v_mov_b32_e32 v138, v0
	s_mov_b32 s6, 0
	.p2align	6
.LBB127_1134:                           ; =>This Inner Loop Header: Depth=1
	s_clause 0x3
	buffer_load_dword v144, v137, s[0:3], 0 offen offset:8
	buffer_load_dword v145, v137, s[0:3], 0 offen offset:12
	buffer_load_dword v146, v137, s[0:3], 0 offen
	buffer_load_dword v147, v137, s[0:3], 0 offen offset:4
	ds_read_b128 v[140:143], v136
	v_add_nc_u32_e32 v138, 1, v138
	v_add_nc_u32_e32 v136, 16, v136
	;; [unrolled: 1-line block ×3, first 2 shown]
	v_cmp_lt_u32_e32 vcc_lo, 30, v138
	s_or_b32 s6, vcc_lo, s6
	s_waitcnt vmcnt(2) lgkmcnt(0)
	v_mul_f64 v[148:149], v[142:143], v[144:145]
	v_mul_f64 v[144:145], v[140:141], v[144:145]
	s_waitcnt vmcnt(0)
	v_fma_f64 v[140:141], v[140:141], v[146:147], -v[148:149]
	v_fma_f64 v[142:143], v[142:143], v[146:147], v[144:145]
	v_add_f64 v[1:2], v[1:2], v[140:141]
	v_add_f64 v[3:4], v[3:4], v[142:143]
	s_andn2_b32 exec_lo, exec_lo, s6
	s_cbranch_execnz .LBB127_1134
; %bb.1135:
	s_or_b32 exec_lo, exec_lo, s6
.LBB127_1136:
	s_or_b32 exec_lo, exec_lo, s5
	v_mov_b32_e32 v136, 0
	ds_read_b128 v[140:143], v136 offset:512
	s_waitcnt lgkmcnt(0)
	v_mul_f64 v[136:137], v[3:4], v[142:143]
	v_mul_f64 v[142:143], v[1:2], v[142:143]
	v_fma_f64 v[1:2], v[1:2], v[140:141], -v[136:137]
	v_fma_f64 v[3:4], v[3:4], v[140:141], v[142:143]
	buffer_store_dword v2, off, s[0:3], 0 offset:516
	buffer_store_dword v1, off, s[0:3], 0 offset:512
	;; [unrolled: 1-line block ×4, first 2 shown]
.LBB127_1137:
	s_or_b32 exec_lo, exec_lo, s4
	v_mov_b32_e32 v4, s40
	s_mov_b32 s4, exec_lo
	s_clause 0x3
	buffer_load_dword v1, v4, s[0:3], 0 offen
	buffer_load_dword v2, v4, s[0:3], 0 offen offset:4
	buffer_load_dword v3, v4, s[0:3], 0 offen offset:8
	;; [unrolled: 1-line block ×3, first 2 shown]
	s_waitcnt vmcnt(0)
	ds_write_b128 v134, v[1:4]
	s_waitcnt lgkmcnt(0)
	s_waitcnt_vscnt null, 0x0
	s_barrier
	buffer_gl0_inv
	v_cmpx_gt_u32_e32 33, v0
	s_cbranch_execz .LBB127_1145
; %bb.1138:
	ds_read_b128 v[1:4], v134
	v_cmp_ne_u32_e32 vcc_lo, 1, v135
	s_cbranch_vccnz .LBB127_1140
; %bb.1139:
	s_clause 0x3
	buffer_load_dword v136, v133, s[0:3], 0 offen offset:8
	buffer_load_dword v137, v133, s[0:3], 0 offen offset:12
	buffer_load_dword v140, v133, s[0:3], 0 offen
	buffer_load_dword v141, v133, s[0:3], 0 offen offset:4
	s_waitcnt vmcnt(2) lgkmcnt(0)
	v_mul_f64 v[142:143], v[3:4], v[136:137]
	v_mul_f64 v[136:137], v[1:2], v[136:137]
	s_waitcnt vmcnt(0)
	v_fma_f64 v[1:2], v[1:2], v[140:141], -v[142:143]
	v_fma_f64 v[3:4], v[3:4], v[140:141], v[136:137]
.LBB127_1140:
	s_mov_b32 s5, exec_lo
	v_cmpx_ne_u32_e32 32, v0
	s_cbranch_execz .LBB127_1144
; %bb.1141:
	v_add_nc_u32_e32 v136, 0x410, v139
	v_add3_u32 v137, 0, v139, 16
	v_mov_b32_e32 v138, v0
	s_mov_b32 s6, 0
	.p2align	6
.LBB127_1142:                           ; =>This Inner Loop Header: Depth=1
	s_clause 0x3
	buffer_load_dword v144, v137, s[0:3], 0 offen offset:8
	buffer_load_dword v145, v137, s[0:3], 0 offen offset:12
	buffer_load_dword v146, v137, s[0:3], 0 offen
	buffer_load_dword v147, v137, s[0:3], 0 offen offset:4
	ds_read_b128 v[140:143], v136
	v_add_nc_u32_e32 v138, 1, v138
	v_add_nc_u32_e32 v136, 16, v136
	;; [unrolled: 1-line block ×3, first 2 shown]
	v_cmp_lt_u32_e32 vcc_lo, 31, v138
	s_or_b32 s6, vcc_lo, s6
	s_waitcnt vmcnt(2) lgkmcnt(0)
	v_mul_f64 v[148:149], v[142:143], v[144:145]
	v_mul_f64 v[144:145], v[140:141], v[144:145]
	s_waitcnt vmcnt(0)
	v_fma_f64 v[140:141], v[140:141], v[146:147], -v[148:149]
	v_fma_f64 v[142:143], v[142:143], v[146:147], v[144:145]
	v_add_f64 v[1:2], v[1:2], v[140:141]
	v_add_f64 v[3:4], v[3:4], v[142:143]
	s_andn2_b32 exec_lo, exec_lo, s6
	s_cbranch_execnz .LBB127_1142
; %bb.1143:
	s_or_b32 exec_lo, exec_lo, s6
.LBB127_1144:
	s_or_b32 exec_lo, exec_lo, s5
	v_mov_b32_e32 v136, 0
	ds_read_b128 v[140:143], v136 offset:528
	s_waitcnt lgkmcnt(0)
	v_mul_f64 v[136:137], v[3:4], v[142:143]
	v_mul_f64 v[142:143], v[1:2], v[142:143]
	v_fma_f64 v[1:2], v[1:2], v[140:141], -v[136:137]
	v_fma_f64 v[3:4], v[3:4], v[140:141], v[142:143]
	buffer_store_dword v2, off, s[0:3], 0 offset:532
	buffer_store_dword v1, off, s[0:3], 0 offset:528
	;; [unrolled: 1-line block ×4, first 2 shown]
.LBB127_1145:
	s_or_b32 exec_lo, exec_lo, s4
	v_mov_b32_e32 v4, s39
	s_mov_b32 s4, exec_lo
	s_clause 0x3
	buffer_load_dword v1, v4, s[0:3], 0 offen
	buffer_load_dword v2, v4, s[0:3], 0 offen offset:4
	buffer_load_dword v3, v4, s[0:3], 0 offen offset:8
	;; [unrolled: 1-line block ×3, first 2 shown]
	s_waitcnt vmcnt(0)
	ds_write_b128 v134, v[1:4]
	s_waitcnt lgkmcnt(0)
	s_waitcnt_vscnt null, 0x0
	s_barrier
	buffer_gl0_inv
	v_cmpx_gt_u32_e32 34, v0
	s_cbranch_execz .LBB127_1153
; %bb.1146:
	ds_read_b128 v[1:4], v134
	v_cmp_ne_u32_e32 vcc_lo, 1, v135
	s_cbranch_vccnz .LBB127_1148
; %bb.1147:
	s_clause 0x3
	buffer_load_dword v136, v133, s[0:3], 0 offen offset:8
	buffer_load_dword v137, v133, s[0:3], 0 offen offset:12
	buffer_load_dword v140, v133, s[0:3], 0 offen
	buffer_load_dword v141, v133, s[0:3], 0 offen offset:4
	s_waitcnt vmcnt(2) lgkmcnt(0)
	v_mul_f64 v[142:143], v[3:4], v[136:137]
	v_mul_f64 v[136:137], v[1:2], v[136:137]
	s_waitcnt vmcnt(0)
	v_fma_f64 v[1:2], v[1:2], v[140:141], -v[142:143]
	v_fma_f64 v[3:4], v[3:4], v[140:141], v[136:137]
.LBB127_1148:
	s_mov_b32 s5, exec_lo
	v_cmpx_ne_u32_e32 33, v0
	s_cbranch_execz .LBB127_1152
; %bb.1149:
	v_add_nc_u32_e32 v136, 0x410, v139
	v_add3_u32 v137, 0, v139, 16
	v_mov_b32_e32 v138, v0
	s_mov_b32 s6, 0
	.p2align	6
.LBB127_1150:                           ; =>This Inner Loop Header: Depth=1
	s_clause 0x3
	buffer_load_dword v144, v137, s[0:3], 0 offen offset:8
	buffer_load_dword v145, v137, s[0:3], 0 offen offset:12
	buffer_load_dword v146, v137, s[0:3], 0 offen
	buffer_load_dword v147, v137, s[0:3], 0 offen offset:4
	ds_read_b128 v[140:143], v136
	v_add_nc_u32_e32 v138, 1, v138
	v_add_nc_u32_e32 v136, 16, v136
	;; [unrolled: 1-line block ×3, first 2 shown]
	v_cmp_lt_u32_e32 vcc_lo, 32, v138
	s_or_b32 s6, vcc_lo, s6
	s_waitcnt vmcnt(2) lgkmcnt(0)
	v_mul_f64 v[148:149], v[142:143], v[144:145]
	v_mul_f64 v[144:145], v[140:141], v[144:145]
	s_waitcnt vmcnt(0)
	v_fma_f64 v[140:141], v[140:141], v[146:147], -v[148:149]
	v_fma_f64 v[142:143], v[142:143], v[146:147], v[144:145]
	v_add_f64 v[1:2], v[1:2], v[140:141]
	v_add_f64 v[3:4], v[3:4], v[142:143]
	s_andn2_b32 exec_lo, exec_lo, s6
	s_cbranch_execnz .LBB127_1150
; %bb.1151:
	s_or_b32 exec_lo, exec_lo, s6
.LBB127_1152:
	s_or_b32 exec_lo, exec_lo, s5
	v_mov_b32_e32 v136, 0
	ds_read_b128 v[140:143], v136 offset:544
	s_waitcnt lgkmcnt(0)
	v_mul_f64 v[136:137], v[3:4], v[142:143]
	v_mul_f64 v[142:143], v[1:2], v[142:143]
	v_fma_f64 v[1:2], v[1:2], v[140:141], -v[136:137]
	v_fma_f64 v[3:4], v[3:4], v[140:141], v[142:143]
	buffer_store_dword v2, off, s[0:3], 0 offset:548
	buffer_store_dword v1, off, s[0:3], 0 offset:544
	;; [unrolled: 1-line block ×4, first 2 shown]
.LBB127_1153:
	s_or_b32 exec_lo, exec_lo, s4
	v_mov_b32_e32 v4, s38
	s_mov_b32 s4, exec_lo
	s_clause 0x3
	buffer_load_dword v1, v4, s[0:3], 0 offen
	buffer_load_dword v2, v4, s[0:3], 0 offen offset:4
	buffer_load_dword v3, v4, s[0:3], 0 offen offset:8
	;; [unrolled: 1-line block ×3, first 2 shown]
	s_waitcnt vmcnt(0)
	ds_write_b128 v134, v[1:4]
	s_waitcnt lgkmcnt(0)
	s_waitcnt_vscnt null, 0x0
	s_barrier
	buffer_gl0_inv
	v_cmpx_gt_u32_e32 35, v0
	s_cbranch_execz .LBB127_1161
; %bb.1154:
	ds_read_b128 v[1:4], v134
	v_cmp_ne_u32_e32 vcc_lo, 1, v135
	s_cbranch_vccnz .LBB127_1156
; %bb.1155:
	s_clause 0x3
	buffer_load_dword v136, v133, s[0:3], 0 offen offset:8
	buffer_load_dword v137, v133, s[0:3], 0 offen offset:12
	buffer_load_dword v140, v133, s[0:3], 0 offen
	buffer_load_dword v141, v133, s[0:3], 0 offen offset:4
	s_waitcnt vmcnt(2) lgkmcnt(0)
	v_mul_f64 v[142:143], v[3:4], v[136:137]
	v_mul_f64 v[136:137], v[1:2], v[136:137]
	s_waitcnt vmcnt(0)
	v_fma_f64 v[1:2], v[1:2], v[140:141], -v[142:143]
	v_fma_f64 v[3:4], v[3:4], v[140:141], v[136:137]
.LBB127_1156:
	s_mov_b32 s5, exec_lo
	v_cmpx_ne_u32_e32 34, v0
	s_cbranch_execz .LBB127_1160
; %bb.1157:
	v_add_nc_u32_e32 v136, 0x410, v139
	v_add3_u32 v137, 0, v139, 16
	v_mov_b32_e32 v138, v0
	s_mov_b32 s6, 0
	.p2align	6
.LBB127_1158:                           ; =>This Inner Loop Header: Depth=1
	s_clause 0x3
	buffer_load_dword v144, v137, s[0:3], 0 offen offset:8
	buffer_load_dword v145, v137, s[0:3], 0 offen offset:12
	buffer_load_dword v146, v137, s[0:3], 0 offen
	buffer_load_dword v147, v137, s[0:3], 0 offen offset:4
	ds_read_b128 v[140:143], v136
	v_add_nc_u32_e32 v138, 1, v138
	v_add_nc_u32_e32 v136, 16, v136
	;; [unrolled: 1-line block ×3, first 2 shown]
	v_cmp_lt_u32_e32 vcc_lo, 33, v138
	s_or_b32 s6, vcc_lo, s6
	s_waitcnt vmcnt(2) lgkmcnt(0)
	v_mul_f64 v[148:149], v[142:143], v[144:145]
	v_mul_f64 v[144:145], v[140:141], v[144:145]
	s_waitcnt vmcnt(0)
	v_fma_f64 v[140:141], v[140:141], v[146:147], -v[148:149]
	v_fma_f64 v[142:143], v[142:143], v[146:147], v[144:145]
	v_add_f64 v[1:2], v[1:2], v[140:141]
	v_add_f64 v[3:4], v[3:4], v[142:143]
	s_andn2_b32 exec_lo, exec_lo, s6
	s_cbranch_execnz .LBB127_1158
; %bb.1159:
	s_or_b32 exec_lo, exec_lo, s6
.LBB127_1160:
	s_or_b32 exec_lo, exec_lo, s5
	v_mov_b32_e32 v136, 0
	ds_read_b128 v[140:143], v136 offset:560
	s_waitcnt lgkmcnt(0)
	v_mul_f64 v[136:137], v[3:4], v[142:143]
	v_mul_f64 v[142:143], v[1:2], v[142:143]
	v_fma_f64 v[1:2], v[1:2], v[140:141], -v[136:137]
	v_fma_f64 v[3:4], v[3:4], v[140:141], v[142:143]
	buffer_store_dword v2, off, s[0:3], 0 offset:564
	buffer_store_dword v1, off, s[0:3], 0 offset:560
	;; [unrolled: 1-line block ×4, first 2 shown]
.LBB127_1161:
	s_or_b32 exec_lo, exec_lo, s4
	v_mov_b32_e32 v4, s37
	s_mov_b32 s4, exec_lo
	s_clause 0x3
	buffer_load_dword v1, v4, s[0:3], 0 offen
	buffer_load_dword v2, v4, s[0:3], 0 offen offset:4
	buffer_load_dword v3, v4, s[0:3], 0 offen offset:8
	;; [unrolled: 1-line block ×3, first 2 shown]
	s_waitcnt vmcnt(0)
	ds_write_b128 v134, v[1:4]
	s_waitcnt lgkmcnt(0)
	s_waitcnt_vscnt null, 0x0
	s_barrier
	buffer_gl0_inv
	v_cmpx_gt_u32_e32 36, v0
	s_cbranch_execz .LBB127_1169
; %bb.1162:
	ds_read_b128 v[1:4], v134
	v_cmp_ne_u32_e32 vcc_lo, 1, v135
	s_cbranch_vccnz .LBB127_1164
; %bb.1163:
	s_clause 0x3
	buffer_load_dword v136, v133, s[0:3], 0 offen offset:8
	buffer_load_dword v137, v133, s[0:3], 0 offen offset:12
	buffer_load_dword v140, v133, s[0:3], 0 offen
	buffer_load_dword v141, v133, s[0:3], 0 offen offset:4
	s_waitcnt vmcnt(2) lgkmcnt(0)
	v_mul_f64 v[142:143], v[3:4], v[136:137]
	v_mul_f64 v[136:137], v[1:2], v[136:137]
	s_waitcnt vmcnt(0)
	v_fma_f64 v[1:2], v[1:2], v[140:141], -v[142:143]
	v_fma_f64 v[3:4], v[3:4], v[140:141], v[136:137]
.LBB127_1164:
	s_mov_b32 s5, exec_lo
	v_cmpx_ne_u32_e32 35, v0
	s_cbranch_execz .LBB127_1168
; %bb.1165:
	v_add_nc_u32_e32 v136, 0x410, v139
	v_add3_u32 v137, 0, v139, 16
	v_mov_b32_e32 v138, v0
	s_mov_b32 s6, 0
	.p2align	6
.LBB127_1166:                           ; =>This Inner Loop Header: Depth=1
	s_clause 0x3
	buffer_load_dword v144, v137, s[0:3], 0 offen offset:8
	buffer_load_dword v145, v137, s[0:3], 0 offen offset:12
	buffer_load_dword v146, v137, s[0:3], 0 offen
	buffer_load_dword v147, v137, s[0:3], 0 offen offset:4
	ds_read_b128 v[140:143], v136
	v_add_nc_u32_e32 v138, 1, v138
	v_add_nc_u32_e32 v136, 16, v136
	;; [unrolled: 1-line block ×3, first 2 shown]
	v_cmp_lt_u32_e32 vcc_lo, 34, v138
	s_or_b32 s6, vcc_lo, s6
	s_waitcnt vmcnt(2) lgkmcnt(0)
	v_mul_f64 v[148:149], v[142:143], v[144:145]
	v_mul_f64 v[144:145], v[140:141], v[144:145]
	s_waitcnt vmcnt(0)
	v_fma_f64 v[140:141], v[140:141], v[146:147], -v[148:149]
	v_fma_f64 v[142:143], v[142:143], v[146:147], v[144:145]
	v_add_f64 v[1:2], v[1:2], v[140:141]
	v_add_f64 v[3:4], v[3:4], v[142:143]
	s_andn2_b32 exec_lo, exec_lo, s6
	s_cbranch_execnz .LBB127_1166
; %bb.1167:
	s_or_b32 exec_lo, exec_lo, s6
.LBB127_1168:
	s_or_b32 exec_lo, exec_lo, s5
	v_mov_b32_e32 v136, 0
	ds_read_b128 v[140:143], v136 offset:576
	s_waitcnt lgkmcnt(0)
	v_mul_f64 v[136:137], v[3:4], v[142:143]
	v_mul_f64 v[142:143], v[1:2], v[142:143]
	v_fma_f64 v[1:2], v[1:2], v[140:141], -v[136:137]
	v_fma_f64 v[3:4], v[3:4], v[140:141], v[142:143]
	buffer_store_dword v2, off, s[0:3], 0 offset:580
	buffer_store_dword v1, off, s[0:3], 0 offset:576
	;; [unrolled: 1-line block ×4, first 2 shown]
.LBB127_1169:
	s_or_b32 exec_lo, exec_lo, s4
	v_mov_b32_e32 v4, s36
	s_mov_b32 s4, exec_lo
	s_clause 0x3
	buffer_load_dword v1, v4, s[0:3], 0 offen
	buffer_load_dword v2, v4, s[0:3], 0 offen offset:4
	buffer_load_dword v3, v4, s[0:3], 0 offen offset:8
	;; [unrolled: 1-line block ×3, first 2 shown]
	s_waitcnt vmcnt(0)
	ds_write_b128 v134, v[1:4]
	s_waitcnt lgkmcnt(0)
	s_waitcnt_vscnt null, 0x0
	s_barrier
	buffer_gl0_inv
	v_cmpx_gt_u32_e32 37, v0
	s_cbranch_execz .LBB127_1177
; %bb.1170:
	ds_read_b128 v[1:4], v134
	v_cmp_ne_u32_e32 vcc_lo, 1, v135
	s_cbranch_vccnz .LBB127_1172
; %bb.1171:
	s_clause 0x3
	buffer_load_dword v136, v133, s[0:3], 0 offen offset:8
	buffer_load_dword v137, v133, s[0:3], 0 offen offset:12
	buffer_load_dword v140, v133, s[0:3], 0 offen
	buffer_load_dword v141, v133, s[0:3], 0 offen offset:4
	s_waitcnt vmcnt(2) lgkmcnt(0)
	v_mul_f64 v[142:143], v[3:4], v[136:137]
	v_mul_f64 v[136:137], v[1:2], v[136:137]
	s_waitcnt vmcnt(0)
	v_fma_f64 v[1:2], v[1:2], v[140:141], -v[142:143]
	v_fma_f64 v[3:4], v[3:4], v[140:141], v[136:137]
.LBB127_1172:
	s_mov_b32 s5, exec_lo
	v_cmpx_ne_u32_e32 36, v0
	s_cbranch_execz .LBB127_1176
; %bb.1173:
	v_add_nc_u32_e32 v136, 0x410, v139
	v_add3_u32 v137, 0, v139, 16
	v_mov_b32_e32 v138, v0
	s_mov_b32 s6, 0
	.p2align	6
.LBB127_1174:                           ; =>This Inner Loop Header: Depth=1
	s_clause 0x3
	buffer_load_dword v144, v137, s[0:3], 0 offen offset:8
	buffer_load_dword v145, v137, s[0:3], 0 offen offset:12
	buffer_load_dword v146, v137, s[0:3], 0 offen
	buffer_load_dword v147, v137, s[0:3], 0 offen offset:4
	ds_read_b128 v[140:143], v136
	v_add_nc_u32_e32 v138, 1, v138
	v_add_nc_u32_e32 v136, 16, v136
	;; [unrolled: 1-line block ×3, first 2 shown]
	v_cmp_lt_u32_e32 vcc_lo, 35, v138
	s_or_b32 s6, vcc_lo, s6
	s_waitcnt vmcnt(2) lgkmcnt(0)
	v_mul_f64 v[148:149], v[142:143], v[144:145]
	v_mul_f64 v[144:145], v[140:141], v[144:145]
	s_waitcnt vmcnt(0)
	v_fma_f64 v[140:141], v[140:141], v[146:147], -v[148:149]
	v_fma_f64 v[142:143], v[142:143], v[146:147], v[144:145]
	v_add_f64 v[1:2], v[1:2], v[140:141]
	v_add_f64 v[3:4], v[3:4], v[142:143]
	s_andn2_b32 exec_lo, exec_lo, s6
	s_cbranch_execnz .LBB127_1174
; %bb.1175:
	s_or_b32 exec_lo, exec_lo, s6
.LBB127_1176:
	s_or_b32 exec_lo, exec_lo, s5
	v_mov_b32_e32 v136, 0
	ds_read_b128 v[140:143], v136 offset:592
	s_waitcnt lgkmcnt(0)
	v_mul_f64 v[136:137], v[3:4], v[142:143]
	v_mul_f64 v[142:143], v[1:2], v[142:143]
	v_fma_f64 v[1:2], v[1:2], v[140:141], -v[136:137]
	v_fma_f64 v[3:4], v[3:4], v[140:141], v[142:143]
	buffer_store_dword v2, off, s[0:3], 0 offset:596
	buffer_store_dword v1, off, s[0:3], 0 offset:592
	;; [unrolled: 1-line block ×4, first 2 shown]
.LBB127_1177:
	s_or_b32 exec_lo, exec_lo, s4
	v_mov_b32_e32 v4, s35
	s_mov_b32 s4, exec_lo
	s_clause 0x3
	buffer_load_dword v1, v4, s[0:3], 0 offen
	buffer_load_dword v2, v4, s[0:3], 0 offen offset:4
	buffer_load_dword v3, v4, s[0:3], 0 offen offset:8
	;; [unrolled: 1-line block ×3, first 2 shown]
	s_waitcnt vmcnt(0)
	ds_write_b128 v134, v[1:4]
	s_waitcnt lgkmcnt(0)
	s_waitcnt_vscnt null, 0x0
	s_barrier
	buffer_gl0_inv
	v_cmpx_gt_u32_e32 38, v0
	s_cbranch_execz .LBB127_1185
; %bb.1178:
	ds_read_b128 v[1:4], v134
	v_cmp_ne_u32_e32 vcc_lo, 1, v135
	s_cbranch_vccnz .LBB127_1180
; %bb.1179:
	s_clause 0x3
	buffer_load_dword v136, v133, s[0:3], 0 offen offset:8
	buffer_load_dword v137, v133, s[0:3], 0 offen offset:12
	buffer_load_dword v140, v133, s[0:3], 0 offen
	buffer_load_dword v141, v133, s[0:3], 0 offen offset:4
	s_waitcnt vmcnt(2) lgkmcnt(0)
	v_mul_f64 v[142:143], v[3:4], v[136:137]
	v_mul_f64 v[136:137], v[1:2], v[136:137]
	s_waitcnt vmcnt(0)
	v_fma_f64 v[1:2], v[1:2], v[140:141], -v[142:143]
	v_fma_f64 v[3:4], v[3:4], v[140:141], v[136:137]
.LBB127_1180:
	s_mov_b32 s5, exec_lo
	v_cmpx_ne_u32_e32 37, v0
	s_cbranch_execz .LBB127_1184
; %bb.1181:
	v_add_nc_u32_e32 v136, 0x410, v139
	v_add3_u32 v137, 0, v139, 16
	v_mov_b32_e32 v138, v0
	s_mov_b32 s6, 0
	.p2align	6
.LBB127_1182:                           ; =>This Inner Loop Header: Depth=1
	s_clause 0x3
	buffer_load_dword v144, v137, s[0:3], 0 offen offset:8
	buffer_load_dword v145, v137, s[0:3], 0 offen offset:12
	buffer_load_dword v146, v137, s[0:3], 0 offen
	buffer_load_dword v147, v137, s[0:3], 0 offen offset:4
	ds_read_b128 v[140:143], v136
	v_add_nc_u32_e32 v138, 1, v138
	v_add_nc_u32_e32 v136, 16, v136
	;; [unrolled: 1-line block ×3, first 2 shown]
	v_cmp_lt_u32_e32 vcc_lo, 36, v138
	s_or_b32 s6, vcc_lo, s6
	s_waitcnt vmcnt(2) lgkmcnt(0)
	v_mul_f64 v[148:149], v[142:143], v[144:145]
	v_mul_f64 v[144:145], v[140:141], v[144:145]
	s_waitcnt vmcnt(0)
	v_fma_f64 v[140:141], v[140:141], v[146:147], -v[148:149]
	v_fma_f64 v[142:143], v[142:143], v[146:147], v[144:145]
	v_add_f64 v[1:2], v[1:2], v[140:141]
	v_add_f64 v[3:4], v[3:4], v[142:143]
	s_andn2_b32 exec_lo, exec_lo, s6
	s_cbranch_execnz .LBB127_1182
; %bb.1183:
	s_or_b32 exec_lo, exec_lo, s6
.LBB127_1184:
	s_or_b32 exec_lo, exec_lo, s5
	v_mov_b32_e32 v136, 0
	ds_read_b128 v[140:143], v136 offset:608
	s_waitcnt lgkmcnt(0)
	v_mul_f64 v[136:137], v[3:4], v[142:143]
	v_mul_f64 v[142:143], v[1:2], v[142:143]
	v_fma_f64 v[1:2], v[1:2], v[140:141], -v[136:137]
	v_fma_f64 v[3:4], v[3:4], v[140:141], v[142:143]
	buffer_store_dword v2, off, s[0:3], 0 offset:612
	buffer_store_dword v1, off, s[0:3], 0 offset:608
	;; [unrolled: 1-line block ×4, first 2 shown]
.LBB127_1185:
	s_or_b32 exec_lo, exec_lo, s4
	v_mov_b32_e32 v4, s34
	s_mov_b32 s4, exec_lo
	s_clause 0x3
	buffer_load_dword v1, v4, s[0:3], 0 offen
	buffer_load_dword v2, v4, s[0:3], 0 offen offset:4
	buffer_load_dword v3, v4, s[0:3], 0 offen offset:8
	;; [unrolled: 1-line block ×3, first 2 shown]
	s_waitcnt vmcnt(0)
	ds_write_b128 v134, v[1:4]
	s_waitcnt lgkmcnt(0)
	s_waitcnt_vscnt null, 0x0
	s_barrier
	buffer_gl0_inv
	v_cmpx_gt_u32_e32 39, v0
	s_cbranch_execz .LBB127_1193
; %bb.1186:
	ds_read_b128 v[1:4], v134
	v_cmp_ne_u32_e32 vcc_lo, 1, v135
	s_cbranch_vccnz .LBB127_1188
; %bb.1187:
	s_clause 0x3
	buffer_load_dword v136, v133, s[0:3], 0 offen offset:8
	buffer_load_dword v137, v133, s[0:3], 0 offen offset:12
	buffer_load_dword v140, v133, s[0:3], 0 offen
	buffer_load_dword v141, v133, s[0:3], 0 offen offset:4
	s_waitcnt vmcnt(2) lgkmcnt(0)
	v_mul_f64 v[142:143], v[3:4], v[136:137]
	v_mul_f64 v[136:137], v[1:2], v[136:137]
	s_waitcnt vmcnt(0)
	v_fma_f64 v[1:2], v[1:2], v[140:141], -v[142:143]
	v_fma_f64 v[3:4], v[3:4], v[140:141], v[136:137]
.LBB127_1188:
	s_mov_b32 s5, exec_lo
	v_cmpx_ne_u32_e32 38, v0
	s_cbranch_execz .LBB127_1192
; %bb.1189:
	v_add_nc_u32_e32 v136, 0x410, v139
	v_add3_u32 v137, 0, v139, 16
	v_mov_b32_e32 v138, v0
	s_mov_b32 s6, 0
	.p2align	6
.LBB127_1190:                           ; =>This Inner Loop Header: Depth=1
	s_clause 0x3
	buffer_load_dword v144, v137, s[0:3], 0 offen offset:8
	buffer_load_dword v145, v137, s[0:3], 0 offen offset:12
	buffer_load_dword v146, v137, s[0:3], 0 offen
	buffer_load_dword v147, v137, s[0:3], 0 offen offset:4
	ds_read_b128 v[140:143], v136
	v_add_nc_u32_e32 v138, 1, v138
	v_add_nc_u32_e32 v136, 16, v136
	;; [unrolled: 1-line block ×3, first 2 shown]
	v_cmp_lt_u32_e32 vcc_lo, 37, v138
	s_or_b32 s6, vcc_lo, s6
	s_waitcnt vmcnt(2) lgkmcnt(0)
	v_mul_f64 v[148:149], v[142:143], v[144:145]
	v_mul_f64 v[144:145], v[140:141], v[144:145]
	s_waitcnt vmcnt(0)
	v_fma_f64 v[140:141], v[140:141], v[146:147], -v[148:149]
	v_fma_f64 v[142:143], v[142:143], v[146:147], v[144:145]
	v_add_f64 v[1:2], v[1:2], v[140:141]
	v_add_f64 v[3:4], v[3:4], v[142:143]
	s_andn2_b32 exec_lo, exec_lo, s6
	s_cbranch_execnz .LBB127_1190
; %bb.1191:
	s_or_b32 exec_lo, exec_lo, s6
.LBB127_1192:
	s_or_b32 exec_lo, exec_lo, s5
	v_mov_b32_e32 v136, 0
	ds_read_b128 v[140:143], v136 offset:624
	s_waitcnt lgkmcnt(0)
	v_mul_f64 v[136:137], v[3:4], v[142:143]
	v_mul_f64 v[142:143], v[1:2], v[142:143]
	v_fma_f64 v[1:2], v[1:2], v[140:141], -v[136:137]
	v_fma_f64 v[3:4], v[3:4], v[140:141], v[142:143]
	buffer_store_dword v2, off, s[0:3], 0 offset:628
	buffer_store_dword v1, off, s[0:3], 0 offset:624
	;; [unrolled: 1-line block ×4, first 2 shown]
.LBB127_1193:
	s_or_b32 exec_lo, exec_lo, s4
	v_mov_b32_e32 v4, s33
	s_mov_b32 s4, exec_lo
	s_clause 0x3
	buffer_load_dword v1, v4, s[0:3], 0 offen
	buffer_load_dword v2, v4, s[0:3], 0 offen offset:4
	buffer_load_dword v3, v4, s[0:3], 0 offen offset:8
	;; [unrolled: 1-line block ×3, first 2 shown]
	s_waitcnt vmcnt(0)
	ds_write_b128 v134, v[1:4]
	s_waitcnt lgkmcnt(0)
	s_waitcnt_vscnt null, 0x0
	s_barrier
	buffer_gl0_inv
	v_cmpx_gt_u32_e32 40, v0
	s_cbranch_execz .LBB127_1201
; %bb.1194:
	ds_read_b128 v[1:4], v134
	v_cmp_ne_u32_e32 vcc_lo, 1, v135
	s_cbranch_vccnz .LBB127_1196
; %bb.1195:
	s_clause 0x3
	buffer_load_dword v136, v133, s[0:3], 0 offen offset:8
	buffer_load_dword v137, v133, s[0:3], 0 offen offset:12
	buffer_load_dword v140, v133, s[0:3], 0 offen
	buffer_load_dword v141, v133, s[0:3], 0 offen offset:4
	s_waitcnt vmcnt(2) lgkmcnt(0)
	v_mul_f64 v[142:143], v[3:4], v[136:137]
	v_mul_f64 v[136:137], v[1:2], v[136:137]
	s_waitcnt vmcnt(0)
	v_fma_f64 v[1:2], v[1:2], v[140:141], -v[142:143]
	v_fma_f64 v[3:4], v[3:4], v[140:141], v[136:137]
.LBB127_1196:
	s_mov_b32 s5, exec_lo
	v_cmpx_ne_u32_e32 39, v0
	s_cbranch_execz .LBB127_1200
; %bb.1197:
	v_add_nc_u32_e32 v136, 0x410, v139
	v_add3_u32 v137, 0, v139, 16
	v_mov_b32_e32 v138, v0
	s_mov_b32 s6, 0
	.p2align	6
.LBB127_1198:                           ; =>This Inner Loop Header: Depth=1
	s_clause 0x3
	buffer_load_dword v144, v137, s[0:3], 0 offen offset:8
	buffer_load_dword v145, v137, s[0:3], 0 offen offset:12
	buffer_load_dword v146, v137, s[0:3], 0 offen
	buffer_load_dword v147, v137, s[0:3], 0 offen offset:4
	ds_read_b128 v[140:143], v136
	v_add_nc_u32_e32 v138, 1, v138
	v_add_nc_u32_e32 v136, 16, v136
	;; [unrolled: 1-line block ×3, first 2 shown]
	v_cmp_lt_u32_e32 vcc_lo, 38, v138
	s_or_b32 s6, vcc_lo, s6
	s_waitcnt vmcnt(2) lgkmcnt(0)
	v_mul_f64 v[148:149], v[142:143], v[144:145]
	v_mul_f64 v[144:145], v[140:141], v[144:145]
	s_waitcnt vmcnt(0)
	v_fma_f64 v[140:141], v[140:141], v[146:147], -v[148:149]
	v_fma_f64 v[142:143], v[142:143], v[146:147], v[144:145]
	v_add_f64 v[1:2], v[1:2], v[140:141]
	v_add_f64 v[3:4], v[3:4], v[142:143]
	s_andn2_b32 exec_lo, exec_lo, s6
	s_cbranch_execnz .LBB127_1198
; %bb.1199:
	s_or_b32 exec_lo, exec_lo, s6
.LBB127_1200:
	s_or_b32 exec_lo, exec_lo, s5
	v_mov_b32_e32 v136, 0
	ds_read_b128 v[140:143], v136 offset:640
	s_waitcnt lgkmcnt(0)
	v_mul_f64 v[136:137], v[3:4], v[142:143]
	v_mul_f64 v[142:143], v[1:2], v[142:143]
	v_fma_f64 v[1:2], v[1:2], v[140:141], -v[136:137]
	v_fma_f64 v[3:4], v[3:4], v[140:141], v[142:143]
	buffer_store_dword v2, off, s[0:3], 0 offset:644
	buffer_store_dword v1, off, s[0:3], 0 offset:640
	;; [unrolled: 1-line block ×4, first 2 shown]
.LBB127_1201:
	s_or_b32 exec_lo, exec_lo, s4
	v_mov_b32_e32 v4, s31
	s_mov_b32 s4, exec_lo
	s_clause 0x3
	buffer_load_dword v1, v4, s[0:3], 0 offen
	buffer_load_dword v2, v4, s[0:3], 0 offen offset:4
	buffer_load_dword v3, v4, s[0:3], 0 offen offset:8
	;; [unrolled: 1-line block ×3, first 2 shown]
	s_waitcnt vmcnt(0)
	ds_write_b128 v134, v[1:4]
	s_waitcnt lgkmcnt(0)
	s_waitcnt_vscnt null, 0x0
	s_barrier
	buffer_gl0_inv
	v_cmpx_gt_u32_e32 41, v0
	s_cbranch_execz .LBB127_1209
; %bb.1202:
	ds_read_b128 v[1:4], v134
	v_cmp_ne_u32_e32 vcc_lo, 1, v135
	s_cbranch_vccnz .LBB127_1204
; %bb.1203:
	s_clause 0x3
	buffer_load_dword v136, v133, s[0:3], 0 offen offset:8
	buffer_load_dword v137, v133, s[0:3], 0 offen offset:12
	buffer_load_dword v140, v133, s[0:3], 0 offen
	buffer_load_dword v141, v133, s[0:3], 0 offen offset:4
	s_waitcnt vmcnt(2) lgkmcnt(0)
	v_mul_f64 v[142:143], v[3:4], v[136:137]
	v_mul_f64 v[136:137], v[1:2], v[136:137]
	s_waitcnt vmcnt(0)
	v_fma_f64 v[1:2], v[1:2], v[140:141], -v[142:143]
	v_fma_f64 v[3:4], v[3:4], v[140:141], v[136:137]
.LBB127_1204:
	s_mov_b32 s5, exec_lo
	v_cmpx_ne_u32_e32 40, v0
	s_cbranch_execz .LBB127_1208
; %bb.1205:
	v_add_nc_u32_e32 v136, 0x410, v139
	v_add3_u32 v137, 0, v139, 16
	v_mov_b32_e32 v138, v0
	s_mov_b32 s6, 0
	.p2align	6
.LBB127_1206:                           ; =>This Inner Loop Header: Depth=1
	s_clause 0x3
	buffer_load_dword v144, v137, s[0:3], 0 offen offset:8
	buffer_load_dword v145, v137, s[0:3], 0 offen offset:12
	buffer_load_dword v146, v137, s[0:3], 0 offen
	buffer_load_dword v147, v137, s[0:3], 0 offen offset:4
	ds_read_b128 v[140:143], v136
	v_add_nc_u32_e32 v138, 1, v138
	v_add_nc_u32_e32 v136, 16, v136
	;; [unrolled: 1-line block ×3, first 2 shown]
	v_cmp_lt_u32_e32 vcc_lo, 39, v138
	s_or_b32 s6, vcc_lo, s6
	s_waitcnt vmcnt(2) lgkmcnt(0)
	v_mul_f64 v[148:149], v[142:143], v[144:145]
	v_mul_f64 v[144:145], v[140:141], v[144:145]
	s_waitcnt vmcnt(0)
	v_fma_f64 v[140:141], v[140:141], v[146:147], -v[148:149]
	v_fma_f64 v[142:143], v[142:143], v[146:147], v[144:145]
	v_add_f64 v[1:2], v[1:2], v[140:141]
	v_add_f64 v[3:4], v[3:4], v[142:143]
	s_andn2_b32 exec_lo, exec_lo, s6
	s_cbranch_execnz .LBB127_1206
; %bb.1207:
	s_or_b32 exec_lo, exec_lo, s6
.LBB127_1208:
	s_or_b32 exec_lo, exec_lo, s5
	v_mov_b32_e32 v136, 0
	ds_read_b128 v[140:143], v136 offset:656
	s_waitcnt lgkmcnt(0)
	v_mul_f64 v[136:137], v[3:4], v[142:143]
	v_mul_f64 v[142:143], v[1:2], v[142:143]
	v_fma_f64 v[1:2], v[1:2], v[140:141], -v[136:137]
	v_fma_f64 v[3:4], v[3:4], v[140:141], v[142:143]
	buffer_store_dword v2, off, s[0:3], 0 offset:660
	buffer_store_dword v1, off, s[0:3], 0 offset:656
	;; [unrolled: 1-line block ×4, first 2 shown]
.LBB127_1209:
	s_or_b32 exec_lo, exec_lo, s4
	v_mov_b32_e32 v4, s30
	s_mov_b32 s4, exec_lo
	s_clause 0x3
	buffer_load_dword v1, v4, s[0:3], 0 offen
	buffer_load_dword v2, v4, s[0:3], 0 offen offset:4
	buffer_load_dword v3, v4, s[0:3], 0 offen offset:8
	;; [unrolled: 1-line block ×3, first 2 shown]
	s_waitcnt vmcnt(0)
	ds_write_b128 v134, v[1:4]
	s_waitcnt lgkmcnt(0)
	s_waitcnt_vscnt null, 0x0
	s_barrier
	buffer_gl0_inv
	v_cmpx_gt_u32_e32 42, v0
	s_cbranch_execz .LBB127_1217
; %bb.1210:
	ds_read_b128 v[1:4], v134
	v_cmp_ne_u32_e32 vcc_lo, 1, v135
	s_cbranch_vccnz .LBB127_1212
; %bb.1211:
	s_clause 0x3
	buffer_load_dword v136, v133, s[0:3], 0 offen offset:8
	buffer_load_dword v137, v133, s[0:3], 0 offen offset:12
	buffer_load_dword v140, v133, s[0:3], 0 offen
	buffer_load_dword v141, v133, s[0:3], 0 offen offset:4
	s_waitcnt vmcnt(2) lgkmcnt(0)
	v_mul_f64 v[142:143], v[3:4], v[136:137]
	v_mul_f64 v[136:137], v[1:2], v[136:137]
	s_waitcnt vmcnt(0)
	v_fma_f64 v[1:2], v[1:2], v[140:141], -v[142:143]
	v_fma_f64 v[3:4], v[3:4], v[140:141], v[136:137]
.LBB127_1212:
	s_mov_b32 s5, exec_lo
	v_cmpx_ne_u32_e32 41, v0
	s_cbranch_execz .LBB127_1216
; %bb.1213:
	v_add_nc_u32_e32 v136, 0x410, v139
	v_add3_u32 v137, 0, v139, 16
	v_mov_b32_e32 v138, v0
	s_mov_b32 s6, 0
	.p2align	6
.LBB127_1214:                           ; =>This Inner Loop Header: Depth=1
	s_clause 0x3
	buffer_load_dword v144, v137, s[0:3], 0 offen offset:8
	buffer_load_dword v145, v137, s[0:3], 0 offen offset:12
	buffer_load_dword v146, v137, s[0:3], 0 offen
	buffer_load_dword v147, v137, s[0:3], 0 offen offset:4
	ds_read_b128 v[140:143], v136
	v_add_nc_u32_e32 v138, 1, v138
	v_add_nc_u32_e32 v136, 16, v136
	;; [unrolled: 1-line block ×3, first 2 shown]
	v_cmp_lt_u32_e32 vcc_lo, 40, v138
	s_or_b32 s6, vcc_lo, s6
	s_waitcnt vmcnt(2) lgkmcnt(0)
	v_mul_f64 v[148:149], v[142:143], v[144:145]
	v_mul_f64 v[144:145], v[140:141], v[144:145]
	s_waitcnt vmcnt(0)
	v_fma_f64 v[140:141], v[140:141], v[146:147], -v[148:149]
	v_fma_f64 v[142:143], v[142:143], v[146:147], v[144:145]
	v_add_f64 v[1:2], v[1:2], v[140:141]
	v_add_f64 v[3:4], v[3:4], v[142:143]
	s_andn2_b32 exec_lo, exec_lo, s6
	s_cbranch_execnz .LBB127_1214
; %bb.1215:
	s_or_b32 exec_lo, exec_lo, s6
.LBB127_1216:
	s_or_b32 exec_lo, exec_lo, s5
	v_mov_b32_e32 v136, 0
	ds_read_b128 v[140:143], v136 offset:672
	s_waitcnt lgkmcnt(0)
	v_mul_f64 v[136:137], v[3:4], v[142:143]
	v_mul_f64 v[142:143], v[1:2], v[142:143]
	v_fma_f64 v[1:2], v[1:2], v[140:141], -v[136:137]
	v_fma_f64 v[3:4], v[3:4], v[140:141], v[142:143]
	buffer_store_dword v2, off, s[0:3], 0 offset:676
	buffer_store_dword v1, off, s[0:3], 0 offset:672
	;; [unrolled: 1-line block ×4, first 2 shown]
.LBB127_1217:
	s_or_b32 exec_lo, exec_lo, s4
	v_mov_b32_e32 v4, s29
	s_mov_b32 s4, exec_lo
	s_clause 0x3
	buffer_load_dword v1, v4, s[0:3], 0 offen
	buffer_load_dword v2, v4, s[0:3], 0 offen offset:4
	buffer_load_dword v3, v4, s[0:3], 0 offen offset:8
	;; [unrolled: 1-line block ×3, first 2 shown]
	s_waitcnt vmcnt(0)
	ds_write_b128 v134, v[1:4]
	s_waitcnt lgkmcnt(0)
	s_waitcnt_vscnt null, 0x0
	s_barrier
	buffer_gl0_inv
	v_cmpx_gt_u32_e32 43, v0
	s_cbranch_execz .LBB127_1225
; %bb.1218:
	ds_read_b128 v[1:4], v134
	v_cmp_ne_u32_e32 vcc_lo, 1, v135
	s_cbranch_vccnz .LBB127_1220
; %bb.1219:
	s_clause 0x3
	buffer_load_dword v136, v133, s[0:3], 0 offen offset:8
	buffer_load_dword v137, v133, s[0:3], 0 offen offset:12
	buffer_load_dword v140, v133, s[0:3], 0 offen
	buffer_load_dword v141, v133, s[0:3], 0 offen offset:4
	s_waitcnt vmcnt(2) lgkmcnt(0)
	v_mul_f64 v[142:143], v[3:4], v[136:137]
	v_mul_f64 v[136:137], v[1:2], v[136:137]
	s_waitcnt vmcnt(0)
	v_fma_f64 v[1:2], v[1:2], v[140:141], -v[142:143]
	v_fma_f64 v[3:4], v[3:4], v[140:141], v[136:137]
.LBB127_1220:
	s_mov_b32 s5, exec_lo
	v_cmpx_ne_u32_e32 42, v0
	s_cbranch_execz .LBB127_1224
; %bb.1221:
	v_add_nc_u32_e32 v136, 0x410, v139
	v_add3_u32 v137, 0, v139, 16
	v_mov_b32_e32 v138, v0
	s_mov_b32 s6, 0
	.p2align	6
.LBB127_1222:                           ; =>This Inner Loop Header: Depth=1
	s_clause 0x3
	buffer_load_dword v144, v137, s[0:3], 0 offen offset:8
	buffer_load_dword v145, v137, s[0:3], 0 offen offset:12
	buffer_load_dword v146, v137, s[0:3], 0 offen
	buffer_load_dword v147, v137, s[0:3], 0 offen offset:4
	ds_read_b128 v[140:143], v136
	v_add_nc_u32_e32 v138, 1, v138
	v_add_nc_u32_e32 v136, 16, v136
	;; [unrolled: 1-line block ×3, first 2 shown]
	v_cmp_lt_u32_e32 vcc_lo, 41, v138
	s_or_b32 s6, vcc_lo, s6
	s_waitcnt vmcnt(2) lgkmcnt(0)
	v_mul_f64 v[148:149], v[142:143], v[144:145]
	v_mul_f64 v[144:145], v[140:141], v[144:145]
	s_waitcnt vmcnt(0)
	v_fma_f64 v[140:141], v[140:141], v[146:147], -v[148:149]
	v_fma_f64 v[142:143], v[142:143], v[146:147], v[144:145]
	v_add_f64 v[1:2], v[1:2], v[140:141]
	v_add_f64 v[3:4], v[3:4], v[142:143]
	s_andn2_b32 exec_lo, exec_lo, s6
	s_cbranch_execnz .LBB127_1222
; %bb.1223:
	s_or_b32 exec_lo, exec_lo, s6
.LBB127_1224:
	s_or_b32 exec_lo, exec_lo, s5
	v_mov_b32_e32 v136, 0
	ds_read_b128 v[140:143], v136 offset:688
	s_waitcnt lgkmcnt(0)
	v_mul_f64 v[136:137], v[3:4], v[142:143]
	v_mul_f64 v[142:143], v[1:2], v[142:143]
	v_fma_f64 v[1:2], v[1:2], v[140:141], -v[136:137]
	v_fma_f64 v[3:4], v[3:4], v[140:141], v[142:143]
	buffer_store_dword v2, off, s[0:3], 0 offset:692
	buffer_store_dword v1, off, s[0:3], 0 offset:688
	;; [unrolled: 1-line block ×4, first 2 shown]
.LBB127_1225:
	s_or_b32 exec_lo, exec_lo, s4
	v_mov_b32_e32 v4, s28
	s_mov_b32 s4, exec_lo
	s_clause 0x3
	buffer_load_dword v1, v4, s[0:3], 0 offen
	buffer_load_dword v2, v4, s[0:3], 0 offen offset:4
	buffer_load_dword v3, v4, s[0:3], 0 offen offset:8
	;; [unrolled: 1-line block ×3, first 2 shown]
	s_waitcnt vmcnt(0)
	ds_write_b128 v134, v[1:4]
	s_waitcnt lgkmcnt(0)
	s_waitcnt_vscnt null, 0x0
	s_barrier
	buffer_gl0_inv
	v_cmpx_gt_u32_e32 44, v0
	s_cbranch_execz .LBB127_1233
; %bb.1226:
	ds_read_b128 v[1:4], v134
	v_cmp_ne_u32_e32 vcc_lo, 1, v135
	s_cbranch_vccnz .LBB127_1228
; %bb.1227:
	s_clause 0x3
	buffer_load_dword v136, v133, s[0:3], 0 offen offset:8
	buffer_load_dword v137, v133, s[0:3], 0 offen offset:12
	buffer_load_dword v140, v133, s[0:3], 0 offen
	buffer_load_dword v141, v133, s[0:3], 0 offen offset:4
	s_waitcnt vmcnt(2) lgkmcnt(0)
	v_mul_f64 v[142:143], v[3:4], v[136:137]
	v_mul_f64 v[136:137], v[1:2], v[136:137]
	s_waitcnt vmcnt(0)
	v_fma_f64 v[1:2], v[1:2], v[140:141], -v[142:143]
	v_fma_f64 v[3:4], v[3:4], v[140:141], v[136:137]
.LBB127_1228:
	s_mov_b32 s5, exec_lo
	v_cmpx_ne_u32_e32 43, v0
	s_cbranch_execz .LBB127_1232
; %bb.1229:
	v_add_nc_u32_e32 v136, 0x410, v139
	v_add3_u32 v137, 0, v139, 16
	v_mov_b32_e32 v138, v0
	s_mov_b32 s6, 0
	.p2align	6
.LBB127_1230:                           ; =>This Inner Loop Header: Depth=1
	s_clause 0x3
	buffer_load_dword v144, v137, s[0:3], 0 offen offset:8
	buffer_load_dword v145, v137, s[0:3], 0 offen offset:12
	buffer_load_dword v146, v137, s[0:3], 0 offen
	buffer_load_dword v147, v137, s[0:3], 0 offen offset:4
	ds_read_b128 v[140:143], v136
	v_add_nc_u32_e32 v138, 1, v138
	v_add_nc_u32_e32 v136, 16, v136
	;; [unrolled: 1-line block ×3, first 2 shown]
	v_cmp_lt_u32_e32 vcc_lo, 42, v138
	s_or_b32 s6, vcc_lo, s6
	s_waitcnt vmcnt(2) lgkmcnt(0)
	v_mul_f64 v[148:149], v[142:143], v[144:145]
	v_mul_f64 v[144:145], v[140:141], v[144:145]
	s_waitcnt vmcnt(0)
	v_fma_f64 v[140:141], v[140:141], v[146:147], -v[148:149]
	v_fma_f64 v[142:143], v[142:143], v[146:147], v[144:145]
	v_add_f64 v[1:2], v[1:2], v[140:141]
	v_add_f64 v[3:4], v[3:4], v[142:143]
	s_andn2_b32 exec_lo, exec_lo, s6
	s_cbranch_execnz .LBB127_1230
; %bb.1231:
	s_or_b32 exec_lo, exec_lo, s6
.LBB127_1232:
	s_or_b32 exec_lo, exec_lo, s5
	v_mov_b32_e32 v136, 0
	ds_read_b128 v[140:143], v136 offset:704
	s_waitcnt lgkmcnt(0)
	v_mul_f64 v[136:137], v[3:4], v[142:143]
	v_mul_f64 v[142:143], v[1:2], v[142:143]
	v_fma_f64 v[1:2], v[1:2], v[140:141], -v[136:137]
	v_fma_f64 v[3:4], v[3:4], v[140:141], v[142:143]
	buffer_store_dword v2, off, s[0:3], 0 offset:708
	buffer_store_dword v1, off, s[0:3], 0 offset:704
	;; [unrolled: 1-line block ×4, first 2 shown]
.LBB127_1233:
	s_or_b32 exec_lo, exec_lo, s4
	v_mov_b32_e32 v4, s27
	s_mov_b32 s4, exec_lo
	s_clause 0x3
	buffer_load_dword v1, v4, s[0:3], 0 offen
	buffer_load_dword v2, v4, s[0:3], 0 offen offset:4
	buffer_load_dword v3, v4, s[0:3], 0 offen offset:8
	;; [unrolled: 1-line block ×3, first 2 shown]
	s_waitcnt vmcnt(0)
	ds_write_b128 v134, v[1:4]
	s_waitcnt lgkmcnt(0)
	s_waitcnt_vscnt null, 0x0
	s_barrier
	buffer_gl0_inv
	v_cmpx_gt_u32_e32 45, v0
	s_cbranch_execz .LBB127_1241
; %bb.1234:
	ds_read_b128 v[1:4], v134
	v_cmp_ne_u32_e32 vcc_lo, 1, v135
	s_cbranch_vccnz .LBB127_1236
; %bb.1235:
	s_clause 0x3
	buffer_load_dword v136, v133, s[0:3], 0 offen offset:8
	buffer_load_dword v137, v133, s[0:3], 0 offen offset:12
	buffer_load_dword v140, v133, s[0:3], 0 offen
	buffer_load_dword v141, v133, s[0:3], 0 offen offset:4
	s_waitcnt vmcnt(2) lgkmcnt(0)
	v_mul_f64 v[142:143], v[3:4], v[136:137]
	v_mul_f64 v[136:137], v[1:2], v[136:137]
	s_waitcnt vmcnt(0)
	v_fma_f64 v[1:2], v[1:2], v[140:141], -v[142:143]
	v_fma_f64 v[3:4], v[3:4], v[140:141], v[136:137]
.LBB127_1236:
	s_mov_b32 s5, exec_lo
	v_cmpx_ne_u32_e32 44, v0
	s_cbranch_execz .LBB127_1240
; %bb.1237:
	v_add_nc_u32_e32 v136, 0x410, v139
	v_add3_u32 v137, 0, v139, 16
	v_mov_b32_e32 v138, v0
	s_mov_b32 s6, 0
	.p2align	6
.LBB127_1238:                           ; =>This Inner Loop Header: Depth=1
	s_clause 0x3
	buffer_load_dword v144, v137, s[0:3], 0 offen offset:8
	buffer_load_dword v145, v137, s[0:3], 0 offen offset:12
	buffer_load_dword v146, v137, s[0:3], 0 offen
	buffer_load_dword v147, v137, s[0:3], 0 offen offset:4
	ds_read_b128 v[140:143], v136
	v_add_nc_u32_e32 v138, 1, v138
	v_add_nc_u32_e32 v136, 16, v136
	;; [unrolled: 1-line block ×3, first 2 shown]
	v_cmp_lt_u32_e32 vcc_lo, 43, v138
	s_or_b32 s6, vcc_lo, s6
	s_waitcnt vmcnt(2) lgkmcnt(0)
	v_mul_f64 v[148:149], v[142:143], v[144:145]
	v_mul_f64 v[144:145], v[140:141], v[144:145]
	s_waitcnt vmcnt(0)
	v_fma_f64 v[140:141], v[140:141], v[146:147], -v[148:149]
	v_fma_f64 v[142:143], v[142:143], v[146:147], v[144:145]
	v_add_f64 v[1:2], v[1:2], v[140:141]
	v_add_f64 v[3:4], v[3:4], v[142:143]
	s_andn2_b32 exec_lo, exec_lo, s6
	s_cbranch_execnz .LBB127_1238
; %bb.1239:
	s_or_b32 exec_lo, exec_lo, s6
.LBB127_1240:
	s_or_b32 exec_lo, exec_lo, s5
	v_mov_b32_e32 v136, 0
	ds_read_b128 v[140:143], v136 offset:720
	s_waitcnt lgkmcnt(0)
	v_mul_f64 v[136:137], v[3:4], v[142:143]
	v_mul_f64 v[142:143], v[1:2], v[142:143]
	v_fma_f64 v[1:2], v[1:2], v[140:141], -v[136:137]
	v_fma_f64 v[3:4], v[3:4], v[140:141], v[142:143]
	buffer_store_dword v2, off, s[0:3], 0 offset:724
	buffer_store_dword v1, off, s[0:3], 0 offset:720
	;; [unrolled: 1-line block ×4, first 2 shown]
.LBB127_1241:
	s_or_b32 exec_lo, exec_lo, s4
	v_mov_b32_e32 v4, s26
	s_mov_b32 s4, exec_lo
	s_clause 0x3
	buffer_load_dword v1, v4, s[0:3], 0 offen
	buffer_load_dword v2, v4, s[0:3], 0 offen offset:4
	buffer_load_dword v3, v4, s[0:3], 0 offen offset:8
	;; [unrolled: 1-line block ×3, first 2 shown]
	s_waitcnt vmcnt(0)
	ds_write_b128 v134, v[1:4]
	s_waitcnt lgkmcnt(0)
	s_waitcnt_vscnt null, 0x0
	s_barrier
	buffer_gl0_inv
	v_cmpx_gt_u32_e32 46, v0
	s_cbranch_execz .LBB127_1249
; %bb.1242:
	ds_read_b128 v[1:4], v134
	v_cmp_ne_u32_e32 vcc_lo, 1, v135
	s_cbranch_vccnz .LBB127_1244
; %bb.1243:
	s_clause 0x3
	buffer_load_dword v136, v133, s[0:3], 0 offen offset:8
	buffer_load_dword v137, v133, s[0:3], 0 offen offset:12
	buffer_load_dword v140, v133, s[0:3], 0 offen
	buffer_load_dword v141, v133, s[0:3], 0 offen offset:4
	s_waitcnt vmcnt(2) lgkmcnt(0)
	v_mul_f64 v[142:143], v[3:4], v[136:137]
	v_mul_f64 v[136:137], v[1:2], v[136:137]
	s_waitcnt vmcnt(0)
	v_fma_f64 v[1:2], v[1:2], v[140:141], -v[142:143]
	v_fma_f64 v[3:4], v[3:4], v[140:141], v[136:137]
.LBB127_1244:
	s_mov_b32 s5, exec_lo
	v_cmpx_ne_u32_e32 45, v0
	s_cbranch_execz .LBB127_1248
; %bb.1245:
	v_add_nc_u32_e32 v136, 0x410, v139
	v_add3_u32 v137, 0, v139, 16
	v_mov_b32_e32 v138, v0
	s_mov_b32 s6, 0
	.p2align	6
.LBB127_1246:                           ; =>This Inner Loop Header: Depth=1
	s_clause 0x3
	buffer_load_dword v144, v137, s[0:3], 0 offen offset:8
	buffer_load_dword v145, v137, s[0:3], 0 offen offset:12
	buffer_load_dword v146, v137, s[0:3], 0 offen
	buffer_load_dword v147, v137, s[0:3], 0 offen offset:4
	ds_read_b128 v[140:143], v136
	v_add_nc_u32_e32 v138, 1, v138
	v_add_nc_u32_e32 v136, 16, v136
	;; [unrolled: 1-line block ×3, first 2 shown]
	v_cmp_lt_u32_e32 vcc_lo, 44, v138
	s_or_b32 s6, vcc_lo, s6
	s_waitcnt vmcnt(2) lgkmcnt(0)
	v_mul_f64 v[148:149], v[142:143], v[144:145]
	v_mul_f64 v[144:145], v[140:141], v[144:145]
	s_waitcnt vmcnt(0)
	v_fma_f64 v[140:141], v[140:141], v[146:147], -v[148:149]
	v_fma_f64 v[142:143], v[142:143], v[146:147], v[144:145]
	v_add_f64 v[1:2], v[1:2], v[140:141]
	v_add_f64 v[3:4], v[3:4], v[142:143]
	s_andn2_b32 exec_lo, exec_lo, s6
	s_cbranch_execnz .LBB127_1246
; %bb.1247:
	s_or_b32 exec_lo, exec_lo, s6
.LBB127_1248:
	s_or_b32 exec_lo, exec_lo, s5
	v_mov_b32_e32 v136, 0
	ds_read_b128 v[140:143], v136 offset:736
	s_waitcnt lgkmcnt(0)
	v_mul_f64 v[136:137], v[3:4], v[142:143]
	v_mul_f64 v[142:143], v[1:2], v[142:143]
	v_fma_f64 v[1:2], v[1:2], v[140:141], -v[136:137]
	v_fma_f64 v[3:4], v[3:4], v[140:141], v[142:143]
	buffer_store_dword v2, off, s[0:3], 0 offset:740
	buffer_store_dword v1, off, s[0:3], 0 offset:736
	;; [unrolled: 1-line block ×4, first 2 shown]
.LBB127_1249:
	s_or_b32 exec_lo, exec_lo, s4
	v_mov_b32_e32 v4, s25
	s_mov_b32 s4, exec_lo
	s_clause 0x3
	buffer_load_dword v1, v4, s[0:3], 0 offen
	buffer_load_dword v2, v4, s[0:3], 0 offen offset:4
	buffer_load_dword v3, v4, s[0:3], 0 offen offset:8
	;; [unrolled: 1-line block ×3, first 2 shown]
	s_waitcnt vmcnt(0)
	ds_write_b128 v134, v[1:4]
	s_waitcnt lgkmcnt(0)
	s_waitcnt_vscnt null, 0x0
	s_barrier
	buffer_gl0_inv
	v_cmpx_gt_u32_e32 47, v0
	s_cbranch_execz .LBB127_1257
; %bb.1250:
	ds_read_b128 v[1:4], v134
	v_cmp_ne_u32_e32 vcc_lo, 1, v135
	s_cbranch_vccnz .LBB127_1252
; %bb.1251:
	s_clause 0x3
	buffer_load_dword v136, v133, s[0:3], 0 offen offset:8
	buffer_load_dword v137, v133, s[0:3], 0 offen offset:12
	buffer_load_dword v140, v133, s[0:3], 0 offen
	buffer_load_dword v141, v133, s[0:3], 0 offen offset:4
	s_waitcnt vmcnt(2) lgkmcnt(0)
	v_mul_f64 v[142:143], v[3:4], v[136:137]
	v_mul_f64 v[136:137], v[1:2], v[136:137]
	s_waitcnt vmcnt(0)
	v_fma_f64 v[1:2], v[1:2], v[140:141], -v[142:143]
	v_fma_f64 v[3:4], v[3:4], v[140:141], v[136:137]
.LBB127_1252:
	s_mov_b32 s5, exec_lo
	v_cmpx_ne_u32_e32 46, v0
	s_cbranch_execz .LBB127_1256
; %bb.1253:
	v_add_nc_u32_e32 v136, 0x410, v139
	v_add3_u32 v137, 0, v139, 16
	v_mov_b32_e32 v138, v0
	s_mov_b32 s6, 0
	.p2align	6
.LBB127_1254:                           ; =>This Inner Loop Header: Depth=1
	s_clause 0x3
	buffer_load_dword v144, v137, s[0:3], 0 offen offset:8
	buffer_load_dword v145, v137, s[0:3], 0 offen offset:12
	buffer_load_dword v146, v137, s[0:3], 0 offen
	buffer_load_dword v147, v137, s[0:3], 0 offen offset:4
	ds_read_b128 v[140:143], v136
	v_add_nc_u32_e32 v138, 1, v138
	v_add_nc_u32_e32 v136, 16, v136
	;; [unrolled: 1-line block ×3, first 2 shown]
	v_cmp_lt_u32_e32 vcc_lo, 45, v138
	s_or_b32 s6, vcc_lo, s6
	s_waitcnt vmcnt(2) lgkmcnt(0)
	v_mul_f64 v[148:149], v[142:143], v[144:145]
	v_mul_f64 v[144:145], v[140:141], v[144:145]
	s_waitcnt vmcnt(0)
	v_fma_f64 v[140:141], v[140:141], v[146:147], -v[148:149]
	v_fma_f64 v[142:143], v[142:143], v[146:147], v[144:145]
	v_add_f64 v[1:2], v[1:2], v[140:141]
	v_add_f64 v[3:4], v[3:4], v[142:143]
	s_andn2_b32 exec_lo, exec_lo, s6
	s_cbranch_execnz .LBB127_1254
; %bb.1255:
	s_or_b32 exec_lo, exec_lo, s6
.LBB127_1256:
	s_or_b32 exec_lo, exec_lo, s5
	v_mov_b32_e32 v136, 0
	ds_read_b128 v[140:143], v136 offset:752
	s_waitcnt lgkmcnt(0)
	v_mul_f64 v[136:137], v[3:4], v[142:143]
	v_mul_f64 v[142:143], v[1:2], v[142:143]
	v_fma_f64 v[1:2], v[1:2], v[140:141], -v[136:137]
	v_fma_f64 v[3:4], v[3:4], v[140:141], v[142:143]
	buffer_store_dword v2, off, s[0:3], 0 offset:756
	buffer_store_dword v1, off, s[0:3], 0 offset:752
	;; [unrolled: 1-line block ×4, first 2 shown]
.LBB127_1257:
	s_or_b32 exec_lo, exec_lo, s4
	v_mov_b32_e32 v4, s24
	s_mov_b32 s4, exec_lo
	s_clause 0x3
	buffer_load_dword v1, v4, s[0:3], 0 offen
	buffer_load_dword v2, v4, s[0:3], 0 offen offset:4
	buffer_load_dword v3, v4, s[0:3], 0 offen offset:8
	;; [unrolled: 1-line block ×3, first 2 shown]
	s_waitcnt vmcnt(0)
	ds_write_b128 v134, v[1:4]
	s_waitcnt lgkmcnt(0)
	s_waitcnt_vscnt null, 0x0
	s_barrier
	buffer_gl0_inv
	v_cmpx_gt_u32_e32 48, v0
	s_cbranch_execz .LBB127_1265
; %bb.1258:
	ds_read_b128 v[1:4], v134
	v_cmp_ne_u32_e32 vcc_lo, 1, v135
	s_cbranch_vccnz .LBB127_1260
; %bb.1259:
	s_clause 0x3
	buffer_load_dword v136, v133, s[0:3], 0 offen offset:8
	buffer_load_dword v137, v133, s[0:3], 0 offen offset:12
	buffer_load_dword v140, v133, s[0:3], 0 offen
	buffer_load_dword v141, v133, s[0:3], 0 offen offset:4
	s_waitcnt vmcnt(2) lgkmcnt(0)
	v_mul_f64 v[142:143], v[3:4], v[136:137]
	v_mul_f64 v[136:137], v[1:2], v[136:137]
	s_waitcnt vmcnt(0)
	v_fma_f64 v[1:2], v[1:2], v[140:141], -v[142:143]
	v_fma_f64 v[3:4], v[3:4], v[140:141], v[136:137]
.LBB127_1260:
	s_mov_b32 s5, exec_lo
	v_cmpx_ne_u32_e32 47, v0
	s_cbranch_execz .LBB127_1264
; %bb.1261:
	v_add_nc_u32_e32 v136, 0x410, v139
	v_add3_u32 v137, 0, v139, 16
	v_mov_b32_e32 v138, v0
	s_mov_b32 s6, 0
	.p2align	6
.LBB127_1262:                           ; =>This Inner Loop Header: Depth=1
	s_clause 0x3
	buffer_load_dword v144, v137, s[0:3], 0 offen offset:8
	buffer_load_dword v145, v137, s[0:3], 0 offen offset:12
	buffer_load_dword v146, v137, s[0:3], 0 offen
	buffer_load_dword v147, v137, s[0:3], 0 offen offset:4
	ds_read_b128 v[140:143], v136
	v_add_nc_u32_e32 v138, 1, v138
	v_add_nc_u32_e32 v136, 16, v136
	;; [unrolled: 1-line block ×3, first 2 shown]
	v_cmp_lt_u32_e32 vcc_lo, 46, v138
	s_or_b32 s6, vcc_lo, s6
	s_waitcnt vmcnt(2) lgkmcnt(0)
	v_mul_f64 v[148:149], v[142:143], v[144:145]
	v_mul_f64 v[144:145], v[140:141], v[144:145]
	s_waitcnt vmcnt(0)
	v_fma_f64 v[140:141], v[140:141], v[146:147], -v[148:149]
	v_fma_f64 v[142:143], v[142:143], v[146:147], v[144:145]
	v_add_f64 v[1:2], v[1:2], v[140:141]
	v_add_f64 v[3:4], v[3:4], v[142:143]
	s_andn2_b32 exec_lo, exec_lo, s6
	s_cbranch_execnz .LBB127_1262
; %bb.1263:
	s_or_b32 exec_lo, exec_lo, s6
.LBB127_1264:
	s_or_b32 exec_lo, exec_lo, s5
	v_mov_b32_e32 v136, 0
	ds_read_b128 v[140:143], v136 offset:768
	s_waitcnt lgkmcnt(0)
	v_mul_f64 v[136:137], v[3:4], v[142:143]
	v_mul_f64 v[142:143], v[1:2], v[142:143]
	v_fma_f64 v[1:2], v[1:2], v[140:141], -v[136:137]
	v_fma_f64 v[3:4], v[3:4], v[140:141], v[142:143]
	buffer_store_dword v2, off, s[0:3], 0 offset:772
	buffer_store_dword v1, off, s[0:3], 0 offset:768
	;; [unrolled: 1-line block ×4, first 2 shown]
.LBB127_1265:
	s_or_b32 exec_lo, exec_lo, s4
	v_mov_b32_e32 v4, s23
	s_mov_b32 s4, exec_lo
	s_clause 0x3
	buffer_load_dword v1, v4, s[0:3], 0 offen
	buffer_load_dword v2, v4, s[0:3], 0 offen offset:4
	buffer_load_dword v3, v4, s[0:3], 0 offen offset:8
	;; [unrolled: 1-line block ×3, first 2 shown]
	s_waitcnt vmcnt(0)
	ds_write_b128 v134, v[1:4]
	s_waitcnt lgkmcnt(0)
	s_waitcnt_vscnt null, 0x0
	s_barrier
	buffer_gl0_inv
	v_cmpx_gt_u32_e32 49, v0
	s_cbranch_execz .LBB127_1273
; %bb.1266:
	ds_read_b128 v[1:4], v134
	v_cmp_ne_u32_e32 vcc_lo, 1, v135
	s_cbranch_vccnz .LBB127_1268
; %bb.1267:
	s_clause 0x3
	buffer_load_dword v136, v133, s[0:3], 0 offen offset:8
	buffer_load_dword v137, v133, s[0:3], 0 offen offset:12
	buffer_load_dword v140, v133, s[0:3], 0 offen
	buffer_load_dword v141, v133, s[0:3], 0 offen offset:4
	s_waitcnt vmcnt(2) lgkmcnt(0)
	v_mul_f64 v[142:143], v[3:4], v[136:137]
	v_mul_f64 v[136:137], v[1:2], v[136:137]
	s_waitcnt vmcnt(0)
	v_fma_f64 v[1:2], v[1:2], v[140:141], -v[142:143]
	v_fma_f64 v[3:4], v[3:4], v[140:141], v[136:137]
.LBB127_1268:
	s_mov_b32 s5, exec_lo
	v_cmpx_ne_u32_e32 48, v0
	s_cbranch_execz .LBB127_1272
; %bb.1269:
	v_add_nc_u32_e32 v136, 0x410, v139
	v_add3_u32 v137, 0, v139, 16
	v_mov_b32_e32 v138, v0
	s_mov_b32 s6, 0
	.p2align	6
.LBB127_1270:                           ; =>This Inner Loop Header: Depth=1
	s_clause 0x3
	buffer_load_dword v144, v137, s[0:3], 0 offen offset:8
	buffer_load_dword v145, v137, s[0:3], 0 offen offset:12
	buffer_load_dword v146, v137, s[0:3], 0 offen
	buffer_load_dword v147, v137, s[0:3], 0 offen offset:4
	ds_read_b128 v[140:143], v136
	v_add_nc_u32_e32 v138, 1, v138
	v_add_nc_u32_e32 v136, 16, v136
	;; [unrolled: 1-line block ×3, first 2 shown]
	v_cmp_lt_u32_e32 vcc_lo, 47, v138
	s_or_b32 s6, vcc_lo, s6
	s_waitcnt vmcnt(2) lgkmcnt(0)
	v_mul_f64 v[148:149], v[142:143], v[144:145]
	v_mul_f64 v[144:145], v[140:141], v[144:145]
	s_waitcnt vmcnt(0)
	v_fma_f64 v[140:141], v[140:141], v[146:147], -v[148:149]
	v_fma_f64 v[142:143], v[142:143], v[146:147], v[144:145]
	v_add_f64 v[1:2], v[1:2], v[140:141]
	v_add_f64 v[3:4], v[3:4], v[142:143]
	s_andn2_b32 exec_lo, exec_lo, s6
	s_cbranch_execnz .LBB127_1270
; %bb.1271:
	s_or_b32 exec_lo, exec_lo, s6
.LBB127_1272:
	s_or_b32 exec_lo, exec_lo, s5
	v_mov_b32_e32 v136, 0
	ds_read_b128 v[140:143], v136 offset:784
	s_waitcnt lgkmcnt(0)
	v_mul_f64 v[136:137], v[3:4], v[142:143]
	v_mul_f64 v[142:143], v[1:2], v[142:143]
	v_fma_f64 v[1:2], v[1:2], v[140:141], -v[136:137]
	v_fma_f64 v[3:4], v[3:4], v[140:141], v[142:143]
	buffer_store_dword v2, off, s[0:3], 0 offset:788
	buffer_store_dword v1, off, s[0:3], 0 offset:784
	;; [unrolled: 1-line block ×4, first 2 shown]
.LBB127_1273:
	s_or_b32 exec_lo, exec_lo, s4
	v_mov_b32_e32 v4, s22
	s_mov_b32 s4, exec_lo
	s_clause 0x3
	buffer_load_dword v1, v4, s[0:3], 0 offen
	buffer_load_dword v2, v4, s[0:3], 0 offen offset:4
	buffer_load_dword v3, v4, s[0:3], 0 offen offset:8
	;; [unrolled: 1-line block ×3, first 2 shown]
	s_waitcnt vmcnt(0)
	ds_write_b128 v134, v[1:4]
	s_waitcnt lgkmcnt(0)
	s_waitcnt_vscnt null, 0x0
	s_barrier
	buffer_gl0_inv
	v_cmpx_gt_u32_e32 50, v0
	s_cbranch_execz .LBB127_1281
; %bb.1274:
	ds_read_b128 v[1:4], v134
	v_cmp_ne_u32_e32 vcc_lo, 1, v135
	s_cbranch_vccnz .LBB127_1276
; %bb.1275:
	s_clause 0x3
	buffer_load_dword v136, v133, s[0:3], 0 offen offset:8
	buffer_load_dword v137, v133, s[0:3], 0 offen offset:12
	buffer_load_dword v140, v133, s[0:3], 0 offen
	buffer_load_dword v141, v133, s[0:3], 0 offen offset:4
	s_waitcnt vmcnt(2) lgkmcnt(0)
	v_mul_f64 v[142:143], v[3:4], v[136:137]
	v_mul_f64 v[136:137], v[1:2], v[136:137]
	s_waitcnt vmcnt(0)
	v_fma_f64 v[1:2], v[1:2], v[140:141], -v[142:143]
	v_fma_f64 v[3:4], v[3:4], v[140:141], v[136:137]
.LBB127_1276:
	s_mov_b32 s5, exec_lo
	v_cmpx_ne_u32_e32 49, v0
	s_cbranch_execz .LBB127_1280
; %bb.1277:
	v_add_nc_u32_e32 v136, 0x410, v139
	v_add3_u32 v137, 0, v139, 16
	v_mov_b32_e32 v138, v0
	s_mov_b32 s6, 0
	.p2align	6
.LBB127_1278:                           ; =>This Inner Loop Header: Depth=1
	s_clause 0x3
	buffer_load_dword v144, v137, s[0:3], 0 offen offset:8
	buffer_load_dword v145, v137, s[0:3], 0 offen offset:12
	buffer_load_dword v146, v137, s[0:3], 0 offen
	buffer_load_dword v147, v137, s[0:3], 0 offen offset:4
	ds_read_b128 v[140:143], v136
	v_add_nc_u32_e32 v138, 1, v138
	v_add_nc_u32_e32 v136, 16, v136
	;; [unrolled: 1-line block ×3, first 2 shown]
	v_cmp_lt_u32_e32 vcc_lo, 48, v138
	s_or_b32 s6, vcc_lo, s6
	s_waitcnt vmcnt(2) lgkmcnt(0)
	v_mul_f64 v[148:149], v[142:143], v[144:145]
	v_mul_f64 v[144:145], v[140:141], v[144:145]
	s_waitcnt vmcnt(0)
	v_fma_f64 v[140:141], v[140:141], v[146:147], -v[148:149]
	v_fma_f64 v[142:143], v[142:143], v[146:147], v[144:145]
	v_add_f64 v[1:2], v[1:2], v[140:141]
	v_add_f64 v[3:4], v[3:4], v[142:143]
	s_andn2_b32 exec_lo, exec_lo, s6
	s_cbranch_execnz .LBB127_1278
; %bb.1279:
	s_or_b32 exec_lo, exec_lo, s6
.LBB127_1280:
	s_or_b32 exec_lo, exec_lo, s5
	v_mov_b32_e32 v136, 0
	ds_read_b128 v[140:143], v136 offset:800
	s_waitcnt lgkmcnt(0)
	v_mul_f64 v[136:137], v[3:4], v[142:143]
	v_mul_f64 v[142:143], v[1:2], v[142:143]
	v_fma_f64 v[1:2], v[1:2], v[140:141], -v[136:137]
	v_fma_f64 v[3:4], v[3:4], v[140:141], v[142:143]
	buffer_store_dword v2, off, s[0:3], 0 offset:804
	buffer_store_dword v1, off, s[0:3], 0 offset:800
	;; [unrolled: 1-line block ×4, first 2 shown]
.LBB127_1281:
	s_or_b32 exec_lo, exec_lo, s4
	v_mov_b32_e32 v4, s21
	s_mov_b32 s4, exec_lo
	s_clause 0x3
	buffer_load_dword v1, v4, s[0:3], 0 offen
	buffer_load_dword v2, v4, s[0:3], 0 offen offset:4
	buffer_load_dword v3, v4, s[0:3], 0 offen offset:8
	;; [unrolled: 1-line block ×3, first 2 shown]
	s_waitcnt vmcnt(0)
	ds_write_b128 v134, v[1:4]
	s_waitcnt lgkmcnt(0)
	s_waitcnt_vscnt null, 0x0
	s_barrier
	buffer_gl0_inv
	v_cmpx_gt_u32_e32 51, v0
	s_cbranch_execz .LBB127_1289
; %bb.1282:
	ds_read_b128 v[1:4], v134
	v_cmp_ne_u32_e32 vcc_lo, 1, v135
	s_cbranch_vccnz .LBB127_1284
; %bb.1283:
	s_clause 0x3
	buffer_load_dword v136, v133, s[0:3], 0 offen offset:8
	buffer_load_dword v137, v133, s[0:3], 0 offen offset:12
	buffer_load_dword v140, v133, s[0:3], 0 offen
	buffer_load_dword v141, v133, s[0:3], 0 offen offset:4
	s_waitcnt vmcnt(2) lgkmcnt(0)
	v_mul_f64 v[142:143], v[3:4], v[136:137]
	v_mul_f64 v[136:137], v[1:2], v[136:137]
	s_waitcnt vmcnt(0)
	v_fma_f64 v[1:2], v[1:2], v[140:141], -v[142:143]
	v_fma_f64 v[3:4], v[3:4], v[140:141], v[136:137]
.LBB127_1284:
	s_mov_b32 s5, exec_lo
	v_cmpx_ne_u32_e32 50, v0
	s_cbranch_execz .LBB127_1288
; %bb.1285:
	v_add_nc_u32_e32 v136, 0x410, v139
	v_add3_u32 v137, 0, v139, 16
	v_mov_b32_e32 v138, v0
	s_mov_b32 s6, 0
	.p2align	6
.LBB127_1286:                           ; =>This Inner Loop Header: Depth=1
	s_clause 0x3
	buffer_load_dword v144, v137, s[0:3], 0 offen offset:8
	buffer_load_dword v145, v137, s[0:3], 0 offen offset:12
	buffer_load_dword v146, v137, s[0:3], 0 offen
	buffer_load_dword v147, v137, s[0:3], 0 offen offset:4
	ds_read_b128 v[140:143], v136
	v_add_nc_u32_e32 v138, 1, v138
	v_add_nc_u32_e32 v136, 16, v136
	;; [unrolled: 1-line block ×3, first 2 shown]
	v_cmp_lt_u32_e32 vcc_lo, 49, v138
	s_or_b32 s6, vcc_lo, s6
	s_waitcnt vmcnt(2) lgkmcnt(0)
	v_mul_f64 v[148:149], v[142:143], v[144:145]
	v_mul_f64 v[144:145], v[140:141], v[144:145]
	s_waitcnt vmcnt(0)
	v_fma_f64 v[140:141], v[140:141], v[146:147], -v[148:149]
	v_fma_f64 v[142:143], v[142:143], v[146:147], v[144:145]
	v_add_f64 v[1:2], v[1:2], v[140:141]
	v_add_f64 v[3:4], v[3:4], v[142:143]
	s_andn2_b32 exec_lo, exec_lo, s6
	s_cbranch_execnz .LBB127_1286
; %bb.1287:
	s_or_b32 exec_lo, exec_lo, s6
.LBB127_1288:
	s_or_b32 exec_lo, exec_lo, s5
	v_mov_b32_e32 v136, 0
	ds_read_b128 v[140:143], v136 offset:816
	s_waitcnt lgkmcnt(0)
	v_mul_f64 v[136:137], v[3:4], v[142:143]
	v_mul_f64 v[142:143], v[1:2], v[142:143]
	v_fma_f64 v[1:2], v[1:2], v[140:141], -v[136:137]
	v_fma_f64 v[3:4], v[3:4], v[140:141], v[142:143]
	buffer_store_dword v2, off, s[0:3], 0 offset:820
	buffer_store_dword v1, off, s[0:3], 0 offset:816
	;; [unrolled: 1-line block ×4, first 2 shown]
.LBB127_1289:
	s_or_b32 exec_lo, exec_lo, s4
	v_mov_b32_e32 v4, s20
	s_mov_b32 s4, exec_lo
	s_clause 0x3
	buffer_load_dword v1, v4, s[0:3], 0 offen
	buffer_load_dword v2, v4, s[0:3], 0 offen offset:4
	buffer_load_dword v3, v4, s[0:3], 0 offen offset:8
	;; [unrolled: 1-line block ×3, first 2 shown]
	s_waitcnt vmcnt(0)
	ds_write_b128 v134, v[1:4]
	s_waitcnt lgkmcnt(0)
	s_waitcnt_vscnt null, 0x0
	s_barrier
	buffer_gl0_inv
	v_cmpx_gt_u32_e32 52, v0
	s_cbranch_execz .LBB127_1297
; %bb.1290:
	ds_read_b128 v[1:4], v134
	v_cmp_ne_u32_e32 vcc_lo, 1, v135
	s_cbranch_vccnz .LBB127_1292
; %bb.1291:
	s_clause 0x3
	buffer_load_dword v136, v133, s[0:3], 0 offen offset:8
	buffer_load_dword v137, v133, s[0:3], 0 offen offset:12
	buffer_load_dword v140, v133, s[0:3], 0 offen
	buffer_load_dword v141, v133, s[0:3], 0 offen offset:4
	s_waitcnt vmcnt(2) lgkmcnt(0)
	v_mul_f64 v[142:143], v[3:4], v[136:137]
	v_mul_f64 v[136:137], v[1:2], v[136:137]
	s_waitcnt vmcnt(0)
	v_fma_f64 v[1:2], v[1:2], v[140:141], -v[142:143]
	v_fma_f64 v[3:4], v[3:4], v[140:141], v[136:137]
.LBB127_1292:
	s_mov_b32 s5, exec_lo
	v_cmpx_ne_u32_e32 51, v0
	s_cbranch_execz .LBB127_1296
; %bb.1293:
	v_add_nc_u32_e32 v136, 0x410, v139
	v_add3_u32 v137, 0, v139, 16
	v_mov_b32_e32 v138, v0
	s_mov_b32 s6, 0
	.p2align	6
.LBB127_1294:                           ; =>This Inner Loop Header: Depth=1
	s_clause 0x3
	buffer_load_dword v144, v137, s[0:3], 0 offen offset:8
	buffer_load_dword v145, v137, s[0:3], 0 offen offset:12
	buffer_load_dword v146, v137, s[0:3], 0 offen
	buffer_load_dword v147, v137, s[0:3], 0 offen offset:4
	ds_read_b128 v[140:143], v136
	v_add_nc_u32_e32 v138, 1, v138
	v_add_nc_u32_e32 v136, 16, v136
	v_add_nc_u32_e32 v137, 16, v137
	v_cmp_lt_u32_e32 vcc_lo, 50, v138
	s_or_b32 s6, vcc_lo, s6
	s_waitcnt vmcnt(2) lgkmcnt(0)
	v_mul_f64 v[148:149], v[142:143], v[144:145]
	v_mul_f64 v[144:145], v[140:141], v[144:145]
	s_waitcnt vmcnt(0)
	v_fma_f64 v[140:141], v[140:141], v[146:147], -v[148:149]
	v_fma_f64 v[142:143], v[142:143], v[146:147], v[144:145]
	v_add_f64 v[1:2], v[1:2], v[140:141]
	v_add_f64 v[3:4], v[3:4], v[142:143]
	s_andn2_b32 exec_lo, exec_lo, s6
	s_cbranch_execnz .LBB127_1294
; %bb.1295:
	s_or_b32 exec_lo, exec_lo, s6
.LBB127_1296:
	s_or_b32 exec_lo, exec_lo, s5
	v_mov_b32_e32 v136, 0
	ds_read_b128 v[140:143], v136 offset:832
	s_waitcnt lgkmcnt(0)
	v_mul_f64 v[136:137], v[3:4], v[142:143]
	v_mul_f64 v[142:143], v[1:2], v[142:143]
	v_fma_f64 v[1:2], v[1:2], v[140:141], -v[136:137]
	v_fma_f64 v[3:4], v[3:4], v[140:141], v[142:143]
	buffer_store_dword v2, off, s[0:3], 0 offset:836
	buffer_store_dword v1, off, s[0:3], 0 offset:832
	;; [unrolled: 1-line block ×4, first 2 shown]
.LBB127_1297:
	s_or_b32 exec_lo, exec_lo, s4
	v_mov_b32_e32 v4, s19
	s_mov_b32 s4, exec_lo
	s_clause 0x3
	buffer_load_dword v1, v4, s[0:3], 0 offen
	buffer_load_dword v2, v4, s[0:3], 0 offen offset:4
	buffer_load_dword v3, v4, s[0:3], 0 offen offset:8
	;; [unrolled: 1-line block ×3, first 2 shown]
	s_waitcnt vmcnt(0)
	ds_write_b128 v134, v[1:4]
	s_waitcnt lgkmcnt(0)
	s_waitcnt_vscnt null, 0x0
	s_barrier
	buffer_gl0_inv
	v_cmpx_gt_u32_e32 53, v0
	s_cbranch_execz .LBB127_1305
; %bb.1298:
	ds_read_b128 v[1:4], v134
	v_cmp_ne_u32_e32 vcc_lo, 1, v135
	s_cbranch_vccnz .LBB127_1300
; %bb.1299:
	s_clause 0x3
	buffer_load_dword v136, v133, s[0:3], 0 offen offset:8
	buffer_load_dword v137, v133, s[0:3], 0 offen offset:12
	buffer_load_dword v140, v133, s[0:3], 0 offen
	buffer_load_dword v141, v133, s[0:3], 0 offen offset:4
	s_waitcnt vmcnt(2) lgkmcnt(0)
	v_mul_f64 v[142:143], v[3:4], v[136:137]
	v_mul_f64 v[136:137], v[1:2], v[136:137]
	s_waitcnt vmcnt(0)
	v_fma_f64 v[1:2], v[1:2], v[140:141], -v[142:143]
	v_fma_f64 v[3:4], v[3:4], v[140:141], v[136:137]
.LBB127_1300:
	s_mov_b32 s5, exec_lo
	v_cmpx_ne_u32_e32 52, v0
	s_cbranch_execz .LBB127_1304
; %bb.1301:
	v_add_nc_u32_e32 v136, 0x410, v139
	v_add3_u32 v137, 0, v139, 16
	v_mov_b32_e32 v138, v0
	s_mov_b32 s6, 0
	.p2align	6
.LBB127_1302:                           ; =>This Inner Loop Header: Depth=1
	s_clause 0x3
	buffer_load_dword v144, v137, s[0:3], 0 offen offset:8
	buffer_load_dword v145, v137, s[0:3], 0 offen offset:12
	buffer_load_dword v146, v137, s[0:3], 0 offen
	buffer_load_dword v147, v137, s[0:3], 0 offen offset:4
	ds_read_b128 v[140:143], v136
	v_add_nc_u32_e32 v138, 1, v138
	v_add_nc_u32_e32 v136, 16, v136
	;; [unrolled: 1-line block ×3, first 2 shown]
	v_cmp_lt_u32_e32 vcc_lo, 51, v138
	s_or_b32 s6, vcc_lo, s6
	s_waitcnt vmcnt(2) lgkmcnt(0)
	v_mul_f64 v[148:149], v[142:143], v[144:145]
	v_mul_f64 v[144:145], v[140:141], v[144:145]
	s_waitcnt vmcnt(0)
	v_fma_f64 v[140:141], v[140:141], v[146:147], -v[148:149]
	v_fma_f64 v[142:143], v[142:143], v[146:147], v[144:145]
	v_add_f64 v[1:2], v[1:2], v[140:141]
	v_add_f64 v[3:4], v[3:4], v[142:143]
	s_andn2_b32 exec_lo, exec_lo, s6
	s_cbranch_execnz .LBB127_1302
; %bb.1303:
	s_or_b32 exec_lo, exec_lo, s6
.LBB127_1304:
	s_or_b32 exec_lo, exec_lo, s5
	v_mov_b32_e32 v136, 0
	ds_read_b128 v[140:143], v136 offset:848
	s_waitcnt lgkmcnt(0)
	v_mul_f64 v[136:137], v[3:4], v[142:143]
	v_mul_f64 v[142:143], v[1:2], v[142:143]
	v_fma_f64 v[1:2], v[1:2], v[140:141], -v[136:137]
	v_fma_f64 v[3:4], v[3:4], v[140:141], v[142:143]
	buffer_store_dword v2, off, s[0:3], 0 offset:852
	buffer_store_dword v1, off, s[0:3], 0 offset:848
	;; [unrolled: 1-line block ×4, first 2 shown]
.LBB127_1305:
	s_or_b32 exec_lo, exec_lo, s4
	v_mov_b32_e32 v4, s18
	s_mov_b32 s4, exec_lo
	s_clause 0x3
	buffer_load_dword v1, v4, s[0:3], 0 offen
	buffer_load_dword v2, v4, s[0:3], 0 offen offset:4
	buffer_load_dword v3, v4, s[0:3], 0 offen offset:8
	;; [unrolled: 1-line block ×3, first 2 shown]
	s_waitcnt vmcnt(0)
	ds_write_b128 v134, v[1:4]
	s_waitcnt lgkmcnt(0)
	s_waitcnt_vscnt null, 0x0
	s_barrier
	buffer_gl0_inv
	v_cmpx_gt_u32_e32 54, v0
	s_cbranch_execz .LBB127_1313
; %bb.1306:
	ds_read_b128 v[1:4], v134
	v_cmp_ne_u32_e32 vcc_lo, 1, v135
	s_cbranch_vccnz .LBB127_1308
; %bb.1307:
	s_clause 0x3
	buffer_load_dword v136, v133, s[0:3], 0 offen offset:8
	buffer_load_dword v137, v133, s[0:3], 0 offen offset:12
	buffer_load_dword v140, v133, s[0:3], 0 offen
	buffer_load_dword v141, v133, s[0:3], 0 offen offset:4
	s_waitcnt vmcnt(2) lgkmcnt(0)
	v_mul_f64 v[142:143], v[3:4], v[136:137]
	v_mul_f64 v[136:137], v[1:2], v[136:137]
	s_waitcnt vmcnt(0)
	v_fma_f64 v[1:2], v[1:2], v[140:141], -v[142:143]
	v_fma_f64 v[3:4], v[3:4], v[140:141], v[136:137]
.LBB127_1308:
	s_mov_b32 s5, exec_lo
	v_cmpx_ne_u32_e32 53, v0
	s_cbranch_execz .LBB127_1312
; %bb.1309:
	v_add_nc_u32_e32 v136, 0x410, v139
	v_add3_u32 v137, 0, v139, 16
	v_mov_b32_e32 v138, v0
	s_mov_b32 s6, 0
	.p2align	6
.LBB127_1310:                           ; =>This Inner Loop Header: Depth=1
	s_clause 0x3
	buffer_load_dword v144, v137, s[0:3], 0 offen offset:8
	buffer_load_dword v145, v137, s[0:3], 0 offen offset:12
	buffer_load_dword v146, v137, s[0:3], 0 offen
	buffer_load_dword v147, v137, s[0:3], 0 offen offset:4
	ds_read_b128 v[140:143], v136
	v_add_nc_u32_e32 v138, 1, v138
	v_add_nc_u32_e32 v136, 16, v136
	;; [unrolled: 1-line block ×3, first 2 shown]
	v_cmp_lt_u32_e32 vcc_lo, 52, v138
	s_or_b32 s6, vcc_lo, s6
	s_waitcnt vmcnt(2) lgkmcnt(0)
	v_mul_f64 v[148:149], v[142:143], v[144:145]
	v_mul_f64 v[144:145], v[140:141], v[144:145]
	s_waitcnt vmcnt(0)
	v_fma_f64 v[140:141], v[140:141], v[146:147], -v[148:149]
	v_fma_f64 v[142:143], v[142:143], v[146:147], v[144:145]
	v_add_f64 v[1:2], v[1:2], v[140:141]
	v_add_f64 v[3:4], v[3:4], v[142:143]
	s_andn2_b32 exec_lo, exec_lo, s6
	s_cbranch_execnz .LBB127_1310
; %bb.1311:
	s_or_b32 exec_lo, exec_lo, s6
.LBB127_1312:
	s_or_b32 exec_lo, exec_lo, s5
	v_mov_b32_e32 v136, 0
	ds_read_b128 v[140:143], v136 offset:864
	s_waitcnt lgkmcnt(0)
	v_mul_f64 v[136:137], v[3:4], v[142:143]
	v_mul_f64 v[142:143], v[1:2], v[142:143]
	v_fma_f64 v[1:2], v[1:2], v[140:141], -v[136:137]
	v_fma_f64 v[3:4], v[3:4], v[140:141], v[142:143]
	buffer_store_dword v2, off, s[0:3], 0 offset:868
	buffer_store_dword v1, off, s[0:3], 0 offset:864
	;; [unrolled: 1-line block ×4, first 2 shown]
.LBB127_1313:
	s_or_b32 exec_lo, exec_lo, s4
	v_mov_b32_e32 v4, s17
	s_mov_b32 s4, exec_lo
	s_clause 0x3
	buffer_load_dword v1, v4, s[0:3], 0 offen
	buffer_load_dword v2, v4, s[0:3], 0 offen offset:4
	buffer_load_dword v3, v4, s[0:3], 0 offen offset:8
	buffer_load_dword v4, v4, s[0:3], 0 offen offset:12
	s_waitcnt vmcnt(0)
	ds_write_b128 v134, v[1:4]
	s_waitcnt lgkmcnt(0)
	s_waitcnt_vscnt null, 0x0
	s_barrier
	buffer_gl0_inv
	v_cmpx_gt_u32_e32 55, v0
	s_cbranch_execz .LBB127_1321
; %bb.1314:
	ds_read_b128 v[1:4], v134
	v_cmp_ne_u32_e32 vcc_lo, 1, v135
	s_cbranch_vccnz .LBB127_1316
; %bb.1315:
	s_clause 0x3
	buffer_load_dword v136, v133, s[0:3], 0 offen offset:8
	buffer_load_dword v137, v133, s[0:3], 0 offen offset:12
	buffer_load_dword v140, v133, s[0:3], 0 offen
	buffer_load_dword v141, v133, s[0:3], 0 offen offset:4
	s_waitcnt vmcnt(2) lgkmcnt(0)
	v_mul_f64 v[142:143], v[3:4], v[136:137]
	v_mul_f64 v[136:137], v[1:2], v[136:137]
	s_waitcnt vmcnt(0)
	v_fma_f64 v[1:2], v[1:2], v[140:141], -v[142:143]
	v_fma_f64 v[3:4], v[3:4], v[140:141], v[136:137]
.LBB127_1316:
	s_mov_b32 s5, exec_lo
	v_cmpx_ne_u32_e32 54, v0
	s_cbranch_execz .LBB127_1320
; %bb.1317:
	v_add_nc_u32_e32 v136, 0x410, v139
	v_add3_u32 v137, 0, v139, 16
	v_mov_b32_e32 v138, v0
	s_mov_b32 s6, 0
	.p2align	6
.LBB127_1318:                           ; =>This Inner Loop Header: Depth=1
	s_clause 0x3
	buffer_load_dword v144, v137, s[0:3], 0 offen offset:8
	buffer_load_dword v145, v137, s[0:3], 0 offen offset:12
	buffer_load_dword v146, v137, s[0:3], 0 offen
	buffer_load_dword v147, v137, s[0:3], 0 offen offset:4
	ds_read_b128 v[140:143], v136
	v_add_nc_u32_e32 v138, 1, v138
	v_add_nc_u32_e32 v136, 16, v136
	;; [unrolled: 1-line block ×3, first 2 shown]
	v_cmp_lt_u32_e32 vcc_lo, 53, v138
	s_or_b32 s6, vcc_lo, s6
	s_waitcnt vmcnt(2) lgkmcnt(0)
	v_mul_f64 v[148:149], v[142:143], v[144:145]
	v_mul_f64 v[144:145], v[140:141], v[144:145]
	s_waitcnt vmcnt(0)
	v_fma_f64 v[140:141], v[140:141], v[146:147], -v[148:149]
	v_fma_f64 v[142:143], v[142:143], v[146:147], v[144:145]
	v_add_f64 v[1:2], v[1:2], v[140:141]
	v_add_f64 v[3:4], v[3:4], v[142:143]
	s_andn2_b32 exec_lo, exec_lo, s6
	s_cbranch_execnz .LBB127_1318
; %bb.1319:
	s_or_b32 exec_lo, exec_lo, s6
.LBB127_1320:
	s_or_b32 exec_lo, exec_lo, s5
	v_mov_b32_e32 v136, 0
	ds_read_b128 v[140:143], v136 offset:880
	s_waitcnt lgkmcnt(0)
	v_mul_f64 v[136:137], v[3:4], v[142:143]
	v_mul_f64 v[142:143], v[1:2], v[142:143]
	v_fma_f64 v[1:2], v[1:2], v[140:141], -v[136:137]
	v_fma_f64 v[3:4], v[3:4], v[140:141], v[142:143]
	buffer_store_dword v2, off, s[0:3], 0 offset:884
	buffer_store_dword v1, off, s[0:3], 0 offset:880
	;; [unrolled: 1-line block ×4, first 2 shown]
.LBB127_1321:
	s_or_b32 exec_lo, exec_lo, s4
	v_mov_b32_e32 v4, s16
	s_mov_b32 s4, exec_lo
	s_clause 0x3
	buffer_load_dword v1, v4, s[0:3], 0 offen
	buffer_load_dword v2, v4, s[0:3], 0 offen offset:4
	buffer_load_dword v3, v4, s[0:3], 0 offen offset:8
	;; [unrolled: 1-line block ×3, first 2 shown]
	s_waitcnt vmcnt(0)
	ds_write_b128 v134, v[1:4]
	s_waitcnt lgkmcnt(0)
	s_waitcnt_vscnt null, 0x0
	s_barrier
	buffer_gl0_inv
	v_cmpx_gt_u32_e32 56, v0
	s_cbranch_execz .LBB127_1329
; %bb.1322:
	ds_read_b128 v[1:4], v134
	v_cmp_ne_u32_e32 vcc_lo, 1, v135
	s_cbranch_vccnz .LBB127_1324
; %bb.1323:
	s_clause 0x3
	buffer_load_dword v136, v133, s[0:3], 0 offen offset:8
	buffer_load_dword v137, v133, s[0:3], 0 offen offset:12
	buffer_load_dword v140, v133, s[0:3], 0 offen
	buffer_load_dword v141, v133, s[0:3], 0 offen offset:4
	s_waitcnt vmcnt(2) lgkmcnt(0)
	v_mul_f64 v[142:143], v[3:4], v[136:137]
	v_mul_f64 v[136:137], v[1:2], v[136:137]
	s_waitcnt vmcnt(0)
	v_fma_f64 v[1:2], v[1:2], v[140:141], -v[142:143]
	v_fma_f64 v[3:4], v[3:4], v[140:141], v[136:137]
.LBB127_1324:
	s_mov_b32 s5, exec_lo
	v_cmpx_ne_u32_e32 55, v0
	s_cbranch_execz .LBB127_1328
; %bb.1325:
	v_add_nc_u32_e32 v136, 0x410, v139
	v_add3_u32 v137, 0, v139, 16
	v_mov_b32_e32 v138, v0
	s_mov_b32 s6, 0
	.p2align	6
.LBB127_1326:                           ; =>This Inner Loop Header: Depth=1
	s_clause 0x3
	buffer_load_dword v144, v137, s[0:3], 0 offen offset:8
	buffer_load_dword v145, v137, s[0:3], 0 offen offset:12
	buffer_load_dword v146, v137, s[0:3], 0 offen
	buffer_load_dword v147, v137, s[0:3], 0 offen offset:4
	ds_read_b128 v[140:143], v136
	v_add_nc_u32_e32 v138, 1, v138
	v_add_nc_u32_e32 v136, 16, v136
	;; [unrolled: 1-line block ×3, first 2 shown]
	v_cmp_lt_u32_e32 vcc_lo, 54, v138
	s_or_b32 s6, vcc_lo, s6
	s_waitcnt vmcnt(2) lgkmcnt(0)
	v_mul_f64 v[148:149], v[142:143], v[144:145]
	v_mul_f64 v[144:145], v[140:141], v[144:145]
	s_waitcnt vmcnt(0)
	v_fma_f64 v[140:141], v[140:141], v[146:147], -v[148:149]
	v_fma_f64 v[142:143], v[142:143], v[146:147], v[144:145]
	v_add_f64 v[1:2], v[1:2], v[140:141]
	v_add_f64 v[3:4], v[3:4], v[142:143]
	s_andn2_b32 exec_lo, exec_lo, s6
	s_cbranch_execnz .LBB127_1326
; %bb.1327:
	s_or_b32 exec_lo, exec_lo, s6
.LBB127_1328:
	s_or_b32 exec_lo, exec_lo, s5
	v_mov_b32_e32 v136, 0
	ds_read_b128 v[140:143], v136 offset:896
	s_waitcnt lgkmcnt(0)
	v_mul_f64 v[136:137], v[3:4], v[142:143]
	v_mul_f64 v[142:143], v[1:2], v[142:143]
	v_fma_f64 v[1:2], v[1:2], v[140:141], -v[136:137]
	v_fma_f64 v[3:4], v[3:4], v[140:141], v[142:143]
	buffer_store_dword v2, off, s[0:3], 0 offset:900
	buffer_store_dword v1, off, s[0:3], 0 offset:896
	;; [unrolled: 1-line block ×4, first 2 shown]
.LBB127_1329:
	s_or_b32 exec_lo, exec_lo, s4
	v_mov_b32_e32 v4, s15
	s_mov_b32 s4, exec_lo
	s_clause 0x3
	buffer_load_dword v1, v4, s[0:3], 0 offen
	buffer_load_dword v2, v4, s[0:3], 0 offen offset:4
	buffer_load_dword v3, v4, s[0:3], 0 offen offset:8
	;; [unrolled: 1-line block ×3, first 2 shown]
	s_waitcnt vmcnt(0)
	ds_write_b128 v134, v[1:4]
	s_waitcnt lgkmcnt(0)
	s_waitcnt_vscnt null, 0x0
	s_barrier
	buffer_gl0_inv
	v_cmpx_gt_u32_e32 57, v0
	s_cbranch_execz .LBB127_1337
; %bb.1330:
	ds_read_b128 v[1:4], v134
	v_cmp_ne_u32_e32 vcc_lo, 1, v135
	s_cbranch_vccnz .LBB127_1332
; %bb.1331:
	s_clause 0x3
	buffer_load_dword v136, v133, s[0:3], 0 offen offset:8
	buffer_load_dword v137, v133, s[0:3], 0 offen offset:12
	buffer_load_dword v140, v133, s[0:3], 0 offen
	buffer_load_dword v141, v133, s[0:3], 0 offen offset:4
	s_waitcnt vmcnt(2) lgkmcnt(0)
	v_mul_f64 v[142:143], v[3:4], v[136:137]
	v_mul_f64 v[136:137], v[1:2], v[136:137]
	s_waitcnt vmcnt(0)
	v_fma_f64 v[1:2], v[1:2], v[140:141], -v[142:143]
	v_fma_f64 v[3:4], v[3:4], v[140:141], v[136:137]
.LBB127_1332:
	s_mov_b32 s5, exec_lo
	v_cmpx_ne_u32_e32 56, v0
	s_cbranch_execz .LBB127_1336
; %bb.1333:
	v_add_nc_u32_e32 v136, 0x410, v139
	v_add3_u32 v137, 0, v139, 16
	v_mov_b32_e32 v138, v0
	s_mov_b32 s6, 0
	.p2align	6
.LBB127_1334:                           ; =>This Inner Loop Header: Depth=1
	s_clause 0x3
	buffer_load_dword v144, v137, s[0:3], 0 offen offset:8
	buffer_load_dword v145, v137, s[0:3], 0 offen offset:12
	buffer_load_dword v146, v137, s[0:3], 0 offen
	buffer_load_dword v147, v137, s[0:3], 0 offen offset:4
	ds_read_b128 v[140:143], v136
	v_add_nc_u32_e32 v138, 1, v138
	v_add_nc_u32_e32 v136, 16, v136
	v_add_nc_u32_e32 v137, 16, v137
	v_cmp_lt_u32_e32 vcc_lo, 55, v138
	s_or_b32 s6, vcc_lo, s6
	s_waitcnt vmcnt(2) lgkmcnt(0)
	v_mul_f64 v[148:149], v[142:143], v[144:145]
	v_mul_f64 v[144:145], v[140:141], v[144:145]
	s_waitcnt vmcnt(0)
	v_fma_f64 v[140:141], v[140:141], v[146:147], -v[148:149]
	v_fma_f64 v[142:143], v[142:143], v[146:147], v[144:145]
	v_add_f64 v[1:2], v[1:2], v[140:141]
	v_add_f64 v[3:4], v[3:4], v[142:143]
	s_andn2_b32 exec_lo, exec_lo, s6
	s_cbranch_execnz .LBB127_1334
; %bb.1335:
	s_or_b32 exec_lo, exec_lo, s6
.LBB127_1336:
	s_or_b32 exec_lo, exec_lo, s5
	v_mov_b32_e32 v136, 0
	ds_read_b128 v[140:143], v136 offset:912
	s_waitcnt lgkmcnt(0)
	v_mul_f64 v[136:137], v[3:4], v[142:143]
	v_mul_f64 v[142:143], v[1:2], v[142:143]
	v_fma_f64 v[1:2], v[1:2], v[140:141], -v[136:137]
	v_fma_f64 v[3:4], v[3:4], v[140:141], v[142:143]
	buffer_store_dword v2, off, s[0:3], 0 offset:916
	buffer_store_dword v1, off, s[0:3], 0 offset:912
	buffer_store_dword v4, off, s[0:3], 0 offset:924
	buffer_store_dword v3, off, s[0:3], 0 offset:920
.LBB127_1337:
	s_or_b32 exec_lo, exec_lo, s4
	v_mov_b32_e32 v4, s14
	s_mov_b32 s4, exec_lo
	s_clause 0x3
	buffer_load_dword v1, v4, s[0:3], 0 offen
	buffer_load_dword v2, v4, s[0:3], 0 offen offset:4
	buffer_load_dword v3, v4, s[0:3], 0 offen offset:8
	;; [unrolled: 1-line block ×3, first 2 shown]
	s_waitcnt vmcnt(0)
	ds_write_b128 v134, v[1:4]
	s_waitcnt lgkmcnt(0)
	s_waitcnt_vscnt null, 0x0
	s_barrier
	buffer_gl0_inv
	v_cmpx_gt_u32_e32 58, v0
	s_cbranch_execz .LBB127_1345
; %bb.1338:
	ds_read_b128 v[1:4], v134
	v_cmp_ne_u32_e32 vcc_lo, 1, v135
	s_cbranch_vccnz .LBB127_1340
; %bb.1339:
	s_clause 0x3
	buffer_load_dword v136, v133, s[0:3], 0 offen offset:8
	buffer_load_dword v137, v133, s[0:3], 0 offen offset:12
	buffer_load_dword v140, v133, s[0:3], 0 offen
	buffer_load_dword v141, v133, s[0:3], 0 offen offset:4
	s_waitcnt vmcnt(2) lgkmcnt(0)
	v_mul_f64 v[142:143], v[3:4], v[136:137]
	v_mul_f64 v[136:137], v[1:2], v[136:137]
	s_waitcnt vmcnt(0)
	v_fma_f64 v[1:2], v[1:2], v[140:141], -v[142:143]
	v_fma_f64 v[3:4], v[3:4], v[140:141], v[136:137]
.LBB127_1340:
	s_mov_b32 s5, exec_lo
	v_cmpx_ne_u32_e32 57, v0
	s_cbranch_execz .LBB127_1344
; %bb.1341:
	v_add_nc_u32_e32 v136, 0x410, v139
	v_add3_u32 v137, 0, v139, 16
	v_mov_b32_e32 v138, v0
	s_mov_b32 s6, 0
	.p2align	6
.LBB127_1342:                           ; =>This Inner Loop Header: Depth=1
	s_clause 0x3
	buffer_load_dword v144, v137, s[0:3], 0 offen offset:8
	buffer_load_dword v145, v137, s[0:3], 0 offen offset:12
	buffer_load_dword v146, v137, s[0:3], 0 offen
	buffer_load_dword v147, v137, s[0:3], 0 offen offset:4
	ds_read_b128 v[140:143], v136
	v_add_nc_u32_e32 v138, 1, v138
	v_add_nc_u32_e32 v136, 16, v136
	;; [unrolled: 1-line block ×3, first 2 shown]
	v_cmp_lt_u32_e32 vcc_lo, 56, v138
	s_or_b32 s6, vcc_lo, s6
	s_waitcnt vmcnt(2) lgkmcnt(0)
	v_mul_f64 v[148:149], v[142:143], v[144:145]
	v_mul_f64 v[144:145], v[140:141], v[144:145]
	s_waitcnt vmcnt(0)
	v_fma_f64 v[140:141], v[140:141], v[146:147], -v[148:149]
	v_fma_f64 v[142:143], v[142:143], v[146:147], v[144:145]
	v_add_f64 v[1:2], v[1:2], v[140:141]
	v_add_f64 v[3:4], v[3:4], v[142:143]
	s_andn2_b32 exec_lo, exec_lo, s6
	s_cbranch_execnz .LBB127_1342
; %bb.1343:
	s_or_b32 exec_lo, exec_lo, s6
.LBB127_1344:
	s_or_b32 exec_lo, exec_lo, s5
	v_mov_b32_e32 v136, 0
	ds_read_b128 v[140:143], v136 offset:928
	s_waitcnt lgkmcnt(0)
	v_mul_f64 v[136:137], v[3:4], v[142:143]
	v_mul_f64 v[142:143], v[1:2], v[142:143]
	v_fma_f64 v[1:2], v[1:2], v[140:141], -v[136:137]
	v_fma_f64 v[3:4], v[3:4], v[140:141], v[142:143]
	buffer_store_dword v2, off, s[0:3], 0 offset:932
	buffer_store_dword v1, off, s[0:3], 0 offset:928
	buffer_store_dword v4, off, s[0:3], 0 offset:940
	buffer_store_dword v3, off, s[0:3], 0 offset:936
.LBB127_1345:
	s_or_b32 exec_lo, exec_lo, s4
	v_mov_b32_e32 v4, s13
	s_mov_b32 s4, exec_lo
	s_clause 0x3
	buffer_load_dword v1, v4, s[0:3], 0 offen
	buffer_load_dword v2, v4, s[0:3], 0 offen offset:4
	buffer_load_dword v3, v4, s[0:3], 0 offen offset:8
	;; [unrolled: 1-line block ×3, first 2 shown]
	s_waitcnt vmcnt(0)
	ds_write_b128 v134, v[1:4]
	s_waitcnt lgkmcnt(0)
	s_waitcnt_vscnt null, 0x0
	s_barrier
	buffer_gl0_inv
	v_cmpx_gt_u32_e32 59, v0
	s_cbranch_execz .LBB127_1353
; %bb.1346:
	ds_read_b128 v[1:4], v134
	v_cmp_ne_u32_e32 vcc_lo, 1, v135
	s_cbranch_vccnz .LBB127_1348
; %bb.1347:
	s_clause 0x3
	buffer_load_dword v136, v133, s[0:3], 0 offen offset:8
	buffer_load_dword v137, v133, s[0:3], 0 offen offset:12
	buffer_load_dword v140, v133, s[0:3], 0 offen
	buffer_load_dword v141, v133, s[0:3], 0 offen offset:4
	s_waitcnt vmcnt(2) lgkmcnt(0)
	v_mul_f64 v[142:143], v[3:4], v[136:137]
	v_mul_f64 v[136:137], v[1:2], v[136:137]
	s_waitcnt vmcnt(0)
	v_fma_f64 v[1:2], v[1:2], v[140:141], -v[142:143]
	v_fma_f64 v[3:4], v[3:4], v[140:141], v[136:137]
.LBB127_1348:
	s_mov_b32 s5, exec_lo
	v_cmpx_ne_u32_e32 58, v0
	s_cbranch_execz .LBB127_1352
; %bb.1349:
	v_add_nc_u32_e32 v136, 0x410, v139
	v_add3_u32 v137, 0, v139, 16
	v_mov_b32_e32 v138, v0
	s_mov_b32 s6, 0
	.p2align	6
.LBB127_1350:                           ; =>This Inner Loop Header: Depth=1
	s_clause 0x3
	buffer_load_dword v144, v137, s[0:3], 0 offen offset:8
	buffer_load_dword v145, v137, s[0:3], 0 offen offset:12
	buffer_load_dword v146, v137, s[0:3], 0 offen
	buffer_load_dword v147, v137, s[0:3], 0 offen offset:4
	ds_read_b128 v[140:143], v136
	v_add_nc_u32_e32 v138, 1, v138
	v_add_nc_u32_e32 v136, 16, v136
	;; [unrolled: 1-line block ×3, first 2 shown]
	v_cmp_lt_u32_e32 vcc_lo, 57, v138
	s_or_b32 s6, vcc_lo, s6
	s_waitcnt vmcnt(2) lgkmcnt(0)
	v_mul_f64 v[148:149], v[142:143], v[144:145]
	v_mul_f64 v[144:145], v[140:141], v[144:145]
	s_waitcnt vmcnt(0)
	v_fma_f64 v[140:141], v[140:141], v[146:147], -v[148:149]
	v_fma_f64 v[142:143], v[142:143], v[146:147], v[144:145]
	v_add_f64 v[1:2], v[1:2], v[140:141]
	v_add_f64 v[3:4], v[3:4], v[142:143]
	s_andn2_b32 exec_lo, exec_lo, s6
	s_cbranch_execnz .LBB127_1350
; %bb.1351:
	s_or_b32 exec_lo, exec_lo, s6
.LBB127_1352:
	s_or_b32 exec_lo, exec_lo, s5
	v_mov_b32_e32 v136, 0
	ds_read_b128 v[140:143], v136 offset:944
	s_waitcnt lgkmcnt(0)
	v_mul_f64 v[136:137], v[3:4], v[142:143]
	v_mul_f64 v[142:143], v[1:2], v[142:143]
	v_fma_f64 v[1:2], v[1:2], v[140:141], -v[136:137]
	v_fma_f64 v[3:4], v[3:4], v[140:141], v[142:143]
	buffer_store_dword v2, off, s[0:3], 0 offset:948
	buffer_store_dword v1, off, s[0:3], 0 offset:944
	buffer_store_dword v4, off, s[0:3], 0 offset:956
	buffer_store_dword v3, off, s[0:3], 0 offset:952
.LBB127_1353:
	s_or_b32 exec_lo, exec_lo, s4
	v_mov_b32_e32 v4, s12
	s_mov_b32 s4, exec_lo
	s_clause 0x3
	buffer_load_dword v1, v4, s[0:3], 0 offen
	buffer_load_dword v2, v4, s[0:3], 0 offen offset:4
	buffer_load_dword v3, v4, s[0:3], 0 offen offset:8
	;; [unrolled: 1-line block ×3, first 2 shown]
	s_waitcnt vmcnt(0)
	ds_write_b128 v134, v[1:4]
	s_waitcnt lgkmcnt(0)
	s_waitcnt_vscnt null, 0x0
	s_barrier
	buffer_gl0_inv
	v_cmpx_gt_u32_e32 60, v0
	s_cbranch_execz .LBB127_1361
; %bb.1354:
	ds_read_b128 v[1:4], v134
	v_cmp_ne_u32_e32 vcc_lo, 1, v135
	s_cbranch_vccnz .LBB127_1356
; %bb.1355:
	s_clause 0x3
	buffer_load_dword v136, v133, s[0:3], 0 offen offset:8
	buffer_load_dword v137, v133, s[0:3], 0 offen offset:12
	buffer_load_dword v140, v133, s[0:3], 0 offen
	buffer_load_dword v141, v133, s[0:3], 0 offen offset:4
	s_waitcnt vmcnt(2) lgkmcnt(0)
	v_mul_f64 v[142:143], v[3:4], v[136:137]
	v_mul_f64 v[136:137], v[1:2], v[136:137]
	s_waitcnt vmcnt(0)
	v_fma_f64 v[1:2], v[1:2], v[140:141], -v[142:143]
	v_fma_f64 v[3:4], v[3:4], v[140:141], v[136:137]
.LBB127_1356:
	s_mov_b32 s5, exec_lo
	v_cmpx_ne_u32_e32 59, v0
	s_cbranch_execz .LBB127_1360
; %bb.1357:
	v_add_nc_u32_e32 v136, 0x410, v139
	v_add3_u32 v137, 0, v139, 16
	v_mov_b32_e32 v138, v0
	s_mov_b32 s6, 0
	.p2align	6
.LBB127_1358:                           ; =>This Inner Loop Header: Depth=1
	s_clause 0x3
	buffer_load_dword v144, v137, s[0:3], 0 offen offset:8
	buffer_load_dword v145, v137, s[0:3], 0 offen offset:12
	buffer_load_dword v146, v137, s[0:3], 0 offen
	buffer_load_dword v147, v137, s[0:3], 0 offen offset:4
	ds_read_b128 v[140:143], v136
	v_add_nc_u32_e32 v138, 1, v138
	v_add_nc_u32_e32 v136, 16, v136
	;; [unrolled: 1-line block ×3, first 2 shown]
	v_cmp_lt_u32_e32 vcc_lo, 58, v138
	s_or_b32 s6, vcc_lo, s6
	s_waitcnt vmcnt(2) lgkmcnt(0)
	v_mul_f64 v[148:149], v[142:143], v[144:145]
	v_mul_f64 v[144:145], v[140:141], v[144:145]
	s_waitcnt vmcnt(0)
	v_fma_f64 v[140:141], v[140:141], v[146:147], -v[148:149]
	v_fma_f64 v[142:143], v[142:143], v[146:147], v[144:145]
	v_add_f64 v[1:2], v[1:2], v[140:141]
	v_add_f64 v[3:4], v[3:4], v[142:143]
	s_andn2_b32 exec_lo, exec_lo, s6
	s_cbranch_execnz .LBB127_1358
; %bb.1359:
	s_or_b32 exec_lo, exec_lo, s6
.LBB127_1360:
	s_or_b32 exec_lo, exec_lo, s5
	v_mov_b32_e32 v136, 0
	ds_read_b128 v[140:143], v136 offset:960
	s_waitcnt lgkmcnt(0)
	v_mul_f64 v[136:137], v[3:4], v[142:143]
	v_mul_f64 v[142:143], v[1:2], v[142:143]
	v_fma_f64 v[1:2], v[1:2], v[140:141], -v[136:137]
	v_fma_f64 v[3:4], v[3:4], v[140:141], v[142:143]
	buffer_store_dword v2, off, s[0:3], 0 offset:964
	buffer_store_dword v1, off, s[0:3], 0 offset:960
	;; [unrolled: 1-line block ×4, first 2 shown]
.LBB127_1361:
	s_or_b32 exec_lo, exec_lo, s4
	v_mov_b32_e32 v4, s11
	s_mov_b32 s4, exec_lo
	s_clause 0x3
	buffer_load_dword v1, v4, s[0:3], 0 offen
	buffer_load_dword v2, v4, s[0:3], 0 offen offset:4
	buffer_load_dword v3, v4, s[0:3], 0 offen offset:8
	;; [unrolled: 1-line block ×3, first 2 shown]
	s_waitcnt vmcnt(0)
	ds_write_b128 v134, v[1:4]
	s_waitcnt lgkmcnt(0)
	s_waitcnt_vscnt null, 0x0
	s_barrier
	buffer_gl0_inv
	v_cmpx_gt_u32_e32 61, v0
	s_cbranch_execz .LBB127_1369
; %bb.1362:
	ds_read_b128 v[1:4], v134
	v_cmp_ne_u32_e32 vcc_lo, 1, v135
	s_cbranch_vccnz .LBB127_1364
; %bb.1363:
	s_clause 0x3
	buffer_load_dword v136, v133, s[0:3], 0 offen offset:8
	buffer_load_dword v137, v133, s[0:3], 0 offen offset:12
	buffer_load_dword v140, v133, s[0:3], 0 offen
	buffer_load_dword v141, v133, s[0:3], 0 offen offset:4
	s_waitcnt vmcnt(2) lgkmcnt(0)
	v_mul_f64 v[142:143], v[3:4], v[136:137]
	v_mul_f64 v[136:137], v[1:2], v[136:137]
	s_waitcnt vmcnt(0)
	v_fma_f64 v[1:2], v[1:2], v[140:141], -v[142:143]
	v_fma_f64 v[3:4], v[3:4], v[140:141], v[136:137]
.LBB127_1364:
	s_mov_b32 s5, exec_lo
	v_cmpx_ne_u32_e32 60, v0
	s_cbranch_execz .LBB127_1368
; %bb.1365:
	v_add_nc_u32_e32 v136, 0x410, v139
	v_add3_u32 v137, 0, v139, 16
	v_mov_b32_e32 v138, v0
	s_mov_b32 s6, 0
	.p2align	6
.LBB127_1366:                           ; =>This Inner Loop Header: Depth=1
	s_clause 0x3
	buffer_load_dword v144, v137, s[0:3], 0 offen offset:8
	buffer_load_dword v145, v137, s[0:3], 0 offen offset:12
	buffer_load_dword v146, v137, s[0:3], 0 offen
	buffer_load_dword v147, v137, s[0:3], 0 offen offset:4
	ds_read_b128 v[140:143], v136
	v_add_nc_u32_e32 v138, 1, v138
	v_add_nc_u32_e32 v136, 16, v136
	;; [unrolled: 1-line block ×3, first 2 shown]
	v_cmp_lt_u32_e32 vcc_lo, 59, v138
	s_or_b32 s6, vcc_lo, s6
	s_waitcnt vmcnt(2) lgkmcnt(0)
	v_mul_f64 v[148:149], v[142:143], v[144:145]
	v_mul_f64 v[144:145], v[140:141], v[144:145]
	s_waitcnt vmcnt(0)
	v_fma_f64 v[140:141], v[140:141], v[146:147], -v[148:149]
	v_fma_f64 v[142:143], v[142:143], v[146:147], v[144:145]
	v_add_f64 v[1:2], v[1:2], v[140:141]
	v_add_f64 v[3:4], v[3:4], v[142:143]
	s_andn2_b32 exec_lo, exec_lo, s6
	s_cbranch_execnz .LBB127_1366
; %bb.1367:
	s_or_b32 exec_lo, exec_lo, s6
.LBB127_1368:
	s_or_b32 exec_lo, exec_lo, s5
	v_mov_b32_e32 v136, 0
	ds_read_b128 v[140:143], v136 offset:976
	s_waitcnt lgkmcnt(0)
	v_mul_f64 v[136:137], v[3:4], v[142:143]
	v_mul_f64 v[142:143], v[1:2], v[142:143]
	v_fma_f64 v[1:2], v[1:2], v[140:141], -v[136:137]
	v_fma_f64 v[3:4], v[3:4], v[140:141], v[142:143]
	buffer_store_dword v2, off, s[0:3], 0 offset:980
	buffer_store_dword v1, off, s[0:3], 0 offset:976
	buffer_store_dword v4, off, s[0:3], 0 offset:988
	buffer_store_dword v3, off, s[0:3], 0 offset:984
.LBB127_1369:
	s_or_b32 exec_lo, exec_lo, s4
	v_mov_b32_e32 v4, s10
	v_cmp_gt_u32_e64 s4, 62, v0
	s_clause 0x3
	buffer_load_dword v1, v4, s[0:3], 0 offen
	buffer_load_dword v2, v4, s[0:3], 0 offen offset:4
	buffer_load_dword v3, v4, s[0:3], 0 offen offset:8
	;; [unrolled: 1-line block ×3, first 2 shown]
	s_waitcnt vmcnt(0)
	ds_write_b128 v134, v[1:4]
	s_waitcnt lgkmcnt(0)
	s_waitcnt_vscnt null, 0x0
	s_barrier
	buffer_gl0_inv
	s_and_saveexec_b32 s5, s4
	s_cbranch_execz .LBB127_1377
; %bb.1370:
	ds_read_b128 v[1:4], v134
	v_cmp_ne_u32_e32 vcc_lo, 1, v135
	s_cbranch_vccnz .LBB127_1372
; %bb.1371:
	s_clause 0x3
	buffer_load_dword v136, v133, s[0:3], 0 offen offset:8
	buffer_load_dword v137, v133, s[0:3], 0 offen offset:12
	buffer_load_dword v140, v133, s[0:3], 0 offen
	buffer_load_dword v141, v133, s[0:3], 0 offen offset:4
	s_waitcnt vmcnt(2) lgkmcnt(0)
	v_mul_f64 v[142:143], v[3:4], v[136:137]
	v_mul_f64 v[136:137], v[1:2], v[136:137]
	s_waitcnt vmcnt(0)
	v_fma_f64 v[1:2], v[1:2], v[140:141], -v[142:143]
	v_fma_f64 v[3:4], v[3:4], v[140:141], v[136:137]
.LBB127_1372:
	s_mov_b32 s6, exec_lo
	v_cmpx_ne_u32_e32 61, v0
	s_cbranch_execz .LBB127_1376
; %bb.1373:
	v_add_nc_u32_e32 v136, 0x410, v139
	v_add3_u32 v137, 0, v139, 16
	v_mov_b32_e32 v138, v0
	s_mov_b32 s7, 0
	.p2align	6
.LBB127_1374:                           ; =>This Inner Loop Header: Depth=1
	s_clause 0x3
	buffer_load_dword v144, v137, s[0:3], 0 offen offset:8
	buffer_load_dword v145, v137, s[0:3], 0 offen offset:12
	buffer_load_dword v146, v137, s[0:3], 0 offen
	buffer_load_dword v147, v137, s[0:3], 0 offen offset:4
	ds_read_b128 v[140:143], v136
	v_add_nc_u32_e32 v138, 1, v138
	v_add_nc_u32_e32 v136, 16, v136
	;; [unrolled: 1-line block ×3, first 2 shown]
	v_cmp_lt_u32_e32 vcc_lo, 60, v138
	s_or_b32 s7, vcc_lo, s7
	s_waitcnt vmcnt(2) lgkmcnt(0)
	v_mul_f64 v[148:149], v[142:143], v[144:145]
	v_mul_f64 v[144:145], v[140:141], v[144:145]
	s_waitcnt vmcnt(0)
	v_fma_f64 v[140:141], v[140:141], v[146:147], -v[148:149]
	v_fma_f64 v[142:143], v[142:143], v[146:147], v[144:145]
	v_add_f64 v[1:2], v[1:2], v[140:141]
	v_add_f64 v[3:4], v[3:4], v[142:143]
	s_andn2_b32 exec_lo, exec_lo, s7
	s_cbranch_execnz .LBB127_1374
; %bb.1375:
	s_or_b32 exec_lo, exec_lo, s7
.LBB127_1376:
	s_or_b32 exec_lo, exec_lo, s6
	v_mov_b32_e32 v136, 0
	ds_read_b128 v[140:143], v136 offset:992
	s_waitcnt lgkmcnt(0)
	v_mul_f64 v[136:137], v[3:4], v[142:143]
	v_mul_f64 v[142:143], v[1:2], v[142:143]
	v_fma_f64 v[1:2], v[1:2], v[140:141], -v[136:137]
	v_fma_f64 v[3:4], v[3:4], v[140:141], v[142:143]
	buffer_store_dword v2, off, s[0:3], 0 offset:996
	buffer_store_dword v1, off, s[0:3], 0 offset:992
	;; [unrolled: 1-line block ×4, first 2 shown]
.LBB127_1377:
	s_or_b32 exec_lo, exec_lo, s5
	v_mov_b32_e32 v4, s9
	s_mov_b32 s5, exec_lo
                                        ; implicit-def: $sgpr73
	s_clause 0x3
	buffer_load_dword v1, v4, s[0:3], 0 offen
	buffer_load_dword v2, v4, s[0:3], 0 offen offset:4
	buffer_load_dword v3, v4, s[0:3], 0 offen offset:8
	;; [unrolled: 1-line block ×3, first 2 shown]
	s_waitcnt vmcnt(0)
	ds_write_b128 v134, v[1:4]
	s_waitcnt lgkmcnt(0)
	s_waitcnt_vscnt null, 0x0
	s_barrier
	buffer_gl0_inv
                                        ; implicit-def: $vgpr1_vgpr2
	v_cmpx_ne_u32_e32 63, v0
	s_cbranch_execz .LBB127_1385
; %bb.1378:
	ds_read_b128 v[1:4], v134
	v_cmp_ne_u32_e32 vcc_lo, 1, v135
	s_cbranch_vccnz .LBB127_1380
; %bb.1379:
	s_clause 0x3
	buffer_load_dword v134, v133, s[0:3], 0 offen offset:8
	buffer_load_dword v135, v133, s[0:3], 0 offen offset:12
	buffer_load_dword v136, v133, s[0:3], 0 offen
	buffer_load_dword v137, v133, s[0:3], 0 offen offset:4
	s_waitcnt vmcnt(2) lgkmcnt(0)
	v_mul_f64 v[140:141], v[3:4], v[134:135]
	v_mul_f64 v[133:134], v[1:2], v[134:135]
	s_waitcnt vmcnt(0)
	v_fma_f64 v[1:2], v[1:2], v[136:137], -v[140:141]
	v_fma_f64 v[3:4], v[3:4], v[136:137], v[133:134]
.LBB127_1380:
	s_and_saveexec_b32 s6, s4
	s_cbranch_execz .LBB127_1384
; %bb.1381:
	v_add_nc_u32_e32 v133, 0x410, v139
	v_add3_u32 v134, 0, v139, 16
	s_mov_b32 s4, 0
	.p2align	6
.LBB127_1382:                           ; =>This Inner Loop Header: Depth=1
	s_clause 0x3
	buffer_load_dword v139, v134, s[0:3], 0 offen offset:8
	buffer_load_dword v140, v134, s[0:3], 0 offen offset:12
	buffer_load_dword v141, v134, s[0:3], 0 offen
	buffer_load_dword v142, v134, s[0:3], 0 offen offset:4
	ds_read_b128 v[135:138], v133
	v_add_nc_u32_e32 v0, 1, v0
	v_add_nc_u32_e32 v133, 16, v133
	;; [unrolled: 1-line block ×3, first 2 shown]
	v_cmp_lt_u32_e32 vcc_lo, 61, v0
	s_or_b32 s4, vcc_lo, s4
	s_waitcnt vmcnt(2) lgkmcnt(0)
	v_mul_f64 v[143:144], v[137:138], v[139:140]
	v_mul_f64 v[139:140], v[135:136], v[139:140]
	s_waitcnt vmcnt(0)
	v_fma_f64 v[135:136], v[135:136], v[141:142], -v[143:144]
	v_fma_f64 v[137:138], v[137:138], v[141:142], v[139:140]
	v_add_f64 v[1:2], v[1:2], v[135:136]
	v_add_f64 v[3:4], v[3:4], v[137:138]
	s_andn2_b32 exec_lo, exec_lo, s4
	s_cbranch_execnz .LBB127_1382
; %bb.1383:
	s_or_b32 exec_lo, exec_lo, s4
.LBB127_1384:
	s_or_b32 exec_lo, exec_lo, s6
	v_mov_b32_e32 v0, 0
	s_movk_i32 s73, 0x3f8
	s_or_b32 s8, s8, exec_lo
	ds_read_b128 v[133:136], v0 offset:1008
	s_waitcnt lgkmcnt(0)
	v_mul_f64 v[137:138], v[3:4], v[135:136]
	v_mul_f64 v[135:136], v[1:2], v[135:136]
	v_fma_f64 v[137:138], v[1:2], v[133:134], -v[137:138]
	v_fma_f64 v[1:2], v[3:4], v[133:134], v[135:136]
	buffer_store_dword v138, off, s[0:3], 0 offset:1012
	buffer_store_dword v137, off, s[0:3], 0 offset:1008
.LBB127_1385:
	s_or_b32 exec_lo, exec_lo, s5
.LBB127_1386:
	s_and_saveexec_b32 s4, s8
	s_cbranch_execz .LBB127_1388
; %bb.1387:
	v_mov_b32_e32 v0, s73
	buffer_store_dword v2, v0, s[0:3], 0 offen offset:4
	buffer_store_dword v1, v0, s[0:3], 0 offen
.LBB127_1388:
	s_or_b32 exec_lo, exec_lo, s4
	s_clause 0x3
	buffer_load_dword v0, off, s[0:3], 0
	buffer_load_dword v1, off, s[0:3], 0 offset:4
	buffer_load_dword v2, off, s[0:3], 0 offset:8
	;; [unrolled: 1-line block ×3, first 2 shown]
	v_mov_b32_e32 v4, s72
	s_waitcnt vmcnt(0)
	flat_store_dwordx4 v[5:6], v[0:3]
	s_clause 0x3
	buffer_load_dword v0, v4, s[0:3], 0 offen
	buffer_load_dword v1, v4, s[0:3], 0 offen offset:4
	buffer_load_dword v2, v4, s[0:3], 0 offen offset:8
	buffer_load_dword v3, v4, s[0:3], 0 offen offset:12
	v_mov_b32_e32 v4, s71
	s_waitcnt vmcnt(0)
	flat_store_dwordx4 v[59:60], v[0:3]
	s_clause 0x3
	buffer_load_dword v0, v4, s[0:3], 0 offen
	buffer_load_dword v1, v4, s[0:3], 0 offen offset:4
	buffer_load_dword v2, v4, s[0:3], 0 offen offset:8
	buffer_load_dword v3, v4, s[0:3], 0 offen offset:12
	;; [unrolled: 8-line block ×63, first 2 shown]
	s_waitcnt vmcnt(0)
	flat_store_dwordx4 v[131:132], v[0:3]
.LBB127_1389:
	s_endpgm
	.section	.rodata,"a",@progbits
	.p2align	6, 0x0
	.amdhsa_kernel _ZN9rocsolver6v33100L18trti2_kernel_smallILi64E19rocblas_complex_numIdEPKPS3_EEv13rocblas_fill_17rocblas_diagonal_T1_iil
		.amdhsa_group_segment_fixed_size 2048
		.amdhsa_private_segment_fixed_size 1040
		.amdhsa_kernarg_size 32
		.amdhsa_user_sgpr_count 6
		.amdhsa_user_sgpr_private_segment_buffer 1
		.amdhsa_user_sgpr_dispatch_ptr 0
		.amdhsa_user_sgpr_queue_ptr 0
		.amdhsa_user_sgpr_kernarg_segment_ptr 1
		.amdhsa_user_sgpr_dispatch_id 0
		.amdhsa_user_sgpr_flat_scratch_init 0
		.amdhsa_user_sgpr_private_segment_size 0
		.amdhsa_wavefront_size32 1
		.amdhsa_uses_dynamic_stack 0
		.amdhsa_system_sgpr_private_segment_wavefront_offset 1
		.amdhsa_system_sgpr_workgroup_id_x 1
		.amdhsa_system_sgpr_workgroup_id_y 0
		.amdhsa_system_sgpr_workgroup_id_z 0
		.amdhsa_system_sgpr_workgroup_info 0
		.amdhsa_system_vgpr_workitem_id 0
		.amdhsa_next_free_vgpr 187
		.amdhsa_next_free_sgpr 101
		.amdhsa_reserve_vcc 1
		.amdhsa_reserve_flat_scratch 0
		.amdhsa_float_round_mode_32 0
		.amdhsa_float_round_mode_16_64 0
		.amdhsa_float_denorm_mode_32 3
		.amdhsa_float_denorm_mode_16_64 3
		.amdhsa_dx10_clamp 1
		.amdhsa_ieee_mode 1
		.amdhsa_fp16_overflow 0
		.amdhsa_workgroup_processor_mode 1
		.amdhsa_memory_ordered 1
		.amdhsa_forward_progress 1
		.amdhsa_shared_vgpr_count 0
		.amdhsa_exception_fp_ieee_invalid_op 0
		.amdhsa_exception_fp_denorm_src 0
		.amdhsa_exception_fp_ieee_div_zero 0
		.amdhsa_exception_fp_ieee_overflow 0
		.amdhsa_exception_fp_ieee_underflow 0
		.amdhsa_exception_fp_ieee_inexact 0
		.amdhsa_exception_int_div_zero 0
	.end_amdhsa_kernel
	.section	.text._ZN9rocsolver6v33100L18trti2_kernel_smallILi64E19rocblas_complex_numIdEPKPS3_EEv13rocblas_fill_17rocblas_diagonal_T1_iil,"axG",@progbits,_ZN9rocsolver6v33100L18trti2_kernel_smallILi64E19rocblas_complex_numIdEPKPS3_EEv13rocblas_fill_17rocblas_diagonal_T1_iil,comdat
.Lfunc_end127:
	.size	_ZN9rocsolver6v33100L18trti2_kernel_smallILi64E19rocblas_complex_numIdEPKPS3_EEv13rocblas_fill_17rocblas_diagonal_T1_iil, .Lfunc_end127-_ZN9rocsolver6v33100L18trti2_kernel_smallILi64E19rocblas_complex_numIdEPKPS3_EEv13rocblas_fill_17rocblas_diagonal_T1_iil
                                        ; -- End function
	.set _ZN9rocsolver6v33100L18trti2_kernel_smallILi64E19rocblas_complex_numIdEPKPS3_EEv13rocblas_fill_17rocblas_diagonal_T1_iil.num_vgpr, 187
	.set _ZN9rocsolver6v33100L18trti2_kernel_smallILi64E19rocblas_complex_numIdEPKPS3_EEv13rocblas_fill_17rocblas_diagonal_T1_iil.num_agpr, 0
	.set _ZN9rocsolver6v33100L18trti2_kernel_smallILi64E19rocblas_complex_numIdEPKPS3_EEv13rocblas_fill_17rocblas_diagonal_T1_iil.numbered_sgpr, 101
	.set _ZN9rocsolver6v33100L18trti2_kernel_smallILi64E19rocblas_complex_numIdEPKPS3_EEv13rocblas_fill_17rocblas_diagonal_T1_iil.num_named_barrier, 0
	.set _ZN9rocsolver6v33100L18trti2_kernel_smallILi64E19rocblas_complex_numIdEPKPS3_EEv13rocblas_fill_17rocblas_diagonal_T1_iil.private_seg_size, 1040
	.set _ZN9rocsolver6v33100L18trti2_kernel_smallILi64E19rocblas_complex_numIdEPKPS3_EEv13rocblas_fill_17rocblas_diagonal_T1_iil.uses_vcc, 1
	.set _ZN9rocsolver6v33100L18trti2_kernel_smallILi64E19rocblas_complex_numIdEPKPS3_EEv13rocblas_fill_17rocblas_diagonal_T1_iil.uses_flat_scratch, 0
	.set _ZN9rocsolver6v33100L18trti2_kernel_smallILi64E19rocblas_complex_numIdEPKPS3_EEv13rocblas_fill_17rocblas_diagonal_T1_iil.has_dyn_sized_stack, 0
	.set _ZN9rocsolver6v33100L18trti2_kernel_smallILi64E19rocblas_complex_numIdEPKPS3_EEv13rocblas_fill_17rocblas_diagonal_T1_iil.has_recursion, 0
	.set _ZN9rocsolver6v33100L18trti2_kernel_smallILi64E19rocblas_complex_numIdEPKPS3_EEv13rocblas_fill_17rocblas_diagonal_T1_iil.has_indirect_call, 0
	.section	.AMDGPU.csdata,"",@progbits
; Kernel info:
; codeLenInByte = 120756
; TotalNumSgprs: 103
; NumVgprs: 187
; ScratchSize: 1040
; MemoryBound: 0
; FloatMode: 240
; IeeeMode: 1
; LDSByteSize: 2048 bytes/workgroup (compile time only)
; SGPRBlocks: 0
; VGPRBlocks: 23
; NumSGPRsForWavesPerEU: 103
; NumVGPRsForWavesPerEU: 187
; Occupancy: 5
; WaveLimiterHint : 1
; COMPUTE_PGM_RSRC2:SCRATCH_EN: 1
; COMPUTE_PGM_RSRC2:USER_SGPR: 6
; COMPUTE_PGM_RSRC2:TRAP_HANDLER: 0
; COMPUTE_PGM_RSRC2:TGID_X_EN: 1
; COMPUTE_PGM_RSRC2:TGID_Y_EN: 0
; COMPUTE_PGM_RSRC2:TGID_Z_EN: 0
; COMPUTE_PGM_RSRC2:TIDIG_COMP_CNT: 0
	.section	.AMDGPU.gpr_maximums,"",@progbits
	.set amdgpu.max_num_vgpr, 0
	.set amdgpu.max_num_agpr, 0
	.set amdgpu.max_num_sgpr, 0
	.section	.AMDGPU.csdata,"",@progbits
	.type	__hip_cuid_49c3c042a3c18f8e,@object ; @__hip_cuid_49c3c042a3c18f8e
	.section	.bss,"aw",@nobits
	.globl	__hip_cuid_49c3c042a3c18f8e
__hip_cuid_49c3c042a3c18f8e:
	.byte	0                               ; 0x0
	.size	__hip_cuid_49c3c042a3c18f8e, 1

	.ident	"AMD clang version 22.0.0git (https://github.com/RadeonOpenCompute/llvm-project roc-7.2.4 26084 f58b06dce1f9c15707c5f808fd002e18c2accf7e)"
	.section	".note.GNU-stack","",@progbits
	.addrsig
	.addrsig_sym __hip_cuid_49c3c042a3c18f8e
	.amdgpu_metadata
---
amdhsa.kernels:
  - .args:
      - .offset:         0
        .size:           4
        .value_kind:     by_value
      - .offset:         4
        .size:           4
        .value_kind:     by_value
      - .address_space:  global
        .offset:         8
        .size:           8
        .value_kind:     global_buffer
      - .offset:         16
        .size:           4
        .value_kind:     by_value
      - .offset:         20
        .size:           4
        .value_kind:     by_value
      - .offset:         24
        .size:           8
        .value_kind:     by_value
    .group_segment_fixed_size: 0
    .kernarg_segment_align: 8
    .kernarg_segment_size: 32
    .language:       OpenCL C
    .language_version:
      - 2
      - 0
    .max_flat_workgroup_size: 64
    .name:           _ZN9rocsolver6v33100L18trti2_kernel_smallILi1E19rocblas_complex_numIdEPS3_EEv13rocblas_fill_17rocblas_diagonal_T1_iil
    .private_segment_fixed_size: 0
    .sgpr_count:     12
    .sgpr_spill_count: 0
    .symbol:         _ZN9rocsolver6v33100L18trti2_kernel_smallILi1E19rocblas_complex_numIdEPS3_EEv13rocblas_fill_17rocblas_diagonal_T1_iil.kd
    .uniform_work_group_size: 1
    .uses_dynamic_stack: false
    .vgpr_count:     12
    .vgpr_spill_count: 0
    .wavefront_size: 32
    .workgroup_processor_mode: 1
  - .args:
      - .offset:         0
        .size:           4
        .value_kind:     by_value
      - .offset:         4
        .size:           4
        .value_kind:     by_value
      - .address_space:  global
        .offset:         8
        .size:           8
        .value_kind:     global_buffer
      - .offset:         16
        .size:           4
        .value_kind:     by_value
      - .offset:         20
        .size:           4
        .value_kind:     by_value
      - .offset:         24
        .size:           8
        .value_kind:     by_value
    .group_segment_fixed_size: 64
    .kernarg_segment_align: 8
    .kernarg_segment_size: 32
    .language:       OpenCL C
    .language_version:
      - 2
      - 0
    .max_flat_workgroup_size: 64
    .name:           _ZN9rocsolver6v33100L18trti2_kernel_smallILi2E19rocblas_complex_numIdEPS3_EEv13rocblas_fill_17rocblas_diagonal_T1_iil
    .private_segment_fixed_size: 48
    .sgpr_count:     18
    .sgpr_spill_count: 0
    .symbol:         _ZN9rocsolver6v33100L18trti2_kernel_smallILi2E19rocblas_complex_numIdEPS3_EEv13rocblas_fill_17rocblas_diagonal_T1_iil.kd
    .uniform_work_group_size: 1
    .uses_dynamic_stack: false
    .vgpr_count:     19
    .vgpr_spill_count: 0
    .wavefront_size: 32
    .workgroup_processor_mode: 1
  - .args:
      - .offset:         0
        .size:           4
        .value_kind:     by_value
      - .offset:         4
        .size:           4
        .value_kind:     by_value
      - .address_space:  global
        .offset:         8
        .size:           8
        .value_kind:     global_buffer
      - .offset:         16
        .size:           4
        .value_kind:     by_value
      - .offset:         20
        .size:           4
        .value_kind:     by_value
      - .offset:         24
        .size:           8
        .value_kind:     by_value
    .group_segment_fixed_size: 96
    .kernarg_segment_align: 8
    .kernarg_segment_size: 32
    .language:       OpenCL C
    .language_version:
      - 2
      - 0
    .max_flat_workgroup_size: 64
    .name:           _ZN9rocsolver6v33100L18trti2_kernel_smallILi3E19rocblas_complex_numIdEPS3_EEv13rocblas_fill_17rocblas_diagonal_T1_iil
    .private_segment_fixed_size: 64
    .sgpr_count:     18
    .sgpr_spill_count: 0
    .symbol:         _ZN9rocsolver6v33100L18trti2_kernel_smallILi3E19rocblas_complex_numIdEPS3_EEv13rocblas_fill_17rocblas_diagonal_T1_iil.kd
    .uniform_work_group_size: 1
    .uses_dynamic_stack: false
    .vgpr_count:     23
    .vgpr_spill_count: 0
    .wavefront_size: 32
    .workgroup_processor_mode: 1
  - .args:
      - .offset:         0
        .size:           4
        .value_kind:     by_value
      - .offset:         4
        .size:           4
        .value_kind:     by_value
      - .address_space:  global
        .offset:         8
        .size:           8
        .value_kind:     global_buffer
      - .offset:         16
        .size:           4
        .value_kind:     by_value
      - .offset:         20
        .size:           4
        .value_kind:     by_value
      - .offset:         24
        .size:           8
        .value_kind:     by_value
    .group_segment_fixed_size: 128
    .kernarg_segment_align: 8
    .kernarg_segment_size: 32
    .language:       OpenCL C
    .language_version:
      - 2
      - 0
    .max_flat_workgroup_size: 64
    .name:           _ZN9rocsolver6v33100L18trti2_kernel_smallILi4E19rocblas_complex_numIdEPS3_EEv13rocblas_fill_17rocblas_diagonal_T1_iil
    .private_segment_fixed_size: 80
    .sgpr_count:     18
    .sgpr_spill_count: 0
    .symbol:         _ZN9rocsolver6v33100L18trti2_kernel_smallILi4E19rocblas_complex_numIdEPS3_EEv13rocblas_fill_17rocblas_diagonal_T1_iil.kd
    .uniform_work_group_size: 1
    .uses_dynamic_stack: false
    .vgpr_count:     28
    .vgpr_spill_count: 0
    .wavefront_size: 32
    .workgroup_processor_mode: 1
  - .args:
      - .offset:         0
        .size:           4
        .value_kind:     by_value
      - .offset:         4
        .size:           4
        .value_kind:     by_value
      - .address_space:  global
        .offset:         8
        .size:           8
        .value_kind:     global_buffer
      - .offset:         16
        .size:           4
        .value_kind:     by_value
      - .offset:         20
        .size:           4
        .value_kind:     by_value
      - .offset:         24
        .size:           8
        .value_kind:     by_value
    .group_segment_fixed_size: 160
    .kernarg_segment_align: 8
    .kernarg_segment_size: 32
    .language:       OpenCL C
    .language_version:
      - 2
      - 0
    .max_flat_workgroup_size: 64
    .name:           _ZN9rocsolver6v33100L18trti2_kernel_smallILi5E19rocblas_complex_numIdEPS3_EEv13rocblas_fill_17rocblas_diagonal_T1_iil
    .private_segment_fixed_size: 96
    .sgpr_count:     18
    .sgpr_spill_count: 0
    .symbol:         _ZN9rocsolver6v33100L18trti2_kernel_smallILi5E19rocblas_complex_numIdEPS3_EEv13rocblas_fill_17rocblas_diagonal_T1_iil.kd
    .uniform_work_group_size: 1
    .uses_dynamic_stack: false
    .vgpr_count:     34
    .vgpr_spill_count: 0
    .wavefront_size: 32
    .workgroup_processor_mode: 1
  - .args:
      - .offset:         0
        .size:           4
        .value_kind:     by_value
      - .offset:         4
        .size:           4
        .value_kind:     by_value
      - .address_space:  global
        .offset:         8
        .size:           8
        .value_kind:     global_buffer
      - .offset:         16
        .size:           4
        .value_kind:     by_value
      - .offset:         20
        .size:           4
        .value_kind:     by_value
      - .offset:         24
        .size:           8
        .value_kind:     by_value
    .group_segment_fixed_size: 192
    .kernarg_segment_align: 8
    .kernarg_segment_size: 32
    .language:       OpenCL C
    .language_version:
      - 2
      - 0
    .max_flat_workgroup_size: 64
    .name:           _ZN9rocsolver6v33100L18trti2_kernel_smallILi6E19rocblas_complex_numIdEPS3_EEv13rocblas_fill_17rocblas_diagonal_T1_iil
    .private_segment_fixed_size: 112
    .sgpr_count:     18
    .sgpr_spill_count: 0
    .symbol:         _ZN9rocsolver6v33100L18trti2_kernel_smallILi6E19rocblas_complex_numIdEPS3_EEv13rocblas_fill_17rocblas_diagonal_T1_iil.kd
    .uniform_work_group_size: 1
    .uses_dynamic_stack: false
    .vgpr_count:     40
    .vgpr_spill_count: 0
    .wavefront_size: 32
    .workgroup_processor_mode: 1
  - .args:
      - .offset:         0
        .size:           4
        .value_kind:     by_value
      - .offset:         4
        .size:           4
        .value_kind:     by_value
      - .address_space:  global
        .offset:         8
        .size:           8
        .value_kind:     global_buffer
      - .offset:         16
        .size:           4
        .value_kind:     by_value
      - .offset:         20
        .size:           4
        .value_kind:     by_value
      - .offset:         24
        .size:           8
        .value_kind:     by_value
    .group_segment_fixed_size: 224
    .kernarg_segment_align: 8
    .kernarg_segment_size: 32
    .language:       OpenCL C
    .language_version:
      - 2
      - 0
    .max_flat_workgroup_size: 64
    .name:           _ZN9rocsolver6v33100L18trti2_kernel_smallILi7E19rocblas_complex_numIdEPS3_EEv13rocblas_fill_17rocblas_diagonal_T1_iil
    .private_segment_fixed_size: 128
    .sgpr_count:     19
    .sgpr_spill_count: 0
    .symbol:         _ZN9rocsolver6v33100L18trti2_kernel_smallILi7E19rocblas_complex_numIdEPS3_EEv13rocblas_fill_17rocblas_diagonal_T1_iil.kd
    .uniform_work_group_size: 1
    .uses_dynamic_stack: false
    .vgpr_count:     46
    .vgpr_spill_count: 0
    .wavefront_size: 32
    .workgroup_processor_mode: 1
  - .args:
      - .offset:         0
        .size:           4
        .value_kind:     by_value
      - .offset:         4
        .size:           4
        .value_kind:     by_value
      - .address_space:  global
        .offset:         8
        .size:           8
        .value_kind:     global_buffer
      - .offset:         16
        .size:           4
        .value_kind:     by_value
      - .offset:         20
        .size:           4
        .value_kind:     by_value
      - .offset:         24
        .size:           8
        .value_kind:     by_value
    .group_segment_fixed_size: 256
    .kernarg_segment_align: 8
    .kernarg_segment_size: 32
    .language:       OpenCL C
    .language_version:
      - 2
      - 0
    .max_flat_workgroup_size: 64
    .name:           _ZN9rocsolver6v33100L18trti2_kernel_smallILi8E19rocblas_complex_numIdEPS3_EEv13rocblas_fill_17rocblas_diagonal_T1_iil
    .private_segment_fixed_size: 144
    .sgpr_count:     20
    .sgpr_spill_count: 0
    .symbol:         _ZN9rocsolver6v33100L18trti2_kernel_smallILi8E19rocblas_complex_numIdEPS3_EEv13rocblas_fill_17rocblas_diagonal_T1_iil.kd
    .uniform_work_group_size: 1
    .uses_dynamic_stack: false
    .vgpr_count:     52
    .vgpr_spill_count: 0
    .wavefront_size: 32
    .workgroup_processor_mode: 1
  - .args:
      - .offset:         0
        .size:           4
        .value_kind:     by_value
      - .offset:         4
        .size:           4
        .value_kind:     by_value
      - .address_space:  global
        .offset:         8
        .size:           8
        .value_kind:     global_buffer
      - .offset:         16
        .size:           4
        .value_kind:     by_value
      - .offset:         20
        .size:           4
        .value_kind:     by_value
      - .offset:         24
        .size:           8
        .value_kind:     by_value
    .group_segment_fixed_size: 288
    .kernarg_segment_align: 8
    .kernarg_segment_size: 32
    .language:       OpenCL C
    .language_version:
      - 2
      - 0
    .max_flat_workgroup_size: 64
    .name:           _ZN9rocsolver6v33100L18trti2_kernel_smallILi9E19rocblas_complex_numIdEPS3_EEv13rocblas_fill_17rocblas_diagonal_T1_iil
    .private_segment_fixed_size: 160
    .sgpr_count:     21
    .sgpr_spill_count: 0
    .symbol:         _ZN9rocsolver6v33100L18trti2_kernel_smallILi9E19rocblas_complex_numIdEPS3_EEv13rocblas_fill_17rocblas_diagonal_T1_iil.kd
    .uniform_work_group_size: 1
    .uses_dynamic_stack: false
    .vgpr_count:     58
    .vgpr_spill_count: 0
    .wavefront_size: 32
    .workgroup_processor_mode: 1
  - .args:
      - .offset:         0
        .size:           4
        .value_kind:     by_value
      - .offset:         4
        .size:           4
        .value_kind:     by_value
      - .address_space:  global
        .offset:         8
        .size:           8
        .value_kind:     global_buffer
      - .offset:         16
        .size:           4
        .value_kind:     by_value
      - .offset:         20
        .size:           4
        .value_kind:     by_value
      - .offset:         24
        .size:           8
        .value_kind:     by_value
    .group_segment_fixed_size: 320
    .kernarg_segment_align: 8
    .kernarg_segment_size: 32
    .language:       OpenCL C
    .language_version:
      - 2
      - 0
    .max_flat_workgroup_size: 64
    .name:           _ZN9rocsolver6v33100L18trti2_kernel_smallILi10E19rocblas_complex_numIdEPS3_EEv13rocblas_fill_17rocblas_diagonal_T1_iil
    .private_segment_fixed_size: 176
    .sgpr_count:     22
    .sgpr_spill_count: 0
    .symbol:         _ZN9rocsolver6v33100L18trti2_kernel_smallILi10E19rocblas_complex_numIdEPS3_EEv13rocblas_fill_17rocblas_diagonal_T1_iil.kd
    .uniform_work_group_size: 1
    .uses_dynamic_stack: false
    .vgpr_count:     61
    .vgpr_spill_count: 0
    .wavefront_size: 32
    .workgroup_processor_mode: 1
  - .args:
      - .offset:         0
        .size:           4
        .value_kind:     by_value
      - .offset:         4
        .size:           4
        .value_kind:     by_value
      - .address_space:  global
        .offset:         8
        .size:           8
        .value_kind:     global_buffer
      - .offset:         16
        .size:           4
        .value_kind:     by_value
      - .offset:         20
        .size:           4
        .value_kind:     by_value
      - .offset:         24
        .size:           8
        .value_kind:     by_value
    .group_segment_fixed_size: 352
    .kernarg_segment_align: 8
    .kernarg_segment_size: 32
    .language:       OpenCL C
    .language_version:
      - 2
      - 0
    .max_flat_workgroup_size: 64
    .name:           _ZN9rocsolver6v33100L18trti2_kernel_smallILi11E19rocblas_complex_numIdEPS3_EEv13rocblas_fill_17rocblas_diagonal_T1_iil
    .private_segment_fixed_size: 192
    .sgpr_count:     23
    .sgpr_spill_count: 0
    .symbol:         _ZN9rocsolver6v33100L18trti2_kernel_smallILi11E19rocblas_complex_numIdEPS3_EEv13rocblas_fill_17rocblas_diagonal_T1_iil.kd
    .uniform_work_group_size: 1
    .uses_dynamic_stack: false
    .vgpr_count:     63
    .vgpr_spill_count: 0
    .wavefront_size: 32
    .workgroup_processor_mode: 1
  - .args:
      - .offset:         0
        .size:           4
        .value_kind:     by_value
      - .offset:         4
        .size:           4
        .value_kind:     by_value
      - .address_space:  global
        .offset:         8
        .size:           8
        .value_kind:     global_buffer
      - .offset:         16
        .size:           4
        .value_kind:     by_value
      - .offset:         20
        .size:           4
        .value_kind:     by_value
      - .offset:         24
        .size:           8
        .value_kind:     by_value
    .group_segment_fixed_size: 384
    .kernarg_segment_align: 8
    .kernarg_segment_size: 32
    .language:       OpenCL C
    .language_version:
      - 2
      - 0
    .max_flat_workgroup_size: 64
    .name:           _ZN9rocsolver6v33100L18trti2_kernel_smallILi12E19rocblas_complex_numIdEPS3_EEv13rocblas_fill_17rocblas_diagonal_T1_iil
    .private_segment_fixed_size: 208
    .sgpr_count:     24
    .sgpr_spill_count: 0
    .symbol:         _ZN9rocsolver6v33100L18trti2_kernel_smallILi12E19rocblas_complex_numIdEPS3_EEv13rocblas_fill_17rocblas_diagonal_T1_iil.kd
    .uniform_work_group_size: 1
    .uses_dynamic_stack: false
    .vgpr_count:     65
    .vgpr_spill_count: 0
    .wavefront_size: 32
    .workgroup_processor_mode: 1
  - .args:
      - .offset:         0
        .size:           4
        .value_kind:     by_value
      - .offset:         4
        .size:           4
        .value_kind:     by_value
      - .address_space:  global
        .offset:         8
        .size:           8
        .value_kind:     global_buffer
      - .offset:         16
        .size:           4
        .value_kind:     by_value
      - .offset:         20
        .size:           4
        .value_kind:     by_value
      - .offset:         24
        .size:           8
        .value_kind:     by_value
    .group_segment_fixed_size: 416
    .kernarg_segment_align: 8
    .kernarg_segment_size: 32
    .language:       OpenCL C
    .language_version:
      - 2
      - 0
    .max_flat_workgroup_size: 64
    .name:           _ZN9rocsolver6v33100L18trti2_kernel_smallILi13E19rocblas_complex_numIdEPS3_EEv13rocblas_fill_17rocblas_diagonal_T1_iil
    .private_segment_fixed_size: 224
    .sgpr_count:     25
    .sgpr_spill_count: 0
    .symbol:         _ZN9rocsolver6v33100L18trti2_kernel_smallILi13E19rocblas_complex_numIdEPS3_EEv13rocblas_fill_17rocblas_diagonal_T1_iil.kd
    .uniform_work_group_size: 1
    .uses_dynamic_stack: false
    .vgpr_count:     63
    .vgpr_spill_count: 0
    .wavefront_size: 32
    .workgroup_processor_mode: 1
  - .args:
      - .offset:         0
        .size:           4
        .value_kind:     by_value
      - .offset:         4
        .size:           4
        .value_kind:     by_value
      - .address_space:  global
        .offset:         8
        .size:           8
        .value_kind:     global_buffer
      - .offset:         16
        .size:           4
        .value_kind:     by_value
      - .offset:         20
        .size:           4
        .value_kind:     by_value
      - .offset:         24
        .size:           8
        .value_kind:     by_value
    .group_segment_fixed_size: 448
    .kernarg_segment_align: 8
    .kernarg_segment_size: 32
    .language:       OpenCL C
    .language_version:
      - 2
      - 0
    .max_flat_workgroup_size: 64
    .name:           _ZN9rocsolver6v33100L18trti2_kernel_smallILi14E19rocblas_complex_numIdEPS3_EEv13rocblas_fill_17rocblas_diagonal_T1_iil
    .private_segment_fixed_size: 240
    .sgpr_count:     27
    .sgpr_spill_count: 0
    .symbol:         _ZN9rocsolver6v33100L18trti2_kernel_smallILi14E19rocblas_complex_numIdEPS3_EEv13rocblas_fill_17rocblas_diagonal_T1_iil.kd
    .uniform_work_group_size: 1
    .uses_dynamic_stack: false
    .vgpr_count:     66
    .vgpr_spill_count: 0
    .wavefront_size: 32
    .workgroup_processor_mode: 1
  - .args:
      - .offset:         0
        .size:           4
        .value_kind:     by_value
      - .offset:         4
        .size:           4
        .value_kind:     by_value
      - .address_space:  global
        .offset:         8
        .size:           8
        .value_kind:     global_buffer
      - .offset:         16
        .size:           4
        .value_kind:     by_value
      - .offset:         20
        .size:           4
        .value_kind:     by_value
      - .offset:         24
        .size:           8
        .value_kind:     by_value
    .group_segment_fixed_size: 480
    .kernarg_segment_align: 8
    .kernarg_segment_size: 32
    .language:       OpenCL C
    .language_version:
      - 2
      - 0
    .max_flat_workgroup_size: 64
    .name:           _ZN9rocsolver6v33100L18trti2_kernel_smallILi15E19rocblas_complex_numIdEPS3_EEv13rocblas_fill_17rocblas_diagonal_T1_iil
    .private_segment_fixed_size: 256
    .sgpr_count:     28
    .sgpr_spill_count: 0
    .symbol:         _ZN9rocsolver6v33100L18trti2_kernel_smallILi15E19rocblas_complex_numIdEPS3_EEv13rocblas_fill_17rocblas_diagonal_T1_iil.kd
    .uniform_work_group_size: 1
    .uses_dynamic_stack: false
    .vgpr_count:     63
    .vgpr_spill_count: 0
    .wavefront_size: 32
    .workgroup_processor_mode: 1
  - .args:
      - .offset:         0
        .size:           4
        .value_kind:     by_value
      - .offset:         4
        .size:           4
        .value_kind:     by_value
      - .address_space:  global
        .offset:         8
        .size:           8
        .value_kind:     global_buffer
      - .offset:         16
        .size:           4
        .value_kind:     by_value
      - .offset:         20
        .size:           4
        .value_kind:     by_value
      - .offset:         24
        .size:           8
        .value_kind:     by_value
    .group_segment_fixed_size: 512
    .kernarg_segment_align: 8
    .kernarg_segment_size: 32
    .language:       OpenCL C
    .language_version:
      - 2
      - 0
    .max_flat_workgroup_size: 64
    .name:           _ZN9rocsolver6v33100L18trti2_kernel_smallILi16E19rocblas_complex_numIdEPS3_EEv13rocblas_fill_17rocblas_diagonal_T1_iil
    .private_segment_fixed_size: 272
    .sgpr_count:     30
    .sgpr_spill_count: 0
    .symbol:         _ZN9rocsolver6v33100L18trti2_kernel_smallILi16E19rocblas_complex_numIdEPS3_EEv13rocblas_fill_17rocblas_diagonal_T1_iil.kd
    .uniform_work_group_size: 1
    .uses_dynamic_stack: false
    .vgpr_count:     70
    .vgpr_spill_count: 0
    .wavefront_size: 32
    .workgroup_processor_mode: 1
  - .args:
      - .offset:         0
        .size:           4
        .value_kind:     by_value
      - .offset:         4
        .size:           4
        .value_kind:     by_value
      - .address_space:  global
        .offset:         8
        .size:           8
        .value_kind:     global_buffer
      - .offset:         16
        .size:           4
        .value_kind:     by_value
      - .offset:         20
        .size:           4
        .value_kind:     by_value
      - .offset:         24
        .size:           8
        .value_kind:     by_value
    .group_segment_fixed_size: 544
    .kernarg_segment_align: 8
    .kernarg_segment_size: 32
    .language:       OpenCL C
    .language_version:
      - 2
      - 0
    .max_flat_workgroup_size: 64
    .name:           _ZN9rocsolver6v33100L18trti2_kernel_smallILi17E19rocblas_complex_numIdEPS3_EEv13rocblas_fill_17rocblas_diagonal_T1_iil
    .private_segment_fixed_size: 288
    .sgpr_count:     31
    .sgpr_spill_count: 0
    .symbol:         _ZN9rocsolver6v33100L18trti2_kernel_smallILi17E19rocblas_complex_numIdEPS3_EEv13rocblas_fill_17rocblas_diagonal_T1_iil.kd
    .uniform_work_group_size: 1
    .uses_dynamic_stack: false
    .vgpr_count:     67
    .vgpr_spill_count: 0
    .wavefront_size: 32
    .workgroup_processor_mode: 1
  - .args:
      - .offset:         0
        .size:           4
        .value_kind:     by_value
      - .offset:         4
        .size:           4
        .value_kind:     by_value
      - .address_space:  global
        .offset:         8
        .size:           8
        .value_kind:     global_buffer
      - .offset:         16
        .size:           4
        .value_kind:     by_value
      - .offset:         20
        .size:           4
        .value_kind:     by_value
      - .offset:         24
        .size:           8
        .value_kind:     by_value
    .group_segment_fixed_size: 576
    .kernarg_segment_align: 8
    .kernarg_segment_size: 32
    .language:       OpenCL C
    .language_version:
      - 2
      - 0
    .max_flat_workgroup_size: 64
    .name:           _ZN9rocsolver6v33100L18trti2_kernel_smallILi18E19rocblas_complex_numIdEPS3_EEv13rocblas_fill_17rocblas_diagonal_T1_iil
    .private_segment_fixed_size: 304
    .sgpr_count:     33
    .sgpr_spill_count: 0
    .symbol:         _ZN9rocsolver6v33100L18trti2_kernel_smallILi18E19rocblas_complex_numIdEPS3_EEv13rocblas_fill_17rocblas_diagonal_T1_iil.kd
    .uniform_work_group_size: 1
    .uses_dynamic_stack: false
    .vgpr_count:     66
    .vgpr_spill_count: 0
    .wavefront_size: 32
    .workgroup_processor_mode: 1
  - .args:
      - .offset:         0
        .size:           4
        .value_kind:     by_value
      - .offset:         4
        .size:           4
        .value_kind:     by_value
      - .address_space:  global
        .offset:         8
        .size:           8
        .value_kind:     global_buffer
      - .offset:         16
        .size:           4
        .value_kind:     by_value
      - .offset:         20
        .size:           4
        .value_kind:     by_value
      - .offset:         24
        .size:           8
        .value_kind:     by_value
    .group_segment_fixed_size: 608
    .kernarg_segment_align: 8
    .kernarg_segment_size: 32
    .language:       OpenCL C
    .language_version:
      - 2
      - 0
    .max_flat_workgroup_size: 64
    .name:           _ZN9rocsolver6v33100L18trti2_kernel_smallILi19E19rocblas_complex_numIdEPS3_EEv13rocblas_fill_17rocblas_diagonal_T1_iil
    .private_segment_fixed_size: 320
    .sgpr_count:     34
    .sgpr_spill_count: 0
    .symbol:         _ZN9rocsolver6v33100L18trti2_kernel_smallILi19E19rocblas_complex_numIdEPS3_EEv13rocblas_fill_17rocblas_diagonal_T1_iil.kd
    .uniform_work_group_size: 1
    .uses_dynamic_stack: false
    .vgpr_count:     69
    .vgpr_spill_count: 0
    .wavefront_size: 32
    .workgroup_processor_mode: 1
  - .args:
      - .offset:         0
        .size:           4
        .value_kind:     by_value
      - .offset:         4
        .size:           4
        .value_kind:     by_value
      - .address_space:  global
        .offset:         8
        .size:           8
        .value_kind:     global_buffer
      - .offset:         16
        .size:           4
        .value_kind:     by_value
      - .offset:         20
        .size:           4
        .value_kind:     by_value
      - .offset:         24
        .size:           8
        .value_kind:     by_value
    .group_segment_fixed_size: 640
    .kernarg_segment_align: 8
    .kernarg_segment_size: 32
    .language:       OpenCL C
    .language_version:
      - 2
      - 0
    .max_flat_workgroup_size: 64
    .name:           _ZN9rocsolver6v33100L18trti2_kernel_smallILi20E19rocblas_complex_numIdEPS3_EEv13rocblas_fill_17rocblas_diagonal_T1_iil
    .private_segment_fixed_size: 336
    .sgpr_count:     37
    .sgpr_spill_count: 0
    .symbol:         _ZN9rocsolver6v33100L18trti2_kernel_smallILi20E19rocblas_complex_numIdEPS3_EEv13rocblas_fill_17rocblas_diagonal_T1_iil.kd
    .uniform_work_group_size: 1
    .uses_dynamic_stack: false
    .vgpr_count:     69
    .vgpr_spill_count: 0
    .wavefront_size: 32
    .workgroup_processor_mode: 1
  - .args:
      - .offset:         0
        .size:           4
        .value_kind:     by_value
      - .offset:         4
        .size:           4
        .value_kind:     by_value
      - .address_space:  global
        .offset:         8
        .size:           8
        .value_kind:     global_buffer
      - .offset:         16
        .size:           4
        .value_kind:     by_value
      - .offset:         20
        .size:           4
        .value_kind:     by_value
      - .offset:         24
        .size:           8
        .value_kind:     by_value
    .group_segment_fixed_size: 672
    .kernarg_segment_align: 8
    .kernarg_segment_size: 32
    .language:       OpenCL C
    .language_version:
      - 2
      - 0
    .max_flat_workgroup_size: 64
    .name:           _ZN9rocsolver6v33100L18trti2_kernel_smallILi21E19rocblas_complex_numIdEPS3_EEv13rocblas_fill_17rocblas_diagonal_T1_iil
    .private_segment_fixed_size: 352
    .sgpr_count:     38
    .sgpr_spill_count: 0
    .symbol:         _ZN9rocsolver6v33100L18trti2_kernel_smallILi21E19rocblas_complex_numIdEPS3_EEv13rocblas_fill_17rocblas_diagonal_T1_iil.kd
    .uniform_work_group_size: 1
    .uses_dynamic_stack: false
    .vgpr_count:     85
    .vgpr_spill_count: 0
    .wavefront_size: 32
    .workgroup_processor_mode: 1
  - .args:
      - .offset:         0
        .size:           4
        .value_kind:     by_value
      - .offset:         4
        .size:           4
        .value_kind:     by_value
      - .address_space:  global
        .offset:         8
        .size:           8
        .value_kind:     global_buffer
      - .offset:         16
        .size:           4
        .value_kind:     by_value
      - .offset:         20
        .size:           4
        .value_kind:     by_value
      - .offset:         24
        .size:           8
        .value_kind:     by_value
    .group_segment_fixed_size: 704
    .kernarg_segment_align: 8
    .kernarg_segment_size: 32
    .language:       OpenCL C
    .language_version:
      - 2
      - 0
    .max_flat_workgroup_size: 64
    .name:           _ZN9rocsolver6v33100L18trti2_kernel_smallILi22E19rocblas_complex_numIdEPS3_EEv13rocblas_fill_17rocblas_diagonal_T1_iil
    .private_segment_fixed_size: 368
    .sgpr_count:     40
    .sgpr_spill_count: 0
    .symbol:         _ZN9rocsolver6v33100L18trti2_kernel_smallILi22E19rocblas_complex_numIdEPS3_EEv13rocblas_fill_17rocblas_diagonal_T1_iil.kd
    .uniform_work_group_size: 1
    .uses_dynamic_stack: false
    .vgpr_count:     88
    .vgpr_spill_count: 0
    .wavefront_size: 32
    .workgroup_processor_mode: 1
  - .args:
      - .offset:         0
        .size:           4
        .value_kind:     by_value
      - .offset:         4
        .size:           4
        .value_kind:     by_value
      - .address_space:  global
        .offset:         8
        .size:           8
        .value_kind:     global_buffer
      - .offset:         16
        .size:           4
        .value_kind:     by_value
      - .offset:         20
        .size:           4
        .value_kind:     by_value
      - .offset:         24
        .size:           8
        .value_kind:     by_value
    .group_segment_fixed_size: 736
    .kernarg_segment_align: 8
    .kernarg_segment_size: 32
    .language:       OpenCL C
    .language_version:
      - 2
      - 0
    .max_flat_workgroup_size: 64
    .name:           _ZN9rocsolver6v33100L18trti2_kernel_smallILi23E19rocblas_complex_numIdEPS3_EEv13rocblas_fill_17rocblas_diagonal_T1_iil
    .private_segment_fixed_size: 384
    .sgpr_count:     41
    .sgpr_spill_count: 0
    .symbol:         _ZN9rocsolver6v33100L18trti2_kernel_smallILi23E19rocblas_complex_numIdEPS3_EEv13rocblas_fill_17rocblas_diagonal_T1_iil.kd
    .uniform_work_group_size: 1
    .uses_dynamic_stack: false
    .vgpr_count:     87
    .vgpr_spill_count: 0
    .wavefront_size: 32
    .workgroup_processor_mode: 1
  - .args:
      - .offset:         0
        .size:           4
        .value_kind:     by_value
      - .offset:         4
        .size:           4
        .value_kind:     by_value
      - .address_space:  global
        .offset:         8
        .size:           8
        .value_kind:     global_buffer
      - .offset:         16
        .size:           4
        .value_kind:     by_value
      - .offset:         20
        .size:           4
        .value_kind:     by_value
      - .offset:         24
        .size:           8
        .value_kind:     by_value
    .group_segment_fixed_size: 768
    .kernarg_segment_align: 8
    .kernarg_segment_size: 32
    .language:       OpenCL C
    .language_version:
      - 2
      - 0
    .max_flat_workgroup_size: 64
    .name:           _ZN9rocsolver6v33100L18trti2_kernel_smallILi24E19rocblas_complex_numIdEPS3_EEv13rocblas_fill_17rocblas_diagonal_T1_iil
    .private_segment_fixed_size: 400
    .sgpr_count:     43
    .sgpr_spill_count: 0
    .symbol:         _ZN9rocsolver6v33100L18trti2_kernel_smallILi24E19rocblas_complex_numIdEPS3_EEv13rocblas_fill_17rocblas_diagonal_T1_iil.kd
    .uniform_work_group_size: 1
    .uses_dynamic_stack: false
    .vgpr_count:     86
    .vgpr_spill_count: 0
    .wavefront_size: 32
    .workgroup_processor_mode: 1
  - .args:
      - .offset:         0
        .size:           4
        .value_kind:     by_value
      - .offset:         4
        .size:           4
        .value_kind:     by_value
      - .address_space:  global
        .offset:         8
        .size:           8
        .value_kind:     global_buffer
      - .offset:         16
        .size:           4
        .value_kind:     by_value
      - .offset:         20
        .size:           4
        .value_kind:     by_value
      - .offset:         24
        .size:           8
        .value_kind:     by_value
    .group_segment_fixed_size: 800
    .kernarg_segment_align: 8
    .kernarg_segment_size: 32
    .language:       OpenCL C
    .language_version:
      - 2
      - 0
    .max_flat_workgroup_size: 64
    .name:           _ZN9rocsolver6v33100L18trti2_kernel_smallILi25E19rocblas_complex_numIdEPS3_EEv13rocblas_fill_17rocblas_diagonal_T1_iil
    .private_segment_fixed_size: 416
    .sgpr_count:     44
    .sgpr_spill_count: 0
    .symbol:         _ZN9rocsolver6v33100L18trti2_kernel_smallILi25E19rocblas_complex_numIdEPS3_EEv13rocblas_fill_17rocblas_diagonal_T1_iil.kd
    .uniform_work_group_size: 1
    .uses_dynamic_stack: false
    .vgpr_count:     88
    .vgpr_spill_count: 0
    .wavefront_size: 32
    .workgroup_processor_mode: 1
  - .args:
      - .offset:         0
        .size:           4
        .value_kind:     by_value
      - .offset:         4
        .size:           4
        .value_kind:     by_value
      - .address_space:  global
        .offset:         8
        .size:           8
        .value_kind:     global_buffer
      - .offset:         16
        .size:           4
        .value_kind:     by_value
      - .offset:         20
        .size:           4
        .value_kind:     by_value
      - .offset:         24
        .size:           8
        .value_kind:     by_value
    .group_segment_fixed_size: 832
    .kernarg_segment_align: 8
    .kernarg_segment_size: 32
    .language:       OpenCL C
    .language_version:
      - 2
      - 0
    .max_flat_workgroup_size: 64
    .name:           _ZN9rocsolver6v33100L18trti2_kernel_smallILi26E19rocblas_complex_numIdEPS3_EEv13rocblas_fill_17rocblas_diagonal_T1_iil
    .private_segment_fixed_size: 432
    .sgpr_count:     46
    .sgpr_spill_count: 0
    .symbol:         _ZN9rocsolver6v33100L18trti2_kernel_smallILi26E19rocblas_complex_numIdEPS3_EEv13rocblas_fill_17rocblas_diagonal_T1_iil.kd
    .uniform_work_group_size: 1
    .uses_dynamic_stack: false
    .vgpr_count:     85
    .vgpr_spill_count: 0
    .wavefront_size: 32
    .workgroup_processor_mode: 1
  - .args:
      - .offset:         0
        .size:           4
        .value_kind:     by_value
      - .offset:         4
        .size:           4
        .value_kind:     by_value
      - .address_space:  global
        .offset:         8
        .size:           8
        .value_kind:     global_buffer
      - .offset:         16
        .size:           4
        .value_kind:     by_value
      - .offset:         20
        .size:           4
        .value_kind:     by_value
      - .offset:         24
        .size:           8
        .value_kind:     by_value
    .group_segment_fixed_size: 864
    .kernarg_segment_align: 8
    .kernarg_segment_size: 32
    .language:       OpenCL C
    .language_version:
      - 2
      - 0
    .max_flat_workgroup_size: 64
    .name:           _ZN9rocsolver6v33100L18trti2_kernel_smallILi27E19rocblas_complex_numIdEPS3_EEv13rocblas_fill_17rocblas_diagonal_T1_iil
    .private_segment_fixed_size: 448
    .sgpr_count:     47
    .sgpr_spill_count: 0
    .symbol:         _ZN9rocsolver6v33100L18trti2_kernel_smallILi27E19rocblas_complex_numIdEPS3_EEv13rocblas_fill_17rocblas_diagonal_T1_iil.kd
    .uniform_work_group_size: 1
    .uses_dynamic_stack: false
    .vgpr_count:     88
    .vgpr_spill_count: 0
    .wavefront_size: 32
    .workgroup_processor_mode: 1
  - .args:
      - .offset:         0
        .size:           4
        .value_kind:     by_value
      - .offset:         4
        .size:           4
        .value_kind:     by_value
      - .address_space:  global
        .offset:         8
        .size:           8
        .value_kind:     global_buffer
      - .offset:         16
        .size:           4
        .value_kind:     by_value
      - .offset:         20
        .size:           4
        .value_kind:     by_value
      - .offset:         24
        .size:           8
        .value_kind:     by_value
    .group_segment_fixed_size: 896
    .kernarg_segment_align: 8
    .kernarg_segment_size: 32
    .language:       OpenCL C
    .language_version:
      - 2
      - 0
    .max_flat_workgroup_size: 64
    .name:           _ZN9rocsolver6v33100L18trti2_kernel_smallILi28E19rocblas_complex_numIdEPS3_EEv13rocblas_fill_17rocblas_diagonal_T1_iil
    .private_segment_fixed_size: 464
    .sgpr_count:     49
    .sgpr_spill_count: 0
    .symbol:         _ZN9rocsolver6v33100L18trti2_kernel_smallILi28E19rocblas_complex_numIdEPS3_EEv13rocblas_fill_17rocblas_diagonal_T1_iil.kd
    .uniform_work_group_size: 1
    .uses_dynamic_stack: false
    .vgpr_count:     85
    .vgpr_spill_count: 0
    .wavefront_size: 32
    .workgroup_processor_mode: 1
  - .args:
      - .offset:         0
        .size:           4
        .value_kind:     by_value
      - .offset:         4
        .size:           4
        .value_kind:     by_value
      - .address_space:  global
        .offset:         8
        .size:           8
        .value_kind:     global_buffer
      - .offset:         16
        .size:           4
        .value_kind:     by_value
      - .offset:         20
        .size:           4
        .value_kind:     by_value
      - .offset:         24
        .size:           8
        .value_kind:     by_value
    .group_segment_fixed_size: 928
    .kernarg_segment_align: 8
    .kernarg_segment_size: 32
    .language:       OpenCL C
    .language_version:
      - 2
      - 0
    .max_flat_workgroup_size: 64
    .name:           _ZN9rocsolver6v33100L18trti2_kernel_smallILi29E19rocblas_complex_numIdEPS3_EEv13rocblas_fill_17rocblas_diagonal_T1_iil
    .private_segment_fixed_size: 480
    .sgpr_count:     50
    .sgpr_spill_count: 0
    .symbol:         _ZN9rocsolver6v33100L18trti2_kernel_smallILi29E19rocblas_complex_numIdEPS3_EEv13rocblas_fill_17rocblas_diagonal_T1_iil.kd
    .uniform_work_group_size: 1
    .uses_dynamic_stack: false
    .vgpr_count:     102
    .vgpr_spill_count: 0
    .wavefront_size: 32
    .workgroup_processor_mode: 1
  - .args:
      - .offset:         0
        .size:           4
        .value_kind:     by_value
      - .offset:         4
        .size:           4
        .value_kind:     by_value
      - .address_space:  global
        .offset:         8
        .size:           8
        .value_kind:     global_buffer
      - .offset:         16
        .size:           4
        .value_kind:     by_value
      - .offset:         20
        .size:           4
        .value_kind:     by_value
      - .offset:         24
        .size:           8
        .value_kind:     by_value
    .group_segment_fixed_size: 960
    .kernarg_segment_align: 8
    .kernarg_segment_size: 32
    .language:       OpenCL C
    .language_version:
      - 2
      - 0
    .max_flat_workgroup_size: 64
    .name:           _ZN9rocsolver6v33100L18trti2_kernel_smallILi30E19rocblas_complex_numIdEPS3_EEv13rocblas_fill_17rocblas_diagonal_T1_iil
    .private_segment_fixed_size: 496
    .sgpr_count:     52
    .sgpr_spill_count: 0
    .symbol:         _ZN9rocsolver6v33100L18trti2_kernel_smallILi30E19rocblas_complex_numIdEPS3_EEv13rocblas_fill_17rocblas_diagonal_T1_iil.kd
    .uniform_work_group_size: 1
    .uses_dynamic_stack: false
    .vgpr_count:     106
    .vgpr_spill_count: 0
    .wavefront_size: 32
    .workgroup_processor_mode: 1
  - .args:
      - .offset:         0
        .size:           4
        .value_kind:     by_value
      - .offset:         4
        .size:           4
        .value_kind:     by_value
      - .address_space:  global
        .offset:         8
        .size:           8
        .value_kind:     global_buffer
      - .offset:         16
        .size:           4
        .value_kind:     by_value
      - .offset:         20
        .size:           4
        .value_kind:     by_value
      - .offset:         24
        .size:           8
        .value_kind:     by_value
    .group_segment_fixed_size: 992
    .kernarg_segment_align: 8
    .kernarg_segment_size: 32
    .language:       OpenCL C
    .language_version:
      - 2
      - 0
    .max_flat_workgroup_size: 64
    .name:           _ZN9rocsolver6v33100L18trti2_kernel_smallILi31E19rocblas_complex_numIdEPS3_EEv13rocblas_fill_17rocblas_diagonal_T1_iil
    .private_segment_fixed_size: 512
    .sgpr_count:     53
    .sgpr_spill_count: 0
    .symbol:         _ZN9rocsolver6v33100L18trti2_kernel_smallILi31E19rocblas_complex_numIdEPS3_EEv13rocblas_fill_17rocblas_diagonal_T1_iil.kd
    .uniform_work_group_size: 1
    .uses_dynamic_stack: false
    .vgpr_count:     100
    .vgpr_spill_count: 0
    .wavefront_size: 32
    .workgroup_processor_mode: 1
  - .args:
      - .offset:         0
        .size:           4
        .value_kind:     by_value
      - .offset:         4
        .size:           4
        .value_kind:     by_value
      - .address_space:  global
        .offset:         8
        .size:           8
        .value_kind:     global_buffer
      - .offset:         16
        .size:           4
        .value_kind:     by_value
      - .offset:         20
        .size:           4
        .value_kind:     by_value
      - .offset:         24
        .size:           8
        .value_kind:     by_value
    .group_segment_fixed_size: 1024
    .kernarg_segment_align: 8
    .kernarg_segment_size: 32
    .language:       OpenCL C
    .language_version:
      - 2
      - 0
    .max_flat_workgroup_size: 64
    .name:           _ZN9rocsolver6v33100L18trti2_kernel_smallILi32E19rocblas_complex_numIdEPS3_EEv13rocblas_fill_17rocblas_diagonal_T1_iil
    .private_segment_fixed_size: 528
    .sgpr_count:     55
    .sgpr_spill_count: 0
    .symbol:         _ZN9rocsolver6v33100L18trti2_kernel_smallILi32E19rocblas_complex_numIdEPS3_EEv13rocblas_fill_17rocblas_diagonal_T1_iil.kd
    .uniform_work_group_size: 1
    .uses_dynamic_stack: false
    .vgpr_count:     104
    .vgpr_spill_count: 0
    .wavefront_size: 32
    .workgroup_processor_mode: 1
  - .args:
      - .offset:         0
        .size:           4
        .value_kind:     by_value
      - .offset:         4
        .size:           4
        .value_kind:     by_value
      - .address_space:  global
        .offset:         8
        .size:           8
        .value_kind:     global_buffer
      - .offset:         16
        .size:           4
        .value_kind:     by_value
      - .offset:         20
        .size:           4
        .value_kind:     by_value
      - .offset:         24
        .size:           8
        .value_kind:     by_value
    .group_segment_fixed_size: 1056
    .kernarg_segment_align: 8
    .kernarg_segment_size: 32
    .language:       OpenCL C
    .language_version:
      - 2
      - 0
    .max_flat_workgroup_size: 64
    .name:           _ZN9rocsolver6v33100L18trti2_kernel_smallILi33E19rocblas_complex_numIdEPS3_EEv13rocblas_fill_17rocblas_diagonal_T1_iil
    .private_segment_fixed_size: 544
    .sgpr_count:     56
    .sgpr_spill_count: 0
    .symbol:         _ZN9rocsolver6v33100L18trti2_kernel_smallILi33E19rocblas_complex_numIdEPS3_EEv13rocblas_fill_17rocblas_diagonal_T1_iil.kd
    .uniform_work_group_size: 1
    .uses_dynamic_stack: false
    .vgpr_count:     103
    .vgpr_spill_count: 0
    .wavefront_size: 32
    .workgroup_processor_mode: 1
  - .args:
      - .offset:         0
        .size:           4
        .value_kind:     by_value
      - .offset:         4
        .size:           4
        .value_kind:     by_value
      - .address_space:  global
        .offset:         8
        .size:           8
        .value_kind:     global_buffer
      - .offset:         16
        .size:           4
        .value_kind:     by_value
      - .offset:         20
        .size:           4
        .value_kind:     by_value
      - .offset:         24
        .size:           8
        .value_kind:     by_value
    .group_segment_fixed_size: 1088
    .kernarg_segment_align: 8
    .kernarg_segment_size: 32
    .language:       OpenCL C
    .language_version:
      - 2
      - 0
    .max_flat_workgroup_size: 64
    .name:           _ZN9rocsolver6v33100L18trti2_kernel_smallILi34E19rocblas_complex_numIdEPS3_EEv13rocblas_fill_17rocblas_diagonal_T1_iil
    .private_segment_fixed_size: 560
    .sgpr_count:     58
    .sgpr_spill_count: 0
    .symbol:         _ZN9rocsolver6v33100L18trti2_kernel_smallILi34E19rocblas_complex_numIdEPS3_EEv13rocblas_fill_17rocblas_diagonal_T1_iil.kd
    .uniform_work_group_size: 1
    .uses_dynamic_stack: false
    .vgpr_count:     104
    .vgpr_spill_count: 0
    .wavefront_size: 32
    .workgroup_processor_mode: 1
  - .args:
      - .offset:         0
        .size:           4
        .value_kind:     by_value
      - .offset:         4
        .size:           4
        .value_kind:     by_value
      - .address_space:  global
        .offset:         8
        .size:           8
        .value_kind:     global_buffer
      - .offset:         16
        .size:           4
        .value_kind:     by_value
      - .offset:         20
        .size:           4
        .value_kind:     by_value
      - .offset:         24
        .size:           8
        .value_kind:     by_value
    .group_segment_fixed_size: 1120
    .kernarg_segment_align: 8
    .kernarg_segment_size: 32
    .language:       OpenCL C
    .language_version:
      - 2
      - 0
    .max_flat_workgroup_size: 64
    .name:           _ZN9rocsolver6v33100L18trti2_kernel_smallILi35E19rocblas_complex_numIdEPS3_EEv13rocblas_fill_17rocblas_diagonal_T1_iil
    .private_segment_fixed_size: 576
    .sgpr_count:     59
    .sgpr_spill_count: 0
    .symbol:         _ZN9rocsolver6v33100L18trti2_kernel_smallILi35E19rocblas_complex_numIdEPS3_EEv13rocblas_fill_17rocblas_diagonal_T1_iil.kd
    .uniform_work_group_size: 1
    .uses_dynamic_stack: false
    .vgpr_count:     102
    .vgpr_spill_count: 0
    .wavefront_size: 32
    .workgroup_processor_mode: 1
  - .args:
      - .offset:         0
        .size:           4
        .value_kind:     by_value
      - .offset:         4
        .size:           4
        .value_kind:     by_value
      - .address_space:  global
        .offset:         8
        .size:           8
        .value_kind:     global_buffer
      - .offset:         16
        .size:           4
        .value_kind:     by_value
      - .offset:         20
        .size:           4
        .value_kind:     by_value
      - .offset:         24
        .size:           8
        .value_kind:     by_value
    .group_segment_fixed_size: 1152
    .kernarg_segment_align: 8
    .kernarg_segment_size: 32
    .language:       OpenCL C
    .language_version:
      - 2
      - 0
    .max_flat_workgroup_size: 64
    .name:           _ZN9rocsolver6v33100L18trti2_kernel_smallILi36E19rocblas_complex_numIdEPS3_EEv13rocblas_fill_17rocblas_diagonal_T1_iil
    .private_segment_fixed_size: 592
    .sgpr_count:     61
    .sgpr_spill_count: 0
    .symbol:         _ZN9rocsolver6v33100L18trti2_kernel_smallILi36E19rocblas_complex_numIdEPS3_EEv13rocblas_fill_17rocblas_diagonal_T1_iil.kd
    .uniform_work_group_size: 1
    .uses_dynamic_stack: false
    .vgpr_count:     105
    .vgpr_spill_count: 0
    .wavefront_size: 32
    .workgroup_processor_mode: 1
  - .args:
      - .offset:         0
        .size:           4
        .value_kind:     by_value
      - .offset:         4
        .size:           4
        .value_kind:     by_value
      - .address_space:  global
        .offset:         8
        .size:           8
        .value_kind:     global_buffer
      - .offset:         16
        .size:           4
        .value_kind:     by_value
      - .offset:         20
        .size:           4
        .value_kind:     by_value
      - .offset:         24
        .size:           8
        .value_kind:     by_value
    .group_segment_fixed_size: 1184
    .kernarg_segment_align: 8
    .kernarg_segment_size: 32
    .language:       OpenCL C
    .language_version:
      - 2
      - 0
    .max_flat_workgroup_size: 64
    .name:           _ZN9rocsolver6v33100L18trti2_kernel_smallILi37E19rocblas_complex_numIdEPS3_EEv13rocblas_fill_17rocblas_diagonal_T1_iil
    .private_segment_fixed_size: 608
    .sgpr_count:     62
    .sgpr_spill_count: 0
    .symbol:         _ZN9rocsolver6v33100L18trti2_kernel_smallILi37E19rocblas_complex_numIdEPS3_EEv13rocblas_fill_17rocblas_diagonal_T1_iil.kd
    .uniform_work_group_size: 1
    .uses_dynamic_stack: false
    .vgpr_count:     118
    .vgpr_spill_count: 0
    .wavefront_size: 32
    .workgroup_processor_mode: 1
  - .args:
      - .offset:         0
        .size:           4
        .value_kind:     by_value
      - .offset:         4
        .size:           4
        .value_kind:     by_value
      - .address_space:  global
        .offset:         8
        .size:           8
        .value_kind:     global_buffer
      - .offset:         16
        .size:           4
        .value_kind:     by_value
      - .offset:         20
        .size:           4
        .value_kind:     by_value
      - .offset:         24
        .size:           8
        .value_kind:     by_value
    .group_segment_fixed_size: 1216
    .kernarg_segment_align: 8
    .kernarg_segment_size: 32
    .language:       OpenCL C
    .language_version:
      - 2
      - 0
    .max_flat_workgroup_size: 64
    .name:           _ZN9rocsolver6v33100L18trti2_kernel_smallILi38E19rocblas_complex_numIdEPS3_EEv13rocblas_fill_17rocblas_diagonal_T1_iil
    .private_segment_fixed_size: 624
    .sgpr_count:     64
    .sgpr_spill_count: 0
    .symbol:         _ZN9rocsolver6v33100L18trti2_kernel_smallILi38E19rocblas_complex_numIdEPS3_EEv13rocblas_fill_17rocblas_diagonal_T1_iil.kd
    .uniform_work_group_size: 1
    .uses_dynamic_stack: false
    .vgpr_count:     124
    .vgpr_spill_count: 0
    .wavefront_size: 32
    .workgroup_processor_mode: 1
  - .args:
      - .offset:         0
        .size:           4
        .value_kind:     by_value
      - .offset:         4
        .size:           4
        .value_kind:     by_value
      - .address_space:  global
        .offset:         8
        .size:           8
        .value_kind:     global_buffer
      - .offset:         16
        .size:           4
        .value_kind:     by_value
      - .offset:         20
        .size:           4
        .value_kind:     by_value
      - .offset:         24
        .size:           8
        .value_kind:     by_value
    .group_segment_fixed_size: 1248
    .kernarg_segment_align: 8
    .kernarg_segment_size: 32
    .language:       OpenCL C
    .language_version:
      - 2
      - 0
    .max_flat_workgroup_size: 64
    .name:           _ZN9rocsolver6v33100L18trti2_kernel_smallILi39E19rocblas_complex_numIdEPS3_EEv13rocblas_fill_17rocblas_diagonal_T1_iil
    .private_segment_fixed_size: 640
    .sgpr_count:     65
    .sgpr_spill_count: 0
    .symbol:         _ZN9rocsolver6v33100L18trti2_kernel_smallILi39E19rocblas_complex_numIdEPS3_EEv13rocblas_fill_17rocblas_diagonal_T1_iil.kd
    .uniform_work_group_size: 1
    .uses_dynamic_stack: false
    .vgpr_count:     119
    .vgpr_spill_count: 0
    .wavefront_size: 32
    .workgroup_processor_mode: 1
  - .args:
      - .offset:         0
        .size:           4
        .value_kind:     by_value
      - .offset:         4
        .size:           4
        .value_kind:     by_value
      - .address_space:  global
        .offset:         8
        .size:           8
        .value_kind:     global_buffer
      - .offset:         16
        .size:           4
        .value_kind:     by_value
      - .offset:         20
        .size:           4
        .value_kind:     by_value
      - .offset:         24
        .size:           8
        .value_kind:     by_value
    .group_segment_fixed_size: 1280
    .kernarg_segment_align: 8
    .kernarg_segment_size: 32
    .language:       OpenCL C
    .language_version:
      - 2
      - 0
    .max_flat_workgroup_size: 64
    .name:           _ZN9rocsolver6v33100L18trti2_kernel_smallILi40E19rocblas_complex_numIdEPS3_EEv13rocblas_fill_17rocblas_diagonal_T1_iil
    .private_segment_fixed_size: 656
    .sgpr_count:     67
    .sgpr_spill_count: 0
    .symbol:         _ZN9rocsolver6v33100L18trti2_kernel_smallILi40E19rocblas_complex_numIdEPS3_EEv13rocblas_fill_17rocblas_diagonal_T1_iil.kd
    .uniform_work_group_size: 1
    .uses_dynamic_stack: false
    .vgpr_count:     124
    .vgpr_spill_count: 0
    .wavefront_size: 32
    .workgroup_processor_mode: 1
  - .args:
      - .offset:         0
        .size:           4
        .value_kind:     by_value
      - .offset:         4
        .size:           4
        .value_kind:     by_value
      - .address_space:  global
        .offset:         8
        .size:           8
        .value_kind:     global_buffer
      - .offset:         16
        .size:           4
        .value_kind:     by_value
      - .offset:         20
        .size:           4
        .value_kind:     by_value
      - .offset:         24
        .size:           8
        .value_kind:     by_value
    .group_segment_fixed_size: 1312
    .kernarg_segment_align: 8
    .kernarg_segment_size: 32
    .language:       OpenCL C
    .language_version:
      - 2
      - 0
    .max_flat_workgroup_size: 64
    .name:           _ZN9rocsolver6v33100L18trti2_kernel_smallILi41E19rocblas_complex_numIdEPS3_EEv13rocblas_fill_17rocblas_diagonal_T1_iil
    .private_segment_fixed_size: 672
    .sgpr_count:     68
    .sgpr_spill_count: 0
    .symbol:         _ZN9rocsolver6v33100L18trti2_kernel_smallILi41E19rocblas_complex_numIdEPS3_EEv13rocblas_fill_17rocblas_diagonal_T1_iil.kd
    .uniform_work_group_size: 1
    .uses_dynamic_stack: false
    .vgpr_count:     121
    .vgpr_spill_count: 0
    .wavefront_size: 32
    .workgroup_processor_mode: 1
  - .args:
      - .offset:         0
        .size:           4
        .value_kind:     by_value
      - .offset:         4
        .size:           4
        .value_kind:     by_value
      - .address_space:  global
        .offset:         8
        .size:           8
        .value_kind:     global_buffer
      - .offset:         16
        .size:           4
        .value_kind:     by_value
      - .offset:         20
        .size:           4
        .value_kind:     by_value
      - .offset:         24
        .size:           8
        .value_kind:     by_value
    .group_segment_fixed_size: 1344
    .kernarg_segment_align: 8
    .kernarg_segment_size: 32
    .language:       OpenCL C
    .language_version:
      - 2
      - 0
    .max_flat_workgroup_size: 64
    .name:           _ZN9rocsolver6v33100L18trti2_kernel_smallILi42E19rocblas_complex_numIdEPS3_EEv13rocblas_fill_17rocblas_diagonal_T1_iil
    .private_segment_fixed_size: 688
    .sgpr_count:     70
    .sgpr_spill_count: 0
    .symbol:         _ZN9rocsolver6v33100L18trti2_kernel_smallILi42E19rocblas_complex_numIdEPS3_EEv13rocblas_fill_17rocblas_diagonal_T1_iil.kd
    .uniform_work_group_size: 1
    .uses_dynamic_stack: false
    .vgpr_count:     122
    .vgpr_spill_count: 0
    .wavefront_size: 32
    .workgroup_processor_mode: 1
  - .args:
      - .offset:         0
        .size:           4
        .value_kind:     by_value
      - .offset:         4
        .size:           4
        .value_kind:     by_value
      - .address_space:  global
        .offset:         8
        .size:           8
        .value_kind:     global_buffer
      - .offset:         16
        .size:           4
        .value_kind:     by_value
      - .offset:         20
        .size:           4
        .value_kind:     by_value
      - .offset:         24
        .size:           8
        .value_kind:     by_value
    .group_segment_fixed_size: 1376
    .kernarg_segment_align: 8
    .kernarg_segment_size: 32
    .language:       OpenCL C
    .language_version:
      - 2
      - 0
    .max_flat_workgroup_size: 64
    .name:           _ZN9rocsolver6v33100L18trti2_kernel_smallILi43E19rocblas_complex_numIdEPS3_EEv13rocblas_fill_17rocblas_diagonal_T1_iil
    .private_segment_fixed_size: 704
    .sgpr_count:     71
    .sgpr_spill_count: 0
    .symbol:         _ZN9rocsolver6v33100L18trti2_kernel_smallILi43E19rocblas_complex_numIdEPS3_EEv13rocblas_fill_17rocblas_diagonal_T1_iil.kd
    .uniform_work_group_size: 1
    .uses_dynamic_stack: false
    .vgpr_count:     123
    .vgpr_spill_count: 0
    .wavefront_size: 32
    .workgroup_processor_mode: 1
  - .args:
      - .offset:         0
        .size:           4
        .value_kind:     by_value
      - .offset:         4
        .size:           4
        .value_kind:     by_value
      - .address_space:  global
        .offset:         8
        .size:           8
        .value_kind:     global_buffer
      - .offset:         16
        .size:           4
        .value_kind:     by_value
      - .offset:         20
        .size:           4
        .value_kind:     by_value
      - .offset:         24
        .size:           8
        .value_kind:     by_value
    .group_segment_fixed_size: 1408
    .kernarg_segment_align: 8
    .kernarg_segment_size: 32
    .language:       OpenCL C
    .language_version:
      - 2
      - 0
    .max_flat_workgroup_size: 64
    .name:           _ZN9rocsolver6v33100L18trti2_kernel_smallILi44E19rocblas_complex_numIdEPS3_EEv13rocblas_fill_17rocblas_diagonal_T1_iil
    .private_segment_fixed_size: 720
    .sgpr_count:     73
    .sgpr_spill_count: 0
    .symbol:         _ZN9rocsolver6v33100L18trti2_kernel_smallILi44E19rocblas_complex_numIdEPS3_EEv13rocblas_fill_17rocblas_diagonal_T1_iil.kd
    .uniform_work_group_size: 1
    .uses_dynamic_stack: false
    .vgpr_count:     124
    .vgpr_spill_count: 0
    .wavefront_size: 32
    .workgroup_processor_mode: 1
  - .args:
      - .offset:         0
        .size:           4
        .value_kind:     by_value
      - .offset:         4
        .size:           4
        .value_kind:     by_value
      - .address_space:  global
        .offset:         8
        .size:           8
        .value_kind:     global_buffer
      - .offset:         16
        .size:           4
        .value_kind:     by_value
      - .offset:         20
        .size:           4
        .value_kind:     by_value
      - .offset:         24
        .size:           8
        .value_kind:     by_value
    .group_segment_fixed_size: 1440
    .kernarg_segment_align: 8
    .kernarg_segment_size: 32
    .language:       OpenCL C
    .language_version:
      - 2
      - 0
    .max_flat_workgroup_size: 64
    .name:           _ZN9rocsolver6v33100L18trti2_kernel_smallILi45E19rocblas_complex_numIdEPS3_EEv13rocblas_fill_17rocblas_diagonal_T1_iil
    .private_segment_fixed_size: 736
    .sgpr_count:     74
    .sgpr_spill_count: 0
    .symbol:         _ZN9rocsolver6v33100L18trti2_kernel_smallILi45E19rocblas_complex_numIdEPS3_EEv13rocblas_fill_17rocblas_diagonal_T1_iil.kd
    .uniform_work_group_size: 1
    .uses_dynamic_stack: false
    .vgpr_count:     138
    .vgpr_spill_count: 0
    .wavefront_size: 32
    .workgroup_processor_mode: 1
  - .args:
      - .offset:         0
        .size:           4
        .value_kind:     by_value
      - .offset:         4
        .size:           4
        .value_kind:     by_value
      - .address_space:  global
        .offset:         8
        .size:           8
        .value_kind:     global_buffer
      - .offset:         16
        .size:           4
        .value_kind:     by_value
      - .offset:         20
        .size:           4
        .value_kind:     by_value
      - .offset:         24
        .size:           8
        .value_kind:     by_value
    .group_segment_fixed_size: 1472
    .kernarg_segment_align: 8
    .kernarg_segment_size: 32
    .language:       OpenCL C
    .language_version:
      - 2
      - 0
    .max_flat_workgroup_size: 64
    .name:           _ZN9rocsolver6v33100L18trti2_kernel_smallILi46E19rocblas_complex_numIdEPS3_EEv13rocblas_fill_17rocblas_diagonal_T1_iil
    .private_segment_fixed_size: 752
    .sgpr_count:     76
    .sgpr_spill_count: 0
    .symbol:         _ZN9rocsolver6v33100L18trti2_kernel_smallILi46E19rocblas_complex_numIdEPS3_EEv13rocblas_fill_17rocblas_diagonal_T1_iil.kd
    .uniform_work_group_size: 1
    .uses_dynamic_stack: false
    .vgpr_count:     143
    .vgpr_spill_count: 0
    .wavefront_size: 32
    .workgroup_processor_mode: 1
  - .args:
      - .offset:         0
        .size:           4
        .value_kind:     by_value
      - .offset:         4
        .size:           4
        .value_kind:     by_value
      - .address_space:  global
        .offset:         8
        .size:           8
        .value_kind:     global_buffer
      - .offset:         16
        .size:           4
        .value_kind:     by_value
      - .offset:         20
        .size:           4
        .value_kind:     by_value
      - .offset:         24
        .size:           8
        .value_kind:     by_value
    .group_segment_fixed_size: 1504
    .kernarg_segment_align: 8
    .kernarg_segment_size: 32
    .language:       OpenCL C
    .language_version:
      - 2
      - 0
    .max_flat_workgroup_size: 64
    .name:           _ZN9rocsolver6v33100L18trti2_kernel_smallILi47E19rocblas_complex_numIdEPS3_EEv13rocblas_fill_17rocblas_diagonal_T1_iil
    .private_segment_fixed_size: 768
    .sgpr_count:     77
    .sgpr_spill_count: 0
    .symbol:         _ZN9rocsolver6v33100L18trti2_kernel_smallILi47E19rocblas_complex_numIdEPS3_EEv13rocblas_fill_17rocblas_diagonal_T1_iil.kd
    .uniform_work_group_size: 1
    .uses_dynamic_stack: false
    .vgpr_count:     140
    .vgpr_spill_count: 0
    .wavefront_size: 32
    .workgroup_processor_mode: 1
  - .args:
      - .offset:         0
        .size:           4
        .value_kind:     by_value
      - .offset:         4
        .size:           4
        .value_kind:     by_value
      - .address_space:  global
        .offset:         8
        .size:           8
        .value_kind:     global_buffer
      - .offset:         16
        .size:           4
        .value_kind:     by_value
      - .offset:         20
        .size:           4
        .value_kind:     by_value
      - .offset:         24
        .size:           8
        .value_kind:     by_value
    .group_segment_fixed_size: 1536
    .kernarg_segment_align: 8
    .kernarg_segment_size: 32
    .language:       OpenCL C
    .language_version:
      - 2
      - 0
    .max_flat_workgroup_size: 64
    .name:           _ZN9rocsolver6v33100L18trti2_kernel_smallILi48E19rocblas_complex_numIdEPS3_EEv13rocblas_fill_17rocblas_diagonal_T1_iil
    .private_segment_fixed_size: 784
    .sgpr_count:     79
    .sgpr_spill_count: 0
    .symbol:         _ZN9rocsolver6v33100L18trti2_kernel_smallILi48E19rocblas_complex_numIdEPS3_EEv13rocblas_fill_17rocblas_diagonal_T1_iil.kd
    .uniform_work_group_size: 1
    .uses_dynamic_stack: false
    .vgpr_count:     144
    .vgpr_spill_count: 0
    .wavefront_size: 32
    .workgroup_processor_mode: 1
  - .args:
      - .offset:         0
        .size:           4
        .value_kind:     by_value
      - .offset:         4
        .size:           4
        .value_kind:     by_value
      - .address_space:  global
        .offset:         8
        .size:           8
        .value_kind:     global_buffer
      - .offset:         16
        .size:           4
        .value_kind:     by_value
      - .offset:         20
        .size:           4
        .value_kind:     by_value
      - .offset:         24
        .size:           8
        .value_kind:     by_value
    .group_segment_fixed_size: 1568
    .kernarg_segment_align: 8
    .kernarg_segment_size: 32
    .language:       OpenCL C
    .language_version:
      - 2
      - 0
    .max_flat_workgroup_size: 64
    .name:           _ZN9rocsolver6v33100L18trti2_kernel_smallILi49E19rocblas_complex_numIdEPS3_EEv13rocblas_fill_17rocblas_diagonal_T1_iil
    .private_segment_fixed_size: 800
    .sgpr_count:     80
    .sgpr_spill_count: 0
    .symbol:         _ZN9rocsolver6v33100L18trti2_kernel_smallILi49E19rocblas_complex_numIdEPS3_EEv13rocblas_fill_17rocblas_diagonal_T1_iil.kd
    .uniform_work_group_size: 1
    .uses_dynamic_stack: false
    .vgpr_count:     142
    .vgpr_spill_count: 0
    .wavefront_size: 32
    .workgroup_processor_mode: 1
  - .args:
      - .offset:         0
        .size:           4
        .value_kind:     by_value
      - .offset:         4
        .size:           4
        .value_kind:     by_value
      - .address_space:  global
        .offset:         8
        .size:           8
        .value_kind:     global_buffer
      - .offset:         16
        .size:           4
        .value_kind:     by_value
      - .offset:         20
        .size:           4
        .value_kind:     by_value
      - .offset:         24
        .size:           8
        .value_kind:     by_value
    .group_segment_fixed_size: 1600
    .kernarg_segment_align: 8
    .kernarg_segment_size: 32
    .language:       OpenCL C
    .language_version:
      - 2
      - 0
    .max_flat_workgroup_size: 64
    .name:           _ZN9rocsolver6v33100L18trti2_kernel_smallILi50E19rocblas_complex_numIdEPS3_EEv13rocblas_fill_17rocblas_diagonal_T1_iil
    .private_segment_fixed_size: 816
    .sgpr_count:     82
    .sgpr_spill_count: 0
    .symbol:         _ZN9rocsolver6v33100L18trti2_kernel_smallILi50E19rocblas_complex_numIdEPS3_EEv13rocblas_fill_17rocblas_diagonal_T1_iil.kd
    .uniform_work_group_size: 1
    .uses_dynamic_stack: false
    .vgpr_count:     138
    .vgpr_spill_count: 0
    .wavefront_size: 32
    .workgroup_processor_mode: 1
  - .args:
      - .offset:         0
        .size:           4
        .value_kind:     by_value
      - .offset:         4
        .size:           4
        .value_kind:     by_value
      - .address_space:  global
        .offset:         8
        .size:           8
        .value_kind:     global_buffer
      - .offset:         16
        .size:           4
        .value_kind:     by_value
      - .offset:         20
        .size:           4
        .value_kind:     by_value
      - .offset:         24
        .size:           8
        .value_kind:     by_value
    .group_segment_fixed_size: 1632
    .kernarg_segment_align: 8
    .kernarg_segment_size: 32
    .language:       OpenCL C
    .language_version:
      - 2
      - 0
    .max_flat_workgroup_size: 64
    .name:           _ZN9rocsolver6v33100L18trti2_kernel_smallILi51E19rocblas_complex_numIdEPS3_EEv13rocblas_fill_17rocblas_diagonal_T1_iil
    .private_segment_fixed_size: 832
    .sgpr_count:     83
    .sgpr_spill_count: 0
    .symbol:         _ZN9rocsolver6v33100L18trti2_kernel_smallILi51E19rocblas_complex_numIdEPS3_EEv13rocblas_fill_17rocblas_diagonal_T1_iil.kd
    .uniform_work_group_size: 1
    .uses_dynamic_stack: false
    .vgpr_count:     142
    .vgpr_spill_count: 0
    .wavefront_size: 32
    .workgroup_processor_mode: 1
  - .args:
      - .offset:         0
        .size:           4
        .value_kind:     by_value
      - .offset:         4
        .size:           4
        .value_kind:     by_value
      - .address_space:  global
        .offset:         8
        .size:           8
        .value_kind:     global_buffer
      - .offset:         16
        .size:           4
        .value_kind:     by_value
      - .offset:         20
        .size:           4
        .value_kind:     by_value
      - .offset:         24
        .size:           8
        .value_kind:     by_value
    .group_segment_fixed_size: 1664
    .kernarg_segment_align: 8
    .kernarg_segment_size: 32
    .language:       OpenCL C
    .language_version:
      - 2
      - 0
    .max_flat_workgroup_size: 64
    .name:           _ZN9rocsolver6v33100L18trti2_kernel_smallILi52E19rocblas_complex_numIdEPS3_EEv13rocblas_fill_17rocblas_diagonal_T1_iil
    .private_segment_fixed_size: 848
    .sgpr_count:     85
    .sgpr_spill_count: 0
    .symbol:         _ZN9rocsolver6v33100L18trti2_kernel_smallILi52E19rocblas_complex_numIdEPS3_EEv13rocblas_fill_17rocblas_diagonal_T1_iil.kd
    .uniform_work_group_size: 1
    .uses_dynamic_stack: false
    .vgpr_count:     154
    .vgpr_spill_count: 0
    .wavefront_size: 32
    .workgroup_processor_mode: 1
  - .args:
      - .offset:         0
        .size:           4
        .value_kind:     by_value
      - .offset:         4
        .size:           4
        .value_kind:     by_value
      - .address_space:  global
        .offset:         8
        .size:           8
        .value_kind:     global_buffer
      - .offset:         16
        .size:           4
        .value_kind:     by_value
      - .offset:         20
        .size:           4
        .value_kind:     by_value
      - .offset:         24
        .size:           8
        .value_kind:     by_value
    .group_segment_fixed_size: 1696
    .kernarg_segment_align: 8
    .kernarg_segment_size: 32
    .language:       OpenCL C
    .language_version:
      - 2
      - 0
    .max_flat_workgroup_size: 64
    .name:           _ZN9rocsolver6v33100L18trti2_kernel_smallILi53E19rocblas_complex_numIdEPS3_EEv13rocblas_fill_17rocblas_diagonal_T1_iil
    .private_segment_fixed_size: 864
    .sgpr_count:     86
    .sgpr_spill_count: 0
    .symbol:         _ZN9rocsolver6v33100L18trti2_kernel_smallILi53E19rocblas_complex_numIdEPS3_EEv13rocblas_fill_17rocblas_diagonal_T1_iil.kd
    .uniform_work_group_size: 1
    .uses_dynamic_stack: false
    .vgpr_count:     156
    .vgpr_spill_count: 0
    .wavefront_size: 32
    .workgroup_processor_mode: 1
  - .args:
      - .offset:         0
        .size:           4
        .value_kind:     by_value
      - .offset:         4
        .size:           4
        .value_kind:     by_value
      - .address_space:  global
        .offset:         8
        .size:           8
        .value_kind:     global_buffer
      - .offset:         16
        .size:           4
        .value_kind:     by_value
      - .offset:         20
        .size:           4
        .value_kind:     by_value
      - .offset:         24
        .size:           8
        .value_kind:     by_value
    .group_segment_fixed_size: 1728
    .kernarg_segment_align: 8
    .kernarg_segment_size: 32
    .language:       OpenCL C
    .language_version:
      - 2
      - 0
    .max_flat_workgroup_size: 64
    .name:           _ZN9rocsolver6v33100L18trti2_kernel_smallILi54E19rocblas_complex_numIdEPS3_EEv13rocblas_fill_17rocblas_diagonal_T1_iil
    .private_segment_fixed_size: 880
    .sgpr_count:     88
    .sgpr_spill_count: 0
    .symbol:         _ZN9rocsolver6v33100L18trti2_kernel_smallILi54E19rocblas_complex_numIdEPS3_EEv13rocblas_fill_17rocblas_diagonal_T1_iil.kd
    .uniform_work_group_size: 1
    .uses_dynamic_stack: false
    .vgpr_count:     162
    .vgpr_spill_count: 0
    .wavefront_size: 32
    .workgroup_processor_mode: 1
  - .args:
      - .offset:         0
        .size:           4
        .value_kind:     by_value
      - .offset:         4
        .size:           4
        .value_kind:     by_value
      - .address_space:  global
        .offset:         8
        .size:           8
        .value_kind:     global_buffer
      - .offset:         16
        .size:           4
        .value_kind:     by_value
      - .offset:         20
        .size:           4
        .value_kind:     by_value
      - .offset:         24
        .size:           8
        .value_kind:     by_value
    .group_segment_fixed_size: 1760
    .kernarg_segment_align: 8
    .kernarg_segment_size: 32
    .language:       OpenCL C
    .language_version:
      - 2
      - 0
    .max_flat_workgroup_size: 64
    .name:           _ZN9rocsolver6v33100L18trti2_kernel_smallILi55E19rocblas_complex_numIdEPS3_EEv13rocblas_fill_17rocblas_diagonal_T1_iil
    .private_segment_fixed_size: 896
    .sgpr_count:     89
    .sgpr_spill_count: 0
    .symbol:         _ZN9rocsolver6v33100L18trti2_kernel_smallILi55E19rocblas_complex_numIdEPS3_EEv13rocblas_fill_17rocblas_diagonal_T1_iil.kd
    .uniform_work_group_size: 1
    .uses_dynamic_stack: false
    .vgpr_count:     157
    .vgpr_spill_count: 0
    .wavefront_size: 32
    .workgroup_processor_mode: 1
  - .args:
      - .offset:         0
        .size:           4
        .value_kind:     by_value
      - .offset:         4
        .size:           4
        .value_kind:     by_value
      - .address_space:  global
        .offset:         8
        .size:           8
        .value_kind:     global_buffer
      - .offset:         16
        .size:           4
        .value_kind:     by_value
      - .offset:         20
        .size:           4
        .value_kind:     by_value
      - .offset:         24
        .size:           8
        .value_kind:     by_value
    .group_segment_fixed_size: 1792
    .kernarg_segment_align: 8
    .kernarg_segment_size: 32
    .language:       OpenCL C
    .language_version:
      - 2
      - 0
    .max_flat_workgroup_size: 64
    .name:           _ZN9rocsolver6v33100L18trti2_kernel_smallILi56E19rocblas_complex_numIdEPS3_EEv13rocblas_fill_17rocblas_diagonal_T1_iil
    .private_segment_fixed_size: 912
    .sgpr_count:     91
    .sgpr_spill_count: 0
    .symbol:         _ZN9rocsolver6v33100L18trti2_kernel_smallILi56E19rocblas_complex_numIdEPS3_EEv13rocblas_fill_17rocblas_diagonal_T1_iil.kd
    .uniform_work_group_size: 1
    .uses_dynamic_stack: false
    .vgpr_count:     158
    .vgpr_spill_count: 0
    .wavefront_size: 32
    .workgroup_processor_mode: 1
  - .args:
      - .offset:         0
        .size:           4
        .value_kind:     by_value
      - .offset:         4
        .size:           4
        .value_kind:     by_value
      - .address_space:  global
        .offset:         8
        .size:           8
        .value_kind:     global_buffer
      - .offset:         16
        .size:           4
        .value_kind:     by_value
      - .offset:         20
        .size:           4
        .value_kind:     by_value
      - .offset:         24
        .size:           8
        .value_kind:     by_value
    .group_segment_fixed_size: 1824
    .kernarg_segment_align: 8
    .kernarg_segment_size: 32
    .language:       OpenCL C
    .language_version:
      - 2
      - 0
    .max_flat_workgroup_size: 64
    .name:           _ZN9rocsolver6v33100L18trti2_kernel_smallILi57E19rocblas_complex_numIdEPS3_EEv13rocblas_fill_17rocblas_diagonal_T1_iil
    .private_segment_fixed_size: 928
    .sgpr_count:     92
    .sgpr_spill_count: 0
    .symbol:         _ZN9rocsolver6v33100L18trti2_kernel_smallILi57E19rocblas_complex_numIdEPS3_EEv13rocblas_fill_17rocblas_diagonal_T1_iil.kd
    .uniform_work_group_size: 1
    .uses_dynamic_stack: false
    .vgpr_count:     160
    .vgpr_spill_count: 0
    .wavefront_size: 32
    .workgroup_processor_mode: 1
  - .args:
      - .offset:         0
        .size:           4
        .value_kind:     by_value
      - .offset:         4
        .size:           4
        .value_kind:     by_value
      - .address_space:  global
        .offset:         8
        .size:           8
        .value_kind:     global_buffer
      - .offset:         16
        .size:           4
        .value_kind:     by_value
      - .offset:         20
        .size:           4
        .value_kind:     by_value
      - .offset:         24
        .size:           8
        .value_kind:     by_value
    .group_segment_fixed_size: 1856
    .kernarg_segment_align: 8
    .kernarg_segment_size: 32
    .language:       OpenCL C
    .language_version:
      - 2
      - 0
    .max_flat_workgroup_size: 64
    .name:           _ZN9rocsolver6v33100L18trti2_kernel_smallILi58E19rocblas_complex_numIdEPS3_EEv13rocblas_fill_17rocblas_diagonal_T1_iil
    .private_segment_fixed_size: 944
    .sgpr_count:     94
    .sgpr_spill_count: 0
    .symbol:         _ZN9rocsolver6v33100L18trti2_kernel_smallILi58E19rocblas_complex_numIdEPS3_EEv13rocblas_fill_17rocblas_diagonal_T1_iil.kd
    .uniform_work_group_size: 1
    .uses_dynamic_stack: false
    .vgpr_count:     162
    .vgpr_spill_count: 0
    .wavefront_size: 32
    .workgroup_processor_mode: 1
  - .args:
      - .offset:         0
        .size:           4
        .value_kind:     by_value
      - .offset:         4
        .size:           4
        .value_kind:     by_value
      - .address_space:  global
        .offset:         8
        .size:           8
        .value_kind:     global_buffer
      - .offset:         16
        .size:           4
        .value_kind:     by_value
      - .offset:         20
        .size:           4
        .value_kind:     by_value
      - .offset:         24
        .size:           8
        .value_kind:     by_value
    .group_segment_fixed_size: 1888
    .kernarg_segment_align: 8
    .kernarg_segment_size: 32
    .language:       OpenCL C
    .language_version:
      - 2
      - 0
    .max_flat_workgroup_size: 64
    .name:           _ZN9rocsolver6v33100L18trti2_kernel_smallILi59E19rocblas_complex_numIdEPS3_EEv13rocblas_fill_17rocblas_diagonal_T1_iil
    .private_segment_fixed_size: 960
    .sgpr_count:     94
    .sgpr_spill_count: 0
    .symbol:         _ZN9rocsolver6v33100L18trti2_kernel_smallILi59E19rocblas_complex_numIdEPS3_EEv13rocblas_fill_17rocblas_diagonal_T1_iil.kd
    .uniform_work_group_size: 1
    .uses_dynamic_stack: false
    .vgpr_count:     158
    .vgpr_spill_count: 0
    .wavefront_size: 32
    .workgroup_processor_mode: 1
  - .args:
      - .offset:         0
        .size:           4
        .value_kind:     by_value
      - .offset:         4
        .size:           4
        .value_kind:     by_value
      - .address_space:  global
        .offset:         8
        .size:           8
        .value_kind:     global_buffer
      - .offset:         16
        .size:           4
        .value_kind:     by_value
      - .offset:         20
        .size:           4
        .value_kind:     by_value
      - .offset:         24
        .size:           8
        .value_kind:     by_value
    .group_segment_fixed_size: 1920
    .kernarg_segment_align: 8
    .kernarg_segment_size: 32
    .language:       OpenCL C
    .language_version:
      - 2
      - 0
    .max_flat_workgroup_size: 64
    .name:           _ZN9rocsolver6v33100L18trti2_kernel_smallILi60E19rocblas_complex_numIdEPS3_EEv13rocblas_fill_17rocblas_diagonal_T1_iil
    .private_segment_fixed_size: 976
    .sgpr_count:     95
    .sgpr_spill_count: 0
    .symbol:         _ZN9rocsolver6v33100L18trti2_kernel_smallILi60E19rocblas_complex_numIdEPS3_EEv13rocblas_fill_17rocblas_diagonal_T1_iil.kd
    .uniform_work_group_size: 1
    .uses_dynamic_stack: false
    .vgpr_count:     174
    .vgpr_spill_count: 0
    .wavefront_size: 32
    .workgroup_processor_mode: 1
  - .args:
      - .offset:         0
        .size:           4
        .value_kind:     by_value
      - .offset:         4
        .size:           4
        .value_kind:     by_value
      - .address_space:  global
        .offset:         8
        .size:           8
        .value_kind:     global_buffer
      - .offset:         16
        .size:           4
        .value_kind:     by_value
      - .offset:         20
        .size:           4
        .value_kind:     by_value
      - .offset:         24
        .size:           8
        .value_kind:     by_value
    .group_segment_fixed_size: 1952
    .kernarg_segment_align: 8
    .kernarg_segment_size: 32
    .language:       OpenCL C
    .language_version:
      - 2
      - 0
    .max_flat_workgroup_size: 64
    .name:           _ZN9rocsolver6v33100L18trti2_kernel_smallILi61E19rocblas_complex_numIdEPS3_EEv13rocblas_fill_17rocblas_diagonal_T1_iil
    .private_segment_fixed_size: 992
    .sgpr_count:     99
    .sgpr_spill_count: 0
    .symbol:         _ZN9rocsolver6v33100L18trti2_kernel_smallILi61E19rocblas_complex_numIdEPS3_EEv13rocblas_fill_17rocblas_diagonal_T1_iil.kd
    .uniform_work_group_size: 1
    .uses_dynamic_stack: false
    .vgpr_count:     213
    .vgpr_spill_count: 0
    .wavefront_size: 32
    .workgroup_processor_mode: 1
  - .args:
      - .offset:         0
        .size:           4
        .value_kind:     by_value
      - .offset:         4
        .size:           4
        .value_kind:     by_value
      - .address_space:  global
        .offset:         8
        .size:           8
        .value_kind:     global_buffer
      - .offset:         16
        .size:           4
        .value_kind:     by_value
      - .offset:         20
        .size:           4
        .value_kind:     by_value
      - .offset:         24
        .size:           8
        .value_kind:     by_value
    .group_segment_fixed_size: 1984
    .kernarg_segment_align: 8
    .kernarg_segment_size: 32
    .language:       OpenCL C
    .language_version:
      - 2
      - 0
    .max_flat_workgroup_size: 64
    .name:           _ZN9rocsolver6v33100L18trti2_kernel_smallILi62E19rocblas_complex_numIdEPS3_EEv13rocblas_fill_17rocblas_diagonal_T1_iil
    .private_segment_fixed_size: 1008
    .sgpr_count:     98
    .sgpr_spill_count: 0
    .symbol:         _ZN9rocsolver6v33100L18trti2_kernel_smallILi62E19rocblas_complex_numIdEPS3_EEv13rocblas_fill_17rocblas_diagonal_T1_iil.kd
    .uniform_work_group_size: 1
    .uses_dynamic_stack: false
    .vgpr_count:     214
    .vgpr_spill_count: 0
    .wavefront_size: 32
    .workgroup_processor_mode: 1
  - .args:
      - .offset:         0
        .size:           4
        .value_kind:     by_value
      - .offset:         4
        .size:           4
        .value_kind:     by_value
      - .address_space:  global
        .offset:         8
        .size:           8
        .value_kind:     global_buffer
      - .offset:         16
        .size:           4
        .value_kind:     by_value
      - .offset:         20
        .size:           4
        .value_kind:     by_value
      - .offset:         24
        .size:           8
        .value_kind:     by_value
    .group_segment_fixed_size: 2016
    .kernarg_segment_align: 8
    .kernarg_segment_size: 32
    .language:       OpenCL C
    .language_version:
      - 2
      - 0
    .max_flat_workgroup_size: 64
    .name:           _ZN9rocsolver6v33100L18trti2_kernel_smallILi63E19rocblas_complex_numIdEPS3_EEv13rocblas_fill_17rocblas_diagonal_T1_iil
    .private_segment_fixed_size: 1024
    .sgpr_count:     100
    .sgpr_spill_count: 0
    .symbol:         _ZN9rocsolver6v33100L18trti2_kernel_smallILi63E19rocblas_complex_numIdEPS3_EEv13rocblas_fill_17rocblas_diagonal_T1_iil.kd
    .uniform_work_group_size: 1
    .uses_dynamic_stack: false
    .vgpr_count:     214
    .vgpr_spill_count: 0
    .wavefront_size: 32
    .workgroup_processor_mode: 1
  - .args:
      - .offset:         0
        .size:           4
        .value_kind:     by_value
      - .offset:         4
        .size:           4
        .value_kind:     by_value
      - .address_space:  global
        .offset:         8
        .size:           8
        .value_kind:     global_buffer
      - .offset:         16
        .size:           4
        .value_kind:     by_value
      - .offset:         20
        .size:           4
        .value_kind:     by_value
      - .offset:         24
        .size:           8
        .value_kind:     by_value
    .group_segment_fixed_size: 2048
    .kernarg_segment_align: 8
    .kernarg_segment_size: 32
    .language:       OpenCL C
    .language_version:
      - 2
      - 0
    .max_flat_workgroup_size: 64
    .name:           _ZN9rocsolver6v33100L18trti2_kernel_smallILi64E19rocblas_complex_numIdEPS3_EEv13rocblas_fill_17rocblas_diagonal_T1_iil
    .private_segment_fixed_size: 1040
    .sgpr_count:     103
    .sgpr_spill_count: 0
    .symbol:         _ZN9rocsolver6v33100L18trti2_kernel_smallILi64E19rocblas_complex_numIdEPS3_EEv13rocblas_fill_17rocblas_diagonal_T1_iil.kd
    .uniform_work_group_size: 1
    .uses_dynamic_stack: false
    .vgpr_count:     218
    .vgpr_spill_count: 0
    .wavefront_size: 32
    .workgroup_processor_mode: 1
  - .args:
      - .offset:         0
        .size:           4
        .value_kind:     by_value
      - .offset:         4
        .size:           4
        .value_kind:     by_value
      - .address_space:  global
        .offset:         8
        .size:           8
        .value_kind:     global_buffer
      - .offset:         16
        .size:           4
        .value_kind:     by_value
      - .offset:         20
        .size:           4
        .value_kind:     by_value
      - .offset:         24
        .size:           8
        .value_kind:     by_value
    .group_segment_fixed_size: 0
    .kernarg_segment_align: 8
    .kernarg_segment_size: 32
    .language:       OpenCL C
    .language_version:
      - 2
      - 0
    .max_flat_workgroup_size: 64
    .name:           _ZN9rocsolver6v33100L18trti2_kernel_smallILi1E19rocblas_complex_numIdEPKPS3_EEv13rocblas_fill_17rocblas_diagonal_T1_iil
    .private_segment_fixed_size: 0
    .sgpr_count:     10
    .sgpr_spill_count: 0
    .symbol:         _ZN9rocsolver6v33100L18trti2_kernel_smallILi1E19rocblas_complex_numIdEPKPS3_EEv13rocblas_fill_17rocblas_diagonal_T1_iil.kd
    .uniform_work_group_size: 1
    .uses_dynamic_stack: false
    .vgpr_count:     12
    .vgpr_spill_count: 0
    .wavefront_size: 32
    .workgroup_processor_mode: 1
  - .args:
      - .offset:         0
        .size:           4
        .value_kind:     by_value
      - .offset:         4
        .size:           4
        .value_kind:     by_value
      - .address_space:  global
        .offset:         8
        .size:           8
        .value_kind:     global_buffer
      - .offset:         16
        .size:           4
        .value_kind:     by_value
      - .offset:         20
        .size:           4
        .value_kind:     by_value
      - .offset:         24
        .size:           8
        .value_kind:     by_value
    .group_segment_fixed_size: 64
    .kernarg_segment_align: 8
    .kernarg_segment_size: 32
    .language:       OpenCL C
    .language_version:
      - 2
      - 0
    .max_flat_workgroup_size: 64
    .name:           _ZN9rocsolver6v33100L18trti2_kernel_smallILi2E19rocblas_complex_numIdEPKPS3_EEv13rocblas_fill_17rocblas_diagonal_T1_iil
    .private_segment_fixed_size: 48
    .sgpr_count:     16
    .sgpr_spill_count: 0
    .symbol:         _ZN9rocsolver6v33100L18trti2_kernel_smallILi2E19rocblas_complex_numIdEPKPS3_EEv13rocblas_fill_17rocblas_diagonal_T1_iil.kd
    .uniform_work_group_size: 1
    .uses_dynamic_stack: false
    .vgpr_count:     19
    .vgpr_spill_count: 0
    .wavefront_size: 32
    .workgroup_processor_mode: 1
  - .args:
      - .offset:         0
        .size:           4
        .value_kind:     by_value
      - .offset:         4
        .size:           4
        .value_kind:     by_value
      - .address_space:  global
        .offset:         8
        .size:           8
        .value_kind:     global_buffer
      - .offset:         16
        .size:           4
        .value_kind:     by_value
      - .offset:         20
        .size:           4
        .value_kind:     by_value
      - .offset:         24
        .size:           8
        .value_kind:     by_value
    .group_segment_fixed_size: 96
    .kernarg_segment_align: 8
    .kernarg_segment_size: 32
    .language:       OpenCL C
    .language_version:
      - 2
      - 0
    .max_flat_workgroup_size: 64
    .name:           _ZN9rocsolver6v33100L18trti2_kernel_smallILi3E19rocblas_complex_numIdEPKPS3_EEv13rocblas_fill_17rocblas_diagonal_T1_iil
    .private_segment_fixed_size: 64
    .sgpr_count:     16
    .sgpr_spill_count: 0
    .symbol:         _ZN9rocsolver6v33100L18trti2_kernel_smallILi3E19rocblas_complex_numIdEPKPS3_EEv13rocblas_fill_17rocblas_diagonal_T1_iil.kd
    .uniform_work_group_size: 1
    .uses_dynamic_stack: false
    .vgpr_count:     23
    .vgpr_spill_count: 0
    .wavefront_size: 32
    .workgroup_processor_mode: 1
  - .args:
      - .offset:         0
        .size:           4
        .value_kind:     by_value
      - .offset:         4
        .size:           4
        .value_kind:     by_value
      - .address_space:  global
        .offset:         8
        .size:           8
        .value_kind:     global_buffer
      - .offset:         16
        .size:           4
        .value_kind:     by_value
      - .offset:         20
        .size:           4
        .value_kind:     by_value
      - .offset:         24
        .size:           8
        .value_kind:     by_value
    .group_segment_fixed_size: 128
    .kernarg_segment_align: 8
    .kernarg_segment_size: 32
    .language:       OpenCL C
    .language_version:
      - 2
      - 0
    .max_flat_workgroup_size: 64
    .name:           _ZN9rocsolver6v33100L18trti2_kernel_smallILi4E19rocblas_complex_numIdEPKPS3_EEv13rocblas_fill_17rocblas_diagonal_T1_iil
    .private_segment_fixed_size: 80
    .sgpr_count:     16
    .sgpr_spill_count: 0
    .symbol:         _ZN9rocsolver6v33100L18trti2_kernel_smallILi4E19rocblas_complex_numIdEPKPS3_EEv13rocblas_fill_17rocblas_diagonal_T1_iil.kd
    .uniform_work_group_size: 1
    .uses_dynamic_stack: false
    .vgpr_count:     28
    .vgpr_spill_count: 0
    .wavefront_size: 32
    .workgroup_processor_mode: 1
  - .args:
      - .offset:         0
        .size:           4
        .value_kind:     by_value
      - .offset:         4
        .size:           4
        .value_kind:     by_value
      - .address_space:  global
        .offset:         8
        .size:           8
        .value_kind:     global_buffer
      - .offset:         16
        .size:           4
        .value_kind:     by_value
      - .offset:         20
        .size:           4
        .value_kind:     by_value
      - .offset:         24
        .size:           8
        .value_kind:     by_value
    .group_segment_fixed_size: 160
    .kernarg_segment_align: 8
    .kernarg_segment_size: 32
    .language:       OpenCL C
    .language_version:
      - 2
      - 0
    .max_flat_workgroup_size: 64
    .name:           _ZN9rocsolver6v33100L18trti2_kernel_smallILi5E19rocblas_complex_numIdEPKPS3_EEv13rocblas_fill_17rocblas_diagonal_T1_iil
    .private_segment_fixed_size: 96
    .sgpr_count:     17
    .sgpr_spill_count: 0
    .symbol:         _ZN9rocsolver6v33100L18trti2_kernel_smallILi5E19rocblas_complex_numIdEPKPS3_EEv13rocblas_fill_17rocblas_diagonal_T1_iil.kd
    .uniform_work_group_size: 1
    .uses_dynamic_stack: false
    .vgpr_count:     30
    .vgpr_spill_count: 0
    .wavefront_size: 32
    .workgroup_processor_mode: 1
  - .args:
      - .offset:         0
        .size:           4
        .value_kind:     by_value
      - .offset:         4
        .size:           4
        .value_kind:     by_value
      - .address_space:  global
        .offset:         8
        .size:           8
        .value_kind:     global_buffer
      - .offset:         16
        .size:           4
        .value_kind:     by_value
      - .offset:         20
        .size:           4
        .value_kind:     by_value
      - .offset:         24
        .size:           8
        .value_kind:     by_value
    .group_segment_fixed_size: 192
    .kernarg_segment_align: 8
    .kernarg_segment_size: 32
    .language:       OpenCL C
    .language_version:
      - 2
      - 0
    .max_flat_workgroup_size: 64
    .name:           _ZN9rocsolver6v33100L18trti2_kernel_smallILi6E19rocblas_complex_numIdEPKPS3_EEv13rocblas_fill_17rocblas_diagonal_T1_iil
    .private_segment_fixed_size: 112
    .sgpr_count:     18
    .sgpr_spill_count: 0
    .symbol:         _ZN9rocsolver6v33100L18trti2_kernel_smallILi6E19rocblas_complex_numIdEPKPS3_EEv13rocblas_fill_17rocblas_diagonal_T1_iil.kd
    .uniform_work_group_size: 1
    .uses_dynamic_stack: false
    .vgpr_count:     34
    .vgpr_spill_count: 0
    .wavefront_size: 32
    .workgroup_processor_mode: 1
  - .args:
      - .offset:         0
        .size:           4
        .value_kind:     by_value
      - .offset:         4
        .size:           4
        .value_kind:     by_value
      - .address_space:  global
        .offset:         8
        .size:           8
        .value_kind:     global_buffer
      - .offset:         16
        .size:           4
        .value_kind:     by_value
      - .offset:         20
        .size:           4
        .value_kind:     by_value
      - .offset:         24
        .size:           8
        .value_kind:     by_value
    .group_segment_fixed_size: 224
    .kernarg_segment_align: 8
    .kernarg_segment_size: 32
    .language:       OpenCL C
    .language_version:
      - 2
      - 0
    .max_flat_workgroup_size: 64
    .name:           _ZN9rocsolver6v33100L18trti2_kernel_smallILi7E19rocblas_complex_numIdEPKPS3_EEv13rocblas_fill_17rocblas_diagonal_T1_iil
    .private_segment_fixed_size: 128
    .sgpr_count:     19
    .sgpr_spill_count: 0
    .symbol:         _ZN9rocsolver6v33100L18trti2_kernel_smallILi7E19rocblas_complex_numIdEPKPS3_EEv13rocblas_fill_17rocblas_diagonal_T1_iil.kd
    .uniform_work_group_size: 1
    .uses_dynamic_stack: false
    .vgpr_count:     36
    .vgpr_spill_count: 0
    .wavefront_size: 32
    .workgroup_processor_mode: 1
  - .args:
      - .offset:         0
        .size:           4
        .value_kind:     by_value
      - .offset:         4
        .size:           4
        .value_kind:     by_value
      - .address_space:  global
        .offset:         8
        .size:           8
        .value_kind:     global_buffer
      - .offset:         16
        .size:           4
        .value_kind:     by_value
      - .offset:         20
        .size:           4
        .value_kind:     by_value
      - .offset:         24
        .size:           8
        .value_kind:     by_value
    .group_segment_fixed_size: 256
    .kernarg_segment_align: 8
    .kernarg_segment_size: 32
    .language:       OpenCL C
    .language_version:
      - 2
      - 0
    .max_flat_workgroup_size: 64
    .name:           _ZN9rocsolver6v33100L18trti2_kernel_smallILi8E19rocblas_complex_numIdEPKPS3_EEv13rocblas_fill_17rocblas_diagonal_T1_iil
    .private_segment_fixed_size: 144
    .sgpr_count:     20
    .sgpr_spill_count: 0
    .symbol:         _ZN9rocsolver6v33100L18trti2_kernel_smallILi8E19rocblas_complex_numIdEPKPS3_EEv13rocblas_fill_17rocblas_diagonal_T1_iil.kd
    .uniform_work_group_size: 1
    .uses_dynamic_stack: false
    .vgpr_count:     38
    .vgpr_spill_count: 0
    .wavefront_size: 32
    .workgroup_processor_mode: 1
  - .args:
      - .offset:         0
        .size:           4
        .value_kind:     by_value
      - .offset:         4
        .size:           4
        .value_kind:     by_value
      - .address_space:  global
        .offset:         8
        .size:           8
        .value_kind:     global_buffer
      - .offset:         16
        .size:           4
        .value_kind:     by_value
      - .offset:         20
        .size:           4
        .value_kind:     by_value
      - .offset:         24
        .size:           8
        .value_kind:     by_value
    .group_segment_fixed_size: 288
    .kernarg_segment_align: 8
    .kernarg_segment_size: 32
    .language:       OpenCL C
    .language_version:
      - 2
      - 0
    .max_flat_workgroup_size: 64
    .name:           _ZN9rocsolver6v33100L18trti2_kernel_smallILi9E19rocblas_complex_numIdEPKPS3_EEv13rocblas_fill_17rocblas_diagonal_T1_iil
    .private_segment_fixed_size: 160
    .sgpr_count:     21
    .sgpr_spill_count: 0
    .symbol:         _ZN9rocsolver6v33100L18trti2_kernel_smallILi9E19rocblas_complex_numIdEPKPS3_EEv13rocblas_fill_17rocblas_diagonal_T1_iil.kd
    .uniform_work_group_size: 1
    .uses_dynamic_stack: false
    .vgpr_count:     40
    .vgpr_spill_count: 0
    .wavefront_size: 32
    .workgroup_processor_mode: 1
  - .args:
      - .offset:         0
        .size:           4
        .value_kind:     by_value
      - .offset:         4
        .size:           4
        .value_kind:     by_value
      - .address_space:  global
        .offset:         8
        .size:           8
        .value_kind:     global_buffer
      - .offset:         16
        .size:           4
        .value_kind:     by_value
      - .offset:         20
        .size:           4
        .value_kind:     by_value
      - .offset:         24
        .size:           8
        .value_kind:     by_value
    .group_segment_fixed_size: 320
    .kernarg_segment_align: 8
    .kernarg_segment_size: 32
    .language:       OpenCL C
    .language_version:
      - 2
      - 0
    .max_flat_workgroup_size: 64
    .name:           _ZN9rocsolver6v33100L18trti2_kernel_smallILi10E19rocblas_complex_numIdEPKPS3_EEv13rocblas_fill_17rocblas_diagonal_T1_iil
    .private_segment_fixed_size: 176
    .sgpr_count:     22
    .sgpr_spill_count: 0
    .symbol:         _ZN9rocsolver6v33100L18trti2_kernel_smallILi10E19rocblas_complex_numIdEPKPS3_EEv13rocblas_fill_17rocblas_diagonal_T1_iil.kd
    .uniform_work_group_size: 1
    .uses_dynamic_stack: false
    .vgpr_count:     42
    .vgpr_spill_count: 0
    .wavefront_size: 32
    .workgroup_processor_mode: 1
  - .args:
      - .offset:         0
        .size:           4
        .value_kind:     by_value
      - .offset:         4
        .size:           4
        .value_kind:     by_value
      - .address_space:  global
        .offset:         8
        .size:           8
        .value_kind:     global_buffer
      - .offset:         16
        .size:           4
        .value_kind:     by_value
      - .offset:         20
        .size:           4
        .value_kind:     by_value
      - .offset:         24
        .size:           8
        .value_kind:     by_value
    .group_segment_fixed_size: 352
    .kernarg_segment_align: 8
    .kernarg_segment_size: 32
    .language:       OpenCL C
    .language_version:
      - 2
      - 0
    .max_flat_workgroup_size: 64
    .name:           _ZN9rocsolver6v33100L18trti2_kernel_smallILi11E19rocblas_complex_numIdEPKPS3_EEv13rocblas_fill_17rocblas_diagonal_T1_iil
    .private_segment_fixed_size: 192
    .sgpr_count:     23
    .sgpr_spill_count: 0
    .symbol:         _ZN9rocsolver6v33100L18trti2_kernel_smallILi11E19rocblas_complex_numIdEPKPS3_EEv13rocblas_fill_17rocblas_diagonal_T1_iil.kd
    .uniform_work_group_size: 1
    .uses_dynamic_stack: false
    .vgpr_count:     44
    .vgpr_spill_count: 0
    .wavefront_size: 32
    .workgroup_processor_mode: 1
  - .args:
      - .offset:         0
        .size:           4
        .value_kind:     by_value
      - .offset:         4
        .size:           4
        .value_kind:     by_value
      - .address_space:  global
        .offset:         8
        .size:           8
        .value_kind:     global_buffer
      - .offset:         16
        .size:           4
        .value_kind:     by_value
      - .offset:         20
        .size:           4
        .value_kind:     by_value
      - .offset:         24
        .size:           8
        .value_kind:     by_value
    .group_segment_fixed_size: 384
    .kernarg_segment_align: 8
    .kernarg_segment_size: 32
    .language:       OpenCL C
    .language_version:
      - 2
      - 0
    .max_flat_workgroup_size: 64
    .name:           _ZN9rocsolver6v33100L18trti2_kernel_smallILi12E19rocblas_complex_numIdEPKPS3_EEv13rocblas_fill_17rocblas_diagonal_T1_iil
    .private_segment_fixed_size: 208
    .sgpr_count:     24
    .sgpr_spill_count: 0
    .symbol:         _ZN9rocsolver6v33100L18trti2_kernel_smallILi12E19rocblas_complex_numIdEPKPS3_EEv13rocblas_fill_17rocblas_diagonal_T1_iil.kd
    .uniform_work_group_size: 1
    .uses_dynamic_stack: false
    .vgpr_count:     46
    .vgpr_spill_count: 0
    .wavefront_size: 32
    .workgroup_processor_mode: 1
  - .args:
      - .offset:         0
        .size:           4
        .value_kind:     by_value
      - .offset:         4
        .size:           4
        .value_kind:     by_value
      - .address_space:  global
        .offset:         8
        .size:           8
        .value_kind:     global_buffer
      - .offset:         16
        .size:           4
        .value_kind:     by_value
      - .offset:         20
        .size:           4
        .value_kind:     by_value
      - .offset:         24
        .size:           8
        .value_kind:     by_value
    .group_segment_fixed_size: 416
    .kernarg_segment_align: 8
    .kernarg_segment_size: 32
    .language:       OpenCL C
    .language_version:
      - 2
      - 0
    .max_flat_workgroup_size: 64
    .name:           _ZN9rocsolver6v33100L18trti2_kernel_smallILi13E19rocblas_complex_numIdEPKPS3_EEv13rocblas_fill_17rocblas_diagonal_T1_iil
    .private_segment_fixed_size: 224
    .sgpr_count:     25
    .sgpr_spill_count: 0
    .symbol:         _ZN9rocsolver6v33100L18trti2_kernel_smallILi13E19rocblas_complex_numIdEPKPS3_EEv13rocblas_fill_17rocblas_diagonal_T1_iil.kd
    .uniform_work_group_size: 1
    .uses_dynamic_stack: false
    .vgpr_count:     48
    .vgpr_spill_count: 0
    .wavefront_size: 32
    .workgroup_processor_mode: 1
  - .args:
      - .offset:         0
        .size:           4
        .value_kind:     by_value
      - .offset:         4
        .size:           4
        .value_kind:     by_value
      - .address_space:  global
        .offset:         8
        .size:           8
        .value_kind:     global_buffer
      - .offset:         16
        .size:           4
        .value_kind:     by_value
      - .offset:         20
        .size:           4
        .value_kind:     by_value
      - .offset:         24
        .size:           8
        .value_kind:     by_value
    .group_segment_fixed_size: 448
    .kernarg_segment_align: 8
    .kernarg_segment_size: 32
    .language:       OpenCL C
    .language_version:
      - 2
      - 0
    .max_flat_workgroup_size: 64
    .name:           _ZN9rocsolver6v33100L18trti2_kernel_smallILi14E19rocblas_complex_numIdEPKPS3_EEv13rocblas_fill_17rocblas_diagonal_T1_iil
    .private_segment_fixed_size: 240
    .sgpr_count:     27
    .sgpr_spill_count: 0
    .symbol:         _ZN9rocsolver6v33100L18trti2_kernel_smallILi14E19rocblas_complex_numIdEPKPS3_EEv13rocblas_fill_17rocblas_diagonal_T1_iil.kd
    .uniform_work_group_size: 1
    .uses_dynamic_stack: false
    .vgpr_count:     50
    .vgpr_spill_count: 0
    .wavefront_size: 32
    .workgroup_processor_mode: 1
  - .args:
      - .offset:         0
        .size:           4
        .value_kind:     by_value
      - .offset:         4
        .size:           4
        .value_kind:     by_value
      - .address_space:  global
        .offset:         8
        .size:           8
        .value_kind:     global_buffer
      - .offset:         16
        .size:           4
        .value_kind:     by_value
      - .offset:         20
        .size:           4
        .value_kind:     by_value
      - .offset:         24
        .size:           8
        .value_kind:     by_value
    .group_segment_fixed_size: 480
    .kernarg_segment_align: 8
    .kernarg_segment_size: 32
    .language:       OpenCL C
    .language_version:
      - 2
      - 0
    .max_flat_workgroup_size: 64
    .name:           _ZN9rocsolver6v33100L18trti2_kernel_smallILi15E19rocblas_complex_numIdEPKPS3_EEv13rocblas_fill_17rocblas_diagonal_T1_iil
    .private_segment_fixed_size: 256
    .sgpr_count:     28
    .sgpr_spill_count: 0
    .symbol:         _ZN9rocsolver6v33100L18trti2_kernel_smallILi15E19rocblas_complex_numIdEPKPS3_EEv13rocblas_fill_17rocblas_diagonal_T1_iil.kd
    .uniform_work_group_size: 1
    .uses_dynamic_stack: false
    .vgpr_count:     52
    .vgpr_spill_count: 0
    .wavefront_size: 32
    .workgroup_processor_mode: 1
  - .args:
      - .offset:         0
        .size:           4
        .value_kind:     by_value
      - .offset:         4
        .size:           4
        .value_kind:     by_value
      - .address_space:  global
        .offset:         8
        .size:           8
        .value_kind:     global_buffer
      - .offset:         16
        .size:           4
        .value_kind:     by_value
      - .offset:         20
        .size:           4
        .value_kind:     by_value
      - .offset:         24
        .size:           8
        .value_kind:     by_value
    .group_segment_fixed_size: 512
    .kernarg_segment_align: 8
    .kernarg_segment_size: 32
    .language:       OpenCL C
    .language_version:
      - 2
      - 0
    .max_flat_workgroup_size: 64
    .name:           _ZN9rocsolver6v33100L18trti2_kernel_smallILi16E19rocblas_complex_numIdEPKPS3_EEv13rocblas_fill_17rocblas_diagonal_T1_iil
    .private_segment_fixed_size: 272
    .sgpr_count:     30
    .sgpr_spill_count: 0
    .symbol:         _ZN9rocsolver6v33100L18trti2_kernel_smallILi16E19rocblas_complex_numIdEPKPS3_EEv13rocblas_fill_17rocblas_diagonal_T1_iil.kd
    .uniform_work_group_size: 1
    .uses_dynamic_stack: false
    .vgpr_count:     54
    .vgpr_spill_count: 0
    .wavefront_size: 32
    .workgroup_processor_mode: 1
  - .args:
      - .offset:         0
        .size:           4
        .value_kind:     by_value
      - .offset:         4
        .size:           4
        .value_kind:     by_value
      - .address_space:  global
        .offset:         8
        .size:           8
        .value_kind:     global_buffer
      - .offset:         16
        .size:           4
        .value_kind:     by_value
      - .offset:         20
        .size:           4
        .value_kind:     by_value
      - .offset:         24
        .size:           8
        .value_kind:     by_value
    .group_segment_fixed_size: 544
    .kernarg_segment_align: 8
    .kernarg_segment_size: 32
    .language:       OpenCL C
    .language_version:
      - 2
      - 0
    .max_flat_workgroup_size: 64
    .name:           _ZN9rocsolver6v33100L18trti2_kernel_smallILi17E19rocblas_complex_numIdEPKPS3_EEv13rocblas_fill_17rocblas_diagonal_T1_iil
    .private_segment_fixed_size: 288
    .sgpr_count:     31
    .sgpr_spill_count: 0
    .symbol:         _ZN9rocsolver6v33100L18trti2_kernel_smallILi17E19rocblas_complex_numIdEPKPS3_EEv13rocblas_fill_17rocblas_diagonal_T1_iil.kd
    .uniform_work_group_size: 1
    .uses_dynamic_stack: false
    .vgpr_count:     56
    .vgpr_spill_count: 0
    .wavefront_size: 32
    .workgroup_processor_mode: 1
  - .args:
      - .offset:         0
        .size:           4
        .value_kind:     by_value
      - .offset:         4
        .size:           4
        .value_kind:     by_value
      - .address_space:  global
        .offset:         8
        .size:           8
        .value_kind:     global_buffer
      - .offset:         16
        .size:           4
        .value_kind:     by_value
      - .offset:         20
        .size:           4
        .value_kind:     by_value
      - .offset:         24
        .size:           8
        .value_kind:     by_value
    .group_segment_fixed_size: 576
    .kernarg_segment_align: 8
    .kernarg_segment_size: 32
    .language:       OpenCL C
    .language_version:
      - 2
      - 0
    .max_flat_workgroup_size: 64
    .name:           _ZN9rocsolver6v33100L18trti2_kernel_smallILi18E19rocblas_complex_numIdEPKPS3_EEv13rocblas_fill_17rocblas_diagonal_T1_iil
    .private_segment_fixed_size: 304
    .sgpr_count:     33
    .sgpr_spill_count: 0
    .symbol:         _ZN9rocsolver6v33100L18trti2_kernel_smallILi18E19rocblas_complex_numIdEPKPS3_EEv13rocblas_fill_17rocblas_diagonal_T1_iil.kd
    .uniform_work_group_size: 1
    .uses_dynamic_stack: false
    .vgpr_count:     58
    .vgpr_spill_count: 0
    .wavefront_size: 32
    .workgroup_processor_mode: 1
  - .args:
      - .offset:         0
        .size:           4
        .value_kind:     by_value
      - .offset:         4
        .size:           4
        .value_kind:     by_value
      - .address_space:  global
        .offset:         8
        .size:           8
        .value_kind:     global_buffer
      - .offset:         16
        .size:           4
        .value_kind:     by_value
      - .offset:         20
        .size:           4
        .value_kind:     by_value
      - .offset:         24
        .size:           8
        .value_kind:     by_value
    .group_segment_fixed_size: 608
    .kernarg_segment_align: 8
    .kernarg_segment_size: 32
    .language:       OpenCL C
    .language_version:
      - 2
      - 0
    .max_flat_workgroup_size: 64
    .name:           _ZN9rocsolver6v33100L18trti2_kernel_smallILi19E19rocblas_complex_numIdEPKPS3_EEv13rocblas_fill_17rocblas_diagonal_T1_iil
    .private_segment_fixed_size: 320
    .sgpr_count:     34
    .sgpr_spill_count: 0
    .symbol:         _ZN9rocsolver6v33100L18trti2_kernel_smallILi19E19rocblas_complex_numIdEPKPS3_EEv13rocblas_fill_17rocblas_diagonal_T1_iil.kd
    .uniform_work_group_size: 1
    .uses_dynamic_stack: false
    .vgpr_count:     60
    .vgpr_spill_count: 0
    .wavefront_size: 32
    .workgroup_processor_mode: 1
  - .args:
      - .offset:         0
        .size:           4
        .value_kind:     by_value
      - .offset:         4
        .size:           4
        .value_kind:     by_value
      - .address_space:  global
        .offset:         8
        .size:           8
        .value_kind:     global_buffer
      - .offset:         16
        .size:           4
        .value_kind:     by_value
      - .offset:         20
        .size:           4
        .value_kind:     by_value
      - .offset:         24
        .size:           8
        .value_kind:     by_value
    .group_segment_fixed_size: 640
    .kernarg_segment_align: 8
    .kernarg_segment_size: 32
    .language:       OpenCL C
    .language_version:
      - 2
      - 0
    .max_flat_workgroup_size: 64
    .name:           _ZN9rocsolver6v33100L18trti2_kernel_smallILi20E19rocblas_complex_numIdEPKPS3_EEv13rocblas_fill_17rocblas_diagonal_T1_iil
    .private_segment_fixed_size: 336
    .sgpr_count:     37
    .sgpr_spill_count: 0
    .symbol:         _ZN9rocsolver6v33100L18trti2_kernel_smallILi20E19rocblas_complex_numIdEPKPS3_EEv13rocblas_fill_17rocblas_diagonal_T1_iil.kd
    .uniform_work_group_size: 1
    .uses_dynamic_stack: false
    .vgpr_count:     62
    .vgpr_spill_count: 0
    .wavefront_size: 32
    .workgroup_processor_mode: 1
  - .args:
      - .offset:         0
        .size:           4
        .value_kind:     by_value
      - .offset:         4
        .size:           4
        .value_kind:     by_value
      - .address_space:  global
        .offset:         8
        .size:           8
        .value_kind:     global_buffer
      - .offset:         16
        .size:           4
        .value_kind:     by_value
      - .offset:         20
        .size:           4
        .value_kind:     by_value
      - .offset:         24
        .size:           8
        .value_kind:     by_value
    .group_segment_fixed_size: 672
    .kernarg_segment_align: 8
    .kernarg_segment_size: 32
    .language:       OpenCL C
    .language_version:
      - 2
      - 0
    .max_flat_workgroup_size: 64
    .name:           _ZN9rocsolver6v33100L18trti2_kernel_smallILi21E19rocblas_complex_numIdEPKPS3_EEv13rocblas_fill_17rocblas_diagonal_T1_iil
    .private_segment_fixed_size: 352
    .sgpr_count:     38
    .sgpr_spill_count: 0
    .symbol:         _ZN9rocsolver6v33100L18trti2_kernel_smallILi21E19rocblas_complex_numIdEPKPS3_EEv13rocblas_fill_17rocblas_diagonal_T1_iil.kd
    .uniform_work_group_size: 1
    .uses_dynamic_stack: false
    .vgpr_count:     64
    .vgpr_spill_count: 0
    .wavefront_size: 32
    .workgroup_processor_mode: 1
  - .args:
      - .offset:         0
        .size:           4
        .value_kind:     by_value
      - .offset:         4
        .size:           4
        .value_kind:     by_value
      - .address_space:  global
        .offset:         8
        .size:           8
        .value_kind:     global_buffer
      - .offset:         16
        .size:           4
        .value_kind:     by_value
      - .offset:         20
        .size:           4
        .value_kind:     by_value
      - .offset:         24
        .size:           8
        .value_kind:     by_value
    .group_segment_fixed_size: 704
    .kernarg_segment_align: 8
    .kernarg_segment_size: 32
    .language:       OpenCL C
    .language_version:
      - 2
      - 0
    .max_flat_workgroup_size: 64
    .name:           _ZN9rocsolver6v33100L18trti2_kernel_smallILi22E19rocblas_complex_numIdEPKPS3_EEv13rocblas_fill_17rocblas_diagonal_T1_iil
    .private_segment_fixed_size: 368
    .sgpr_count:     40
    .sgpr_spill_count: 0
    .symbol:         _ZN9rocsolver6v33100L18trti2_kernel_smallILi22E19rocblas_complex_numIdEPKPS3_EEv13rocblas_fill_17rocblas_diagonal_T1_iil.kd
    .uniform_work_group_size: 1
    .uses_dynamic_stack: false
    .vgpr_count:     66
    .vgpr_spill_count: 0
    .wavefront_size: 32
    .workgroup_processor_mode: 1
  - .args:
      - .offset:         0
        .size:           4
        .value_kind:     by_value
      - .offset:         4
        .size:           4
        .value_kind:     by_value
      - .address_space:  global
        .offset:         8
        .size:           8
        .value_kind:     global_buffer
      - .offset:         16
        .size:           4
        .value_kind:     by_value
      - .offset:         20
        .size:           4
        .value_kind:     by_value
      - .offset:         24
        .size:           8
        .value_kind:     by_value
    .group_segment_fixed_size: 736
    .kernarg_segment_align: 8
    .kernarg_segment_size: 32
    .language:       OpenCL C
    .language_version:
      - 2
      - 0
    .max_flat_workgroup_size: 64
    .name:           _ZN9rocsolver6v33100L18trti2_kernel_smallILi23E19rocblas_complex_numIdEPKPS3_EEv13rocblas_fill_17rocblas_diagonal_T1_iil
    .private_segment_fixed_size: 384
    .sgpr_count:     41
    .sgpr_spill_count: 0
    .symbol:         _ZN9rocsolver6v33100L18trti2_kernel_smallILi23E19rocblas_complex_numIdEPKPS3_EEv13rocblas_fill_17rocblas_diagonal_T1_iil.kd
    .uniform_work_group_size: 1
    .uses_dynamic_stack: false
    .vgpr_count:     68
    .vgpr_spill_count: 0
    .wavefront_size: 32
    .workgroup_processor_mode: 1
  - .args:
      - .offset:         0
        .size:           4
        .value_kind:     by_value
      - .offset:         4
        .size:           4
        .value_kind:     by_value
      - .address_space:  global
        .offset:         8
        .size:           8
        .value_kind:     global_buffer
      - .offset:         16
        .size:           4
        .value_kind:     by_value
      - .offset:         20
        .size:           4
        .value_kind:     by_value
      - .offset:         24
        .size:           8
        .value_kind:     by_value
    .group_segment_fixed_size: 768
    .kernarg_segment_align: 8
    .kernarg_segment_size: 32
    .language:       OpenCL C
    .language_version:
      - 2
      - 0
    .max_flat_workgroup_size: 64
    .name:           _ZN9rocsolver6v33100L18trti2_kernel_smallILi24E19rocblas_complex_numIdEPKPS3_EEv13rocblas_fill_17rocblas_diagonal_T1_iil
    .private_segment_fixed_size: 400
    .sgpr_count:     43
    .sgpr_spill_count: 0
    .symbol:         _ZN9rocsolver6v33100L18trti2_kernel_smallILi24E19rocblas_complex_numIdEPKPS3_EEv13rocblas_fill_17rocblas_diagonal_T1_iil.kd
    .uniform_work_group_size: 1
    .uses_dynamic_stack: false
    .vgpr_count:     70
    .vgpr_spill_count: 0
    .wavefront_size: 32
    .workgroup_processor_mode: 1
  - .args:
      - .offset:         0
        .size:           4
        .value_kind:     by_value
      - .offset:         4
        .size:           4
        .value_kind:     by_value
      - .address_space:  global
        .offset:         8
        .size:           8
        .value_kind:     global_buffer
      - .offset:         16
        .size:           4
        .value_kind:     by_value
      - .offset:         20
        .size:           4
        .value_kind:     by_value
      - .offset:         24
        .size:           8
        .value_kind:     by_value
    .group_segment_fixed_size: 800
    .kernarg_segment_align: 8
    .kernarg_segment_size: 32
    .language:       OpenCL C
    .language_version:
      - 2
      - 0
    .max_flat_workgroup_size: 64
    .name:           _ZN9rocsolver6v33100L18trti2_kernel_smallILi25E19rocblas_complex_numIdEPKPS3_EEv13rocblas_fill_17rocblas_diagonal_T1_iil
    .private_segment_fixed_size: 416
    .sgpr_count:     44
    .sgpr_spill_count: 0
    .symbol:         _ZN9rocsolver6v33100L18trti2_kernel_smallILi25E19rocblas_complex_numIdEPKPS3_EEv13rocblas_fill_17rocblas_diagonal_T1_iil.kd
    .uniform_work_group_size: 1
    .uses_dynamic_stack: false
    .vgpr_count:     72
    .vgpr_spill_count: 0
    .wavefront_size: 32
    .workgroup_processor_mode: 1
  - .args:
      - .offset:         0
        .size:           4
        .value_kind:     by_value
      - .offset:         4
        .size:           4
        .value_kind:     by_value
      - .address_space:  global
        .offset:         8
        .size:           8
        .value_kind:     global_buffer
      - .offset:         16
        .size:           4
        .value_kind:     by_value
      - .offset:         20
        .size:           4
        .value_kind:     by_value
      - .offset:         24
        .size:           8
        .value_kind:     by_value
    .group_segment_fixed_size: 832
    .kernarg_segment_align: 8
    .kernarg_segment_size: 32
    .language:       OpenCL C
    .language_version:
      - 2
      - 0
    .max_flat_workgroup_size: 64
    .name:           _ZN9rocsolver6v33100L18trti2_kernel_smallILi26E19rocblas_complex_numIdEPKPS3_EEv13rocblas_fill_17rocblas_diagonal_T1_iil
    .private_segment_fixed_size: 432
    .sgpr_count:     46
    .sgpr_spill_count: 0
    .symbol:         _ZN9rocsolver6v33100L18trti2_kernel_smallILi26E19rocblas_complex_numIdEPKPS3_EEv13rocblas_fill_17rocblas_diagonal_T1_iil.kd
    .uniform_work_group_size: 1
    .uses_dynamic_stack: false
    .vgpr_count:     74
    .vgpr_spill_count: 0
    .wavefront_size: 32
    .workgroup_processor_mode: 1
  - .args:
      - .offset:         0
        .size:           4
        .value_kind:     by_value
      - .offset:         4
        .size:           4
        .value_kind:     by_value
      - .address_space:  global
        .offset:         8
        .size:           8
        .value_kind:     global_buffer
      - .offset:         16
        .size:           4
        .value_kind:     by_value
      - .offset:         20
        .size:           4
        .value_kind:     by_value
      - .offset:         24
        .size:           8
        .value_kind:     by_value
    .group_segment_fixed_size: 864
    .kernarg_segment_align: 8
    .kernarg_segment_size: 32
    .language:       OpenCL C
    .language_version:
      - 2
      - 0
    .max_flat_workgroup_size: 64
    .name:           _ZN9rocsolver6v33100L18trti2_kernel_smallILi27E19rocblas_complex_numIdEPKPS3_EEv13rocblas_fill_17rocblas_diagonal_T1_iil
    .private_segment_fixed_size: 448
    .sgpr_count:     47
    .sgpr_spill_count: 0
    .symbol:         _ZN9rocsolver6v33100L18trti2_kernel_smallILi27E19rocblas_complex_numIdEPKPS3_EEv13rocblas_fill_17rocblas_diagonal_T1_iil.kd
    .uniform_work_group_size: 1
    .uses_dynamic_stack: false
    .vgpr_count:     76
    .vgpr_spill_count: 0
    .wavefront_size: 32
    .workgroup_processor_mode: 1
  - .args:
      - .offset:         0
        .size:           4
        .value_kind:     by_value
      - .offset:         4
        .size:           4
        .value_kind:     by_value
      - .address_space:  global
        .offset:         8
        .size:           8
        .value_kind:     global_buffer
      - .offset:         16
        .size:           4
        .value_kind:     by_value
      - .offset:         20
        .size:           4
        .value_kind:     by_value
      - .offset:         24
        .size:           8
        .value_kind:     by_value
    .group_segment_fixed_size: 896
    .kernarg_segment_align: 8
    .kernarg_segment_size: 32
    .language:       OpenCL C
    .language_version:
      - 2
      - 0
    .max_flat_workgroup_size: 64
    .name:           _ZN9rocsolver6v33100L18trti2_kernel_smallILi28E19rocblas_complex_numIdEPKPS3_EEv13rocblas_fill_17rocblas_diagonal_T1_iil
    .private_segment_fixed_size: 464
    .sgpr_count:     49
    .sgpr_spill_count: 0
    .symbol:         _ZN9rocsolver6v33100L18trti2_kernel_smallILi28E19rocblas_complex_numIdEPKPS3_EEv13rocblas_fill_17rocblas_diagonal_T1_iil.kd
    .uniform_work_group_size: 1
    .uses_dynamic_stack: false
    .vgpr_count:     78
    .vgpr_spill_count: 0
    .wavefront_size: 32
    .workgroup_processor_mode: 1
  - .args:
      - .offset:         0
        .size:           4
        .value_kind:     by_value
      - .offset:         4
        .size:           4
        .value_kind:     by_value
      - .address_space:  global
        .offset:         8
        .size:           8
        .value_kind:     global_buffer
      - .offset:         16
        .size:           4
        .value_kind:     by_value
      - .offset:         20
        .size:           4
        .value_kind:     by_value
      - .offset:         24
        .size:           8
        .value_kind:     by_value
    .group_segment_fixed_size: 928
    .kernarg_segment_align: 8
    .kernarg_segment_size: 32
    .language:       OpenCL C
    .language_version:
      - 2
      - 0
    .max_flat_workgroup_size: 64
    .name:           _ZN9rocsolver6v33100L18trti2_kernel_smallILi29E19rocblas_complex_numIdEPKPS3_EEv13rocblas_fill_17rocblas_diagonal_T1_iil
    .private_segment_fixed_size: 480
    .sgpr_count:     50
    .sgpr_spill_count: 0
    .symbol:         _ZN9rocsolver6v33100L18trti2_kernel_smallILi29E19rocblas_complex_numIdEPKPS3_EEv13rocblas_fill_17rocblas_diagonal_T1_iil.kd
    .uniform_work_group_size: 1
    .uses_dynamic_stack: false
    .vgpr_count:     80
    .vgpr_spill_count: 0
    .wavefront_size: 32
    .workgroup_processor_mode: 1
  - .args:
      - .offset:         0
        .size:           4
        .value_kind:     by_value
      - .offset:         4
        .size:           4
        .value_kind:     by_value
      - .address_space:  global
        .offset:         8
        .size:           8
        .value_kind:     global_buffer
      - .offset:         16
        .size:           4
        .value_kind:     by_value
      - .offset:         20
        .size:           4
        .value_kind:     by_value
      - .offset:         24
        .size:           8
        .value_kind:     by_value
    .group_segment_fixed_size: 960
    .kernarg_segment_align: 8
    .kernarg_segment_size: 32
    .language:       OpenCL C
    .language_version:
      - 2
      - 0
    .max_flat_workgroup_size: 64
    .name:           _ZN9rocsolver6v33100L18trti2_kernel_smallILi30E19rocblas_complex_numIdEPKPS3_EEv13rocblas_fill_17rocblas_diagonal_T1_iil
    .private_segment_fixed_size: 496
    .sgpr_count:     52
    .sgpr_spill_count: 0
    .symbol:         _ZN9rocsolver6v33100L18trti2_kernel_smallILi30E19rocblas_complex_numIdEPKPS3_EEv13rocblas_fill_17rocblas_diagonal_T1_iil.kd
    .uniform_work_group_size: 1
    .uses_dynamic_stack: false
    .vgpr_count:     82
    .vgpr_spill_count: 0
    .wavefront_size: 32
    .workgroup_processor_mode: 1
  - .args:
      - .offset:         0
        .size:           4
        .value_kind:     by_value
      - .offset:         4
        .size:           4
        .value_kind:     by_value
      - .address_space:  global
        .offset:         8
        .size:           8
        .value_kind:     global_buffer
      - .offset:         16
        .size:           4
        .value_kind:     by_value
      - .offset:         20
        .size:           4
        .value_kind:     by_value
      - .offset:         24
        .size:           8
        .value_kind:     by_value
    .group_segment_fixed_size: 992
    .kernarg_segment_align: 8
    .kernarg_segment_size: 32
    .language:       OpenCL C
    .language_version:
      - 2
      - 0
    .max_flat_workgroup_size: 64
    .name:           _ZN9rocsolver6v33100L18trti2_kernel_smallILi31E19rocblas_complex_numIdEPKPS3_EEv13rocblas_fill_17rocblas_diagonal_T1_iil
    .private_segment_fixed_size: 512
    .sgpr_count:     53
    .sgpr_spill_count: 0
    .symbol:         _ZN9rocsolver6v33100L18trti2_kernel_smallILi31E19rocblas_complex_numIdEPKPS3_EEv13rocblas_fill_17rocblas_diagonal_T1_iil.kd
    .uniform_work_group_size: 1
    .uses_dynamic_stack: false
    .vgpr_count:     84
    .vgpr_spill_count: 0
    .wavefront_size: 32
    .workgroup_processor_mode: 1
  - .args:
      - .offset:         0
        .size:           4
        .value_kind:     by_value
      - .offset:         4
        .size:           4
        .value_kind:     by_value
      - .address_space:  global
        .offset:         8
        .size:           8
        .value_kind:     global_buffer
      - .offset:         16
        .size:           4
        .value_kind:     by_value
      - .offset:         20
        .size:           4
        .value_kind:     by_value
      - .offset:         24
        .size:           8
        .value_kind:     by_value
    .group_segment_fixed_size: 1024
    .kernarg_segment_align: 8
    .kernarg_segment_size: 32
    .language:       OpenCL C
    .language_version:
      - 2
      - 0
    .max_flat_workgroup_size: 64
    .name:           _ZN9rocsolver6v33100L18trti2_kernel_smallILi32E19rocblas_complex_numIdEPKPS3_EEv13rocblas_fill_17rocblas_diagonal_T1_iil
    .private_segment_fixed_size: 528
    .sgpr_count:     55
    .sgpr_spill_count: 0
    .symbol:         _ZN9rocsolver6v33100L18trti2_kernel_smallILi32E19rocblas_complex_numIdEPKPS3_EEv13rocblas_fill_17rocblas_diagonal_T1_iil.kd
    .uniform_work_group_size: 1
    .uses_dynamic_stack: false
    .vgpr_count:     86
    .vgpr_spill_count: 0
    .wavefront_size: 32
    .workgroup_processor_mode: 1
  - .args:
      - .offset:         0
        .size:           4
        .value_kind:     by_value
      - .offset:         4
        .size:           4
        .value_kind:     by_value
      - .address_space:  global
        .offset:         8
        .size:           8
        .value_kind:     global_buffer
      - .offset:         16
        .size:           4
        .value_kind:     by_value
      - .offset:         20
        .size:           4
        .value_kind:     by_value
      - .offset:         24
        .size:           8
        .value_kind:     by_value
    .group_segment_fixed_size: 1056
    .kernarg_segment_align: 8
    .kernarg_segment_size: 32
    .language:       OpenCL C
    .language_version:
      - 2
      - 0
    .max_flat_workgroup_size: 64
    .name:           _ZN9rocsolver6v33100L18trti2_kernel_smallILi33E19rocblas_complex_numIdEPKPS3_EEv13rocblas_fill_17rocblas_diagonal_T1_iil
    .private_segment_fixed_size: 544
    .sgpr_count:     56
    .sgpr_spill_count: 0
    .symbol:         _ZN9rocsolver6v33100L18trti2_kernel_smallILi33E19rocblas_complex_numIdEPKPS3_EEv13rocblas_fill_17rocblas_diagonal_T1_iil.kd
    .uniform_work_group_size: 1
    .uses_dynamic_stack: false
    .vgpr_count:     88
    .vgpr_spill_count: 0
    .wavefront_size: 32
    .workgroup_processor_mode: 1
  - .args:
      - .offset:         0
        .size:           4
        .value_kind:     by_value
      - .offset:         4
        .size:           4
        .value_kind:     by_value
      - .address_space:  global
        .offset:         8
        .size:           8
        .value_kind:     global_buffer
      - .offset:         16
        .size:           4
        .value_kind:     by_value
      - .offset:         20
        .size:           4
        .value_kind:     by_value
      - .offset:         24
        .size:           8
        .value_kind:     by_value
    .group_segment_fixed_size: 1088
    .kernarg_segment_align: 8
    .kernarg_segment_size: 32
    .language:       OpenCL C
    .language_version:
      - 2
      - 0
    .max_flat_workgroup_size: 64
    .name:           _ZN9rocsolver6v33100L18trti2_kernel_smallILi34E19rocblas_complex_numIdEPKPS3_EEv13rocblas_fill_17rocblas_diagonal_T1_iil
    .private_segment_fixed_size: 560
    .sgpr_count:     58
    .sgpr_spill_count: 0
    .symbol:         _ZN9rocsolver6v33100L18trti2_kernel_smallILi34E19rocblas_complex_numIdEPKPS3_EEv13rocblas_fill_17rocblas_diagonal_T1_iil.kd
    .uniform_work_group_size: 1
    .uses_dynamic_stack: false
    .vgpr_count:     90
    .vgpr_spill_count: 0
    .wavefront_size: 32
    .workgroup_processor_mode: 1
  - .args:
      - .offset:         0
        .size:           4
        .value_kind:     by_value
      - .offset:         4
        .size:           4
        .value_kind:     by_value
      - .address_space:  global
        .offset:         8
        .size:           8
        .value_kind:     global_buffer
      - .offset:         16
        .size:           4
        .value_kind:     by_value
      - .offset:         20
        .size:           4
        .value_kind:     by_value
      - .offset:         24
        .size:           8
        .value_kind:     by_value
    .group_segment_fixed_size: 1120
    .kernarg_segment_align: 8
    .kernarg_segment_size: 32
    .language:       OpenCL C
    .language_version:
      - 2
      - 0
    .max_flat_workgroup_size: 64
    .name:           _ZN9rocsolver6v33100L18trti2_kernel_smallILi35E19rocblas_complex_numIdEPKPS3_EEv13rocblas_fill_17rocblas_diagonal_T1_iil
    .private_segment_fixed_size: 576
    .sgpr_count:     59
    .sgpr_spill_count: 0
    .symbol:         _ZN9rocsolver6v33100L18trti2_kernel_smallILi35E19rocblas_complex_numIdEPKPS3_EEv13rocblas_fill_17rocblas_diagonal_T1_iil.kd
    .uniform_work_group_size: 1
    .uses_dynamic_stack: false
    .vgpr_count:     92
    .vgpr_spill_count: 0
    .wavefront_size: 32
    .workgroup_processor_mode: 1
  - .args:
      - .offset:         0
        .size:           4
        .value_kind:     by_value
      - .offset:         4
        .size:           4
        .value_kind:     by_value
      - .address_space:  global
        .offset:         8
        .size:           8
        .value_kind:     global_buffer
      - .offset:         16
        .size:           4
        .value_kind:     by_value
      - .offset:         20
        .size:           4
        .value_kind:     by_value
      - .offset:         24
        .size:           8
        .value_kind:     by_value
    .group_segment_fixed_size: 1152
    .kernarg_segment_align: 8
    .kernarg_segment_size: 32
    .language:       OpenCL C
    .language_version:
      - 2
      - 0
    .max_flat_workgroup_size: 64
    .name:           _ZN9rocsolver6v33100L18trti2_kernel_smallILi36E19rocblas_complex_numIdEPKPS3_EEv13rocblas_fill_17rocblas_diagonal_T1_iil
    .private_segment_fixed_size: 592
    .sgpr_count:     61
    .sgpr_spill_count: 0
    .symbol:         _ZN9rocsolver6v33100L18trti2_kernel_smallILi36E19rocblas_complex_numIdEPKPS3_EEv13rocblas_fill_17rocblas_diagonal_T1_iil.kd
    .uniform_work_group_size: 1
    .uses_dynamic_stack: false
    .vgpr_count:     94
    .vgpr_spill_count: 0
    .wavefront_size: 32
    .workgroup_processor_mode: 1
  - .args:
      - .offset:         0
        .size:           4
        .value_kind:     by_value
      - .offset:         4
        .size:           4
        .value_kind:     by_value
      - .address_space:  global
        .offset:         8
        .size:           8
        .value_kind:     global_buffer
      - .offset:         16
        .size:           4
        .value_kind:     by_value
      - .offset:         20
        .size:           4
        .value_kind:     by_value
      - .offset:         24
        .size:           8
        .value_kind:     by_value
    .group_segment_fixed_size: 1184
    .kernarg_segment_align: 8
    .kernarg_segment_size: 32
    .language:       OpenCL C
    .language_version:
      - 2
      - 0
    .max_flat_workgroup_size: 64
    .name:           _ZN9rocsolver6v33100L18trti2_kernel_smallILi37E19rocblas_complex_numIdEPKPS3_EEv13rocblas_fill_17rocblas_diagonal_T1_iil
    .private_segment_fixed_size: 608
    .sgpr_count:     62
    .sgpr_spill_count: 0
    .symbol:         _ZN9rocsolver6v33100L18trti2_kernel_smallILi37E19rocblas_complex_numIdEPKPS3_EEv13rocblas_fill_17rocblas_diagonal_T1_iil.kd
    .uniform_work_group_size: 1
    .uses_dynamic_stack: false
    .vgpr_count:     96
    .vgpr_spill_count: 0
    .wavefront_size: 32
    .workgroup_processor_mode: 1
  - .args:
      - .offset:         0
        .size:           4
        .value_kind:     by_value
      - .offset:         4
        .size:           4
        .value_kind:     by_value
      - .address_space:  global
        .offset:         8
        .size:           8
        .value_kind:     global_buffer
      - .offset:         16
        .size:           4
        .value_kind:     by_value
      - .offset:         20
        .size:           4
        .value_kind:     by_value
      - .offset:         24
        .size:           8
        .value_kind:     by_value
    .group_segment_fixed_size: 1216
    .kernarg_segment_align: 8
    .kernarg_segment_size: 32
    .language:       OpenCL C
    .language_version:
      - 2
      - 0
    .max_flat_workgroup_size: 64
    .name:           _ZN9rocsolver6v33100L18trti2_kernel_smallILi38E19rocblas_complex_numIdEPKPS3_EEv13rocblas_fill_17rocblas_diagonal_T1_iil
    .private_segment_fixed_size: 624
    .sgpr_count:     64
    .sgpr_spill_count: 0
    .symbol:         _ZN9rocsolver6v33100L18trti2_kernel_smallILi38E19rocblas_complex_numIdEPKPS3_EEv13rocblas_fill_17rocblas_diagonal_T1_iil.kd
    .uniform_work_group_size: 1
    .uses_dynamic_stack: false
    .vgpr_count:     98
    .vgpr_spill_count: 0
    .wavefront_size: 32
    .workgroup_processor_mode: 1
  - .args:
      - .offset:         0
        .size:           4
        .value_kind:     by_value
      - .offset:         4
        .size:           4
        .value_kind:     by_value
      - .address_space:  global
        .offset:         8
        .size:           8
        .value_kind:     global_buffer
      - .offset:         16
        .size:           4
        .value_kind:     by_value
      - .offset:         20
        .size:           4
        .value_kind:     by_value
      - .offset:         24
        .size:           8
        .value_kind:     by_value
    .group_segment_fixed_size: 1248
    .kernarg_segment_align: 8
    .kernarg_segment_size: 32
    .language:       OpenCL C
    .language_version:
      - 2
      - 0
    .max_flat_workgroup_size: 64
    .name:           _ZN9rocsolver6v33100L18trti2_kernel_smallILi39E19rocblas_complex_numIdEPKPS3_EEv13rocblas_fill_17rocblas_diagonal_T1_iil
    .private_segment_fixed_size: 640
    .sgpr_count:     65
    .sgpr_spill_count: 0
    .symbol:         _ZN9rocsolver6v33100L18trti2_kernel_smallILi39E19rocblas_complex_numIdEPKPS3_EEv13rocblas_fill_17rocblas_diagonal_T1_iil.kd
    .uniform_work_group_size: 1
    .uses_dynamic_stack: false
    .vgpr_count:     100
    .vgpr_spill_count: 0
    .wavefront_size: 32
    .workgroup_processor_mode: 1
  - .args:
      - .offset:         0
        .size:           4
        .value_kind:     by_value
      - .offset:         4
        .size:           4
        .value_kind:     by_value
      - .address_space:  global
        .offset:         8
        .size:           8
        .value_kind:     global_buffer
      - .offset:         16
        .size:           4
        .value_kind:     by_value
      - .offset:         20
        .size:           4
        .value_kind:     by_value
      - .offset:         24
        .size:           8
        .value_kind:     by_value
    .group_segment_fixed_size: 1280
    .kernarg_segment_align: 8
    .kernarg_segment_size: 32
    .language:       OpenCL C
    .language_version:
      - 2
      - 0
    .max_flat_workgroup_size: 64
    .name:           _ZN9rocsolver6v33100L18trti2_kernel_smallILi40E19rocblas_complex_numIdEPKPS3_EEv13rocblas_fill_17rocblas_diagonal_T1_iil
    .private_segment_fixed_size: 656
    .sgpr_count:     67
    .sgpr_spill_count: 0
    .symbol:         _ZN9rocsolver6v33100L18trti2_kernel_smallILi40E19rocblas_complex_numIdEPKPS3_EEv13rocblas_fill_17rocblas_diagonal_T1_iil.kd
    .uniform_work_group_size: 1
    .uses_dynamic_stack: false
    .vgpr_count:     102
    .vgpr_spill_count: 0
    .wavefront_size: 32
    .workgroup_processor_mode: 1
  - .args:
      - .offset:         0
        .size:           4
        .value_kind:     by_value
      - .offset:         4
        .size:           4
        .value_kind:     by_value
      - .address_space:  global
        .offset:         8
        .size:           8
        .value_kind:     global_buffer
      - .offset:         16
        .size:           4
        .value_kind:     by_value
      - .offset:         20
        .size:           4
        .value_kind:     by_value
      - .offset:         24
        .size:           8
        .value_kind:     by_value
    .group_segment_fixed_size: 1312
    .kernarg_segment_align: 8
    .kernarg_segment_size: 32
    .language:       OpenCL C
    .language_version:
      - 2
      - 0
    .max_flat_workgroup_size: 64
    .name:           _ZN9rocsolver6v33100L18trti2_kernel_smallILi41E19rocblas_complex_numIdEPKPS3_EEv13rocblas_fill_17rocblas_diagonal_T1_iil
    .private_segment_fixed_size: 672
    .sgpr_count:     68
    .sgpr_spill_count: 0
    .symbol:         _ZN9rocsolver6v33100L18trti2_kernel_smallILi41E19rocblas_complex_numIdEPKPS3_EEv13rocblas_fill_17rocblas_diagonal_T1_iil.kd
    .uniform_work_group_size: 1
    .uses_dynamic_stack: false
    .vgpr_count:     104
    .vgpr_spill_count: 0
    .wavefront_size: 32
    .workgroup_processor_mode: 1
  - .args:
      - .offset:         0
        .size:           4
        .value_kind:     by_value
      - .offset:         4
        .size:           4
        .value_kind:     by_value
      - .address_space:  global
        .offset:         8
        .size:           8
        .value_kind:     global_buffer
      - .offset:         16
        .size:           4
        .value_kind:     by_value
      - .offset:         20
        .size:           4
        .value_kind:     by_value
      - .offset:         24
        .size:           8
        .value_kind:     by_value
    .group_segment_fixed_size: 1344
    .kernarg_segment_align: 8
    .kernarg_segment_size: 32
    .language:       OpenCL C
    .language_version:
      - 2
      - 0
    .max_flat_workgroup_size: 64
    .name:           _ZN9rocsolver6v33100L18trti2_kernel_smallILi42E19rocblas_complex_numIdEPKPS3_EEv13rocblas_fill_17rocblas_diagonal_T1_iil
    .private_segment_fixed_size: 688
    .sgpr_count:     70
    .sgpr_spill_count: 0
    .symbol:         _ZN9rocsolver6v33100L18trti2_kernel_smallILi42E19rocblas_complex_numIdEPKPS3_EEv13rocblas_fill_17rocblas_diagonal_T1_iil.kd
    .uniform_work_group_size: 1
    .uses_dynamic_stack: false
    .vgpr_count:     106
    .vgpr_spill_count: 0
    .wavefront_size: 32
    .workgroup_processor_mode: 1
  - .args:
      - .offset:         0
        .size:           4
        .value_kind:     by_value
      - .offset:         4
        .size:           4
        .value_kind:     by_value
      - .address_space:  global
        .offset:         8
        .size:           8
        .value_kind:     global_buffer
      - .offset:         16
        .size:           4
        .value_kind:     by_value
      - .offset:         20
        .size:           4
        .value_kind:     by_value
      - .offset:         24
        .size:           8
        .value_kind:     by_value
    .group_segment_fixed_size: 1376
    .kernarg_segment_align: 8
    .kernarg_segment_size: 32
    .language:       OpenCL C
    .language_version:
      - 2
      - 0
    .max_flat_workgroup_size: 64
    .name:           _ZN9rocsolver6v33100L18trti2_kernel_smallILi43E19rocblas_complex_numIdEPKPS3_EEv13rocblas_fill_17rocblas_diagonal_T1_iil
    .private_segment_fixed_size: 704
    .sgpr_count:     71
    .sgpr_spill_count: 0
    .symbol:         _ZN9rocsolver6v33100L18trti2_kernel_smallILi43E19rocblas_complex_numIdEPKPS3_EEv13rocblas_fill_17rocblas_diagonal_T1_iil.kd
    .uniform_work_group_size: 1
    .uses_dynamic_stack: false
    .vgpr_count:     108
    .vgpr_spill_count: 0
    .wavefront_size: 32
    .workgroup_processor_mode: 1
  - .args:
      - .offset:         0
        .size:           4
        .value_kind:     by_value
      - .offset:         4
        .size:           4
        .value_kind:     by_value
      - .address_space:  global
        .offset:         8
        .size:           8
        .value_kind:     global_buffer
      - .offset:         16
        .size:           4
        .value_kind:     by_value
      - .offset:         20
        .size:           4
        .value_kind:     by_value
      - .offset:         24
        .size:           8
        .value_kind:     by_value
    .group_segment_fixed_size: 1408
    .kernarg_segment_align: 8
    .kernarg_segment_size: 32
    .language:       OpenCL C
    .language_version:
      - 2
      - 0
    .max_flat_workgroup_size: 64
    .name:           _ZN9rocsolver6v33100L18trti2_kernel_smallILi44E19rocblas_complex_numIdEPKPS3_EEv13rocblas_fill_17rocblas_diagonal_T1_iil
    .private_segment_fixed_size: 720
    .sgpr_count:     73
    .sgpr_spill_count: 0
    .symbol:         _ZN9rocsolver6v33100L18trti2_kernel_smallILi44E19rocblas_complex_numIdEPKPS3_EEv13rocblas_fill_17rocblas_diagonal_T1_iil.kd
    .uniform_work_group_size: 1
    .uses_dynamic_stack: false
    .vgpr_count:     110
    .vgpr_spill_count: 0
    .wavefront_size: 32
    .workgroup_processor_mode: 1
  - .args:
      - .offset:         0
        .size:           4
        .value_kind:     by_value
      - .offset:         4
        .size:           4
        .value_kind:     by_value
      - .address_space:  global
        .offset:         8
        .size:           8
        .value_kind:     global_buffer
      - .offset:         16
        .size:           4
        .value_kind:     by_value
      - .offset:         20
        .size:           4
        .value_kind:     by_value
      - .offset:         24
        .size:           8
        .value_kind:     by_value
    .group_segment_fixed_size: 1440
    .kernarg_segment_align: 8
    .kernarg_segment_size: 32
    .language:       OpenCL C
    .language_version:
      - 2
      - 0
    .max_flat_workgroup_size: 64
    .name:           _ZN9rocsolver6v33100L18trti2_kernel_smallILi45E19rocblas_complex_numIdEPKPS3_EEv13rocblas_fill_17rocblas_diagonal_T1_iil
    .private_segment_fixed_size: 736
    .sgpr_count:     74
    .sgpr_spill_count: 0
    .symbol:         _ZN9rocsolver6v33100L18trti2_kernel_smallILi45E19rocblas_complex_numIdEPKPS3_EEv13rocblas_fill_17rocblas_diagonal_T1_iil.kd
    .uniform_work_group_size: 1
    .uses_dynamic_stack: false
    .vgpr_count:     112
    .vgpr_spill_count: 0
    .wavefront_size: 32
    .workgroup_processor_mode: 1
  - .args:
      - .offset:         0
        .size:           4
        .value_kind:     by_value
      - .offset:         4
        .size:           4
        .value_kind:     by_value
      - .address_space:  global
        .offset:         8
        .size:           8
        .value_kind:     global_buffer
      - .offset:         16
        .size:           4
        .value_kind:     by_value
      - .offset:         20
        .size:           4
        .value_kind:     by_value
      - .offset:         24
        .size:           8
        .value_kind:     by_value
    .group_segment_fixed_size: 1472
    .kernarg_segment_align: 8
    .kernarg_segment_size: 32
    .language:       OpenCL C
    .language_version:
      - 2
      - 0
    .max_flat_workgroup_size: 64
    .name:           _ZN9rocsolver6v33100L18trti2_kernel_smallILi46E19rocblas_complex_numIdEPKPS3_EEv13rocblas_fill_17rocblas_diagonal_T1_iil
    .private_segment_fixed_size: 752
    .sgpr_count:     76
    .sgpr_spill_count: 0
    .symbol:         _ZN9rocsolver6v33100L18trti2_kernel_smallILi46E19rocblas_complex_numIdEPKPS3_EEv13rocblas_fill_17rocblas_diagonal_T1_iil.kd
    .uniform_work_group_size: 1
    .uses_dynamic_stack: false
    .vgpr_count:     114
    .vgpr_spill_count: 0
    .wavefront_size: 32
    .workgroup_processor_mode: 1
  - .args:
      - .offset:         0
        .size:           4
        .value_kind:     by_value
      - .offset:         4
        .size:           4
        .value_kind:     by_value
      - .address_space:  global
        .offset:         8
        .size:           8
        .value_kind:     global_buffer
      - .offset:         16
        .size:           4
        .value_kind:     by_value
      - .offset:         20
        .size:           4
        .value_kind:     by_value
      - .offset:         24
        .size:           8
        .value_kind:     by_value
    .group_segment_fixed_size: 1504
    .kernarg_segment_align: 8
    .kernarg_segment_size: 32
    .language:       OpenCL C
    .language_version:
      - 2
      - 0
    .max_flat_workgroup_size: 64
    .name:           _ZN9rocsolver6v33100L18trti2_kernel_smallILi47E19rocblas_complex_numIdEPKPS3_EEv13rocblas_fill_17rocblas_diagonal_T1_iil
    .private_segment_fixed_size: 768
    .sgpr_count:     77
    .sgpr_spill_count: 0
    .symbol:         _ZN9rocsolver6v33100L18trti2_kernel_smallILi47E19rocblas_complex_numIdEPKPS3_EEv13rocblas_fill_17rocblas_diagonal_T1_iil.kd
    .uniform_work_group_size: 1
    .uses_dynamic_stack: false
    .vgpr_count:     116
    .vgpr_spill_count: 0
    .wavefront_size: 32
    .workgroup_processor_mode: 1
  - .args:
      - .offset:         0
        .size:           4
        .value_kind:     by_value
      - .offset:         4
        .size:           4
        .value_kind:     by_value
      - .address_space:  global
        .offset:         8
        .size:           8
        .value_kind:     global_buffer
      - .offset:         16
        .size:           4
        .value_kind:     by_value
      - .offset:         20
        .size:           4
        .value_kind:     by_value
      - .offset:         24
        .size:           8
        .value_kind:     by_value
    .group_segment_fixed_size: 1536
    .kernarg_segment_align: 8
    .kernarg_segment_size: 32
    .language:       OpenCL C
    .language_version:
      - 2
      - 0
    .max_flat_workgroup_size: 64
    .name:           _ZN9rocsolver6v33100L18trti2_kernel_smallILi48E19rocblas_complex_numIdEPKPS3_EEv13rocblas_fill_17rocblas_diagonal_T1_iil
    .private_segment_fixed_size: 784
    .sgpr_count:     79
    .sgpr_spill_count: 0
    .symbol:         _ZN9rocsolver6v33100L18trti2_kernel_smallILi48E19rocblas_complex_numIdEPKPS3_EEv13rocblas_fill_17rocblas_diagonal_T1_iil.kd
    .uniform_work_group_size: 1
    .uses_dynamic_stack: false
    .vgpr_count:     118
    .vgpr_spill_count: 0
    .wavefront_size: 32
    .workgroup_processor_mode: 1
  - .args:
      - .offset:         0
        .size:           4
        .value_kind:     by_value
      - .offset:         4
        .size:           4
        .value_kind:     by_value
      - .address_space:  global
        .offset:         8
        .size:           8
        .value_kind:     global_buffer
      - .offset:         16
        .size:           4
        .value_kind:     by_value
      - .offset:         20
        .size:           4
        .value_kind:     by_value
      - .offset:         24
        .size:           8
        .value_kind:     by_value
    .group_segment_fixed_size: 1568
    .kernarg_segment_align: 8
    .kernarg_segment_size: 32
    .language:       OpenCL C
    .language_version:
      - 2
      - 0
    .max_flat_workgroup_size: 64
    .name:           _ZN9rocsolver6v33100L18trti2_kernel_smallILi49E19rocblas_complex_numIdEPKPS3_EEv13rocblas_fill_17rocblas_diagonal_T1_iil
    .private_segment_fixed_size: 800
    .sgpr_count:     80
    .sgpr_spill_count: 0
    .symbol:         _ZN9rocsolver6v33100L18trti2_kernel_smallILi49E19rocblas_complex_numIdEPKPS3_EEv13rocblas_fill_17rocblas_diagonal_T1_iil.kd
    .uniform_work_group_size: 1
    .uses_dynamic_stack: false
    .vgpr_count:     120
    .vgpr_spill_count: 0
    .wavefront_size: 32
    .workgroup_processor_mode: 1
  - .args:
      - .offset:         0
        .size:           4
        .value_kind:     by_value
      - .offset:         4
        .size:           4
        .value_kind:     by_value
      - .address_space:  global
        .offset:         8
        .size:           8
        .value_kind:     global_buffer
      - .offset:         16
        .size:           4
        .value_kind:     by_value
      - .offset:         20
        .size:           4
        .value_kind:     by_value
      - .offset:         24
        .size:           8
        .value_kind:     by_value
    .group_segment_fixed_size: 1600
    .kernarg_segment_align: 8
    .kernarg_segment_size: 32
    .language:       OpenCL C
    .language_version:
      - 2
      - 0
    .max_flat_workgroup_size: 64
    .name:           _ZN9rocsolver6v33100L18trti2_kernel_smallILi50E19rocblas_complex_numIdEPKPS3_EEv13rocblas_fill_17rocblas_diagonal_T1_iil
    .private_segment_fixed_size: 816
    .sgpr_count:     82
    .sgpr_spill_count: 0
    .symbol:         _ZN9rocsolver6v33100L18trti2_kernel_smallILi50E19rocblas_complex_numIdEPKPS3_EEv13rocblas_fill_17rocblas_diagonal_T1_iil.kd
    .uniform_work_group_size: 1
    .uses_dynamic_stack: false
    .vgpr_count:     122
    .vgpr_spill_count: 0
    .wavefront_size: 32
    .workgroup_processor_mode: 1
  - .args:
      - .offset:         0
        .size:           4
        .value_kind:     by_value
      - .offset:         4
        .size:           4
        .value_kind:     by_value
      - .address_space:  global
        .offset:         8
        .size:           8
        .value_kind:     global_buffer
      - .offset:         16
        .size:           4
        .value_kind:     by_value
      - .offset:         20
        .size:           4
        .value_kind:     by_value
      - .offset:         24
        .size:           8
        .value_kind:     by_value
    .group_segment_fixed_size: 1632
    .kernarg_segment_align: 8
    .kernarg_segment_size: 32
    .language:       OpenCL C
    .language_version:
      - 2
      - 0
    .max_flat_workgroup_size: 64
    .name:           _ZN9rocsolver6v33100L18trti2_kernel_smallILi51E19rocblas_complex_numIdEPKPS3_EEv13rocblas_fill_17rocblas_diagonal_T1_iil
    .private_segment_fixed_size: 832
    .sgpr_count:     83
    .sgpr_spill_count: 0
    .symbol:         _ZN9rocsolver6v33100L18trti2_kernel_smallILi51E19rocblas_complex_numIdEPKPS3_EEv13rocblas_fill_17rocblas_diagonal_T1_iil.kd
    .uniform_work_group_size: 1
    .uses_dynamic_stack: false
    .vgpr_count:     124
    .vgpr_spill_count: 0
    .wavefront_size: 32
    .workgroup_processor_mode: 1
  - .args:
      - .offset:         0
        .size:           4
        .value_kind:     by_value
      - .offset:         4
        .size:           4
        .value_kind:     by_value
      - .address_space:  global
        .offset:         8
        .size:           8
        .value_kind:     global_buffer
      - .offset:         16
        .size:           4
        .value_kind:     by_value
      - .offset:         20
        .size:           4
        .value_kind:     by_value
      - .offset:         24
        .size:           8
        .value_kind:     by_value
    .group_segment_fixed_size: 1664
    .kernarg_segment_align: 8
    .kernarg_segment_size: 32
    .language:       OpenCL C
    .language_version:
      - 2
      - 0
    .max_flat_workgroup_size: 64
    .name:           _ZN9rocsolver6v33100L18trti2_kernel_smallILi52E19rocblas_complex_numIdEPKPS3_EEv13rocblas_fill_17rocblas_diagonal_T1_iil
    .private_segment_fixed_size: 848
    .sgpr_count:     85
    .sgpr_spill_count: 0
    .symbol:         _ZN9rocsolver6v33100L18trti2_kernel_smallILi52E19rocblas_complex_numIdEPKPS3_EEv13rocblas_fill_17rocblas_diagonal_T1_iil.kd
    .uniform_work_group_size: 1
    .uses_dynamic_stack: false
    .vgpr_count:     126
    .vgpr_spill_count: 0
    .wavefront_size: 32
    .workgroup_processor_mode: 1
  - .args:
      - .offset:         0
        .size:           4
        .value_kind:     by_value
      - .offset:         4
        .size:           4
        .value_kind:     by_value
      - .address_space:  global
        .offset:         8
        .size:           8
        .value_kind:     global_buffer
      - .offset:         16
        .size:           4
        .value_kind:     by_value
      - .offset:         20
        .size:           4
        .value_kind:     by_value
      - .offset:         24
        .size:           8
        .value_kind:     by_value
    .group_segment_fixed_size: 1696
    .kernarg_segment_align: 8
    .kernarg_segment_size: 32
    .language:       OpenCL C
    .language_version:
      - 2
      - 0
    .max_flat_workgroup_size: 64
    .name:           _ZN9rocsolver6v33100L18trti2_kernel_smallILi53E19rocblas_complex_numIdEPKPS3_EEv13rocblas_fill_17rocblas_diagonal_T1_iil
    .private_segment_fixed_size: 864
    .sgpr_count:     86
    .sgpr_spill_count: 0
    .symbol:         _ZN9rocsolver6v33100L18trti2_kernel_smallILi53E19rocblas_complex_numIdEPKPS3_EEv13rocblas_fill_17rocblas_diagonal_T1_iil.kd
    .uniform_work_group_size: 1
    .uses_dynamic_stack: false
    .vgpr_count:     128
    .vgpr_spill_count: 0
    .wavefront_size: 32
    .workgroup_processor_mode: 1
  - .args:
      - .offset:         0
        .size:           4
        .value_kind:     by_value
      - .offset:         4
        .size:           4
        .value_kind:     by_value
      - .address_space:  global
        .offset:         8
        .size:           8
        .value_kind:     global_buffer
      - .offset:         16
        .size:           4
        .value_kind:     by_value
      - .offset:         20
        .size:           4
        .value_kind:     by_value
      - .offset:         24
        .size:           8
        .value_kind:     by_value
    .group_segment_fixed_size: 1728
    .kernarg_segment_align: 8
    .kernarg_segment_size: 32
    .language:       OpenCL C
    .language_version:
      - 2
      - 0
    .max_flat_workgroup_size: 64
    .name:           _ZN9rocsolver6v33100L18trti2_kernel_smallILi54E19rocblas_complex_numIdEPKPS3_EEv13rocblas_fill_17rocblas_diagonal_T1_iil
    .private_segment_fixed_size: 880
    .sgpr_count:     88
    .sgpr_spill_count: 0
    .symbol:         _ZN9rocsolver6v33100L18trti2_kernel_smallILi54E19rocblas_complex_numIdEPKPS3_EEv13rocblas_fill_17rocblas_diagonal_T1_iil.kd
    .uniform_work_group_size: 1
    .uses_dynamic_stack: false
    .vgpr_count:     130
    .vgpr_spill_count: 0
    .wavefront_size: 32
    .workgroup_processor_mode: 1
  - .args:
      - .offset:         0
        .size:           4
        .value_kind:     by_value
      - .offset:         4
        .size:           4
        .value_kind:     by_value
      - .address_space:  global
        .offset:         8
        .size:           8
        .value_kind:     global_buffer
      - .offset:         16
        .size:           4
        .value_kind:     by_value
      - .offset:         20
        .size:           4
        .value_kind:     by_value
      - .offset:         24
        .size:           8
        .value_kind:     by_value
    .group_segment_fixed_size: 1760
    .kernarg_segment_align: 8
    .kernarg_segment_size: 32
    .language:       OpenCL C
    .language_version:
      - 2
      - 0
    .max_flat_workgroup_size: 64
    .name:           _ZN9rocsolver6v33100L18trti2_kernel_smallILi55E19rocblas_complex_numIdEPKPS3_EEv13rocblas_fill_17rocblas_diagonal_T1_iil
    .private_segment_fixed_size: 896
    .sgpr_count:     89
    .sgpr_spill_count: 0
    .symbol:         _ZN9rocsolver6v33100L18trti2_kernel_smallILi55E19rocblas_complex_numIdEPKPS3_EEv13rocblas_fill_17rocblas_diagonal_T1_iil.kd
    .uniform_work_group_size: 1
    .uses_dynamic_stack: false
    .vgpr_count:     132
    .vgpr_spill_count: 0
    .wavefront_size: 32
    .workgroup_processor_mode: 1
  - .args:
      - .offset:         0
        .size:           4
        .value_kind:     by_value
      - .offset:         4
        .size:           4
        .value_kind:     by_value
      - .address_space:  global
        .offset:         8
        .size:           8
        .value_kind:     global_buffer
      - .offset:         16
        .size:           4
        .value_kind:     by_value
      - .offset:         20
        .size:           4
        .value_kind:     by_value
      - .offset:         24
        .size:           8
        .value_kind:     by_value
    .group_segment_fixed_size: 1792
    .kernarg_segment_align: 8
    .kernarg_segment_size: 32
    .language:       OpenCL C
    .language_version:
      - 2
      - 0
    .max_flat_workgroup_size: 64
    .name:           _ZN9rocsolver6v33100L18trti2_kernel_smallILi56E19rocblas_complex_numIdEPKPS3_EEv13rocblas_fill_17rocblas_diagonal_T1_iil
    .private_segment_fixed_size: 912
    .sgpr_count:     91
    .sgpr_spill_count: 0
    .symbol:         _ZN9rocsolver6v33100L18trti2_kernel_smallILi56E19rocblas_complex_numIdEPKPS3_EEv13rocblas_fill_17rocblas_diagonal_T1_iil.kd
    .uniform_work_group_size: 1
    .uses_dynamic_stack: false
    .vgpr_count:     134
    .vgpr_spill_count: 0
    .wavefront_size: 32
    .workgroup_processor_mode: 1
  - .args:
      - .offset:         0
        .size:           4
        .value_kind:     by_value
      - .offset:         4
        .size:           4
        .value_kind:     by_value
      - .address_space:  global
        .offset:         8
        .size:           8
        .value_kind:     global_buffer
      - .offset:         16
        .size:           4
        .value_kind:     by_value
      - .offset:         20
        .size:           4
        .value_kind:     by_value
      - .offset:         24
        .size:           8
        .value_kind:     by_value
    .group_segment_fixed_size: 1824
    .kernarg_segment_align: 8
    .kernarg_segment_size: 32
    .language:       OpenCL C
    .language_version:
      - 2
      - 0
    .max_flat_workgroup_size: 64
    .name:           _ZN9rocsolver6v33100L18trti2_kernel_smallILi57E19rocblas_complex_numIdEPKPS3_EEv13rocblas_fill_17rocblas_diagonal_T1_iil
    .private_segment_fixed_size: 928
    .sgpr_count:     92
    .sgpr_spill_count: 0
    .symbol:         _ZN9rocsolver6v33100L18trti2_kernel_smallILi57E19rocblas_complex_numIdEPKPS3_EEv13rocblas_fill_17rocblas_diagonal_T1_iil.kd
    .uniform_work_group_size: 1
    .uses_dynamic_stack: false
    .vgpr_count:     136
    .vgpr_spill_count: 0
    .wavefront_size: 32
    .workgroup_processor_mode: 1
  - .args:
      - .offset:         0
        .size:           4
        .value_kind:     by_value
      - .offset:         4
        .size:           4
        .value_kind:     by_value
      - .address_space:  global
        .offset:         8
        .size:           8
        .value_kind:     global_buffer
      - .offset:         16
        .size:           4
        .value_kind:     by_value
      - .offset:         20
        .size:           4
        .value_kind:     by_value
      - .offset:         24
        .size:           8
        .value_kind:     by_value
    .group_segment_fixed_size: 1856
    .kernarg_segment_align: 8
    .kernarg_segment_size: 32
    .language:       OpenCL C
    .language_version:
      - 2
      - 0
    .max_flat_workgroup_size: 64
    .name:           _ZN9rocsolver6v33100L18trti2_kernel_smallILi58E19rocblas_complex_numIdEPKPS3_EEv13rocblas_fill_17rocblas_diagonal_T1_iil
    .private_segment_fixed_size: 944
    .sgpr_count:     94
    .sgpr_spill_count: 0
    .symbol:         _ZN9rocsolver6v33100L18trti2_kernel_smallILi58E19rocblas_complex_numIdEPKPS3_EEv13rocblas_fill_17rocblas_diagonal_T1_iil.kd
    .uniform_work_group_size: 1
    .uses_dynamic_stack: false
    .vgpr_count:     138
    .vgpr_spill_count: 0
    .wavefront_size: 32
    .workgroup_processor_mode: 1
  - .args:
      - .offset:         0
        .size:           4
        .value_kind:     by_value
      - .offset:         4
        .size:           4
        .value_kind:     by_value
      - .address_space:  global
        .offset:         8
        .size:           8
        .value_kind:     global_buffer
      - .offset:         16
        .size:           4
        .value_kind:     by_value
      - .offset:         20
        .size:           4
        .value_kind:     by_value
      - .offset:         24
        .size:           8
        .value_kind:     by_value
    .group_segment_fixed_size: 1888
    .kernarg_segment_align: 8
    .kernarg_segment_size: 32
    .language:       OpenCL C
    .language_version:
      - 2
      - 0
    .max_flat_workgroup_size: 64
    .name:           _ZN9rocsolver6v33100L18trti2_kernel_smallILi59E19rocblas_complex_numIdEPKPS3_EEv13rocblas_fill_17rocblas_diagonal_T1_iil
    .private_segment_fixed_size: 960
    .sgpr_count:     95
    .sgpr_spill_count: 0
    .symbol:         _ZN9rocsolver6v33100L18trti2_kernel_smallILi59E19rocblas_complex_numIdEPKPS3_EEv13rocblas_fill_17rocblas_diagonal_T1_iil.kd
    .uniform_work_group_size: 1
    .uses_dynamic_stack: false
    .vgpr_count:     140
    .vgpr_spill_count: 0
    .wavefront_size: 32
    .workgroup_processor_mode: 1
  - .args:
      - .offset:         0
        .size:           4
        .value_kind:     by_value
      - .offset:         4
        .size:           4
        .value_kind:     by_value
      - .address_space:  global
        .offset:         8
        .size:           8
        .value_kind:     global_buffer
      - .offset:         16
        .size:           4
        .value_kind:     by_value
      - .offset:         20
        .size:           4
        .value_kind:     by_value
      - .offset:         24
        .size:           8
        .value_kind:     by_value
    .group_segment_fixed_size: 1920
    .kernarg_segment_align: 8
    .kernarg_segment_size: 32
    .language:       OpenCL C
    .language_version:
      - 2
      - 0
    .max_flat_workgroup_size: 64
    .name:           _ZN9rocsolver6v33100L18trti2_kernel_smallILi60E19rocblas_complex_numIdEPKPS3_EEv13rocblas_fill_17rocblas_diagonal_T1_iil
    .private_segment_fixed_size: 976
    .sgpr_count:     97
    .sgpr_spill_count: 0
    .symbol:         _ZN9rocsolver6v33100L18trti2_kernel_smallILi60E19rocblas_complex_numIdEPKPS3_EEv13rocblas_fill_17rocblas_diagonal_T1_iil.kd
    .uniform_work_group_size: 1
    .uses_dynamic_stack: false
    .vgpr_count:     142
    .vgpr_spill_count: 0
    .wavefront_size: 32
    .workgroup_processor_mode: 1
  - .args:
      - .offset:         0
        .size:           4
        .value_kind:     by_value
      - .offset:         4
        .size:           4
        .value_kind:     by_value
      - .address_space:  global
        .offset:         8
        .size:           8
        .value_kind:     global_buffer
      - .offset:         16
        .size:           4
        .value_kind:     by_value
      - .offset:         20
        .size:           4
        .value_kind:     by_value
      - .offset:         24
        .size:           8
        .value_kind:     by_value
    .group_segment_fixed_size: 1952
    .kernarg_segment_align: 8
    .kernarg_segment_size: 32
    .language:       OpenCL C
    .language_version:
      - 2
      - 0
    .max_flat_workgroup_size: 64
    .name:           _ZN9rocsolver6v33100L18trti2_kernel_smallILi61E19rocblas_complex_numIdEPKPS3_EEv13rocblas_fill_17rocblas_diagonal_T1_iil
    .private_segment_fixed_size: 992
    .sgpr_count:     99
    .sgpr_spill_count: 0
    .symbol:         _ZN9rocsolver6v33100L18trti2_kernel_smallILi61E19rocblas_complex_numIdEPKPS3_EEv13rocblas_fill_17rocblas_diagonal_T1_iil.kd
    .uniform_work_group_size: 1
    .uses_dynamic_stack: false
    .vgpr_count:     185
    .vgpr_spill_count: 0
    .wavefront_size: 32
    .workgroup_processor_mode: 1
  - .args:
      - .offset:         0
        .size:           4
        .value_kind:     by_value
      - .offset:         4
        .size:           4
        .value_kind:     by_value
      - .address_space:  global
        .offset:         8
        .size:           8
        .value_kind:     global_buffer
      - .offset:         16
        .size:           4
        .value_kind:     by_value
      - .offset:         20
        .size:           4
        .value_kind:     by_value
      - .offset:         24
        .size:           8
        .value_kind:     by_value
    .group_segment_fixed_size: 1984
    .kernarg_segment_align: 8
    .kernarg_segment_size: 32
    .language:       OpenCL C
    .language_version:
      - 2
      - 0
    .max_flat_workgroup_size: 64
    .name:           _ZN9rocsolver6v33100L18trti2_kernel_smallILi62E19rocblas_complex_numIdEPKPS3_EEv13rocblas_fill_17rocblas_diagonal_T1_iil
    .private_segment_fixed_size: 1008
    .sgpr_count:     100
    .sgpr_spill_count: 0
    .symbol:         _ZN9rocsolver6v33100L18trti2_kernel_smallILi62E19rocblas_complex_numIdEPKPS3_EEv13rocblas_fill_17rocblas_diagonal_T1_iil.kd
    .uniform_work_group_size: 1
    .uses_dynamic_stack: false
    .vgpr_count:     187
    .vgpr_spill_count: 0
    .wavefront_size: 32
    .workgroup_processor_mode: 1
  - .args:
      - .offset:         0
        .size:           4
        .value_kind:     by_value
      - .offset:         4
        .size:           4
        .value_kind:     by_value
      - .address_space:  global
        .offset:         8
        .size:           8
        .value_kind:     global_buffer
      - .offset:         16
        .size:           4
        .value_kind:     by_value
      - .offset:         20
        .size:           4
        .value_kind:     by_value
      - .offset:         24
        .size:           8
        .value_kind:     by_value
    .group_segment_fixed_size: 2016
    .kernarg_segment_align: 8
    .kernarg_segment_size: 32
    .language:       OpenCL C
    .language_version:
      - 2
      - 0
    .max_flat_workgroup_size: 64
    .name:           _ZN9rocsolver6v33100L18trti2_kernel_smallILi63E19rocblas_complex_numIdEPKPS3_EEv13rocblas_fill_17rocblas_diagonal_T1_iil
    .private_segment_fixed_size: 1024
    .sgpr_count:     102
    .sgpr_spill_count: 0
    .symbol:         _ZN9rocsolver6v33100L18trti2_kernel_smallILi63E19rocblas_complex_numIdEPKPS3_EEv13rocblas_fill_17rocblas_diagonal_T1_iil.kd
    .uniform_work_group_size: 1
    .uses_dynamic_stack: false
    .vgpr_count:     189
    .vgpr_spill_count: 0
    .wavefront_size: 32
    .workgroup_processor_mode: 1
  - .args:
      - .offset:         0
        .size:           4
        .value_kind:     by_value
      - .offset:         4
        .size:           4
        .value_kind:     by_value
      - .address_space:  global
        .offset:         8
        .size:           8
        .value_kind:     global_buffer
      - .offset:         16
        .size:           4
        .value_kind:     by_value
      - .offset:         20
        .size:           4
        .value_kind:     by_value
      - .offset:         24
        .size:           8
        .value_kind:     by_value
    .group_segment_fixed_size: 2048
    .kernarg_segment_align: 8
    .kernarg_segment_size: 32
    .language:       OpenCL C
    .language_version:
      - 2
      - 0
    .max_flat_workgroup_size: 64
    .name:           _ZN9rocsolver6v33100L18trti2_kernel_smallILi64E19rocblas_complex_numIdEPKPS3_EEv13rocblas_fill_17rocblas_diagonal_T1_iil
    .private_segment_fixed_size: 1040
    .sgpr_count:     103
    .sgpr_spill_count: 0
    .symbol:         _ZN9rocsolver6v33100L18trti2_kernel_smallILi64E19rocblas_complex_numIdEPKPS3_EEv13rocblas_fill_17rocblas_diagonal_T1_iil.kd
    .uniform_work_group_size: 1
    .uses_dynamic_stack: false
    .vgpr_count:     187
    .vgpr_spill_count: 0
    .wavefront_size: 32
    .workgroup_processor_mode: 1
amdhsa.target:   amdgcn-amd-amdhsa--gfx1030
amdhsa.version:
  - 1
  - 2
...

	.end_amdgpu_metadata
